;; amdgpu-corpus repo=pytorch/pytorch kind=compiled arch=gfx90a opt=O3
	.text
	.amdgcn_target "amdgcn-amd-amdhsa--gfx90a"
	.amdhsa_code_object_version 6
	.section	.text._ZN2at6native20bitonicSortKVInPlaceILin2ELin1ELi16ELi16EhlNS0_4LTOpIhLb1EEEjEEvNS_4cuda6detail10TensorInfoIT3_T6_EES8_S8_S8_NS6_IT4_S8_EES8_T5_,"axG",@progbits,_ZN2at6native20bitonicSortKVInPlaceILin2ELin1ELi16ELi16EhlNS0_4LTOpIhLb1EEEjEEvNS_4cuda6detail10TensorInfoIT3_T6_EES8_S8_S8_NS6_IT4_S8_EES8_T5_,comdat
	.protected	_ZN2at6native20bitonicSortKVInPlaceILin2ELin1ELi16ELi16EhlNS0_4LTOpIhLb1EEEjEEvNS_4cuda6detail10TensorInfoIT3_T6_EES8_S8_S8_NS6_IT4_S8_EES8_T5_ ; -- Begin function _ZN2at6native20bitonicSortKVInPlaceILin2ELin1ELi16ELi16EhlNS0_4LTOpIhLb1EEEjEEvNS_4cuda6detail10TensorInfoIT3_T6_EES8_S8_S8_NS6_IT4_S8_EES8_T5_
	.globl	_ZN2at6native20bitonicSortKVInPlaceILin2ELin1ELi16ELi16EhlNS0_4LTOpIhLb1EEEjEEvNS_4cuda6detail10TensorInfoIT3_T6_EES8_S8_S8_NS6_IT4_S8_EES8_T5_
	.p2align	8
	.type	_ZN2at6native20bitonicSortKVInPlaceILin2ELin1ELi16ELi16EhlNS0_4LTOpIhLb1EEEjEEvNS_4cuda6detail10TensorInfoIT3_T6_EES8_S8_S8_NS6_IT4_S8_EES8_T5_,@function
_ZN2at6native20bitonicSortKVInPlaceILin2ELin1ELi16ELi16EhlNS0_4LTOpIhLb1EEEjEEvNS_4cuda6detail10TensorInfoIT3_T6_EES8_S8_S8_NS6_IT4_S8_EES8_T5_: ; @_ZN2at6native20bitonicSortKVInPlaceILin2ELin1ELi16ELi16EhlNS0_4LTOpIhLb1EEEjEEvNS_4cuda6detail10TensorInfoIT3_T6_EES8_S8_S8_NS6_IT4_S8_EES8_T5_
; %bb.0:
	s_load_dwordx2 s[2:3], s[4:5], 0x1c8
	s_load_dwordx4 s[12:15], s[4:5], 0xd8
	s_load_dword s9, s[4:5], 0x1d4
	s_add_u32 s0, s4, 0x1c8
	s_addc_u32 s1, s5, 0
	s_waitcnt lgkmcnt(0)
	s_mul_i32 s3, s3, s8
	s_add_i32 s3, s3, s7
	s_mul_i32 s2, s3, s2
	s_add_i32 s8, s2, s6
	s_lshr_b32 s2, s9, 16
	s_mul_i32 s8, s8, s2
	s_cmp_ge_u32 s8, s12
	s_cbranch_scc1 .LBB0_86
; %bb.1:
	s_load_dwordx2 s[6:7], s[4:5], 0x0
	s_load_dword s9, s[4:5], 0x1b8
	s_add_u32 s2, s4, 0xe8
	v_bfe_u32 v8, v0, 10, 10
	s_addc_u32 s3, s5, 0
	v_add_u32_e32 v1, s8, v8
	s_waitcnt lgkmcnt(0)
	s_cmp_lt_i32 s9, 2
	v_mov_b32_e32 v4, 0
	v_mov_b32_e32 v3, v1
	s_cbranch_scc1 .LBB0_4
; %bb.2:
	s_add_i32 s10, s9, 1
	s_add_i32 s8, s9, -1
	s_mov_b32 s9, 0
	s_lshl_b64 s[8:9], s[8:9], 2
	s_add_u32 s8, s8, s2
	s_addc_u32 s9, s9, s3
	s_add_u32 s8, s8, 8
	s_addc_u32 s9, s9, 0
	v_mov_b32_e32 v4, 0
	v_mov_b32_e32 v3, v1
.LBB0_3:                                ; =>This Inner Loop Header: Depth=1
	s_load_dword s11, s[8:9], 0x0
	s_load_dword s15, s[8:9], 0x64
	v_mov_b32_e32 v2, v3
	s_add_i32 s10, s10, -1
	s_waitcnt lgkmcnt(0)
	v_cvt_f32_u32_e32 v3, s11
	s_sub_i32 s16, 0, s11
	s_add_u32 s8, s8, -4
	s_addc_u32 s9, s9, -1
	v_rcp_iflag_f32_e32 v3, v3
	s_cmp_gt_u32 s10, 2
	v_mul_f32_e32 v3, 0x4f7ffffe, v3
	v_cvt_u32_f32_e32 v3, v3
	v_mul_lo_u32 v5, s16, v3
	v_mul_hi_u32 v5, v3, v5
	v_add_u32_e32 v3, v3, v5
	v_mul_hi_u32 v3, v2, v3
	v_mul_lo_u32 v5, v3, s11
	v_sub_u32_e32 v5, v2, v5
	v_add_u32_e32 v6, 1, v3
	v_cmp_le_u32_e32 vcc, s11, v5
	v_cndmask_b32_e32 v3, v3, v6, vcc
	v_subrev_u32_e32 v6, s11, v5
	v_cndmask_b32_e32 v5, v5, v6, vcc
	v_add_u32_e32 v6, 1, v3
	v_cmp_le_u32_e32 vcc, s11, v5
	v_cndmask_b32_e32 v3, v3, v6, vcc
	v_mul_lo_u32 v5, v3, s11
	v_sub_u32_e32 v2, v2, v5
	v_mad_u64_u32 v[4:5], s[16:17], s15, v2, v[4:5]
	s_cbranch_scc1 .LBB0_3
.LBB0_4:
	s_load_dword s8, s[4:5], 0x6c
	s_load_dword s15, s[4:5], 0x1c0
	;; [unrolled: 1-line block ×3, first 2 shown]
	v_cmp_gt_u32_e32 vcc, s12, v1
	s_load_dword s12, s[0:1], 0xc
	s_waitcnt lgkmcnt(0)
	v_mul_lo_u32 v2, s8, v1
	s_load_dwordx2 s[8:9], s[2:3], 0x0
	v_mad_u64_u32 v[4:5], s[2:3], s10, v3, v[4:5]
	v_and_b32_e32 v3, 0x3ff, v0
	v_cmp_gt_u32_e64 s[0:1], s13, v3
	v_pk_mov_b32 v[0:1], 0, 0
	s_and_b64 s[4:5], vcc, s[0:1]
	v_mov_b32_e32 v10, 0
	v_mov_b32_e32 v5, 0
	v_pk_mov_b32 v[6:7], v[0:1], v[0:1] op_sel:[0,1]
	s_and_saveexec_b64 s[10:11], s[4:5]
	s_cbranch_execz .LBB0_6
; %bb.5:
	v_mad_u64_u32 v[6:7], s[2:3], v3, s14, v[2:3]
	global_load_ubyte v5, v6, s[6:7]
	s_waitcnt lgkmcnt(0)
	v_mov_b32_e32 v9, s9
	s_waitcnt vmcnt(0)
	v_mad_u64_u32 v[6:7], s[2:3], v3, s15, v[4:5]
	v_mov_b32_e32 v7, 0
	v_lshlrev_b64 v[6:7], 3, v[6:7]
	v_add_co_u32_e64 v6, s[2:3], s8, v6
	v_addc_co_u32_e64 v7, s[2:3], v9, v7, s[2:3]
	global_load_dwordx2 v[6:7], v[6:7], off
.LBB0_6:
	s_or_b64 exec, exec, s[10:11]
	v_lshlrev_b32_e32 v9, 5, v8
	v_add_u32_e32 v16, 0x1000, v9
	v_add_u32_e32 v15, 0x1200, v9
	;; [unrolled: 1-line block ×3, first 2 shown]
	s_and_b32 s16, 0xffff, s12
	v_cndmask_b32_e64 v11, 0, 1, s[4:5]
	ds_write_b8 v9, v5
	v_add_u32_e32 v5, v15, v3
	ds_write_b8 v5, v11
	v_add_u32_e32 v5, s16, v3
	v_lshlrev_b32_e32 v13, 8, v8
	v_cmp_gt_u32_e64 s[2:3], s13, v5
	v_lshl_add_u32 v8, v3, 3, v13
	s_and_b64 s[10:11], vcc, s[2:3]
	s_waitcnt vmcnt(0)
	ds_write_b64 v8, v[6:7]
	s_and_saveexec_b64 s[12:13], s[10:11]
	s_cbranch_execz .LBB0_8
; %bb.7:
	v_mad_u64_u32 v[0:1], s[4:5], v5, s14, v[2:3]
	global_load_ubyte v10, v0, s[6:7]
	v_mad_u64_u32 v[0:1], s[4:5], v5, s15, v[4:5]
	v_mov_b32_e32 v1, 0
	v_lshlrev_b64 v[0:1], 3, v[0:1]
	s_waitcnt lgkmcnt(0)
	v_mov_b32_e32 v6, s9
	v_add_co_u32_e64 v0, s[4:5], s8, v0
	v_addc_co_u32_e64 v1, s[4:5], v6, v1, s[4:5]
	global_load_dwordx2 v[0:1], v[0:1], off
.LBB0_8:
	s_or_b64 exec, exec, s[12:13]
	v_lshl_add_u32 v6, s16, 3, v8
	v_lshlrev_b32_e32 v17, 1, v3
	v_cndmask_b32_e64 v11, 0, 1, s[10:11]
	v_add_u32_e32 v7, v16, v5
	s_waitcnt vmcnt(0)
	ds_write_b64 v6, v[0:1]
	v_add_u32_e32 v0, v15, v5
	v_add_u32_e32 v1, v16, v17
	ds_write_b8 v7, v10
	ds_write_b8 v0, v11
	s_waitcnt lgkmcnt(0)
	s_barrier
	ds_read_u16 v11, v1
	s_mov_b32 s16, 1
	v_add_u32_e32 v0, v15, v17
	s_waitcnt lgkmcnt(0)
	v_cmp_ge_u16_sdwa s[10:11], v11, v11 src0_sel:BYTE_0 src1_sel:BYTE_1
	v_cmp_lt_u16_sdwa s[4:5], v11, v11 src0_sel:BYTE_0 src1_sel:BYTE_1
	s_and_saveexec_b64 s[12:13], s[4:5]
	s_xor_b64 s[12:13], exec, s[12:13]
	s_cbranch_execz .LBB0_10
; %bb.9:
	ds_read_u8 v10, v0
	s_andn2_b64 s[10:11], s[10:11], exec
	s_waitcnt lgkmcnt(0)
	v_and_b32_e32 v10, 1, v10
	v_cmp_eq_u32_e64 s[4:5], 1, v10
	s_xor_b64 s[4:5], s[4:5], -1
	s_and_b64 s[4:5], s[4:5], exec
	s_or_b64 s[10:11], s[10:11], s[4:5]
.LBB0_10:
	s_or_b64 exec, exec, s[12:13]
	v_mov_b32_e32 v14, s16
	s_and_saveexec_b64 s[4:5], s[10:11]
	s_cbranch_execz .LBB0_12
; %bb.11:
	ds_read_u8 v10, v0 offset:1
	s_waitcnt lgkmcnt(0)
	v_xor_b32_e32 v14, 1, v10
.LBB0_12:
	s_or_b64 exec, exec, s[4:5]
	v_and_b32_e32 v12, 1, v3
	v_lshlrev_b32_e32 v10, 3, v3
	v_cmp_eq_u32_e64 s[4:5], v14, v12
	s_and_saveexec_b64 s[10:11], s[4:5]
	s_cbranch_execz .LBB0_14
; %bb.13:
	v_add_u32_e32 v14, v8, v10
	ds_read_b128 v[18:21], v14
	ds_read_u16 v24, v0
	v_lshlrev_b16_e32 v22, 8, v11
	v_or_b32_sdwa v11, v11, v22 dst_sel:DWORD dst_unused:UNUSED_PAD src0_sel:BYTE_1 src1_sel:DWORD
	s_mov_b32 s4, 0xc0c0001
	ds_write_b16 v1, v11
	s_waitcnt lgkmcnt(2)
	v_mov_b32_e32 v22, v18
	v_mov_b32_e32 v23, v19
	s_waitcnt lgkmcnt(1)
	v_perm_b32 v11, 0, v24, s4
	ds_write_b128 v14, v[20:23]
	ds_write_b16 v0, v11
.LBB0_14:
	s_or_b64 exec, exec, s[10:11]
	v_sub_u32_e32 v14, v17, v12
	v_add_u32_e32 v11, v16, v14
	s_waitcnt lgkmcnt(0)
	s_barrier
	ds_read_u8 v19, v11
	ds_read_u8 v20, v11 offset:2
	s_mov_b64 s[10:11], -1
	v_add_u32_e32 v12, v15, v14
                                        ; implicit-def: $sgpr16
	s_waitcnt lgkmcnt(0)
	v_cmp_lt_u16_e64 s[4:5], v19, v20
	s_and_saveexec_b64 s[12:13], s[4:5]
	s_xor_b64 s[12:13], exec, s[12:13]
	s_cbranch_execz .LBB0_16
; %bb.15:
	ds_read_u8 v18, v12
	s_mov_b32 s16, 1
	s_waitcnt lgkmcnt(0)
	v_and_b32_e32 v18, 1, v18
	v_cmp_eq_u32_e64 s[4:5], 1, v18
	s_xor_b64 s[4:5], s[4:5], -1
	s_orn2_b64 s[10:11], s[4:5], exec
.LBB0_16:
	s_or_b64 exec, exec, s[12:13]
	v_mov_b32_e32 v21, s16
	s_and_saveexec_b64 s[4:5], s[10:11]
	s_cbranch_execz .LBB0_18
; %bb.17:
	ds_read_u8 v18, v12 offset:2
	s_waitcnt lgkmcnt(0)
	v_xor_b32_e32 v21, 1, v18
.LBB0_18:
	s_or_b64 exec, exec, s[4:5]
	v_bfe_u32 v18, v3, 1, 1
	v_lshl_add_u32 v14, v14, 3, v13
	v_cmp_eq_u32_e64 s[4:5], v21, v18
	s_and_saveexec_b64 s[10:11], s[4:5]
	s_cbranch_execz .LBB0_20
; %bb.19:
	ds_read2_b64 v[22:25], v14 offset1:2
	ds_read_u8 v21, v12 offset:2
	ds_read_u8 v26, v12
	ds_write_b8 v11, v20
	ds_write_b8 v11, v19 offset:2
	s_waitcnt lgkmcnt(4)
	ds_write2_b64 v14, v[24:25], v[22:23] offset1:2
	s_waitcnt lgkmcnt(4)
	ds_write_b8 v12, v21
	s_waitcnt lgkmcnt(4)
	ds_write_b8 v12, v26 offset:2
.LBB0_20:
	s_or_b64 exec, exec, s[10:11]
	s_waitcnt lgkmcnt(0)
	s_barrier
	ds_read_u16 v19, v1
                                        ; implicit-def: $sgpr16
	s_waitcnt lgkmcnt(0)
	v_cmp_ge_u16_sdwa s[10:11], v19, v19 src0_sel:BYTE_0 src1_sel:BYTE_1
	v_cmp_lt_u16_sdwa s[4:5], v19, v19 src0_sel:BYTE_0 src1_sel:BYTE_1
	s_and_saveexec_b64 s[12:13], s[4:5]
	s_cbranch_execnz .LBB0_87
; %bb.21:
	s_or_b64 exec, exec, s[12:13]
	v_mov_b32_e32 v20, s16
	s_and_saveexec_b64 s[4:5], s[10:11]
	s_cbranch_execnz .LBB0_88
.LBB0_22:
	s_or_b64 exec, exec, s[4:5]
	v_cmp_eq_u32_e64 s[4:5], v20, v18
	s_and_saveexec_b64 s[10:11], s[4:5]
	s_cbranch_execz .LBB0_24
.LBB0_23:
	v_add_u32_e32 v24, v8, v10
	ds_read_b128 v[20:23], v24
	ds_read_u16 v25, v0
	v_lshlrev_b16_e32 v18, 8, v19
	v_or_b32_sdwa v18, v19, v18 dst_sel:DWORD dst_unused:UNUSED_PAD src0_sel:BYTE_1 src1_sel:DWORD
	ds_write_b16 v1, v18
	s_waitcnt lgkmcnt(2)
	v_mov_b32_e32 v18, v22
	v_mov_b32_e32 v19, v23
	s_mov_b32 s4, 0xc0c0001
	ds_write_b128 v24, v[18:21]
	s_waitcnt lgkmcnt(2)
	v_perm_b32 v18, 0, v25, s4
	ds_write_b16 v0, v18
.LBB0_24:
	s_or_b64 exec, exec, s[10:11]
	v_and_b32_e32 v18, 3, v3
	v_sub_u32_e32 v20, v17, v18
	v_add_u32_e32 v18, v16, v20
	s_waitcnt lgkmcnt(0)
	s_barrier
	ds_read_u8 v22, v18
	ds_read_u8 v23, v18 offset:4
	v_add_u32_e32 v19, v15, v20
                                        ; implicit-def: $sgpr16
	s_waitcnt lgkmcnt(0)
	v_cmp_ge_u16_e64 s[10:11], v22, v23
	v_cmp_lt_u16_e64 s[4:5], v22, v23
	s_and_saveexec_b64 s[12:13], s[4:5]
	s_cbranch_execz .LBB0_26
; %bb.25:
	ds_read_u8 v21, v19
	s_andn2_b64 s[10:11], s[10:11], exec
	s_mov_b32 s16, 1
	s_waitcnt lgkmcnt(0)
	v_and_b32_e32 v21, 1, v21
	v_cmp_eq_u32_e64 s[4:5], 1, v21
	s_xor_b64 s[4:5], s[4:5], -1
	s_and_b64 s[4:5], s[4:5], exec
	s_or_b64 s[10:11], s[10:11], s[4:5]
.LBB0_26:
	s_or_b64 exec, exec, s[12:13]
	v_mov_b32_e32 v24, s16
	s_and_saveexec_b64 s[4:5], s[10:11]
	s_cbranch_execz .LBB0_28
; %bb.27:
	ds_read_u8 v21, v19 offset:4
	s_waitcnt lgkmcnt(0)
	v_xor_b32_e32 v24, 1, v21
.LBB0_28:
	s_or_b64 exec, exec, s[4:5]
	v_bfe_u32 v21, v3, 2, 1
	v_lshl_add_u32 v20, v20, 3, v13
	v_cmp_eq_u32_e64 s[4:5], v24, v21
	s_and_saveexec_b64 s[10:11], s[4:5]
	s_cbranch_execz .LBB0_30
; %bb.29:
	ds_read2_b64 v[24:27], v20 offset1:4
	ds_read_u8 v28, v19 offset:4
	ds_read_u8 v29, v19
	ds_write_b8 v18, v23
	ds_write_b8 v18, v22 offset:4
	s_waitcnt lgkmcnt(4)
	ds_write2_b64 v20, v[26:27], v[24:25] offset1:4
	s_waitcnt lgkmcnt(4)
	ds_write_b8 v19, v28
	s_waitcnt lgkmcnt(4)
	ds_write_b8 v19, v29 offset:4
.LBB0_30:
	s_or_b64 exec, exec, s[10:11]
	s_waitcnt lgkmcnt(0)
	s_barrier
	ds_read_u8 v22, v11
	ds_read_u8 v23, v11 offset:2
                                        ; implicit-def: $sgpr16
	s_waitcnt lgkmcnt(0)
	v_cmp_ge_u16_e64 s[10:11], v22, v23
	v_cmp_lt_u16_e64 s[4:5], v22, v23
	s_and_saveexec_b64 s[12:13], s[4:5]
	s_cbranch_execnz .LBB0_89
; %bb.31:
	s_or_b64 exec, exec, s[12:13]
	v_mov_b32_e32 v24, s16
	s_and_saveexec_b64 s[4:5], s[10:11]
	s_cbranch_execnz .LBB0_90
.LBB0_32:
	s_or_b64 exec, exec, s[4:5]
	v_cmp_eq_u32_e64 s[4:5], v24, v21
	s_and_saveexec_b64 s[10:11], s[4:5]
	s_cbranch_execz .LBB0_34
.LBB0_33:
	ds_read2_b64 v[24:27], v14 offset1:2
	ds_read_u8 v28, v12 offset:2
	ds_read_u8 v29, v12
	ds_write_b8 v11, v23
	ds_write_b8 v11, v22 offset:2
	s_waitcnt lgkmcnt(4)
	ds_write2_b64 v14, v[26:27], v[24:25] offset1:2
	s_waitcnt lgkmcnt(4)
	ds_write_b8 v12, v28
	s_waitcnt lgkmcnt(4)
	ds_write_b8 v12, v29 offset:2
.LBB0_34:
	s_or_b64 exec, exec, s[10:11]
	s_waitcnt lgkmcnt(0)
	s_barrier
	ds_read_u16 v22, v1
                                        ; implicit-def: $sgpr16
	s_waitcnt lgkmcnt(0)
	v_cmp_ge_u16_sdwa s[10:11], v22, v22 src0_sel:BYTE_0 src1_sel:BYTE_1
	v_cmp_lt_u16_sdwa s[4:5], v22, v22 src0_sel:BYTE_0 src1_sel:BYTE_1
	s_and_saveexec_b64 s[12:13], s[4:5]
	s_cbranch_execnz .LBB0_91
; %bb.35:
	s_or_b64 exec, exec, s[12:13]
	v_mov_b32_e32 v23, s16
	s_and_saveexec_b64 s[4:5], s[10:11]
	s_cbranch_execnz .LBB0_92
.LBB0_36:
	s_or_b64 exec, exec, s[4:5]
	v_cmp_eq_u32_e64 s[4:5], v23, v21
	s_and_saveexec_b64 s[10:11], s[4:5]
	s_cbranch_execz .LBB0_38
.LBB0_37:
	v_add_u32_e32 v21, v8, v10
	ds_read_b128 v[24:27], v21
	ds_read_u16 v28, v0
	v_lshlrev_b16_e32 v23, 8, v22
	v_or_b32_sdwa v22, v22, v23 dst_sel:DWORD dst_unused:UNUSED_PAD src0_sel:BYTE_1 src1_sel:DWORD
	ds_write_b16 v1, v22
	s_waitcnt lgkmcnt(2)
	v_mov_b32_e32 v22, v26
	v_mov_b32_e32 v23, v27
	s_mov_b32 s4, 0xc0c0001
	ds_write_b128 v21, v[22:25]
	s_waitcnt lgkmcnt(2)
	v_perm_b32 v21, 0, v28, s4
	ds_write_b16 v0, v21
.LBB0_38:
	s_or_b64 exec, exec, s[10:11]
	v_and_b32_e32 v21, 7, v3
	v_sub_u32_e32 v23, v17, v21
	v_add_u32_e32 v21, v16, v23
	s_waitcnt lgkmcnt(0)
	s_barrier
	ds_read_u8 v25, v21
	ds_read_u8 v26, v21 offset:8
	v_add_u32_e32 v22, v15, v23
                                        ; implicit-def: $sgpr16
	s_waitcnt lgkmcnt(0)
	v_cmp_ge_u16_e64 s[10:11], v25, v26
	v_cmp_lt_u16_e64 s[4:5], v25, v26
	s_and_saveexec_b64 s[12:13], s[4:5]
	s_cbranch_execz .LBB0_40
; %bb.39:
	ds_read_u8 v24, v22
	s_andn2_b64 s[10:11], s[10:11], exec
	s_mov_b32 s16, 1
	s_waitcnt lgkmcnt(0)
	v_and_b32_e32 v24, 1, v24
	v_cmp_eq_u32_e64 s[4:5], 1, v24
	s_xor_b64 s[4:5], s[4:5], -1
	s_and_b64 s[4:5], s[4:5], exec
	s_or_b64 s[10:11], s[10:11], s[4:5]
.LBB0_40:
	s_or_b64 exec, exec, s[12:13]
	v_mov_b32_e32 v27, s16
	s_and_saveexec_b64 s[4:5], s[10:11]
	s_cbranch_execz .LBB0_42
; %bb.41:
	ds_read_u8 v24, v22 offset:8
	s_waitcnt lgkmcnt(0)
	v_xor_b32_e32 v27, 1, v24
.LBB0_42:
	s_or_b64 exec, exec, s[4:5]
	v_bfe_u32 v24, v3, 3, 1
	v_lshl_add_u32 v23, v23, 3, v13
	v_cmp_eq_u32_e64 s[4:5], v27, v24
	s_and_saveexec_b64 s[10:11], s[4:5]
	s_cbranch_execz .LBB0_44
; %bb.43:
	ds_read2_b64 v[28:31], v23 offset1:8
	ds_read_u8 v27, v22 offset:8
	ds_read_u8 v32, v22
	ds_write_b8 v21, v26
	ds_write_b8 v21, v25 offset:8
	s_waitcnt lgkmcnt(4)
	ds_write2_b64 v23, v[30:31], v[28:29] offset1:8
	s_waitcnt lgkmcnt(4)
	ds_write_b8 v22, v27
	s_waitcnt lgkmcnt(4)
	ds_write_b8 v22, v32 offset:8
.LBB0_44:
	s_or_b64 exec, exec, s[10:11]
	s_waitcnt lgkmcnt(0)
	s_barrier
	ds_read_u8 v25, v18
	ds_read_u8 v26, v18 offset:4
                                        ; implicit-def: $sgpr16
	s_waitcnt lgkmcnt(0)
	v_cmp_ge_u16_e64 s[10:11], v25, v26
	v_cmp_lt_u16_e64 s[4:5], v25, v26
	s_and_saveexec_b64 s[12:13], s[4:5]
	s_cbranch_execnz .LBB0_93
; %bb.45:
	s_or_b64 exec, exec, s[12:13]
	v_mov_b32_e32 v27, s16
	s_and_saveexec_b64 s[4:5], s[10:11]
	s_cbranch_execnz .LBB0_94
.LBB0_46:
	s_or_b64 exec, exec, s[4:5]
	v_cmp_eq_u32_e64 s[4:5], v27, v24
	s_and_saveexec_b64 s[10:11], s[4:5]
	s_cbranch_execz .LBB0_48
.LBB0_47:
	ds_read2_b64 v[28:31], v20 offset1:4
	ds_read_u8 v27, v19 offset:4
	ds_read_u8 v32, v19
	ds_write_b8 v18, v26
	ds_write_b8 v18, v25 offset:4
	s_waitcnt lgkmcnt(4)
	ds_write2_b64 v20, v[30:31], v[28:29] offset1:4
	s_waitcnt lgkmcnt(4)
	ds_write_b8 v19, v27
	s_waitcnt lgkmcnt(4)
	ds_write_b8 v19, v32 offset:4
.LBB0_48:
	s_or_b64 exec, exec, s[10:11]
	s_waitcnt lgkmcnt(0)
	s_barrier
	ds_read_u8 v25, v11
	ds_read_u8 v26, v11 offset:2
                                        ; implicit-def: $sgpr16
	s_waitcnt lgkmcnt(0)
	v_cmp_ge_u16_e64 s[10:11], v25, v26
	v_cmp_lt_u16_e64 s[4:5], v25, v26
	s_and_saveexec_b64 s[12:13], s[4:5]
	s_cbranch_execnz .LBB0_95
; %bb.49:
	s_or_b64 exec, exec, s[12:13]
	v_mov_b32_e32 v27, s16
	s_and_saveexec_b64 s[4:5], s[10:11]
	s_cbranch_execnz .LBB0_96
.LBB0_50:
	s_or_b64 exec, exec, s[4:5]
	v_cmp_eq_u32_e64 s[4:5], v27, v24
	s_and_saveexec_b64 s[10:11], s[4:5]
	s_cbranch_execz .LBB0_52
.LBB0_51:
	ds_read2_b64 v[28:31], v14 offset1:2
	ds_read_u8 v27, v12 offset:2
	ds_read_u8 v32, v12
	ds_write_b8 v11, v26
	ds_write_b8 v11, v25 offset:2
	s_waitcnt lgkmcnt(4)
	ds_write2_b64 v14, v[30:31], v[28:29] offset1:2
	s_waitcnt lgkmcnt(4)
	ds_write_b8 v12, v27
	s_waitcnt lgkmcnt(4)
	ds_write_b8 v12, v32 offset:2
.LBB0_52:
	s_or_b64 exec, exec, s[10:11]
	s_waitcnt lgkmcnt(0)
	s_barrier
	ds_read_u16 v25, v1
                                        ; implicit-def: $sgpr16
	s_waitcnt lgkmcnt(0)
	v_cmp_ge_u16_sdwa s[10:11], v25, v25 src0_sel:BYTE_0 src1_sel:BYTE_1
	v_cmp_lt_u16_sdwa s[4:5], v25, v25 src0_sel:BYTE_0 src1_sel:BYTE_1
	s_and_saveexec_b64 s[12:13], s[4:5]
	s_cbranch_execnz .LBB0_97
; %bb.53:
	s_or_b64 exec, exec, s[12:13]
	v_mov_b32_e32 v26, s16
	s_and_saveexec_b64 s[4:5], s[10:11]
	s_cbranch_execnz .LBB0_98
.LBB0_54:
	s_or_b64 exec, exec, s[4:5]
	v_cmp_eq_u32_e64 s[4:5], v26, v24
	s_and_saveexec_b64 s[10:11], s[4:5]
	s_cbranch_execz .LBB0_56
.LBB0_55:
	v_add_u32_e32 v30, v8, v10
	ds_read_b128 v[26:29], v30
	ds_read_u16 v31, v0
	v_lshlrev_b16_e32 v24, 8, v25
	v_or_b32_sdwa v24, v25, v24 dst_sel:DWORD dst_unused:UNUSED_PAD src0_sel:BYTE_1 src1_sel:DWORD
	ds_write_b16 v1, v24
	s_waitcnt lgkmcnt(2)
	v_mov_b32_e32 v24, v28
	v_mov_b32_e32 v25, v29
	s_mov_b32 s4, 0xc0c0001
	ds_write_b128 v30, v[24:27]
	s_waitcnt lgkmcnt(2)
	v_perm_b32 v24, 0, v31, s4
	ds_write_b16 v0, v24
.LBB0_56:
	s_or_b64 exec, exec, s[10:11]
	v_and_b32_e32 v24, 15, v3
	v_sub_u32_e32 v25, v17, v24
	v_add_u32_e32 v16, v16, v25
	s_waitcnt lgkmcnt(0)
	s_barrier
	ds_read_u8 v17, v16
	ds_read_u8 v24, v16 offset:16
	v_add_u32_e32 v15, v15, v25
	s_waitcnt lgkmcnt(0)
	v_cmp_ge_u16_e64 s[12:13], v17, v24
	v_cmp_lt_u16_e64 s[4:5], v17, v24
	s_and_saveexec_b64 s[10:11], s[4:5]
	s_cbranch_execz .LBB0_58
; %bb.57:
	ds_read_u8 v26, v15
	s_andn2_b64 s[12:13], s[12:13], exec
	s_waitcnt lgkmcnt(0)
	v_and_b32_e32 v26, 1, v26
	v_cmp_eq_u32_e64 s[4:5], 1, v26
	s_xor_b64 s[4:5], s[4:5], -1
	s_and_b64 s[4:5], s[4:5], exec
	s_or_b64 s[12:13], s[12:13], s[4:5]
.LBB0_58:
	s_or_b64 exec, exec, s[10:11]
	s_and_saveexec_b64 s[10:11], s[12:13]
	s_cbranch_execz .LBB0_61
; %bb.59:
	ds_read_u8 v26, v15 offset:16
	s_waitcnt lgkmcnt(0)
	v_cmp_ne_u16_e64 s[4:5], 0, v26
	s_and_b64 exec, exec, s[4:5]
	s_cbranch_execz .LBB0_61
; %bb.60:
	v_lshl_add_u32 v13, v25, 3, v13
	ds_read2_b64 v[28:31], v13 offset1:16
	ds_read_u8 v25, v15
	ds_write_b8 v16, v24
	ds_write_b8 v16, v17 offset:16
	ds_write_b8 v15, v26
	s_waitcnt lgkmcnt(4)
	ds_write2_b64 v13, v[30:31], v[28:29] offset1:16
	s_waitcnt lgkmcnt(4)
	ds_write_b8 v15, v25 offset:16
.LBB0_61:
	s_or_b64 exec, exec, s[10:11]
	s_waitcnt lgkmcnt(0)
	s_barrier
	ds_read_u8 v13, v21
	ds_read_u8 v15, v21 offset:8
	s_waitcnt lgkmcnt(0)
	v_cmp_ge_u16_e64 s[12:13], v13, v15
	v_cmp_lt_u16_e64 s[4:5], v13, v15
	s_and_saveexec_b64 s[10:11], s[4:5]
	s_cbranch_execz .LBB0_63
; %bb.62:
	ds_read_u8 v16, v22
	s_andn2_b64 s[12:13], s[12:13], exec
	s_waitcnt lgkmcnt(0)
	v_and_b32_e32 v16, 1, v16
	v_cmp_eq_u32_e64 s[4:5], 1, v16
	s_xor_b64 s[4:5], s[4:5], -1
	s_and_b64 s[4:5], s[4:5], exec
	s_or_b64 s[12:13], s[12:13], s[4:5]
.LBB0_63:
	s_or_b64 exec, exec, s[10:11]
	s_and_saveexec_b64 s[10:11], s[12:13]
	s_cbranch_execz .LBB0_66
; %bb.64:
	ds_read_u8 v16, v22 offset:8
	s_waitcnt lgkmcnt(0)
	v_cmp_ne_u16_e64 s[4:5], 0, v16
	s_and_b64 exec, exec, s[4:5]
	s_cbranch_execz .LBB0_66
; %bb.65:
	ds_read2_b64 v[24:27], v23 offset1:8
	ds_read_u8 v17, v22
	ds_write_b8 v21, v15
	ds_write_b8 v21, v13 offset:8
	ds_write_b8 v22, v16
	s_waitcnt lgkmcnt(4)
	ds_write2_b64 v23, v[26:27], v[24:25] offset1:8
	s_waitcnt lgkmcnt(4)
	ds_write_b8 v22, v17 offset:8
.LBB0_66:
	s_or_b64 exec, exec, s[10:11]
	s_waitcnt lgkmcnt(0)
	s_barrier
	ds_read_u8 v13, v18
	ds_read_u8 v15, v18 offset:4
	s_waitcnt lgkmcnt(0)
	v_cmp_ge_u16_e64 s[12:13], v13, v15
	v_cmp_lt_u16_e64 s[4:5], v13, v15
	s_and_saveexec_b64 s[10:11], s[4:5]
	s_cbranch_execz .LBB0_68
; %bb.67:
	ds_read_u8 v16, v19
	s_andn2_b64 s[12:13], s[12:13], exec
	s_waitcnt lgkmcnt(0)
	v_and_b32_e32 v16, 1, v16
	v_cmp_eq_u32_e64 s[4:5], 1, v16
	s_xor_b64 s[4:5], s[4:5], -1
	s_and_b64 s[4:5], s[4:5], exec
	s_or_b64 s[12:13], s[12:13], s[4:5]
.LBB0_68:
	s_or_b64 exec, exec, s[10:11]
	s_and_saveexec_b64 s[10:11], s[12:13]
	s_cbranch_execz .LBB0_71
; %bb.69:
	ds_read_u8 v16, v19 offset:4
	s_waitcnt lgkmcnt(0)
	v_cmp_ne_u16_e64 s[4:5], 0, v16
	s_and_b64 exec, exec, s[4:5]
	s_cbranch_execz .LBB0_71
; %bb.70:
	ds_read2_b64 v[22:25], v20 offset1:4
	ds_read_u8 v17, v19
	ds_write_b8 v18, v15
	ds_write_b8 v18, v13 offset:4
	ds_write_b8 v19, v16
	s_waitcnt lgkmcnt(4)
	ds_write2_b64 v20, v[24:25], v[22:23] offset1:4
	s_waitcnt lgkmcnt(4)
	ds_write_b8 v19, v17 offset:4
.LBB0_71:
	;; [unrolled: 40-line block ×3, first 2 shown]
	s_or_b64 exec, exec, s[10:11]
	s_waitcnt lgkmcnt(0)
	s_barrier
	ds_read_u16 v11, v1
	s_waitcnt lgkmcnt(0)
	v_cmp_ge_u16_sdwa s[12:13], v11, v11 src0_sel:BYTE_0 src1_sel:BYTE_1
	v_cmp_lt_u16_sdwa s[4:5], v11, v11 src0_sel:BYTE_0 src1_sel:BYTE_1
	s_and_saveexec_b64 s[10:11], s[4:5]
	s_cbranch_execz .LBB0_78
; %bb.77:
	ds_read_u8 v12, v0
	s_andn2_b64 s[12:13], s[12:13], exec
	s_waitcnt lgkmcnt(0)
	v_and_b32_e32 v12, 1, v12
	v_cmp_eq_u32_e64 s[4:5], 1, v12
	s_xor_b64 s[4:5], s[4:5], -1
	s_and_b64 s[4:5], s[4:5], exec
	s_or_b64 s[12:13], s[12:13], s[4:5]
.LBB0_78:
	s_or_b64 exec, exec, s[10:11]
	s_and_saveexec_b64 s[10:11], s[12:13]
	s_cbranch_execz .LBB0_81
; %bb.79:
	ds_read_u8 v12, v0 offset:1
	s_waitcnt lgkmcnt(0)
	v_cmp_ne_u16_e64 s[4:5], 0, v12
	s_and_b64 exec, exec, s[4:5]
	s_cbranch_execz .LBB0_81
; %bb.80:
	v_add_u32_e32 v10, v8, v10
	v_lshlrev_b16_e32 v13, 8, v11
	ds_read_b128 v[14:17], v10
	v_or_b32_sdwa v11, v11, v13 dst_sel:DWORD dst_unused:UNUSED_PAD src0_sel:BYTE_1 src1_sel:DWORD
	ds_read_u8 v13, v0
	ds_write_b16 v1, v11
	s_waitcnt lgkmcnt(2)
	v_mov_b32_e32 v18, v14
	v_mov_b32_e32 v19, v15
	s_waitcnt lgkmcnt(1)
	v_lshlrev_b16_e32 v1, 8, v13
	v_or_b32_e32 v1, v12, v1
	ds_write_b128 v10, v[16:19]
	ds_write_b16 v0, v1
.LBB0_81:
	s_or_b64 exec, exec, s[10:11]
	s_waitcnt lgkmcnt(0)
	s_barrier
	s_and_saveexec_b64 s[4:5], vcc
	s_cbranch_execz .LBB0_86
; %bb.82:
	s_and_saveexec_b64 s[4:5], s[0:1]
	s_cbranch_execz .LBB0_84
; %bb.83:
	ds_read_u8 v10, v9
	v_mad_u64_u32 v[0:1], s[0:1], v3, s14, v[2:3]
	ds_read_b64 v[8:9], v8
	s_waitcnt lgkmcnt(1)
	global_store_byte v0, v10, s[6:7]
	v_mad_u64_u32 v[0:1], s[0:1], v3, s15, v[4:5]
	v_mov_b32_e32 v1, 0
	v_lshlrev_b64 v[0:1], 3, v[0:1]
	v_mov_b32_e32 v3, s9
	v_add_co_u32_e32 v0, vcc, s8, v0
	v_addc_co_u32_e32 v1, vcc, v3, v1, vcc
	s_waitcnt lgkmcnt(0)
	global_store_dwordx2 v[0:1], v[8:9], off
.LBB0_84:
	s_or_b64 exec, exec, s[4:5]
	s_and_b64 exec, exec, s[2:3]
	s_cbranch_execz .LBB0_86
; %bb.85:
	ds_read_u8 v7, v7
	v_mad_u64_u32 v[0:1], s[0:1], v5, s14, v[2:3]
	ds_read_b64 v[2:3], v6
	s_waitcnt lgkmcnt(1)
	global_store_byte v0, v7, s[6:7]
	v_mad_u64_u32 v[0:1], s[0:1], v5, s15, v[4:5]
	v_mov_b32_e32 v1, 0
	v_lshlrev_b64 v[0:1], 3, v[0:1]
	v_mov_b32_e32 v4, s9
	v_add_co_u32_e32 v0, vcc, s8, v0
	v_addc_co_u32_e32 v1, vcc, v4, v1, vcc
	s_waitcnt lgkmcnt(0)
	global_store_dwordx2 v[0:1], v[2:3], off
.LBB0_86:
	s_endpgm
.LBB0_87:
	ds_read_u8 v20, v0
	s_andn2_b64 s[10:11], s[10:11], exec
	s_mov_b32 s16, 1
	s_waitcnt lgkmcnt(0)
	v_and_b32_e32 v20, 1, v20
	v_cmp_eq_u32_e64 s[4:5], 1, v20
	s_xor_b64 s[4:5], s[4:5], -1
	s_and_b64 s[4:5], s[4:5], exec
	s_or_b64 s[10:11], s[10:11], s[4:5]
	s_or_b64 exec, exec, s[12:13]
	v_mov_b32_e32 v20, s16
	s_and_saveexec_b64 s[4:5], s[10:11]
	s_cbranch_execz .LBB0_22
.LBB0_88:
	ds_read_u8 v20, v0 offset:1
	s_waitcnt lgkmcnt(0)
	v_xor_b32_e32 v20, 1, v20
	s_or_b64 exec, exec, s[4:5]
	v_cmp_eq_u32_e64 s[4:5], v20, v18
	s_and_saveexec_b64 s[10:11], s[4:5]
	s_cbranch_execnz .LBB0_23
	s_branch .LBB0_24
.LBB0_89:
	ds_read_u8 v24, v12
	s_andn2_b64 s[10:11], s[10:11], exec
	s_mov_b32 s16, 1
	s_waitcnt lgkmcnt(0)
	v_and_b32_e32 v24, 1, v24
	v_cmp_eq_u32_e64 s[4:5], 1, v24
	s_xor_b64 s[4:5], s[4:5], -1
	s_and_b64 s[4:5], s[4:5], exec
	s_or_b64 s[10:11], s[10:11], s[4:5]
	s_or_b64 exec, exec, s[12:13]
	v_mov_b32_e32 v24, s16
	s_and_saveexec_b64 s[4:5], s[10:11]
	s_cbranch_execz .LBB0_32
.LBB0_90:
	ds_read_u8 v24, v12 offset:2
	s_waitcnt lgkmcnt(0)
	v_xor_b32_e32 v24, 1, v24
	s_or_b64 exec, exec, s[4:5]
	v_cmp_eq_u32_e64 s[4:5], v24, v21
	s_and_saveexec_b64 s[10:11], s[4:5]
	s_cbranch_execnz .LBB0_33
	s_branch .LBB0_34
.LBB0_91:
	ds_read_u8 v23, v0
	s_andn2_b64 s[10:11], s[10:11], exec
	s_mov_b32 s16, 1
	s_waitcnt lgkmcnt(0)
	v_and_b32_e32 v23, 1, v23
	v_cmp_eq_u32_e64 s[4:5], 1, v23
	s_xor_b64 s[4:5], s[4:5], -1
	s_and_b64 s[4:5], s[4:5], exec
	s_or_b64 s[10:11], s[10:11], s[4:5]
	s_or_b64 exec, exec, s[12:13]
	v_mov_b32_e32 v23, s16
	s_and_saveexec_b64 s[4:5], s[10:11]
	s_cbranch_execz .LBB0_36
.LBB0_92:
	ds_read_u8 v23, v0 offset:1
	s_waitcnt lgkmcnt(0)
	v_xor_b32_e32 v23, 1, v23
	s_or_b64 exec, exec, s[4:5]
	v_cmp_eq_u32_e64 s[4:5], v23, v21
	s_and_saveexec_b64 s[10:11], s[4:5]
	s_cbranch_execnz .LBB0_37
	s_branch .LBB0_38
.LBB0_93:
	ds_read_u8 v27, v19
	s_andn2_b64 s[10:11], s[10:11], exec
	s_mov_b32 s16, 1
	s_waitcnt lgkmcnt(0)
	v_and_b32_e32 v27, 1, v27
	v_cmp_eq_u32_e64 s[4:5], 1, v27
	s_xor_b64 s[4:5], s[4:5], -1
	s_and_b64 s[4:5], s[4:5], exec
	s_or_b64 s[10:11], s[10:11], s[4:5]
	s_or_b64 exec, exec, s[12:13]
	v_mov_b32_e32 v27, s16
	s_and_saveexec_b64 s[4:5], s[10:11]
	s_cbranch_execz .LBB0_46
.LBB0_94:
	ds_read_u8 v27, v19 offset:4
	s_waitcnt lgkmcnt(0)
	v_xor_b32_e32 v27, 1, v27
	s_or_b64 exec, exec, s[4:5]
	v_cmp_eq_u32_e64 s[4:5], v27, v24
	s_and_saveexec_b64 s[10:11], s[4:5]
	s_cbranch_execnz .LBB0_47
	s_branch .LBB0_48
.LBB0_95:
	ds_read_u8 v27, v12
	s_andn2_b64 s[10:11], s[10:11], exec
	s_mov_b32 s16, 1
	s_waitcnt lgkmcnt(0)
	v_and_b32_e32 v27, 1, v27
	v_cmp_eq_u32_e64 s[4:5], 1, v27
	s_xor_b64 s[4:5], s[4:5], -1
	s_and_b64 s[4:5], s[4:5], exec
	s_or_b64 s[10:11], s[10:11], s[4:5]
	s_or_b64 exec, exec, s[12:13]
	v_mov_b32_e32 v27, s16
	s_and_saveexec_b64 s[4:5], s[10:11]
	s_cbranch_execz .LBB0_50
.LBB0_96:
	ds_read_u8 v27, v12 offset:2
	s_waitcnt lgkmcnt(0)
	v_xor_b32_e32 v27, 1, v27
	s_or_b64 exec, exec, s[4:5]
	v_cmp_eq_u32_e64 s[4:5], v27, v24
	s_and_saveexec_b64 s[10:11], s[4:5]
	s_cbranch_execnz .LBB0_51
	s_branch .LBB0_52
.LBB0_97:
	ds_read_u8 v26, v0
	s_andn2_b64 s[10:11], s[10:11], exec
	s_mov_b32 s16, 1
	s_waitcnt lgkmcnt(0)
	v_and_b32_e32 v26, 1, v26
	v_cmp_eq_u32_e64 s[4:5], 1, v26
	s_xor_b64 s[4:5], s[4:5], -1
	s_and_b64 s[4:5], s[4:5], exec
	s_or_b64 s[10:11], s[10:11], s[4:5]
	s_or_b64 exec, exec, s[12:13]
	v_mov_b32_e32 v26, s16
	s_and_saveexec_b64 s[4:5], s[10:11]
	s_cbranch_execz .LBB0_54
.LBB0_98:
	ds_read_u8 v26, v0 offset:1
	s_waitcnt lgkmcnt(0)
	v_xor_b32_e32 v26, 1, v26
	s_or_b64 exec, exec, s[4:5]
	v_cmp_eq_u32_e64 s[4:5], v26, v24
	s_and_saveexec_b64 s[10:11], s[4:5]
	s_cbranch_execnz .LBB0_55
	s_branch .LBB0_56
	.section	.rodata,"a",@progbits
	.p2align	6, 0x0
	.amdhsa_kernel _ZN2at6native20bitonicSortKVInPlaceILin2ELin1ELi16ELi16EhlNS0_4LTOpIhLb1EEEjEEvNS_4cuda6detail10TensorInfoIT3_T6_EES8_S8_S8_NS6_IT4_S8_EES8_T5_
		.amdhsa_group_segment_fixed_size 5120
		.amdhsa_private_segment_fixed_size 0
		.amdhsa_kernarg_size 712
		.amdhsa_user_sgpr_count 6
		.amdhsa_user_sgpr_private_segment_buffer 1
		.amdhsa_user_sgpr_dispatch_ptr 0
		.amdhsa_user_sgpr_queue_ptr 0
		.amdhsa_user_sgpr_kernarg_segment_ptr 1
		.amdhsa_user_sgpr_dispatch_id 0
		.amdhsa_user_sgpr_flat_scratch_init 0
		.amdhsa_user_sgpr_kernarg_preload_length 0
		.amdhsa_user_sgpr_kernarg_preload_offset 0
		.amdhsa_user_sgpr_private_segment_size 0
		.amdhsa_uses_dynamic_stack 0
		.amdhsa_system_sgpr_private_segment_wavefront_offset 0
		.amdhsa_system_sgpr_workgroup_id_x 1
		.amdhsa_system_sgpr_workgroup_id_y 1
		.amdhsa_system_sgpr_workgroup_id_z 1
		.amdhsa_system_sgpr_workgroup_info 0
		.amdhsa_system_vgpr_workitem_id 1
		.amdhsa_next_free_vgpr 33
		.amdhsa_next_free_sgpr 18
		.amdhsa_accum_offset 36
		.amdhsa_reserve_vcc 1
		.amdhsa_reserve_flat_scratch 0
		.amdhsa_float_round_mode_32 0
		.amdhsa_float_round_mode_16_64 0
		.amdhsa_float_denorm_mode_32 3
		.amdhsa_float_denorm_mode_16_64 3
		.amdhsa_dx10_clamp 1
		.amdhsa_ieee_mode 1
		.amdhsa_fp16_overflow 0
		.amdhsa_tg_split 0
		.amdhsa_exception_fp_ieee_invalid_op 0
		.amdhsa_exception_fp_denorm_src 0
		.amdhsa_exception_fp_ieee_div_zero 0
		.amdhsa_exception_fp_ieee_overflow 0
		.amdhsa_exception_fp_ieee_underflow 0
		.amdhsa_exception_fp_ieee_inexact 0
		.amdhsa_exception_int_div_zero 0
	.end_amdhsa_kernel
	.section	.text._ZN2at6native20bitonicSortKVInPlaceILin2ELin1ELi16ELi16EhlNS0_4LTOpIhLb1EEEjEEvNS_4cuda6detail10TensorInfoIT3_T6_EES8_S8_S8_NS6_IT4_S8_EES8_T5_,"axG",@progbits,_ZN2at6native20bitonicSortKVInPlaceILin2ELin1ELi16ELi16EhlNS0_4LTOpIhLb1EEEjEEvNS_4cuda6detail10TensorInfoIT3_T6_EES8_S8_S8_NS6_IT4_S8_EES8_T5_,comdat
.Lfunc_end0:
	.size	_ZN2at6native20bitonicSortKVInPlaceILin2ELin1ELi16ELi16EhlNS0_4LTOpIhLb1EEEjEEvNS_4cuda6detail10TensorInfoIT3_T6_EES8_S8_S8_NS6_IT4_S8_EES8_T5_, .Lfunc_end0-_ZN2at6native20bitonicSortKVInPlaceILin2ELin1ELi16ELi16EhlNS0_4LTOpIhLb1EEEjEEvNS_4cuda6detail10TensorInfoIT3_T6_EES8_S8_S8_NS6_IT4_S8_EES8_T5_
                                        ; -- End function
	.section	.AMDGPU.csdata,"",@progbits
; Kernel info:
; codeLenInByte = 4632
; NumSgprs: 22
; NumVgprs: 33
; NumAgprs: 0
; TotalNumVgprs: 33
; ScratchSize: 0
; MemoryBound: 0
; FloatMode: 240
; IeeeMode: 1
; LDSByteSize: 5120 bytes/workgroup (compile time only)
; SGPRBlocks: 2
; VGPRBlocks: 4
; NumSGPRsForWavesPerEU: 22
; NumVGPRsForWavesPerEU: 33
; AccumOffset: 36
; Occupancy: 8
; WaveLimiterHint : 1
; COMPUTE_PGM_RSRC2:SCRATCH_EN: 0
; COMPUTE_PGM_RSRC2:USER_SGPR: 6
; COMPUTE_PGM_RSRC2:TRAP_HANDLER: 0
; COMPUTE_PGM_RSRC2:TGID_X_EN: 1
; COMPUTE_PGM_RSRC2:TGID_Y_EN: 1
; COMPUTE_PGM_RSRC2:TGID_Z_EN: 1
; COMPUTE_PGM_RSRC2:TIDIG_COMP_CNT: 1
; COMPUTE_PGM_RSRC3_GFX90A:ACCUM_OFFSET: 8
; COMPUTE_PGM_RSRC3_GFX90A:TG_SPLIT: 0
	.section	.text._ZN2at6native20bitonicSortKVInPlaceILin2ELin1ELi16ELi16EhlNS0_4GTOpIhLb1EEEjEEvNS_4cuda6detail10TensorInfoIT3_T6_EES8_S8_S8_NS6_IT4_S8_EES8_T5_,"axG",@progbits,_ZN2at6native20bitonicSortKVInPlaceILin2ELin1ELi16ELi16EhlNS0_4GTOpIhLb1EEEjEEvNS_4cuda6detail10TensorInfoIT3_T6_EES8_S8_S8_NS6_IT4_S8_EES8_T5_,comdat
	.protected	_ZN2at6native20bitonicSortKVInPlaceILin2ELin1ELi16ELi16EhlNS0_4GTOpIhLb1EEEjEEvNS_4cuda6detail10TensorInfoIT3_T6_EES8_S8_S8_NS6_IT4_S8_EES8_T5_ ; -- Begin function _ZN2at6native20bitonicSortKVInPlaceILin2ELin1ELi16ELi16EhlNS0_4GTOpIhLb1EEEjEEvNS_4cuda6detail10TensorInfoIT3_T6_EES8_S8_S8_NS6_IT4_S8_EES8_T5_
	.globl	_ZN2at6native20bitonicSortKVInPlaceILin2ELin1ELi16ELi16EhlNS0_4GTOpIhLb1EEEjEEvNS_4cuda6detail10TensorInfoIT3_T6_EES8_S8_S8_NS6_IT4_S8_EES8_T5_
	.p2align	8
	.type	_ZN2at6native20bitonicSortKVInPlaceILin2ELin1ELi16ELi16EhlNS0_4GTOpIhLb1EEEjEEvNS_4cuda6detail10TensorInfoIT3_T6_EES8_S8_S8_NS6_IT4_S8_EES8_T5_,@function
_ZN2at6native20bitonicSortKVInPlaceILin2ELin1ELi16ELi16EhlNS0_4GTOpIhLb1EEEjEEvNS_4cuda6detail10TensorInfoIT3_T6_EES8_S8_S8_NS6_IT4_S8_EES8_T5_: ; @_ZN2at6native20bitonicSortKVInPlaceILin2ELin1ELi16ELi16EhlNS0_4GTOpIhLb1EEEjEEvNS_4cuda6detail10TensorInfoIT3_T6_EES8_S8_S8_NS6_IT4_S8_EES8_T5_
; %bb.0:
	s_load_dwordx2 s[2:3], s[4:5], 0x1c8
	s_load_dwordx4 s[12:15], s[4:5], 0xd8
	s_load_dword s9, s[4:5], 0x1d4
	s_add_u32 s0, s4, 0x1c8
	s_addc_u32 s1, s5, 0
	s_waitcnt lgkmcnt(0)
	s_mul_i32 s3, s3, s8
	s_add_i32 s3, s3, s7
	s_mul_i32 s2, s3, s2
	s_add_i32 s8, s2, s6
	s_lshr_b32 s2, s9, 16
	s_mul_i32 s8, s8, s2
	s_cmp_ge_u32 s8, s12
	s_cbranch_scc1 .LBB1_86
; %bb.1:
	s_load_dwordx2 s[6:7], s[4:5], 0x0
	s_load_dword s9, s[4:5], 0x1b8
	s_add_u32 s2, s4, 0xe8
	v_bfe_u32 v8, v0, 10, 10
	s_addc_u32 s3, s5, 0
	v_add_u32_e32 v1, s8, v8
	s_waitcnt lgkmcnt(0)
	s_cmp_lt_i32 s9, 2
	v_mov_b32_e32 v4, 0
	v_mov_b32_e32 v3, v1
	s_cbranch_scc1 .LBB1_4
; %bb.2:
	s_add_i32 s10, s9, 1
	s_add_i32 s8, s9, -1
	s_mov_b32 s9, 0
	s_lshl_b64 s[8:9], s[8:9], 2
	s_add_u32 s8, s8, s2
	s_addc_u32 s9, s9, s3
	s_add_u32 s8, s8, 8
	s_addc_u32 s9, s9, 0
	v_mov_b32_e32 v4, 0
	v_mov_b32_e32 v3, v1
.LBB1_3:                                ; =>This Inner Loop Header: Depth=1
	s_load_dword s11, s[8:9], 0x0
	s_load_dword s15, s[8:9], 0x64
	v_mov_b32_e32 v2, v3
	s_add_i32 s10, s10, -1
	s_waitcnt lgkmcnt(0)
	v_cvt_f32_u32_e32 v3, s11
	s_sub_i32 s16, 0, s11
	s_add_u32 s8, s8, -4
	s_addc_u32 s9, s9, -1
	v_rcp_iflag_f32_e32 v3, v3
	s_cmp_gt_u32 s10, 2
	v_mul_f32_e32 v3, 0x4f7ffffe, v3
	v_cvt_u32_f32_e32 v3, v3
	v_mul_lo_u32 v5, s16, v3
	v_mul_hi_u32 v5, v3, v5
	v_add_u32_e32 v3, v3, v5
	v_mul_hi_u32 v3, v2, v3
	v_mul_lo_u32 v5, v3, s11
	v_sub_u32_e32 v5, v2, v5
	v_add_u32_e32 v6, 1, v3
	v_cmp_le_u32_e32 vcc, s11, v5
	v_cndmask_b32_e32 v3, v3, v6, vcc
	v_subrev_u32_e32 v6, s11, v5
	v_cndmask_b32_e32 v5, v5, v6, vcc
	v_add_u32_e32 v6, 1, v3
	v_cmp_le_u32_e32 vcc, s11, v5
	v_cndmask_b32_e32 v3, v3, v6, vcc
	v_mul_lo_u32 v5, v3, s11
	v_sub_u32_e32 v2, v2, v5
	v_mad_u64_u32 v[4:5], s[16:17], s15, v2, v[4:5]
	s_cbranch_scc1 .LBB1_3
.LBB1_4:
	s_load_dword s8, s[4:5], 0x6c
	s_load_dword s15, s[4:5], 0x1c0
	;; [unrolled: 1-line block ×3, first 2 shown]
	v_cmp_gt_u32_e32 vcc, s12, v1
	s_load_dword s12, s[0:1], 0xc
	s_waitcnt lgkmcnt(0)
	v_mul_lo_u32 v2, s8, v1
	s_load_dwordx2 s[8:9], s[2:3], 0x0
	v_mad_u64_u32 v[4:5], s[2:3], s10, v3, v[4:5]
	v_and_b32_e32 v3, 0x3ff, v0
	v_cmp_gt_u32_e64 s[0:1], s13, v3
	v_pk_mov_b32 v[0:1], 0, 0
	s_and_b64 s[4:5], vcc, s[0:1]
	v_mov_b32_e32 v10, 0
	v_mov_b32_e32 v5, 0
	v_pk_mov_b32 v[6:7], v[0:1], v[0:1] op_sel:[0,1]
	s_and_saveexec_b64 s[10:11], s[4:5]
	s_cbranch_execz .LBB1_6
; %bb.5:
	v_mad_u64_u32 v[6:7], s[2:3], v3, s14, v[2:3]
	global_load_ubyte v5, v6, s[6:7]
	s_waitcnt lgkmcnt(0)
	v_mov_b32_e32 v9, s9
	s_waitcnt vmcnt(0)
	v_mad_u64_u32 v[6:7], s[2:3], v3, s15, v[4:5]
	v_mov_b32_e32 v7, 0
	v_lshlrev_b64 v[6:7], 3, v[6:7]
	v_add_co_u32_e64 v6, s[2:3], s8, v6
	v_addc_co_u32_e64 v7, s[2:3], v9, v7, s[2:3]
	global_load_dwordx2 v[6:7], v[6:7], off
.LBB1_6:
	s_or_b64 exec, exec, s[10:11]
	v_lshlrev_b32_e32 v9, 5, v8
	v_add_u32_e32 v16, 0x1000, v9
	v_add_u32_e32 v15, 0x1200, v9
	v_add_u32_e32 v9, v16, v3
	s_and_b32 s16, 0xffff, s12
	v_cndmask_b32_e64 v11, 0, 1, s[4:5]
	ds_write_b8 v9, v5
	v_add_u32_e32 v5, v15, v3
	ds_write_b8 v5, v11
	v_add_u32_e32 v5, s16, v3
	v_lshlrev_b32_e32 v13, 8, v8
	v_cmp_gt_u32_e64 s[2:3], s13, v5
	v_lshl_add_u32 v8, v3, 3, v13
	s_and_b64 s[10:11], vcc, s[2:3]
	s_waitcnt vmcnt(0)
	ds_write_b64 v8, v[6:7]
	s_and_saveexec_b64 s[12:13], s[10:11]
	s_cbranch_execz .LBB1_8
; %bb.7:
	v_mad_u64_u32 v[0:1], s[4:5], v5, s14, v[2:3]
	global_load_ubyte v10, v0, s[6:7]
	v_mad_u64_u32 v[0:1], s[4:5], v5, s15, v[4:5]
	v_mov_b32_e32 v1, 0
	v_lshlrev_b64 v[0:1], 3, v[0:1]
	s_waitcnt lgkmcnt(0)
	v_mov_b32_e32 v6, s9
	v_add_co_u32_e64 v0, s[4:5], s8, v0
	v_addc_co_u32_e64 v1, s[4:5], v6, v1, s[4:5]
	global_load_dwordx2 v[0:1], v[0:1], off
.LBB1_8:
	s_or_b64 exec, exec, s[12:13]
	v_lshl_add_u32 v6, s16, 3, v8
	v_lshlrev_b32_e32 v17, 1, v3
	v_cndmask_b32_e64 v11, 0, 1, s[10:11]
	v_add_u32_e32 v7, v16, v5
	s_waitcnt vmcnt(0)
	ds_write_b64 v6, v[0:1]
	v_add_u32_e32 v0, v15, v5
	v_add_u32_e32 v1, v16, v17
	ds_write_b8 v7, v10
	ds_write_b8 v0, v11
	s_waitcnt lgkmcnt(0)
	s_barrier
	ds_read_u16 v11, v1
	s_mov_b32 s16, 1
	v_add_u32_e32 v0, v15, v17
	s_waitcnt lgkmcnt(0)
	v_cmp_le_u16_sdwa s[10:11], v11, v11 src0_sel:BYTE_0 src1_sel:BYTE_1
	v_cmp_gt_u16_sdwa s[4:5], v11, v11 src0_sel:BYTE_0 src1_sel:BYTE_1
	s_and_saveexec_b64 s[12:13], s[4:5]
	s_xor_b64 s[12:13], exec, s[12:13]
	s_cbranch_execz .LBB1_10
; %bb.9:
	ds_read_u8 v10, v0
	s_andn2_b64 s[10:11], s[10:11], exec
	s_waitcnt lgkmcnt(0)
	v_and_b32_e32 v10, 1, v10
	v_cmp_eq_u32_e64 s[4:5], 1, v10
	s_xor_b64 s[4:5], s[4:5], -1
	s_and_b64 s[4:5], s[4:5], exec
	s_or_b64 s[10:11], s[10:11], s[4:5]
.LBB1_10:
	s_or_b64 exec, exec, s[12:13]
	v_mov_b32_e32 v14, s16
	s_and_saveexec_b64 s[4:5], s[10:11]
	s_cbranch_execz .LBB1_12
; %bb.11:
	ds_read_u8 v10, v0 offset:1
	s_waitcnt lgkmcnt(0)
	v_xor_b32_e32 v14, 1, v10
.LBB1_12:
	s_or_b64 exec, exec, s[4:5]
	v_and_b32_e32 v12, 1, v3
	v_lshlrev_b32_e32 v10, 3, v3
	v_cmp_eq_u32_e64 s[4:5], v14, v12
	s_and_saveexec_b64 s[10:11], s[4:5]
	s_cbranch_execz .LBB1_14
; %bb.13:
	v_add_u32_e32 v14, v8, v10
	ds_read_b128 v[18:21], v14
	ds_read_u16 v24, v0
	v_lshlrev_b16_e32 v22, 8, v11
	v_or_b32_sdwa v11, v11, v22 dst_sel:DWORD dst_unused:UNUSED_PAD src0_sel:BYTE_1 src1_sel:DWORD
	s_mov_b32 s4, 0xc0c0001
	ds_write_b16 v1, v11
	s_waitcnt lgkmcnt(2)
	v_mov_b32_e32 v22, v18
	v_mov_b32_e32 v23, v19
	s_waitcnt lgkmcnt(1)
	v_perm_b32 v11, 0, v24, s4
	ds_write_b128 v14, v[20:23]
	ds_write_b16 v0, v11
.LBB1_14:
	s_or_b64 exec, exec, s[10:11]
	v_sub_u32_e32 v14, v17, v12
	v_add_u32_e32 v11, v16, v14
	s_waitcnt lgkmcnt(0)
	s_barrier
	ds_read_u8 v19, v11
	ds_read_u8 v20, v11 offset:2
	s_mov_b64 s[10:11], -1
	v_add_u32_e32 v12, v15, v14
                                        ; implicit-def: $sgpr16
	s_waitcnt lgkmcnt(0)
	v_cmp_gt_u16_e64 s[4:5], v19, v20
	s_and_saveexec_b64 s[12:13], s[4:5]
	s_xor_b64 s[12:13], exec, s[12:13]
	s_cbranch_execz .LBB1_16
; %bb.15:
	ds_read_u8 v18, v12
	s_mov_b32 s16, 1
	s_waitcnt lgkmcnt(0)
	v_and_b32_e32 v18, 1, v18
	v_cmp_eq_u32_e64 s[4:5], 1, v18
	s_xor_b64 s[4:5], s[4:5], -1
	s_orn2_b64 s[10:11], s[4:5], exec
.LBB1_16:
	s_or_b64 exec, exec, s[12:13]
	v_mov_b32_e32 v21, s16
	s_and_saveexec_b64 s[4:5], s[10:11]
	s_cbranch_execz .LBB1_18
; %bb.17:
	ds_read_u8 v18, v12 offset:2
	s_waitcnt lgkmcnt(0)
	v_xor_b32_e32 v21, 1, v18
.LBB1_18:
	s_or_b64 exec, exec, s[4:5]
	v_bfe_u32 v18, v3, 1, 1
	v_lshl_add_u32 v14, v14, 3, v13
	v_cmp_eq_u32_e64 s[4:5], v21, v18
	s_and_saveexec_b64 s[10:11], s[4:5]
	s_cbranch_execz .LBB1_20
; %bb.19:
	ds_read2_b64 v[22:25], v14 offset1:2
	ds_read_u8 v21, v12 offset:2
	ds_read_u8 v26, v12
	ds_write_b8 v11, v20
	ds_write_b8 v11, v19 offset:2
	s_waitcnt lgkmcnt(4)
	ds_write2_b64 v14, v[24:25], v[22:23] offset1:2
	s_waitcnt lgkmcnt(4)
	ds_write_b8 v12, v21
	s_waitcnt lgkmcnt(4)
	ds_write_b8 v12, v26 offset:2
.LBB1_20:
	s_or_b64 exec, exec, s[10:11]
	s_waitcnt lgkmcnt(0)
	s_barrier
	ds_read_u16 v19, v1
                                        ; implicit-def: $sgpr16
	s_waitcnt lgkmcnt(0)
	v_cmp_le_u16_sdwa s[10:11], v19, v19 src0_sel:BYTE_0 src1_sel:BYTE_1
	v_cmp_gt_u16_sdwa s[4:5], v19, v19 src0_sel:BYTE_0 src1_sel:BYTE_1
	s_and_saveexec_b64 s[12:13], s[4:5]
	s_cbranch_execnz .LBB1_87
; %bb.21:
	s_or_b64 exec, exec, s[12:13]
	v_mov_b32_e32 v20, s16
	s_and_saveexec_b64 s[4:5], s[10:11]
	s_cbranch_execnz .LBB1_88
.LBB1_22:
	s_or_b64 exec, exec, s[4:5]
	v_cmp_eq_u32_e64 s[4:5], v20, v18
	s_and_saveexec_b64 s[10:11], s[4:5]
	s_cbranch_execz .LBB1_24
.LBB1_23:
	v_add_u32_e32 v24, v8, v10
	ds_read_b128 v[20:23], v24
	ds_read_u16 v25, v0
	v_lshlrev_b16_e32 v18, 8, v19
	v_or_b32_sdwa v18, v19, v18 dst_sel:DWORD dst_unused:UNUSED_PAD src0_sel:BYTE_1 src1_sel:DWORD
	ds_write_b16 v1, v18
	s_waitcnt lgkmcnt(2)
	v_mov_b32_e32 v18, v22
	v_mov_b32_e32 v19, v23
	s_mov_b32 s4, 0xc0c0001
	ds_write_b128 v24, v[18:21]
	s_waitcnt lgkmcnt(2)
	v_perm_b32 v18, 0, v25, s4
	ds_write_b16 v0, v18
.LBB1_24:
	s_or_b64 exec, exec, s[10:11]
	v_and_b32_e32 v18, 3, v3
	v_sub_u32_e32 v20, v17, v18
	v_add_u32_e32 v18, v16, v20
	s_waitcnt lgkmcnt(0)
	s_barrier
	ds_read_u8 v22, v18
	ds_read_u8 v23, v18 offset:4
	v_add_u32_e32 v19, v15, v20
                                        ; implicit-def: $sgpr16
	s_waitcnt lgkmcnt(0)
	v_cmp_le_u16_e64 s[10:11], v22, v23
	v_cmp_gt_u16_e64 s[4:5], v22, v23
	s_and_saveexec_b64 s[12:13], s[4:5]
	s_cbranch_execz .LBB1_26
; %bb.25:
	ds_read_u8 v21, v19
	s_andn2_b64 s[10:11], s[10:11], exec
	s_mov_b32 s16, 1
	s_waitcnt lgkmcnt(0)
	v_and_b32_e32 v21, 1, v21
	v_cmp_eq_u32_e64 s[4:5], 1, v21
	s_xor_b64 s[4:5], s[4:5], -1
	s_and_b64 s[4:5], s[4:5], exec
	s_or_b64 s[10:11], s[10:11], s[4:5]
.LBB1_26:
	s_or_b64 exec, exec, s[12:13]
	v_mov_b32_e32 v24, s16
	s_and_saveexec_b64 s[4:5], s[10:11]
	s_cbranch_execz .LBB1_28
; %bb.27:
	ds_read_u8 v21, v19 offset:4
	s_waitcnt lgkmcnt(0)
	v_xor_b32_e32 v24, 1, v21
.LBB1_28:
	s_or_b64 exec, exec, s[4:5]
	v_bfe_u32 v21, v3, 2, 1
	v_lshl_add_u32 v20, v20, 3, v13
	v_cmp_eq_u32_e64 s[4:5], v24, v21
	s_and_saveexec_b64 s[10:11], s[4:5]
	s_cbranch_execz .LBB1_30
; %bb.29:
	ds_read2_b64 v[24:27], v20 offset1:4
	ds_read_u8 v28, v19 offset:4
	ds_read_u8 v29, v19
	ds_write_b8 v18, v23
	ds_write_b8 v18, v22 offset:4
	s_waitcnt lgkmcnt(4)
	ds_write2_b64 v20, v[26:27], v[24:25] offset1:4
	s_waitcnt lgkmcnt(4)
	ds_write_b8 v19, v28
	s_waitcnt lgkmcnt(4)
	ds_write_b8 v19, v29 offset:4
.LBB1_30:
	s_or_b64 exec, exec, s[10:11]
	s_waitcnt lgkmcnt(0)
	s_barrier
	ds_read_u8 v22, v11
	ds_read_u8 v23, v11 offset:2
                                        ; implicit-def: $sgpr16
	s_waitcnt lgkmcnt(0)
	v_cmp_le_u16_e64 s[10:11], v22, v23
	v_cmp_gt_u16_e64 s[4:5], v22, v23
	s_and_saveexec_b64 s[12:13], s[4:5]
	s_cbranch_execnz .LBB1_89
; %bb.31:
	s_or_b64 exec, exec, s[12:13]
	v_mov_b32_e32 v24, s16
	s_and_saveexec_b64 s[4:5], s[10:11]
	s_cbranch_execnz .LBB1_90
.LBB1_32:
	s_or_b64 exec, exec, s[4:5]
	v_cmp_eq_u32_e64 s[4:5], v24, v21
	s_and_saveexec_b64 s[10:11], s[4:5]
	s_cbranch_execz .LBB1_34
.LBB1_33:
	ds_read2_b64 v[24:27], v14 offset1:2
	ds_read_u8 v28, v12 offset:2
	ds_read_u8 v29, v12
	ds_write_b8 v11, v23
	ds_write_b8 v11, v22 offset:2
	s_waitcnt lgkmcnt(4)
	ds_write2_b64 v14, v[26:27], v[24:25] offset1:2
	s_waitcnt lgkmcnt(4)
	ds_write_b8 v12, v28
	s_waitcnt lgkmcnt(4)
	ds_write_b8 v12, v29 offset:2
.LBB1_34:
	s_or_b64 exec, exec, s[10:11]
	s_waitcnt lgkmcnt(0)
	s_barrier
	ds_read_u16 v22, v1
                                        ; implicit-def: $sgpr16
	s_waitcnt lgkmcnt(0)
	v_cmp_le_u16_sdwa s[10:11], v22, v22 src0_sel:BYTE_0 src1_sel:BYTE_1
	v_cmp_gt_u16_sdwa s[4:5], v22, v22 src0_sel:BYTE_0 src1_sel:BYTE_1
	s_and_saveexec_b64 s[12:13], s[4:5]
	s_cbranch_execnz .LBB1_91
; %bb.35:
	s_or_b64 exec, exec, s[12:13]
	v_mov_b32_e32 v23, s16
	s_and_saveexec_b64 s[4:5], s[10:11]
	s_cbranch_execnz .LBB1_92
.LBB1_36:
	s_or_b64 exec, exec, s[4:5]
	v_cmp_eq_u32_e64 s[4:5], v23, v21
	s_and_saveexec_b64 s[10:11], s[4:5]
	s_cbranch_execz .LBB1_38
.LBB1_37:
	v_add_u32_e32 v21, v8, v10
	ds_read_b128 v[24:27], v21
	ds_read_u16 v28, v0
	v_lshlrev_b16_e32 v23, 8, v22
	v_or_b32_sdwa v22, v22, v23 dst_sel:DWORD dst_unused:UNUSED_PAD src0_sel:BYTE_1 src1_sel:DWORD
	ds_write_b16 v1, v22
	s_waitcnt lgkmcnt(2)
	v_mov_b32_e32 v22, v26
	v_mov_b32_e32 v23, v27
	s_mov_b32 s4, 0xc0c0001
	ds_write_b128 v21, v[22:25]
	s_waitcnt lgkmcnt(2)
	v_perm_b32 v21, 0, v28, s4
	ds_write_b16 v0, v21
.LBB1_38:
	s_or_b64 exec, exec, s[10:11]
	v_and_b32_e32 v21, 7, v3
	v_sub_u32_e32 v23, v17, v21
	v_add_u32_e32 v21, v16, v23
	s_waitcnt lgkmcnt(0)
	s_barrier
	ds_read_u8 v25, v21
	ds_read_u8 v26, v21 offset:8
	v_add_u32_e32 v22, v15, v23
                                        ; implicit-def: $sgpr16
	s_waitcnt lgkmcnt(0)
	v_cmp_le_u16_e64 s[10:11], v25, v26
	v_cmp_gt_u16_e64 s[4:5], v25, v26
	s_and_saveexec_b64 s[12:13], s[4:5]
	s_cbranch_execz .LBB1_40
; %bb.39:
	ds_read_u8 v24, v22
	s_andn2_b64 s[10:11], s[10:11], exec
	s_mov_b32 s16, 1
	s_waitcnt lgkmcnt(0)
	v_and_b32_e32 v24, 1, v24
	v_cmp_eq_u32_e64 s[4:5], 1, v24
	s_xor_b64 s[4:5], s[4:5], -1
	s_and_b64 s[4:5], s[4:5], exec
	s_or_b64 s[10:11], s[10:11], s[4:5]
.LBB1_40:
	s_or_b64 exec, exec, s[12:13]
	v_mov_b32_e32 v27, s16
	s_and_saveexec_b64 s[4:5], s[10:11]
	s_cbranch_execz .LBB1_42
; %bb.41:
	ds_read_u8 v24, v22 offset:8
	s_waitcnt lgkmcnt(0)
	v_xor_b32_e32 v27, 1, v24
.LBB1_42:
	s_or_b64 exec, exec, s[4:5]
	v_bfe_u32 v24, v3, 3, 1
	v_lshl_add_u32 v23, v23, 3, v13
	v_cmp_eq_u32_e64 s[4:5], v27, v24
	s_and_saveexec_b64 s[10:11], s[4:5]
	s_cbranch_execz .LBB1_44
; %bb.43:
	ds_read2_b64 v[28:31], v23 offset1:8
	ds_read_u8 v27, v22 offset:8
	ds_read_u8 v32, v22
	ds_write_b8 v21, v26
	ds_write_b8 v21, v25 offset:8
	s_waitcnt lgkmcnt(4)
	ds_write2_b64 v23, v[30:31], v[28:29] offset1:8
	s_waitcnt lgkmcnt(4)
	ds_write_b8 v22, v27
	s_waitcnt lgkmcnt(4)
	ds_write_b8 v22, v32 offset:8
.LBB1_44:
	s_or_b64 exec, exec, s[10:11]
	s_waitcnt lgkmcnt(0)
	s_barrier
	ds_read_u8 v25, v18
	ds_read_u8 v26, v18 offset:4
                                        ; implicit-def: $sgpr16
	s_waitcnt lgkmcnt(0)
	v_cmp_le_u16_e64 s[10:11], v25, v26
	v_cmp_gt_u16_e64 s[4:5], v25, v26
	s_and_saveexec_b64 s[12:13], s[4:5]
	s_cbranch_execnz .LBB1_93
; %bb.45:
	s_or_b64 exec, exec, s[12:13]
	v_mov_b32_e32 v27, s16
	s_and_saveexec_b64 s[4:5], s[10:11]
	s_cbranch_execnz .LBB1_94
.LBB1_46:
	s_or_b64 exec, exec, s[4:5]
	v_cmp_eq_u32_e64 s[4:5], v27, v24
	s_and_saveexec_b64 s[10:11], s[4:5]
	s_cbranch_execz .LBB1_48
.LBB1_47:
	ds_read2_b64 v[28:31], v20 offset1:4
	ds_read_u8 v27, v19 offset:4
	ds_read_u8 v32, v19
	ds_write_b8 v18, v26
	ds_write_b8 v18, v25 offset:4
	s_waitcnt lgkmcnt(4)
	ds_write2_b64 v20, v[30:31], v[28:29] offset1:4
	s_waitcnt lgkmcnt(4)
	ds_write_b8 v19, v27
	s_waitcnt lgkmcnt(4)
	ds_write_b8 v19, v32 offset:4
.LBB1_48:
	s_or_b64 exec, exec, s[10:11]
	s_waitcnt lgkmcnt(0)
	s_barrier
	ds_read_u8 v25, v11
	ds_read_u8 v26, v11 offset:2
                                        ; implicit-def: $sgpr16
	s_waitcnt lgkmcnt(0)
	v_cmp_le_u16_e64 s[10:11], v25, v26
	v_cmp_gt_u16_e64 s[4:5], v25, v26
	s_and_saveexec_b64 s[12:13], s[4:5]
	s_cbranch_execnz .LBB1_95
; %bb.49:
	s_or_b64 exec, exec, s[12:13]
	v_mov_b32_e32 v27, s16
	s_and_saveexec_b64 s[4:5], s[10:11]
	s_cbranch_execnz .LBB1_96
.LBB1_50:
	s_or_b64 exec, exec, s[4:5]
	v_cmp_eq_u32_e64 s[4:5], v27, v24
	s_and_saveexec_b64 s[10:11], s[4:5]
	s_cbranch_execz .LBB1_52
.LBB1_51:
	ds_read2_b64 v[28:31], v14 offset1:2
	ds_read_u8 v27, v12 offset:2
	ds_read_u8 v32, v12
	ds_write_b8 v11, v26
	ds_write_b8 v11, v25 offset:2
	s_waitcnt lgkmcnt(4)
	ds_write2_b64 v14, v[30:31], v[28:29] offset1:2
	s_waitcnt lgkmcnt(4)
	ds_write_b8 v12, v27
	s_waitcnt lgkmcnt(4)
	ds_write_b8 v12, v32 offset:2
.LBB1_52:
	s_or_b64 exec, exec, s[10:11]
	s_waitcnt lgkmcnt(0)
	s_barrier
	ds_read_u16 v25, v1
                                        ; implicit-def: $sgpr16
	s_waitcnt lgkmcnt(0)
	v_cmp_le_u16_sdwa s[10:11], v25, v25 src0_sel:BYTE_0 src1_sel:BYTE_1
	v_cmp_gt_u16_sdwa s[4:5], v25, v25 src0_sel:BYTE_0 src1_sel:BYTE_1
	s_and_saveexec_b64 s[12:13], s[4:5]
	s_cbranch_execnz .LBB1_97
; %bb.53:
	s_or_b64 exec, exec, s[12:13]
	v_mov_b32_e32 v26, s16
	s_and_saveexec_b64 s[4:5], s[10:11]
	s_cbranch_execnz .LBB1_98
.LBB1_54:
	s_or_b64 exec, exec, s[4:5]
	v_cmp_eq_u32_e64 s[4:5], v26, v24
	s_and_saveexec_b64 s[10:11], s[4:5]
	s_cbranch_execz .LBB1_56
.LBB1_55:
	v_add_u32_e32 v30, v8, v10
	ds_read_b128 v[26:29], v30
	ds_read_u16 v31, v0
	v_lshlrev_b16_e32 v24, 8, v25
	v_or_b32_sdwa v24, v25, v24 dst_sel:DWORD dst_unused:UNUSED_PAD src0_sel:BYTE_1 src1_sel:DWORD
	ds_write_b16 v1, v24
	s_waitcnt lgkmcnt(2)
	v_mov_b32_e32 v24, v28
	v_mov_b32_e32 v25, v29
	s_mov_b32 s4, 0xc0c0001
	ds_write_b128 v30, v[24:27]
	s_waitcnt lgkmcnt(2)
	v_perm_b32 v24, 0, v31, s4
	ds_write_b16 v0, v24
.LBB1_56:
	s_or_b64 exec, exec, s[10:11]
	v_and_b32_e32 v24, 15, v3
	v_sub_u32_e32 v25, v17, v24
	v_add_u32_e32 v16, v16, v25
	s_waitcnt lgkmcnt(0)
	s_barrier
	ds_read_u8 v17, v16
	ds_read_u8 v24, v16 offset:16
	v_add_u32_e32 v15, v15, v25
	s_waitcnt lgkmcnt(0)
	v_cmp_le_u16_e64 s[12:13], v17, v24
	v_cmp_gt_u16_e64 s[4:5], v17, v24
	s_and_saveexec_b64 s[10:11], s[4:5]
	s_cbranch_execz .LBB1_58
; %bb.57:
	ds_read_u8 v26, v15
	s_andn2_b64 s[12:13], s[12:13], exec
	s_waitcnt lgkmcnt(0)
	v_and_b32_e32 v26, 1, v26
	v_cmp_eq_u32_e64 s[4:5], 1, v26
	s_xor_b64 s[4:5], s[4:5], -1
	s_and_b64 s[4:5], s[4:5], exec
	s_or_b64 s[12:13], s[12:13], s[4:5]
.LBB1_58:
	s_or_b64 exec, exec, s[10:11]
	s_and_saveexec_b64 s[10:11], s[12:13]
	s_cbranch_execz .LBB1_61
; %bb.59:
	ds_read_u8 v26, v15 offset:16
	s_waitcnt lgkmcnt(0)
	v_cmp_ne_u16_e64 s[4:5], 0, v26
	s_and_b64 exec, exec, s[4:5]
	s_cbranch_execz .LBB1_61
; %bb.60:
	v_lshl_add_u32 v13, v25, 3, v13
	ds_read2_b64 v[28:31], v13 offset1:16
	ds_read_u8 v25, v15
	ds_write_b8 v16, v24
	ds_write_b8 v16, v17 offset:16
	ds_write_b8 v15, v26
	s_waitcnt lgkmcnt(4)
	ds_write2_b64 v13, v[30:31], v[28:29] offset1:16
	s_waitcnt lgkmcnt(4)
	ds_write_b8 v15, v25 offset:16
.LBB1_61:
	s_or_b64 exec, exec, s[10:11]
	s_waitcnt lgkmcnt(0)
	s_barrier
	ds_read_u8 v13, v21
	ds_read_u8 v15, v21 offset:8
	s_waitcnt lgkmcnt(0)
	v_cmp_le_u16_e64 s[12:13], v13, v15
	v_cmp_gt_u16_e64 s[4:5], v13, v15
	s_and_saveexec_b64 s[10:11], s[4:5]
	s_cbranch_execz .LBB1_63
; %bb.62:
	ds_read_u8 v16, v22
	s_andn2_b64 s[12:13], s[12:13], exec
	s_waitcnt lgkmcnt(0)
	v_and_b32_e32 v16, 1, v16
	v_cmp_eq_u32_e64 s[4:5], 1, v16
	s_xor_b64 s[4:5], s[4:5], -1
	s_and_b64 s[4:5], s[4:5], exec
	s_or_b64 s[12:13], s[12:13], s[4:5]
.LBB1_63:
	s_or_b64 exec, exec, s[10:11]
	s_and_saveexec_b64 s[10:11], s[12:13]
	s_cbranch_execz .LBB1_66
; %bb.64:
	ds_read_u8 v16, v22 offset:8
	s_waitcnt lgkmcnt(0)
	v_cmp_ne_u16_e64 s[4:5], 0, v16
	s_and_b64 exec, exec, s[4:5]
	s_cbranch_execz .LBB1_66
; %bb.65:
	ds_read2_b64 v[24:27], v23 offset1:8
	ds_read_u8 v17, v22
	ds_write_b8 v21, v15
	ds_write_b8 v21, v13 offset:8
	ds_write_b8 v22, v16
	s_waitcnt lgkmcnt(4)
	ds_write2_b64 v23, v[26:27], v[24:25] offset1:8
	s_waitcnt lgkmcnt(4)
	ds_write_b8 v22, v17 offset:8
.LBB1_66:
	s_or_b64 exec, exec, s[10:11]
	s_waitcnt lgkmcnt(0)
	s_barrier
	ds_read_u8 v13, v18
	ds_read_u8 v15, v18 offset:4
	s_waitcnt lgkmcnt(0)
	v_cmp_le_u16_e64 s[12:13], v13, v15
	v_cmp_gt_u16_e64 s[4:5], v13, v15
	s_and_saveexec_b64 s[10:11], s[4:5]
	s_cbranch_execz .LBB1_68
; %bb.67:
	ds_read_u8 v16, v19
	s_andn2_b64 s[12:13], s[12:13], exec
	s_waitcnt lgkmcnt(0)
	v_and_b32_e32 v16, 1, v16
	v_cmp_eq_u32_e64 s[4:5], 1, v16
	s_xor_b64 s[4:5], s[4:5], -1
	s_and_b64 s[4:5], s[4:5], exec
	s_or_b64 s[12:13], s[12:13], s[4:5]
.LBB1_68:
	s_or_b64 exec, exec, s[10:11]
	s_and_saveexec_b64 s[10:11], s[12:13]
	s_cbranch_execz .LBB1_71
; %bb.69:
	ds_read_u8 v16, v19 offset:4
	s_waitcnt lgkmcnt(0)
	v_cmp_ne_u16_e64 s[4:5], 0, v16
	s_and_b64 exec, exec, s[4:5]
	s_cbranch_execz .LBB1_71
; %bb.70:
	ds_read2_b64 v[22:25], v20 offset1:4
	ds_read_u8 v17, v19
	ds_write_b8 v18, v15
	ds_write_b8 v18, v13 offset:4
	ds_write_b8 v19, v16
	s_waitcnt lgkmcnt(4)
	ds_write2_b64 v20, v[24:25], v[22:23] offset1:4
	s_waitcnt lgkmcnt(4)
	ds_write_b8 v19, v17 offset:4
.LBB1_71:
	;; [unrolled: 40-line block ×3, first 2 shown]
	s_or_b64 exec, exec, s[10:11]
	s_waitcnt lgkmcnt(0)
	s_barrier
	ds_read_u16 v11, v1
	s_waitcnt lgkmcnt(0)
	v_cmp_le_u16_sdwa s[12:13], v11, v11 src0_sel:BYTE_0 src1_sel:BYTE_1
	v_cmp_gt_u16_sdwa s[4:5], v11, v11 src0_sel:BYTE_0 src1_sel:BYTE_1
	s_and_saveexec_b64 s[10:11], s[4:5]
	s_cbranch_execz .LBB1_78
; %bb.77:
	ds_read_u8 v12, v0
	s_andn2_b64 s[12:13], s[12:13], exec
	s_waitcnt lgkmcnt(0)
	v_and_b32_e32 v12, 1, v12
	v_cmp_eq_u32_e64 s[4:5], 1, v12
	s_xor_b64 s[4:5], s[4:5], -1
	s_and_b64 s[4:5], s[4:5], exec
	s_or_b64 s[12:13], s[12:13], s[4:5]
.LBB1_78:
	s_or_b64 exec, exec, s[10:11]
	s_and_saveexec_b64 s[10:11], s[12:13]
	s_cbranch_execz .LBB1_81
; %bb.79:
	ds_read_u8 v12, v0 offset:1
	s_waitcnt lgkmcnt(0)
	v_cmp_ne_u16_e64 s[4:5], 0, v12
	s_and_b64 exec, exec, s[4:5]
	s_cbranch_execz .LBB1_81
; %bb.80:
	v_add_u32_e32 v10, v8, v10
	v_lshlrev_b16_e32 v13, 8, v11
	ds_read_b128 v[14:17], v10
	v_or_b32_sdwa v11, v11, v13 dst_sel:DWORD dst_unused:UNUSED_PAD src0_sel:BYTE_1 src1_sel:DWORD
	ds_read_u8 v13, v0
	ds_write_b16 v1, v11
	s_waitcnt lgkmcnt(2)
	v_mov_b32_e32 v18, v14
	v_mov_b32_e32 v19, v15
	s_waitcnt lgkmcnt(1)
	v_lshlrev_b16_e32 v1, 8, v13
	v_or_b32_e32 v1, v12, v1
	ds_write_b128 v10, v[16:19]
	ds_write_b16 v0, v1
.LBB1_81:
	s_or_b64 exec, exec, s[10:11]
	s_waitcnt lgkmcnt(0)
	s_barrier
	s_and_saveexec_b64 s[4:5], vcc
	s_cbranch_execz .LBB1_86
; %bb.82:
	s_and_saveexec_b64 s[4:5], s[0:1]
	s_cbranch_execz .LBB1_84
; %bb.83:
	ds_read_u8 v10, v9
	v_mad_u64_u32 v[0:1], s[0:1], v3, s14, v[2:3]
	ds_read_b64 v[8:9], v8
	s_waitcnt lgkmcnt(1)
	global_store_byte v0, v10, s[6:7]
	v_mad_u64_u32 v[0:1], s[0:1], v3, s15, v[4:5]
	v_mov_b32_e32 v1, 0
	v_lshlrev_b64 v[0:1], 3, v[0:1]
	v_mov_b32_e32 v3, s9
	v_add_co_u32_e32 v0, vcc, s8, v0
	v_addc_co_u32_e32 v1, vcc, v3, v1, vcc
	s_waitcnt lgkmcnt(0)
	global_store_dwordx2 v[0:1], v[8:9], off
.LBB1_84:
	s_or_b64 exec, exec, s[4:5]
	s_and_b64 exec, exec, s[2:3]
	s_cbranch_execz .LBB1_86
; %bb.85:
	ds_read_u8 v7, v7
	v_mad_u64_u32 v[0:1], s[0:1], v5, s14, v[2:3]
	ds_read_b64 v[2:3], v6
	s_waitcnt lgkmcnt(1)
	global_store_byte v0, v7, s[6:7]
	v_mad_u64_u32 v[0:1], s[0:1], v5, s15, v[4:5]
	v_mov_b32_e32 v1, 0
	v_lshlrev_b64 v[0:1], 3, v[0:1]
	v_mov_b32_e32 v4, s9
	v_add_co_u32_e32 v0, vcc, s8, v0
	v_addc_co_u32_e32 v1, vcc, v4, v1, vcc
	s_waitcnt lgkmcnt(0)
	global_store_dwordx2 v[0:1], v[2:3], off
.LBB1_86:
	s_endpgm
.LBB1_87:
	ds_read_u8 v20, v0
	s_andn2_b64 s[10:11], s[10:11], exec
	s_mov_b32 s16, 1
	s_waitcnt lgkmcnt(0)
	v_and_b32_e32 v20, 1, v20
	v_cmp_eq_u32_e64 s[4:5], 1, v20
	s_xor_b64 s[4:5], s[4:5], -1
	s_and_b64 s[4:5], s[4:5], exec
	s_or_b64 s[10:11], s[10:11], s[4:5]
	s_or_b64 exec, exec, s[12:13]
	v_mov_b32_e32 v20, s16
	s_and_saveexec_b64 s[4:5], s[10:11]
	s_cbranch_execz .LBB1_22
.LBB1_88:
	ds_read_u8 v20, v0 offset:1
	s_waitcnt lgkmcnt(0)
	v_xor_b32_e32 v20, 1, v20
	s_or_b64 exec, exec, s[4:5]
	v_cmp_eq_u32_e64 s[4:5], v20, v18
	s_and_saveexec_b64 s[10:11], s[4:5]
	s_cbranch_execnz .LBB1_23
	s_branch .LBB1_24
.LBB1_89:
	ds_read_u8 v24, v12
	s_andn2_b64 s[10:11], s[10:11], exec
	s_mov_b32 s16, 1
	s_waitcnt lgkmcnt(0)
	v_and_b32_e32 v24, 1, v24
	v_cmp_eq_u32_e64 s[4:5], 1, v24
	s_xor_b64 s[4:5], s[4:5], -1
	s_and_b64 s[4:5], s[4:5], exec
	s_or_b64 s[10:11], s[10:11], s[4:5]
	s_or_b64 exec, exec, s[12:13]
	v_mov_b32_e32 v24, s16
	s_and_saveexec_b64 s[4:5], s[10:11]
	s_cbranch_execz .LBB1_32
.LBB1_90:
	ds_read_u8 v24, v12 offset:2
	s_waitcnt lgkmcnt(0)
	v_xor_b32_e32 v24, 1, v24
	s_or_b64 exec, exec, s[4:5]
	v_cmp_eq_u32_e64 s[4:5], v24, v21
	s_and_saveexec_b64 s[10:11], s[4:5]
	s_cbranch_execnz .LBB1_33
	s_branch .LBB1_34
.LBB1_91:
	ds_read_u8 v23, v0
	s_andn2_b64 s[10:11], s[10:11], exec
	s_mov_b32 s16, 1
	s_waitcnt lgkmcnt(0)
	v_and_b32_e32 v23, 1, v23
	v_cmp_eq_u32_e64 s[4:5], 1, v23
	s_xor_b64 s[4:5], s[4:5], -1
	s_and_b64 s[4:5], s[4:5], exec
	s_or_b64 s[10:11], s[10:11], s[4:5]
	s_or_b64 exec, exec, s[12:13]
	v_mov_b32_e32 v23, s16
	s_and_saveexec_b64 s[4:5], s[10:11]
	s_cbranch_execz .LBB1_36
.LBB1_92:
	ds_read_u8 v23, v0 offset:1
	s_waitcnt lgkmcnt(0)
	v_xor_b32_e32 v23, 1, v23
	s_or_b64 exec, exec, s[4:5]
	v_cmp_eq_u32_e64 s[4:5], v23, v21
	s_and_saveexec_b64 s[10:11], s[4:5]
	s_cbranch_execnz .LBB1_37
	s_branch .LBB1_38
.LBB1_93:
	ds_read_u8 v27, v19
	s_andn2_b64 s[10:11], s[10:11], exec
	s_mov_b32 s16, 1
	s_waitcnt lgkmcnt(0)
	v_and_b32_e32 v27, 1, v27
	v_cmp_eq_u32_e64 s[4:5], 1, v27
	s_xor_b64 s[4:5], s[4:5], -1
	s_and_b64 s[4:5], s[4:5], exec
	s_or_b64 s[10:11], s[10:11], s[4:5]
	s_or_b64 exec, exec, s[12:13]
	v_mov_b32_e32 v27, s16
	s_and_saveexec_b64 s[4:5], s[10:11]
	s_cbranch_execz .LBB1_46
.LBB1_94:
	ds_read_u8 v27, v19 offset:4
	s_waitcnt lgkmcnt(0)
	v_xor_b32_e32 v27, 1, v27
	s_or_b64 exec, exec, s[4:5]
	v_cmp_eq_u32_e64 s[4:5], v27, v24
	s_and_saveexec_b64 s[10:11], s[4:5]
	s_cbranch_execnz .LBB1_47
	s_branch .LBB1_48
.LBB1_95:
	ds_read_u8 v27, v12
	s_andn2_b64 s[10:11], s[10:11], exec
	s_mov_b32 s16, 1
	s_waitcnt lgkmcnt(0)
	v_and_b32_e32 v27, 1, v27
	v_cmp_eq_u32_e64 s[4:5], 1, v27
	s_xor_b64 s[4:5], s[4:5], -1
	s_and_b64 s[4:5], s[4:5], exec
	s_or_b64 s[10:11], s[10:11], s[4:5]
	s_or_b64 exec, exec, s[12:13]
	v_mov_b32_e32 v27, s16
	s_and_saveexec_b64 s[4:5], s[10:11]
	s_cbranch_execz .LBB1_50
.LBB1_96:
	ds_read_u8 v27, v12 offset:2
	s_waitcnt lgkmcnt(0)
	v_xor_b32_e32 v27, 1, v27
	s_or_b64 exec, exec, s[4:5]
	v_cmp_eq_u32_e64 s[4:5], v27, v24
	s_and_saveexec_b64 s[10:11], s[4:5]
	s_cbranch_execnz .LBB1_51
	s_branch .LBB1_52
.LBB1_97:
	ds_read_u8 v26, v0
	s_andn2_b64 s[10:11], s[10:11], exec
	s_mov_b32 s16, 1
	s_waitcnt lgkmcnt(0)
	v_and_b32_e32 v26, 1, v26
	v_cmp_eq_u32_e64 s[4:5], 1, v26
	s_xor_b64 s[4:5], s[4:5], -1
	s_and_b64 s[4:5], s[4:5], exec
	s_or_b64 s[10:11], s[10:11], s[4:5]
	s_or_b64 exec, exec, s[12:13]
	v_mov_b32_e32 v26, s16
	s_and_saveexec_b64 s[4:5], s[10:11]
	s_cbranch_execz .LBB1_54
.LBB1_98:
	ds_read_u8 v26, v0 offset:1
	s_waitcnt lgkmcnt(0)
	v_xor_b32_e32 v26, 1, v26
	s_or_b64 exec, exec, s[4:5]
	v_cmp_eq_u32_e64 s[4:5], v26, v24
	s_and_saveexec_b64 s[10:11], s[4:5]
	s_cbranch_execnz .LBB1_55
	s_branch .LBB1_56
	.section	.rodata,"a",@progbits
	.p2align	6, 0x0
	.amdhsa_kernel _ZN2at6native20bitonicSortKVInPlaceILin2ELin1ELi16ELi16EhlNS0_4GTOpIhLb1EEEjEEvNS_4cuda6detail10TensorInfoIT3_T6_EES8_S8_S8_NS6_IT4_S8_EES8_T5_
		.amdhsa_group_segment_fixed_size 5120
		.amdhsa_private_segment_fixed_size 0
		.amdhsa_kernarg_size 712
		.amdhsa_user_sgpr_count 6
		.amdhsa_user_sgpr_private_segment_buffer 1
		.amdhsa_user_sgpr_dispatch_ptr 0
		.amdhsa_user_sgpr_queue_ptr 0
		.amdhsa_user_sgpr_kernarg_segment_ptr 1
		.amdhsa_user_sgpr_dispatch_id 0
		.amdhsa_user_sgpr_flat_scratch_init 0
		.amdhsa_user_sgpr_kernarg_preload_length 0
		.amdhsa_user_sgpr_kernarg_preload_offset 0
		.amdhsa_user_sgpr_private_segment_size 0
		.amdhsa_uses_dynamic_stack 0
		.amdhsa_system_sgpr_private_segment_wavefront_offset 0
		.amdhsa_system_sgpr_workgroup_id_x 1
		.amdhsa_system_sgpr_workgroup_id_y 1
		.amdhsa_system_sgpr_workgroup_id_z 1
		.amdhsa_system_sgpr_workgroup_info 0
		.amdhsa_system_vgpr_workitem_id 1
		.amdhsa_next_free_vgpr 33
		.amdhsa_next_free_sgpr 18
		.amdhsa_accum_offset 36
		.amdhsa_reserve_vcc 1
		.amdhsa_reserve_flat_scratch 0
		.amdhsa_float_round_mode_32 0
		.amdhsa_float_round_mode_16_64 0
		.amdhsa_float_denorm_mode_32 3
		.amdhsa_float_denorm_mode_16_64 3
		.amdhsa_dx10_clamp 1
		.amdhsa_ieee_mode 1
		.amdhsa_fp16_overflow 0
		.amdhsa_tg_split 0
		.amdhsa_exception_fp_ieee_invalid_op 0
		.amdhsa_exception_fp_denorm_src 0
		.amdhsa_exception_fp_ieee_div_zero 0
		.amdhsa_exception_fp_ieee_overflow 0
		.amdhsa_exception_fp_ieee_underflow 0
		.amdhsa_exception_fp_ieee_inexact 0
		.amdhsa_exception_int_div_zero 0
	.end_amdhsa_kernel
	.section	.text._ZN2at6native20bitonicSortKVInPlaceILin2ELin1ELi16ELi16EhlNS0_4GTOpIhLb1EEEjEEvNS_4cuda6detail10TensorInfoIT3_T6_EES8_S8_S8_NS6_IT4_S8_EES8_T5_,"axG",@progbits,_ZN2at6native20bitonicSortKVInPlaceILin2ELin1ELi16ELi16EhlNS0_4GTOpIhLb1EEEjEEvNS_4cuda6detail10TensorInfoIT3_T6_EES8_S8_S8_NS6_IT4_S8_EES8_T5_,comdat
.Lfunc_end1:
	.size	_ZN2at6native20bitonicSortKVInPlaceILin2ELin1ELi16ELi16EhlNS0_4GTOpIhLb1EEEjEEvNS_4cuda6detail10TensorInfoIT3_T6_EES8_S8_S8_NS6_IT4_S8_EES8_T5_, .Lfunc_end1-_ZN2at6native20bitonicSortKVInPlaceILin2ELin1ELi16ELi16EhlNS0_4GTOpIhLb1EEEjEEvNS_4cuda6detail10TensorInfoIT3_T6_EES8_S8_S8_NS6_IT4_S8_EES8_T5_
                                        ; -- End function
	.section	.AMDGPU.csdata,"",@progbits
; Kernel info:
; codeLenInByte = 4632
; NumSgprs: 22
; NumVgprs: 33
; NumAgprs: 0
; TotalNumVgprs: 33
; ScratchSize: 0
; MemoryBound: 0
; FloatMode: 240
; IeeeMode: 1
; LDSByteSize: 5120 bytes/workgroup (compile time only)
; SGPRBlocks: 2
; VGPRBlocks: 4
; NumSGPRsForWavesPerEU: 22
; NumVGPRsForWavesPerEU: 33
; AccumOffset: 36
; Occupancy: 8
; WaveLimiterHint : 1
; COMPUTE_PGM_RSRC2:SCRATCH_EN: 0
; COMPUTE_PGM_RSRC2:USER_SGPR: 6
; COMPUTE_PGM_RSRC2:TRAP_HANDLER: 0
; COMPUTE_PGM_RSRC2:TGID_X_EN: 1
; COMPUTE_PGM_RSRC2:TGID_Y_EN: 1
; COMPUTE_PGM_RSRC2:TGID_Z_EN: 1
; COMPUTE_PGM_RSRC2:TIDIG_COMP_CNT: 1
; COMPUTE_PGM_RSRC3_GFX90A:ACCUM_OFFSET: 8
; COMPUTE_PGM_RSRC3_GFX90A:TG_SPLIT: 0
	.section	.text._ZN2at6native20bitonicSortKVInPlaceILi2ELin1ELi16ELi16EhlNS0_4LTOpIhLb1EEEjEEvNS_4cuda6detail10TensorInfoIT3_T6_EES8_S8_S8_NS6_IT4_S8_EES8_T5_,"axG",@progbits,_ZN2at6native20bitonicSortKVInPlaceILi2ELin1ELi16ELi16EhlNS0_4LTOpIhLb1EEEjEEvNS_4cuda6detail10TensorInfoIT3_T6_EES8_S8_S8_NS6_IT4_S8_EES8_T5_,comdat
	.protected	_ZN2at6native20bitonicSortKVInPlaceILi2ELin1ELi16ELi16EhlNS0_4LTOpIhLb1EEEjEEvNS_4cuda6detail10TensorInfoIT3_T6_EES8_S8_S8_NS6_IT4_S8_EES8_T5_ ; -- Begin function _ZN2at6native20bitonicSortKVInPlaceILi2ELin1ELi16ELi16EhlNS0_4LTOpIhLb1EEEjEEvNS_4cuda6detail10TensorInfoIT3_T6_EES8_S8_S8_NS6_IT4_S8_EES8_T5_
	.globl	_ZN2at6native20bitonicSortKVInPlaceILi2ELin1ELi16ELi16EhlNS0_4LTOpIhLb1EEEjEEvNS_4cuda6detail10TensorInfoIT3_T6_EES8_S8_S8_NS6_IT4_S8_EES8_T5_
	.p2align	8
	.type	_ZN2at6native20bitonicSortKVInPlaceILi2ELin1ELi16ELi16EhlNS0_4LTOpIhLb1EEEjEEvNS_4cuda6detail10TensorInfoIT3_T6_EES8_S8_S8_NS6_IT4_S8_EES8_T5_,@function
_ZN2at6native20bitonicSortKVInPlaceILi2ELin1ELi16ELi16EhlNS0_4LTOpIhLb1EEEjEEvNS_4cuda6detail10TensorInfoIT3_T6_EES8_S8_S8_NS6_IT4_S8_EES8_T5_: ; @_ZN2at6native20bitonicSortKVInPlaceILi2ELin1ELi16ELi16EhlNS0_4LTOpIhLb1EEEjEEvNS_4cuda6detail10TensorInfoIT3_T6_EES8_S8_S8_NS6_IT4_S8_EES8_T5_
; %bb.0:
	s_load_dwordx2 s[0:1], s[4:5], 0x1c8
	s_load_dwordx4 s[12:15], s[4:5], 0xd8
	s_load_dword s9, s[4:5], 0x1d4
	s_add_u32 s2, s4, 0x1c8
	s_addc_u32 s3, s5, 0
	s_waitcnt lgkmcnt(0)
	s_mul_i32 s1, s1, s8
	s_add_i32 s1, s1, s7
	s_mul_i32 s0, s1, s0
	s_add_i32 s0, s0, s6
	s_lshr_b32 s1, s9, 16
	s_mul_i32 s0, s0, s1
	s_cmp_ge_u32 s0, s12
	s_cbranch_scc1 .LBB2_86
; %bb.1:
	s_load_dword s15, s[4:5], 0xc
	s_load_dwordx2 s[8:9], s[4:5], 0x6c
	s_load_dword s17, s[4:5], 0x1b8
	s_add_u32 s10, s4, 0xe8
	v_bfe_u32 v8, v0, 10, 10
	s_waitcnt lgkmcnt(0)
	v_cvt_f32_u32_e32 v1, s15
	s_load_dwordx2 s[6:7], s[4:5], 0x0
	s_addc_u32 s11, s5, 0
	s_mov_b32 s1, 0
	v_rcp_iflag_f32_e32 v1, v1
	v_mov_b32_e32 v4, 0
	v_mul_f32_e32 v1, 0x4f7ffffe, v1
	v_cvt_u32_f32_e32 v2, v1
	v_add_u32_e32 v1, s0, v8
	s_sub_i32 s0, 0, s15
	s_cmp_lt_i32 s17, 2
	v_mul_lo_u32 v3, s0, v2
	v_mul_hi_u32 v3, v2, v3
	v_add_u32_e32 v2, v2, v3
	v_mad_u64_u32 v[2:3], s[18:19], v1, v2, 0
	v_mov_b32_e32 v6, v1
	s_cbranch_scc1 .LBB2_4
; %bb.2:
	s_add_i32 s0, s17, -1
	s_add_i32 s16, s17, 1
	s_lshl_b64 s[0:1], s[0:1], 2
	s_add_u32 s0, s0, s10
	s_addc_u32 s1, s1, s11
	s_add_u32 s0, s0, 8
	s_addc_u32 s1, s1, 0
	v_mov_b32_e32 v4, 0
	v_mov_b32_e32 v6, v1
.LBB2_3:                                ; =>This Inner Loop Header: Depth=1
	s_load_dword s17, s[0:1], 0x0
	s_load_dword s18, s[0:1], 0x64
	v_mov_b32_e32 v2, v6
	s_add_i32 s16, s16, -1
	s_waitcnt lgkmcnt(0)
	v_cvt_f32_u32_e32 v5, s17
	s_sub_i32 s19, 0, s17
	s_add_u32 s0, s0, -4
	s_addc_u32 s1, s1, -1
	v_rcp_iflag_f32_e32 v5, v5
	s_cmp_gt_u32 s16, 2
	v_mul_f32_e32 v5, 0x4f7ffffe, v5
	v_cvt_u32_f32_e32 v5, v5
	v_mul_lo_u32 v6, s19, v5
	v_mul_hi_u32 v6, v5, v6
	v_add_u32_e32 v5, v5, v6
	v_mul_hi_u32 v5, v2, v5
	v_mul_lo_u32 v6, v5, s17
	v_sub_u32_e32 v6, v2, v6
	v_add_u32_e32 v7, 1, v5
	v_cmp_le_u32_e32 vcc, s17, v6
	v_cndmask_b32_e32 v5, v5, v7, vcc
	v_subrev_u32_e32 v7, s17, v6
	v_cndmask_b32_e32 v6, v6, v7, vcc
	v_add_u32_e32 v7, 1, v5
	v_cmp_le_u32_e32 vcc, s17, v6
	v_cndmask_b32_e32 v6, v5, v7, vcc
	v_mul_lo_u32 v5, v6, s17
	v_sub_u32_e32 v2, v2, v5
	v_mad_u64_u32 v[4:5], s[18:19], s18, v2, v[4:5]
	s_cbranch_scc1 .LBB2_3
.LBB2_4:
	v_mul_lo_u32 v2, v3, s15
	v_sub_u32_e32 v2, v1, v2
	v_add_u32_e32 v5, 1, v3
	v_cmp_le_u32_e64 s[0:1], s15, v2
	v_cndmask_b32_e64 v3, v3, v5, s[0:1]
	v_subrev_u32_e32 v5, s15, v2
	v_cndmask_b32_e64 v2, v2, v5, s[0:1]
	v_add_u32_e32 v5, 1, v3
	v_cmp_le_u32_e64 s[0:1], s15, v2
	v_cndmask_b32_e64 v3, v3, v5, s[0:1]
	v_cmp_gt_u32_e32 vcc, s12, v1
	v_mul_lo_u32 v2, v3, s15
	s_load_dword s15, s[4:5], 0x1c0
	s_load_dword s12, s[10:11], 0x6c
	v_sub_u32_e32 v1, v1, v2
	v_mul_lo_u32 v2, v1, s9
	v_mad_u64_u32 v[2:3], s[0:1], v3, s8, v[2:3]
	s_load_dwordx2 s[8:9], s[10:11], 0x0
	s_waitcnt lgkmcnt(0)
	v_mad_u64_u32 v[4:5], s[0:1], s12, v6, v[4:5]
	s_load_dword s12, s[2:3], 0xc
	v_and_b32_e32 v3, 0x3ff, v0
	v_cmp_gt_u32_e64 s[0:1], s13, v3
	v_pk_mov_b32 v[0:1], 0, 0
	s_and_b64 s[4:5], vcc, s[0:1]
	v_mov_b32_e32 v10, 0
	v_mov_b32_e32 v5, 0
	v_pk_mov_b32 v[6:7], v[0:1], v[0:1] op_sel:[0,1]
	s_and_saveexec_b64 s[10:11], s[4:5]
	s_cbranch_execz .LBB2_6
; %bb.5:
	v_mad_u64_u32 v[6:7], s[2:3], v3, s14, v[2:3]
	global_load_ubyte v5, v6, s[6:7]
	v_mov_b32_e32 v9, s9
	s_waitcnt vmcnt(0)
	v_mad_u64_u32 v[6:7], s[2:3], v3, s15, v[4:5]
	v_mov_b32_e32 v7, 0
	v_lshlrev_b64 v[6:7], 3, v[6:7]
	v_add_co_u32_e64 v6, s[2:3], s8, v6
	v_addc_co_u32_e64 v7, s[2:3], v9, v7, s[2:3]
	global_load_dwordx2 v[6:7], v[6:7], off
.LBB2_6:
	s_or_b64 exec, exec, s[10:11]
	v_lshlrev_b32_e32 v9, 5, v8
	v_add_u32_e32 v16, 0x1000, v9
	v_add_u32_e32 v15, 0x1200, v9
	;; [unrolled: 1-line block ×3, first 2 shown]
	s_waitcnt lgkmcnt(0)
	s_and_b32 s16, 0xffff, s12
	v_cndmask_b32_e64 v11, 0, 1, s[4:5]
	ds_write_b8 v9, v5
	v_add_u32_e32 v5, v15, v3
	ds_write_b8 v5, v11
	v_add_u32_e32 v5, s16, v3
	v_lshlrev_b32_e32 v13, 8, v8
	v_cmp_gt_u32_e64 s[2:3], s13, v5
	v_lshl_add_u32 v8, v3, 3, v13
	s_and_b64 s[10:11], vcc, s[2:3]
	s_waitcnt vmcnt(0)
	ds_write_b64 v8, v[6:7]
	s_and_saveexec_b64 s[12:13], s[10:11]
	s_cbranch_execz .LBB2_8
; %bb.7:
	v_mad_u64_u32 v[0:1], s[4:5], v5, s14, v[2:3]
	global_load_ubyte v10, v0, s[6:7]
	v_mad_u64_u32 v[0:1], s[4:5], v5, s15, v[4:5]
	v_mov_b32_e32 v1, 0
	v_lshlrev_b64 v[0:1], 3, v[0:1]
	v_mov_b32_e32 v6, s9
	v_add_co_u32_e64 v0, s[4:5], s8, v0
	v_addc_co_u32_e64 v1, s[4:5], v6, v1, s[4:5]
	global_load_dwordx2 v[0:1], v[0:1], off
.LBB2_8:
	s_or_b64 exec, exec, s[12:13]
	v_lshl_add_u32 v6, s16, 3, v8
	v_lshlrev_b32_e32 v17, 1, v3
	v_cndmask_b32_e64 v11, 0, 1, s[10:11]
	v_add_u32_e32 v7, v16, v5
	s_waitcnt vmcnt(0)
	ds_write_b64 v6, v[0:1]
	v_add_u32_e32 v0, v15, v5
	v_add_u32_e32 v1, v16, v17
	ds_write_b8 v7, v10
	ds_write_b8 v0, v11
	s_waitcnt lgkmcnt(0)
	s_barrier
	ds_read_u16 v11, v1
	s_mov_b32 s16, 1
	v_add_u32_e32 v0, v15, v17
	s_waitcnt lgkmcnt(0)
	v_cmp_ge_u16_sdwa s[10:11], v11, v11 src0_sel:BYTE_0 src1_sel:BYTE_1
	v_cmp_lt_u16_sdwa s[4:5], v11, v11 src0_sel:BYTE_0 src1_sel:BYTE_1
	s_and_saveexec_b64 s[12:13], s[4:5]
	s_xor_b64 s[12:13], exec, s[12:13]
	s_cbranch_execz .LBB2_10
; %bb.9:
	ds_read_u8 v10, v0
	s_andn2_b64 s[10:11], s[10:11], exec
	s_waitcnt lgkmcnt(0)
	v_and_b32_e32 v10, 1, v10
	v_cmp_eq_u32_e64 s[4:5], 1, v10
	s_xor_b64 s[4:5], s[4:5], -1
	s_and_b64 s[4:5], s[4:5], exec
	s_or_b64 s[10:11], s[10:11], s[4:5]
.LBB2_10:
	s_or_b64 exec, exec, s[12:13]
	v_mov_b32_e32 v14, s16
	s_and_saveexec_b64 s[4:5], s[10:11]
	s_cbranch_execz .LBB2_12
; %bb.11:
	ds_read_u8 v10, v0 offset:1
	s_waitcnt lgkmcnt(0)
	v_xor_b32_e32 v14, 1, v10
.LBB2_12:
	s_or_b64 exec, exec, s[4:5]
	v_and_b32_e32 v12, 1, v3
	v_lshlrev_b32_e32 v10, 3, v3
	v_cmp_eq_u32_e64 s[4:5], v14, v12
	s_and_saveexec_b64 s[10:11], s[4:5]
	s_cbranch_execz .LBB2_14
; %bb.13:
	v_add_u32_e32 v14, v8, v10
	ds_read_b128 v[18:21], v14
	ds_read_u16 v24, v0
	v_lshlrev_b16_e32 v22, 8, v11
	v_or_b32_sdwa v11, v11, v22 dst_sel:DWORD dst_unused:UNUSED_PAD src0_sel:BYTE_1 src1_sel:DWORD
	s_mov_b32 s4, 0xc0c0001
	ds_write_b16 v1, v11
	s_waitcnt lgkmcnt(2)
	v_mov_b32_e32 v22, v18
	v_mov_b32_e32 v23, v19
	s_waitcnt lgkmcnt(1)
	v_perm_b32 v11, 0, v24, s4
	ds_write_b128 v14, v[20:23]
	ds_write_b16 v0, v11
.LBB2_14:
	s_or_b64 exec, exec, s[10:11]
	v_sub_u32_e32 v14, v17, v12
	v_add_u32_e32 v11, v16, v14
	s_waitcnt lgkmcnt(0)
	s_barrier
	ds_read_u8 v19, v11
	ds_read_u8 v20, v11 offset:2
	s_mov_b64 s[10:11], -1
	v_add_u32_e32 v12, v15, v14
                                        ; implicit-def: $sgpr16
	s_waitcnt lgkmcnt(0)
	v_cmp_lt_u16_e64 s[4:5], v19, v20
	s_and_saveexec_b64 s[12:13], s[4:5]
	s_xor_b64 s[12:13], exec, s[12:13]
	s_cbranch_execz .LBB2_16
; %bb.15:
	ds_read_u8 v18, v12
	s_mov_b32 s16, 1
	s_waitcnt lgkmcnt(0)
	v_and_b32_e32 v18, 1, v18
	v_cmp_eq_u32_e64 s[4:5], 1, v18
	s_xor_b64 s[4:5], s[4:5], -1
	s_orn2_b64 s[10:11], s[4:5], exec
.LBB2_16:
	s_or_b64 exec, exec, s[12:13]
	v_mov_b32_e32 v21, s16
	s_and_saveexec_b64 s[4:5], s[10:11]
	s_cbranch_execz .LBB2_18
; %bb.17:
	ds_read_u8 v18, v12 offset:2
	s_waitcnt lgkmcnt(0)
	v_xor_b32_e32 v21, 1, v18
.LBB2_18:
	s_or_b64 exec, exec, s[4:5]
	v_bfe_u32 v18, v3, 1, 1
	v_lshl_add_u32 v14, v14, 3, v13
	v_cmp_eq_u32_e64 s[4:5], v21, v18
	s_and_saveexec_b64 s[10:11], s[4:5]
	s_cbranch_execz .LBB2_20
; %bb.19:
	ds_read2_b64 v[22:25], v14 offset1:2
	ds_read_u8 v21, v12 offset:2
	ds_read_u8 v26, v12
	ds_write_b8 v11, v20
	ds_write_b8 v11, v19 offset:2
	s_waitcnt lgkmcnt(4)
	ds_write2_b64 v14, v[24:25], v[22:23] offset1:2
	s_waitcnt lgkmcnt(4)
	ds_write_b8 v12, v21
	s_waitcnt lgkmcnt(4)
	ds_write_b8 v12, v26 offset:2
.LBB2_20:
	s_or_b64 exec, exec, s[10:11]
	s_waitcnt lgkmcnt(0)
	s_barrier
	ds_read_u16 v19, v1
                                        ; implicit-def: $sgpr16
	s_waitcnt lgkmcnt(0)
	v_cmp_ge_u16_sdwa s[10:11], v19, v19 src0_sel:BYTE_0 src1_sel:BYTE_1
	v_cmp_lt_u16_sdwa s[4:5], v19, v19 src0_sel:BYTE_0 src1_sel:BYTE_1
	s_and_saveexec_b64 s[12:13], s[4:5]
	s_cbranch_execnz .LBB2_87
; %bb.21:
	s_or_b64 exec, exec, s[12:13]
	v_mov_b32_e32 v20, s16
	s_and_saveexec_b64 s[4:5], s[10:11]
	s_cbranch_execnz .LBB2_88
.LBB2_22:
	s_or_b64 exec, exec, s[4:5]
	v_cmp_eq_u32_e64 s[4:5], v20, v18
	s_and_saveexec_b64 s[10:11], s[4:5]
	s_cbranch_execz .LBB2_24
.LBB2_23:
	v_add_u32_e32 v24, v8, v10
	ds_read_b128 v[20:23], v24
	ds_read_u16 v25, v0
	v_lshlrev_b16_e32 v18, 8, v19
	v_or_b32_sdwa v18, v19, v18 dst_sel:DWORD dst_unused:UNUSED_PAD src0_sel:BYTE_1 src1_sel:DWORD
	ds_write_b16 v1, v18
	s_waitcnt lgkmcnt(2)
	v_mov_b32_e32 v18, v22
	v_mov_b32_e32 v19, v23
	s_mov_b32 s4, 0xc0c0001
	ds_write_b128 v24, v[18:21]
	s_waitcnt lgkmcnt(2)
	v_perm_b32 v18, 0, v25, s4
	ds_write_b16 v0, v18
.LBB2_24:
	s_or_b64 exec, exec, s[10:11]
	v_and_b32_e32 v18, 3, v3
	v_sub_u32_e32 v20, v17, v18
	v_add_u32_e32 v18, v16, v20
	s_waitcnt lgkmcnt(0)
	s_barrier
	ds_read_u8 v22, v18
	ds_read_u8 v23, v18 offset:4
	v_add_u32_e32 v19, v15, v20
                                        ; implicit-def: $sgpr16
	s_waitcnt lgkmcnt(0)
	v_cmp_ge_u16_e64 s[10:11], v22, v23
	v_cmp_lt_u16_e64 s[4:5], v22, v23
	s_and_saveexec_b64 s[12:13], s[4:5]
	s_cbranch_execz .LBB2_26
; %bb.25:
	ds_read_u8 v21, v19
	s_andn2_b64 s[10:11], s[10:11], exec
	s_mov_b32 s16, 1
	s_waitcnt lgkmcnt(0)
	v_and_b32_e32 v21, 1, v21
	v_cmp_eq_u32_e64 s[4:5], 1, v21
	s_xor_b64 s[4:5], s[4:5], -1
	s_and_b64 s[4:5], s[4:5], exec
	s_or_b64 s[10:11], s[10:11], s[4:5]
.LBB2_26:
	s_or_b64 exec, exec, s[12:13]
	v_mov_b32_e32 v24, s16
	s_and_saveexec_b64 s[4:5], s[10:11]
	s_cbranch_execz .LBB2_28
; %bb.27:
	ds_read_u8 v21, v19 offset:4
	s_waitcnt lgkmcnt(0)
	v_xor_b32_e32 v24, 1, v21
.LBB2_28:
	s_or_b64 exec, exec, s[4:5]
	v_bfe_u32 v21, v3, 2, 1
	v_lshl_add_u32 v20, v20, 3, v13
	v_cmp_eq_u32_e64 s[4:5], v24, v21
	s_and_saveexec_b64 s[10:11], s[4:5]
	s_cbranch_execz .LBB2_30
; %bb.29:
	ds_read2_b64 v[24:27], v20 offset1:4
	ds_read_u8 v28, v19 offset:4
	ds_read_u8 v29, v19
	ds_write_b8 v18, v23
	ds_write_b8 v18, v22 offset:4
	s_waitcnt lgkmcnt(4)
	ds_write2_b64 v20, v[26:27], v[24:25] offset1:4
	s_waitcnt lgkmcnt(4)
	ds_write_b8 v19, v28
	s_waitcnt lgkmcnt(4)
	ds_write_b8 v19, v29 offset:4
.LBB2_30:
	s_or_b64 exec, exec, s[10:11]
	s_waitcnt lgkmcnt(0)
	s_barrier
	ds_read_u8 v22, v11
	ds_read_u8 v23, v11 offset:2
                                        ; implicit-def: $sgpr16
	s_waitcnt lgkmcnt(0)
	v_cmp_ge_u16_e64 s[10:11], v22, v23
	v_cmp_lt_u16_e64 s[4:5], v22, v23
	s_and_saveexec_b64 s[12:13], s[4:5]
	s_cbranch_execnz .LBB2_89
; %bb.31:
	s_or_b64 exec, exec, s[12:13]
	v_mov_b32_e32 v24, s16
	s_and_saveexec_b64 s[4:5], s[10:11]
	s_cbranch_execnz .LBB2_90
.LBB2_32:
	s_or_b64 exec, exec, s[4:5]
	v_cmp_eq_u32_e64 s[4:5], v24, v21
	s_and_saveexec_b64 s[10:11], s[4:5]
	s_cbranch_execz .LBB2_34
.LBB2_33:
	ds_read2_b64 v[24:27], v14 offset1:2
	ds_read_u8 v28, v12 offset:2
	ds_read_u8 v29, v12
	ds_write_b8 v11, v23
	ds_write_b8 v11, v22 offset:2
	s_waitcnt lgkmcnt(4)
	ds_write2_b64 v14, v[26:27], v[24:25] offset1:2
	s_waitcnt lgkmcnt(4)
	ds_write_b8 v12, v28
	s_waitcnt lgkmcnt(4)
	ds_write_b8 v12, v29 offset:2
.LBB2_34:
	s_or_b64 exec, exec, s[10:11]
	s_waitcnt lgkmcnt(0)
	s_barrier
	ds_read_u16 v22, v1
                                        ; implicit-def: $sgpr16
	s_waitcnt lgkmcnt(0)
	v_cmp_ge_u16_sdwa s[10:11], v22, v22 src0_sel:BYTE_0 src1_sel:BYTE_1
	v_cmp_lt_u16_sdwa s[4:5], v22, v22 src0_sel:BYTE_0 src1_sel:BYTE_1
	s_and_saveexec_b64 s[12:13], s[4:5]
	s_cbranch_execnz .LBB2_91
; %bb.35:
	s_or_b64 exec, exec, s[12:13]
	v_mov_b32_e32 v23, s16
	s_and_saveexec_b64 s[4:5], s[10:11]
	s_cbranch_execnz .LBB2_92
.LBB2_36:
	s_or_b64 exec, exec, s[4:5]
	v_cmp_eq_u32_e64 s[4:5], v23, v21
	s_and_saveexec_b64 s[10:11], s[4:5]
	s_cbranch_execz .LBB2_38
.LBB2_37:
	v_add_u32_e32 v21, v8, v10
	ds_read_b128 v[24:27], v21
	ds_read_u16 v28, v0
	v_lshlrev_b16_e32 v23, 8, v22
	v_or_b32_sdwa v22, v22, v23 dst_sel:DWORD dst_unused:UNUSED_PAD src0_sel:BYTE_1 src1_sel:DWORD
	ds_write_b16 v1, v22
	s_waitcnt lgkmcnt(2)
	v_mov_b32_e32 v22, v26
	v_mov_b32_e32 v23, v27
	s_mov_b32 s4, 0xc0c0001
	ds_write_b128 v21, v[22:25]
	s_waitcnt lgkmcnt(2)
	v_perm_b32 v21, 0, v28, s4
	ds_write_b16 v0, v21
.LBB2_38:
	s_or_b64 exec, exec, s[10:11]
	v_and_b32_e32 v21, 7, v3
	v_sub_u32_e32 v23, v17, v21
	v_add_u32_e32 v21, v16, v23
	s_waitcnt lgkmcnt(0)
	s_barrier
	ds_read_u8 v25, v21
	ds_read_u8 v26, v21 offset:8
	v_add_u32_e32 v22, v15, v23
                                        ; implicit-def: $sgpr16
	s_waitcnt lgkmcnt(0)
	v_cmp_ge_u16_e64 s[10:11], v25, v26
	v_cmp_lt_u16_e64 s[4:5], v25, v26
	s_and_saveexec_b64 s[12:13], s[4:5]
	s_cbranch_execz .LBB2_40
; %bb.39:
	ds_read_u8 v24, v22
	s_andn2_b64 s[10:11], s[10:11], exec
	s_mov_b32 s16, 1
	s_waitcnt lgkmcnt(0)
	v_and_b32_e32 v24, 1, v24
	v_cmp_eq_u32_e64 s[4:5], 1, v24
	s_xor_b64 s[4:5], s[4:5], -1
	s_and_b64 s[4:5], s[4:5], exec
	s_or_b64 s[10:11], s[10:11], s[4:5]
.LBB2_40:
	s_or_b64 exec, exec, s[12:13]
	v_mov_b32_e32 v27, s16
	s_and_saveexec_b64 s[4:5], s[10:11]
	s_cbranch_execz .LBB2_42
; %bb.41:
	ds_read_u8 v24, v22 offset:8
	s_waitcnt lgkmcnt(0)
	v_xor_b32_e32 v27, 1, v24
.LBB2_42:
	s_or_b64 exec, exec, s[4:5]
	v_bfe_u32 v24, v3, 3, 1
	v_lshl_add_u32 v23, v23, 3, v13
	v_cmp_eq_u32_e64 s[4:5], v27, v24
	s_and_saveexec_b64 s[10:11], s[4:5]
	s_cbranch_execz .LBB2_44
; %bb.43:
	ds_read2_b64 v[28:31], v23 offset1:8
	ds_read_u8 v27, v22 offset:8
	ds_read_u8 v32, v22
	ds_write_b8 v21, v26
	ds_write_b8 v21, v25 offset:8
	s_waitcnt lgkmcnt(4)
	ds_write2_b64 v23, v[30:31], v[28:29] offset1:8
	s_waitcnt lgkmcnt(4)
	ds_write_b8 v22, v27
	s_waitcnt lgkmcnt(4)
	ds_write_b8 v22, v32 offset:8
.LBB2_44:
	s_or_b64 exec, exec, s[10:11]
	s_waitcnt lgkmcnt(0)
	s_barrier
	ds_read_u8 v25, v18
	ds_read_u8 v26, v18 offset:4
                                        ; implicit-def: $sgpr16
	s_waitcnt lgkmcnt(0)
	v_cmp_ge_u16_e64 s[10:11], v25, v26
	v_cmp_lt_u16_e64 s[4:5], v25, v26
	s_and_saveexec_b64 s[12:13], s[4:5]
	s_cbranch_execnz .LBB2_93
; %bb.45:
	s_or_b64 exec, exec, s[12:13]
	v_mov_b32_e32 v27, s16
	s_and_saveexec_b64 s[4:5], s[10:11]
	s_cbranch_execnz .LBB2_94
.LBB2_46:
	s_or_b64 exec, exec, s[4:5]
	v_cmp_eq_u32_e64 s[4:5], v27, v24
	s_and_saveexec_b64 s[10:11], s[4:5]
	s_cbranch_execz .LBB2_48
.LBB2_47:
	ds_read2_b64 v[28:31], v20 offset1:4
	ds_read_u8 v27, v19 offset:4
	ds_read_u8 v32, v19
	ds_write_b8 v18, v26
	ds_write_b8 v18, v25 offset:4
	s_waitcnt lgkmcnt(4)
	ds_write2_b64 v20, v[30:31], v[28:29] offset1:4
	s_waitcnt lgkmcnt(4)
	ds_write_b8 v19, v27
	s_waitcnt lgkmcnt(4)
	ds_write_b8 v19, v32 offset:4
.LBB2_48:
	s_or_b64 exec, exec, s[10:11]
	s_waitcnt lgkmcnt(0)
	s_barrier
	ds_read_u8 v25, v11
	ds_read_u8 v26, v11 offset:2
                                        ; implicit-def: $sgpr16
	s_waitcnt lgkmcnt(0)
	v_cmp_ge_u16_e64 s[10:11], v25, v26
	v_cmp_lt_u16_e64 s[4:5], v25, v26
	s_and_saveexec_b64 s[12:13], s[4:5]
	s_cbranch_execnz .LBB2_95
; %bb.49:
	s_or_b64 exec, exec, s[12:13]
	v_mov_b32_e32 v27, s16
	s_and_saveexec_b64 s[4:5], s[10:11]
	s_cbranch_execnz .LBB2_96
.LBB2_50:
	s_or_b64 exec, exec, s[4:5]
	v_cmp_eq_u32_e64 s[4:5], v27, v24
	s_and_saveexec_b64 s[10:11], s[4:5]
	s_cbranch_execz .LBB2_52
.LBB2_51:
	ds_read2_b64 v[28:31], v14 offset1:2
	ds_read_u8 v27, v12 offset:2
	ds_read_u8 v32, v12
	ds_write_b8 v11, v26
	ds_write_b8 v11, v25 offset:2
	s_waitcnt lgkmcnt(4)
	ds_write2_b64 v14, v[30:31], v[28:29] offset1:2
	s_waitcnt lgkmcnt(4)
	ds_write_b8 v12, v27
	s_waitcnt lgkmcnt(4)
	ds_write_b8 v12, v32 offset:2
.LBB2_52:
	s_or_b64 exec, exec, s[10:11]
	s_waitcnt lgkmcnt(0)
	s_barrier
	ds_read_u16 v25, v1
                                        ; implicit-def: $sgpr16
	s_waitcnt lgkmcnt(0)
	v_cmp_ge_u16_sdwa s[10:11], v25, v25 src0_sel:BYTE_0 src1_sel:BYTE_1
	v_cmp_lt_u16_sdwa s[4:5], v25, v25 src0_sel:BYTE_0 src1_sel:BYTE_1
	s_and_saveexec_b64 s[12:13], s[4:5]
	s_cbranch_execnz .LBB2_97
; %bb.53:
	s_or_b64 exec, exec, s[12:13]
	v_mov_b32_e32 v26, s16
	s_and_saveexec_b64 s[4:5], s[10:11]
	s_cbranch_execnz .LBB2_98
.LBB2_54:
	s_or_b64 exec, exec, s[4:5]
	v_cmp_eq_u32_e64 s[4:5], v26, v24
	s_and_saveexec_b64 s[10:11], s[4:5]
	s_cbranch_execz .LBB2_56
.LBB2_55:
	v_add_u32_e32 v30, v8, v10
	ds_read_b128 v[26:29], v30
	ds_read_u16 v31, v0
	v_lshlrev_b16_e32 v24, 8, v25
	v_or_b32_sdwa v24, v25, v24 dst_sel:DWORD dst_unused:UNUSED_PAD src0_sel:BYTE_1 src1_sel:DWORD
	ds_write_b16 v1, v24
	s_waitcnt lgkmcnt(2)
	v_mov_b32_e32 v24, v28
	v_mov_b32_e32 v25, v29
	s_mov_b32 s4, 0xc0c0001
	ds_write_b128 v30, v[24:27]
	s_waitcnt lgkmcnt(2)
	v_perm_b32 v24, 0, v31, s4
	ds_write_b16 v0, v24
.LBB2_56:
	s_or_b64 exec, exec, s[10:11]
	v_and_b32_e32 v24, 15, v3
	v_sub_u32_e32 v25, v17, v24
	v_add_u32_e32 v16, v16, v25
	s_waitcnt lgkmcnt(0)
	s_barrier
	ds_read_u8 v17, v16
	ds_read_u8 v24, v16 offset:16
	v_add_u32_e32 v15, v15, v25
	s_waitcnt lgkmcnt(0)
	v_cmp_ge_u16_e64 s[12:13], v17, v24
	v_cmp_lt_u16_e64 s[4:5], v17, v24
	s_and_saveexec_b64 s[10:11], s[4:5]
	s_cbranch_execz .LBB2_58
; %bb.57:
	ds_read_u8 v26, v15
	s_andn2_b64 s[12:13], s[12:13], exec
	s_waitcnt lgkmcnt(0)
	v_and_b32_e32 v26, 1, v26
	v_cmp_eq_u32_e64 s[4:5], 1, v26
	s_xor_b64 s[4:5], s[4:5], -1
	s_and_b64 s[4:5], s[4:5], exec
	s_or_b64 s[12:13], s[12:13], s[4:5]
.LBB2_58:
	s_or_b64 exec, exec, s[10:11]
	s_and_saveexec_b64 s[10:11], s[12:13]
	s_cbranch_execz .LBB2_61
; %bb.59:
	ds_read_u8 v26, v15 offset:16
	s_waitcnt lgkmcnt(0)
	v_cmp_ne_u16_e64 s[4:5], 0, v26
	s_and_b64 exec, exec, s[4:5]
	s_cbranch_execz .LBB2_61
; %bb.60:
	v_lshl_add_u32 v13, v25, 3, v13
	ds_read2_b64 v[28:31], v13 offset1:16
	ds_read_u8 v25, v15
	ds_write_b8 v16, v24
	ds_write_b8 v16, v17 offset:16
	ds_write_b8 v15, v26
	s_waitcnt lgkmcnt(4)
	ds_write2_b64 v13, v[30:31], v[28:29] offset1:16
	s_waitcnt lgkmcnt(4)
	ds_write_b8 v15, v25 offset:16
.LBB2_61:
	s_or_b64 exec, exec, s[10:11]
	s_waitcnt lgkmcnt(0)
	s_barrier
	ds_read_u8 v13, v21
	ds_read_u8 v15, v21 offset:8
	s_waitcnt lgkmcnt(0)
	v_cmp_ge_u16_e64 s[12:13], v13, v15
	v_cmp_lt_u16_e64 s[4:5], v13, v15
	s_and_saveexec_b64 s[10:11], s[4:5]
	s_cbranch_execz .LBB2_63
; %bb.62:
	ds_read_u8 v16, v22
	s_andn2_b64 s[12:13], s[12:13], exec
	s_waitcnt lgkmcnt(0)
	v_and_b32_e32 v16, 1, v16
	v_cmp_eq_u32_e64 s[4:5], 1, v16
	s_xor_b64 s[4:5], s[4:5], -1
	s_and_b64 s[4:5], s[4:5], exec
	s_or_b64 s[12:13], s[12:13], s[4:5]
.LBB2_63:
	s_or_b64 exec, exec, s[10:11]
	s_and_saveexec_b64 s[10:11], s[12:13]
	s_cbranch_execz .LBB2_66
; %bb.64:
	ds_read_u8 v16, v22 offset:8
	s_waitcnt lgkmcnt(0)
	v_cmp_ne_u16_e64 s[4:5], 0, v16
	s_and_b64 exec, exec, s[4:5]
	s_cbranch_execz .LBB2_66
; %bb.65:
	ds_read2_b64 v[24:27], v23 offset1:8
	ds_read_u8 v17, v22
	ds_write_b8 v21, v15
	ds_write_b8 v21, v13 offset:8
	ds_write_b8 v22, v16
	s_waitcnt lgkmcnt(4)
	ds_write2_b64 v23, v[26:27], v[24:25] offset1:8
	s_waitcnt lgkmcnt(4)
	ds_write_b8 v22, v17 offset:8
.LBB2_66:
	s_or_b64 exec, exec, s[10:11]
	s_waitcnt lgkmcnt(0)
	s_barrier
	ds_read_u8 v13, v18
	ds_read_u8 v15, v18 offset:4
	s_waitcnt lgkmcnt(0)
	v_cmp_ge_u16_e64 s[12:13], v13, v15
	v_cmp_lt_u16_e64 s[4:5], v13, v15
	s_and_saveexec_b64 s[10:11], s[4:5]
	s_cbranch_execz .LBB2_68
; %bb.67:
	ds_read_u8 v16, v19
	s_andn2_b64 s[12:13], s[12:13], exec
	s_waitcnt lgkmcnt(0)
	v_and_b32_e32 v16, 1, v16
	v_cmp_eq_u32_e64 s[4:5], 1, v16
	s_xor_b64 s[4:5], s[4:5], -1
	s_and_b64 s[4:5], s[4:5], exec
	s_or_b64 s[12:13], s[12:13], s[4:5]
.LBB2_68:
	s_or_b64 exec, exec, s[10:11]
	s_and_saveexec_b64 s[10:11], s[12:13]
	s_cbranch_execz .LBB2_71
; %bb.69:
	ds_read_u8 v16, v19 offset:4
	s_waitcnt lgkmcnt(0)
	v_cmp_ne_u16_e64 s[4:5], 0, v16
	s_and_b64 exec, exec, s[4:5]
	s_cbranch_execz .LBB2_71
; %bb.70:
	ds_read2_b64 v[22:25], v20 offset1:4
	ds_read_u8 v17, v19
	ds_write_b8 v18, v15
	ds_write_b8 v18, v13 offset:4
	ds_write_b8 v19, v16
	s_waitcnt lgkmcnt(4)
	ds_write2_b64 v20, v[24:25], v[22:23] offset1:4
	s_waitcnt lgkmcnt(4)
	ds_write_b8 v19, v17 offset:4
.LBB2_71:
	;; [unrolled: 40-line block ×3, first 2 shown]
	s_or_b64 exec, exec, s[10:11]
	s_waitcnt lgkmcnt(0)
	s_barrier
	ds_read_u16 v11, v1
	s_waitcnt lgkmcnt(0)
	v_cmp_ge_u16_sdwa s[12:13], v11, v11 src0_sel:BYTE_0 src1_sel:BYTE_1
	v_cmp_lt_u16_sdwa s[4:5], v11, v11 src0_sel:BYTE_0 src1_sel:BYTE_1
	s_and_saveexec_b64 s[10:11], s[4:5]
	s_cbranch_execz .LBB2_78
; %bb.77:
	ds_read_u8 v12, v0
	s_andn2_b64 s[12:13], s[12:13], exec
	s_waitcnt lgkmcnt(0)
	v_and_b32_e32 v12, 1, v12
	v_cmp_eq_u32_e64 s[4:5], 1, v12
	s_xor_b64 s[4:5], s[4:5], -1
	s_and_b64 s[4:5], s[4:5], exec
	s_or_b64 s[12:13], s[12:13], s[4:5]
.LBB2_78:
	s_or_b64 exec, exec, s[10:11]
	s_and_saveexec_b64 s[10:11], s[12:13]
	s_cbranch_execz .LBB2_81
; %bb.79:
	ds_read_u8 v12, v0 offset:1
	s_waitcnt lgkmcnt(0)
	v_cmp_ne_u16_e64 s[4:5], 0, v12
	s_and_b64 exec, exec, s[4:5]
	s_cbranch_execz .LBB2_81
; %bb.80:
	v_add_u32_e32 v10, v8, v10
	v_lshlrev_b16_e32 v13, 8, v11
	ds_read_b128 v[14:17], v10
	v_or_b32_sdwa v11, v11, v13 dst_sel:DWORD dst_unused:UNUSED_PAD src0_sel:BYTE_1 src1_sel:DWORD
	ds_read_u8 v13, v0
	ds_write_b16 v1, v11
	s_waitcnt lgkmcnt(2)
	v_mov_b32_e32 v18, v14
	v_mov_b32_e32 v19, v15
	s_waitcnt lgkmcnt(1)
	v_lshlrev_b16_e32 v1, 8, v13
	v_or_b32_e32 v1, v12, v1
	ds_write_b128 v10, v[16:19]
	ds_write_b16 v0, v1
.LBB2_81:
	s_or_b64 exec, exec, s[10:11]
	s_waitcnt lgkmcnt(0)
	s_barrier
	s_and_saveexec_b64 s[4:5], vcc
	s_cbranch_execz .LBB2_86
; %bb.82:
	s_and_saveexec_b64 s[4:5], s[0:1]
	s_cbranch_execz .LBB2_84
; %bb.83:
	ds_read_u8 v10, v9
	v_mad_u64_u32 v[0:1], s[0:1], v3, s14, v[2:3]
	ds_read_b64 v[8:9], v8
	s_waitcnt lgkmcnt(1)
	global_store_byte v0, v10, s[6:7]
	v_mad_u64_u32 v[0:1], s[0:1], v3, s15, v[4:5]
	v_mov_b32_e32 v1, 0
	v_lshlrev_b64 v[0:1], 3, v[0:1]
	v_mov_b32_e32 v3, s9
	v_add_co_u32_e32 v0, vcc, s8, v0
	v_addc_co_u32_e32 v1, vcc, v3, v1, vcc
	s_waitcnt lgkmcnt(0)
	global_store_dwordx2 v[0:1], v[8:9], off
.LBB2_84:
	s_or_b64 exec, exec, s[4:5]
	s_and_b64 exec, exec, s[2:3]
	s_cbranch_execz .LBB2_86
; %bb.85:
	ds_read_u8 v7, v7
	v_mad_u64_u32 v[0:1], s[0:1], v5, s14, v[2:3]
	ds_read_b64 v[2:3], v6
	s_waitcnt lgkmcnt(1)
	global_store_byte v0, v7, s[6:7]
	v_mad_u64_u32 v[0:1], s[0:1], v5, s15, v[4:5]
	v_mov_b32_e32 v1, 0
	v_lshlrev_b64 v[0:1], 3, v[0:1]
	v_mov_b32_e32 v4, s9
	v_add_co_u32_e32 v0, vcc, s8, v0
	v_addc_co_u32_e32 v1, vcc, v4, v1, vcc
	s_waitcnt lgkmcnt(0)
	global_store_dwordx2 v[0:1], v[2:3], off
.LBB2_86:
	s_endpgm
.LBB2_87:
	ds_read_u8 v20, v0
	s_andn2_b64 s[10:11], s[10:11], exec
	s_mov_b32 s16, 1
	s_waitcnt lgkmcnt(0)
	v_and_b32_e32 v20, 1, v20
	v_cmp_eq_u32_e64 s[4:5], 1, v20
	s_xor_b64 s[4:5], s[4:5], -1
	s_and_b64 s[4:5], s[4:5], exec
	s_or_b64 s[10:11], s[10:11], s[4:5]
	s_or_b64 exec, exec, s[12:13]
	v_mov_b32_e32 v20, s16
	s_and_saveexec_b64 s[4:5], s[10:11]
	s_cbranch_execz .LBB2_22
.LBB2_88:
	ds_read_u8 v20, v0 offset:1
	s_waitcnt lgkmcnt(0)
	v_xor_b32_e32 v20, 1, v20
	s_or_b64 exec, exec, s[4:5]
	v_cmp_eq_u32_e64 s[4:5], v20, v18
	s_and_saveexec_b64 s[10:11], s[4:5]
	s_cbranch_execnz .LBB2_23
	s_branch .LBB2_24
.LBB2_89:
	ds_read_u8 v24, v12
	s_andn2_b64 s[10:11], s[10:11], exec
	s_mov_b32 s16, 1
	s_waitcnt lgkmcnt(0)
	v_and_b32_e32 v24, 1, v24
	v_cmp_eq_u32_e64 s[4:5], 1, v24
	s_xor_b64 s[4:5], s[4:5], -1
	s_and_b64 s[4:5], s[4:5], exec
	s_or_b64 s[10:11], s[10:11], s[4:5]
	s_or_b64 exec, exec, s[12:13]
	v_mov_b32_e32 v24, s16
	s_and_saveexec_b64 s[4:5], s[10:11]
	s_cbranch_execz .LBB2_32
.LBB2_90:
	ds_read_u8 v24, v12 offset:2
	s_waitcnt lgkmcnt(0)
	v_xor_b32_e32 v24, 1, v24
	s_or_b64 exec, exec, s[4:5]
	v_cmp_eq_u32_e64 s[4:5], v24, v21
	s_and_saveexec_b64 s[10:11], s[4:5]
	s_cbranch_execnz .LBB2_33
	s_branch .LBB2_34
.LBB2_91:
	ds_read_u8 v23, v0
	s_andn2_b64 s[10:11], s[10:11], exec
	s_mov_b32 s16, 1
	s_waitcnt lgkmcnt(0)
	v_and_b32_e32 v23, 1, v23
	v_cmp_eq_u32_e64 s[4:5], 1, v23
	s_xor_b64 s[4:5], s[4:5], -1
	s_and_b64 s[4:5], s[4:5], exec
	s_or_b64 s[10:11], s[10:11], s[4:5]
	s_or_b64 exec, exec, s[12:13]
	v_mov_b32_e32 v23, s16
	s_and_saveexec_b64 s[4:5], s[10:11]
	s_cbranch_execz .LBB2_36
.LBB2_92:
	ds_read_u8 v23, v0 offset:1
	s_waitcnt lgkmcnt(0)
	v_xor_b32_e32 v23, 1, v23
	s_or_b64 exec, exec, s[4:5]
	v_cmp_eq_u32_e64 s[4:5], v23, v21
	s_and_saveexec_b64 s[10:11], s[4:5]
	s_cbranch_execnz .LBB2_37
	s_branch .LBB2_38
.LBB2_93:
	ds_read_u8 v27, v19
	s_andn2_b64 s[10:11], s[10:11], exec
	s_mov_b32 s16, 1
	s_waitcnt lgkmcnt(0)
	v_and_b32_e32 v27, 1, v27
	v_cmp_eq_u32_e64 s[4:5], 1, v27
	s_xor_b64 s[4:5], s[4:5], -1
	s_and_b64 s[4:5], s[4:5], exec
	s_or_b64 s[10:11], s[10:11], s[4:5]
	s_or_b64 exec, exec, s[12:13]
	v_mov_b32_e32 v27, s16
	s_and_saveexec_b64 s[4:5], s[10:11]
	s_cbranch_execz .LBB2_46
.LBB2_94:
	ds_read_u8 v27, v19 offset:4
	s_waitcnt lgkmcnt(0)
	v_xor_b32_e32 v27, 1, v27
	s_or_b64 exec, exec, s[4:5]
	v_cmp_eq_u32_e64 s[4:5], v27, v24
	s_and_saveexec_b64 s[10:11], s[4:5]
	s_cbranch_execnz .LBB2_47
	s_branch .LBB2_48
.LBB2_95:
	ds_read_u8 v27, v12
	s_andn2_b64 s[10:11], s[10:11], exec
	s_mov_b32 s16, 1
	s_waitcnt lgkmcnt(0)
	v_and_b32_e32 v27, 1, v27
	v_cmp_eq_u32_e64 s[4:5], 1, v27
	s_xor_b64 s[4:5], s[4:5], -1
	s_and_b64 s[4:5], s[4:5], exec
	s_or_b64 s[10:11], s[10:11], s[4:5]
	s_or_b64 exec, exec, s[12:13]
	v_mov_b32_e32 v27, s16
	s_and_saveexec_b64 s[4:5], s[10:11]
	s_cbranch_execz .LBB2_50
.LBB2_96:
	ds_read_u8 v27, v12 offset:2
	s_waitcnt lgkmcnt(0)
	v_xor_b32_e32 v27, 1, v27
	s_or_b64 exec, exec, s[4:5]
	v_cmp_eq_u32_e64 s[4:5], v27, v24
	s_and_saveexec_b64 s[10:11], s[4:5]
	s_cbranch_execnz .LBB2_51
	s_branch .LBB2_52
.LBB2_97:
	ds_read_u8 v26, v0
	s_andn2_b64 s[10:11], s[10:11], exec
	s_mov_b32 s16, 1
	s_waitcnt lgkmcnt(0)
	v_and_b32_e32 v26, 1, v26
	v_cmp_eq_u32_e64 s[4:5], 1, v26
	s_xor_b64 s[4:5], s[4:5], -1
	s_and_b64 s[4:5], s[4:5], exec
	s_or_b64 s[10:11], s[10:11], s[4:5]
	s_or_b64 exec, exec, s[12:13]
	v_mov_b32_e32 v26, s16
	s_and_saveexec_b64 s[4:5], s[10:11]
	s_cbranch_execz .LBB2_54
.LBB2_98:
	ds_read_u8 v26, v0 offset:1
	s_waitcnt lgkmcnt(0)
	v_xor_b32_e32 v26, 1, v26
	s_or_b64 exec, exec, s[4:5]
	v_cmp_eq_u32_e64 s[4:5], v26, v24
	s_and_saveexec_b64 s[10:11], s[4:5]
	s_cbranch_execnz .LBB2_55
	s_branch .LBB2_56
	.section	.rodata,"a",@progbits
	.p2align	6, 0x0
	.amdhsa_kernel _ZN2at6native20bitonicSortKVInPlaceILi2ELin1ELi16ELi16EhlNS0_4LTOpIhLb1EEEjEEvNS_4cuda6detail10TensorInfoIT3_T6_EES8_S8_S8_NS6_IT4_S8_EES8_T5_
		.amdhsa_group_segment_fixed_size 5120
		.amdhsa_private_segment_fixed_size 0
		.amdhsa_kernarg_size 712
		.amdhsa_user_sgpr_count 6
		.amdhsa_user_sgpr_private_segment_buffer 1
		.amdhsa_user_sgpr_dispatch_ptr 0
		.amdhsa_user_sgpr_queue_ptr 0
		.amdhsa_user_sgpr_kernarg_segment_ptr 1
		.amdhsa_user_sgpr_dispatch_id 0
		.amdhsa_user_sgpr_flat_scratch_init 0
		.amdhsa_user_sgpr_kernarg_preload_length 0
		.amdhsa_user_sgpr_kernarg_preload_offset 0
		.amdhsa_user_sgpr_private_segment_size 0
		.amdhsa_uses_dynamic_stack 0
		.amdhsa_system_sgpr_private_segment_wavefront_offset 0
		.amdhsa_system_sgpr_workgroup_id_x 1
		.amdhsa_system_sgpr_workgroup_id_y 1
		.amdhsa_system_sgpr_workgroup_id_z 1
		.amdhsa_system_sgpr_workgroup_info 0
		.amdhsa_system_vgpr_workitem_id 1
		.amdhsa_next_free_vgpr 33
		.amdhsa_next_free_sgpr 20
		.amdhsa_accum_offset 36
		.amdhsa_reserve_vcc 1
		.amdhsa_reserve_flat_scratch 0
		.amdhsa_float_round_mode_32 0
		.amdhsa_float_round_mode_16_64 0
		.amdhsa_float_denorm_mode_32 3
		.amdhsa_float_denorm_mode_16_64 3
		.amdhsa_dx10_clamp 1
		.amdhsa_ieee_mode 1
		.amdhsa_fp16_overflow 0
		.amdhsa_tg_split 0
		.amdhsa_exception_fp_ieee_invalid_op 0
		.amdhsa_exception_fp_denorm_src 0
		.amdhsa_exception_fp_ieee_div_zero 0
		.amdhsa_exception_fp_ieee_overflow 0
		.amdhsa_exception_fp_ieee_underflow 0
		.amdhsa_exception_fp_ieee_inexact 0
		.amdhsa_exception_int_div_zero 0
	.end_amdhsa_kernel
	.section	.text._ZN2at6native20bitonicSortKVInPlaceILi2ELin1ELi16ELi16EhlNS0_4LTOpIhLb1EEEjEEvNS_4cuda6detail10TensorInfoIT3_T6_EES8_S8_S8_NS6_IT4_S8_EES8_T5_,"axG",@progbits,_ZN2at6native20bitonicSortKVInPlaceILi2ELin1ELi16ELi16EhlNS0_4LTOpIhLb1EEEjEEvNS_4cuda6detail10TensorInfoIT3_T6_EES8_S8_S8_NS6_IT4_S8_EES8_T5_,comdat
.Lfunc_end2:
	.size	_ZN2at6native20bitonicSortKVInPlaceILi2ELin1ELi16ELi16EhlNS0_4LTOpIhLb1EEEjEEvNS_4cuda6detail10TensorInfoIT3_T6_EES8_S8_S8_NS6_IT4_S8_EES8_T5_, .Lfunc_end2-_ZN2at6native20bitonicSortKVInPlaceILi2ELin1ELi16ELi16EhlNS0_4LTOpIhLb1EEEjEEvNS_4cuda6detail10TensorInfoIT3_T6_EES8_S8_S8_NS6_IT4_S8_EES8_T5_
                                        ; -- End function
	.section	.AMDGPU.csdata,"",@progbits
; Kernel info:
; codeLenInByte = 4772
; NumSgprs: 24
; NumVgprs: 33
; NumAgprs: 0
; TotalNumVgprs: 33
; ScratchSize: 0
; MemoryBound: 0
; FloatMode: 240
; IeeeMode: 1
; LDSByteSize: 5120 bytes/workgroup (compile time only)
; SGPRBlocks: 2
; VGPRBlocks: 4
; NumSGPRsForWavesPerEU: 24
; NumVGPRsForWavesPerEU: 33
; AccumOffset: 36
; Occupancy: 8
; WaveLimiterHint : 1
; COMPUTE_PGM_RSRC2:SCRATCH_EN: 0
; COMPUTE_PGM_RSRC2:USER_SGPR: 6
; COMPUTE_PGM_RSRC2:TRAP_HANDLER: 0
; COMPUTE_PGM_RSRC2:TGID_X_EN: 1
; COMPUTE_PGM_RSRC2:TGID_Y_EN: 1
; COMPUTE_PGM_RSRC2:TGID_Z_EN: 1
; COMPUTE_PGM_RSRC2:TIDIG_COMP_CNT: 1
; COMPUTE_PGM_RSRC3_GFX90A:ACCUM_OFFSET: 8
; COMPUTE_PGM_RSRC3_GFX90A:TG_SPLIT: 0
	.section	.text._ZN2at6native20bitonicSortKVInPlaceILi2ELin1ELi16ELi16EhlNS0_4GTOpIhLb1EEEjEEvNS_4cuda6detail10TensorInfoIT3_T6_EES8_S8_S8_NS6_IT4_S8_EES8_T5_,"axG",@progbits,_ZN2at6native20bitonicSortKVInPlaceILi2ELin1ELi16ELi16EhlNS0_4GTOpIhLb1EEEjEEvNS_4cuda6detail10TensorInfoIT3_T6_EES8_S8_S8_NS6_IT4_S8_EES8_T5_,comdat
	.protected	_ZN2at6native20bitonicSortKVInPlaceILi2ELin1ELi16ELi16EhlNS0_4GTOpIhLb1EEEjEEvNS_4cuda6detail10TensorInfoIT3_T6_EES8_S8_S8_NS6_IT4_S8_EES8_T5_ ; -- Begin function _ZN2at6native20bitonicSortKVInPlaceILi2ELin1ELi16ELi16EhlNS0_4GTOpIhLb1EEEjEEvNS_4cuda6detail10TensorInfoIT3_T6_EES8_S8_S8_NS6_IT4_S8_EES8_T5_
	.globl	_ZN2at6native20bitonicSortKVInPlaceILi2ELin1ELi16ELi16EhlNS0_4GTOpIhLb1EEEjEEvNS_4cuda6detail10TensorInfoIT3_T6_EES8_S8_S8_NS6_IT4_S8_EES8_T5_
	.p2align	8
	.type	_ZN2at6native20bitonicSortKVInPlaceILi2ELin1ELi16ELi16EhlNS0_4GTOpIhLb1EEEjEEvNS_4cuda6detail10TensorInfoIT3_T6_EES8_S8_S8_NS6_IT4_S8_EES8_T5_,@function
_ZN2at6native20bitonicSortKVInPlaceILi2ELin1ELi16ELi16EhlNS0_4GTOpIhLb1EEEjEEvNS_4cuda6detail10TensorInfoIT3_T6_EES8_S8_S8_NS6_IT4_S8_EES8_T5_: ; @_ZN2at6native20bitonicSortKVInPlaceILi2ELin1ELi16ELi16EhlNS0_4GTOpIhLb1EEEjEEvNS_4cuda6detail10TensorInfoIT3_T6_EES8_S8_S8_NS6_IT4_S8_EES8_T5_
; %bb.0:
	s_load_dwordx2 s[0:1], s[4:5], 0x1c8
	s_load_dwordx4 s[12:15], s[4:5], 0xd8
	s_load_dword s9, s[4:5], 0x1d4
	s_add_u32 s2, s4, 0x1c8
	s_addc_u32 s3, s5, 0
	s_waitcnt lgkmcnt(0)
	s_mul_i32 s1, s1, s8
	s_add_i32 s1, s1, s7
	s_mul_i32 s0, s1, s0
	s_add_i32 s0, s0, s6
	s_lshr_b32 s1, s9, 16
	s_mul_i32 s0, s0, s1
	s_cmp_ge_u32 s0, s12
	s_cbranch_scc1 .LBB3_86
; %bb.1:
	s_load_dword s15, s[4:5], 0xc
	s_load_dwordx2 s[8:9], s[4:5], 0x6c
	s_load_dword s17, s[4:5], 0x1b8
	s_add_u32 s10, s4, 0xe8
	v_bfe_u32 v8, v0, 10, 10
	s_waitcnt lgkmcnt(0)
	v_cvt_f32_u32_e32 v1, s15
	s_load_dwordx2 s[6:7], s[4:5], 0x0
	s_addc_u32 s11, s5, 0
	s_mov_b32 s1, 0
	v_rcp_iflag_f32_e32 v1, v1
	v_mov_b32_e32 v4, 0
	v_mul_f32_e32 v1, 0x4f7ffffe, v1
	v_cvt_u32_f32_e32 v2, v1
	v_add_u32_e32 v1, s0, v8
	s_sub_i32 s0, 0, s15
	s_cmp_lt_i32 s17, 2
	v_mul_lo_u32 v3, s0, v2
	v_mul_hi_u32 v3, v2, v3
	v_add_u32_e32 v2, v2, v3
	v_mad_u64_u32 v[2:3], s[18:19], v1, v2, 0
	v_mov_b32_e32 v6, v1
	s_cbranch_scc1 .LBB3_4
; %bb.2:
	s_add_i32 s0, s17, -1
	s_add_i32 s16, s17, 1
	s_lshl_b64 s[0:1], s[0:1], 2
	s_add_u32 s0, s0, s10
	s_addc_u32 s1, s1, s11
	s_add_u32 s0, s0, 8
	s_addc_u32 s1, s1, 0
	v_mov_b32_e32 v4, 0
	v_mov_b32_e32 v6, v1
.LBB3_3:                                ; =>This Inner Loop Header: Depth=1
	s_load_dword s17, s[0:1], 0x0
	s_load_dword s18, s[0:1], 0x64
	v_mov_b32_e32 v2, v6
	s_add_i32 s16, s16, -1
	s_waitcnt lgkmcnt(0)
	v_cvt_f32_u32_e32 v5, s17
	s_sub_i32 s19, 0, s17
	s_add_u32 s0, s0, -4
	s_addc_u32 s1, s1, -1
	v_rcp_iflag_f32_e32 v5, v5
	s_cmp_gt_u32 s16, 2
	v_mul_f32_e32 v5, 0x4f7ffffe, v5
	v_cvt_u32_f32_e32 v5, v5
	v_mul_lo_u32 v6, s19, v5
	v_mul_hi_u32 v6, v5, v6
	v_add_u32_e32 v5, v5, v6
	v_mul_hi_u32 v5, v2, v5
	v_mul_lo_u32 v6, v5, s17
	v_sub_u32_e32 v6, v2, v6
	v_add_u32_e32 v7, 1, v5
	v_cmp_le_u32_e32 vcc, s17, v6
	v_cndmask_b32_e32 v5, v5, v7, vcc
	v_subrev_u32_e32 v7, s17, v6
	v_cndmask_b32_e32 v6, v6, v7, vcc
	v_add_u32_e32 v7, 1, v5
	v_cmp_le_u32_e32 vcc, s17, v6
	v_cndmask_b32_e32 v6, v5, v7, vcc
	v_mul_lo_u32 v5, v6, s17
	v_sub_u32_e32 v2, v2, v5
	v_mad_u64_u32 v[4:5], s[18:19], s18, v2, v[4:5]
	s_cbranch_scc1 .LBB3_3
.LBB3_4:
	v_mul_lo_u32 v2, v3, s15
	v_sub_u32_e32 v2, v1, v2
	v_add_u32_e32 v5, 1, v3
	v_cmp_le_u32_e64 s[0:1], s15, v2
	v_cndmask_b32_e64 v3, v3, v5, s[0:1]
	v_subrev_u32_e32 v5, s15, v2
	v_cndmask_b32_e64 v2, v2, v5, s[0:1]
	v_add_u32_e32 v5, 1, v3
	v_cmp_le_u32_e64 s[0:1], s15, v2
	v_cndmask_b32_e64 v3, v3, v5, s[0:1]
	v_cmp_gt_u32_e32 vcc, s12, v1
	v_mul_lo_u32 v2, v3, s15
	s_load_dword s15, s[4:5], 0x1c0
	s_load_dword s12, s[10:11], 0x6c
	v_sub_u32_e32 v1, v1, v2
	v_mul_lo_u32 v2, v1, s9
	v_mad_u64_u32 v[2:3], s[0:1], v3, s8, v[2:3]
	s_load_dwordx2 s[8:9], s[10:11], 0x0
	s_waitcnt lgkmcnt(0)
	v_mad_u64_u32 v[4:5], s[0:1], s12, v6, v[4:5]
	s_load_dword s12, s[2:3], 0xc
	v_and_b32_e32 v3, 0x3ff, v0
	v_cmp_gt_u32_e64 s[0:1], s13, v3
	v_pk_mov_b32 v[0:1], 0, 0
	s_and_b64 s[4:5], vcc, s[0:1]
	v_mov_b32_e32 v10, 0
	v_mov_b32_e32 v5, 0
	v_pk_mov_b32 v[6:7], v[0:1], v[0:1] op_sel:[0,1]
	s_and_saveexec_b64 s[10:11], s[4:5]
	s_cbranch_execz .LBB3_6
; %bb.5:
	v_mad_u64_u32 v[6:7], s[2:3], v3, s14, v[2:3]
	global_load_ubyte v5, v6, s[6:7]
	v_mov_b32_e32 v9, s9
	s_waitcnt vmcnt(0)
	v_mad_u64_u32 v[6:7], s[2:3], v3, s15, v[4:5]
	v_mov_b32_e32 v7, 0
	v_lshlrev_b64 v[6:7], 3, v[6:7]
	v_add_co_u32_e64 v6, s[2:3], s8, v6
	v_addc_co_u32_e64 v7, s[2:3], v9, v7, s[2:3]
	global_load_dwordx2 v[6:7], v[6:7], off
.LBB3_6:
	s_or_b64 exec, exec, s[10:11]
	v_lshlrev_b32_e32 v9, 5, v8
	v_add_u32_e32 v16, 0x1000, v9
	v_add_u32_e32 v15, 0x1200, v9
	;; [unrolled: 1-line block ×3, first 2 shown]
	s_waitcnt lgkmcnt(0)
	s_and_b32 s16, 0xffff, s12
	v_cndmask_b32_e64 v11, 0, 1, s[4:5]
	ds_write_b8 v9, v5
	v_add_u32_e32 v5, v15, v3
	ds_write_b8 v5, v11
	v_add_u32_e32 v5, s16, v3
	v_lshlrev_b32_e32 v13, 8, v8
	v_cmp_gt_u32_e64 s[2:3], s13, v5
	v_lshl_add_u32 v8, v3, 3, v13
	s_and_b64 s[10:11], vcc, s[2:3]
	s_waitcnt vmcnt(0)
	ds_write_b64 v8, v[6:7]
	s_and_saveexec_b64 s[12:13], s[10:11]
	s_cbranch_execz .LBB3_8
; %bb.7:
	v_mad_u64_u32 v[0:1], s[4:5], v5, s14, v[2:3]
	global_load_ubyte v10, v0, s[6:7]
	v_mad_u64_u32 v[0:1], s[4:5], v5, s15, v[4:5]
	v_mov_b32_e32 v1, 0
	v_lshlrev_b64 v[0:1], 3, v[0:1]
	v_mov_b32_e32 v6, s9
	v_add_co_u32_e64 v0, s[4:5], s8, v0
	v_addc_co_u32_e64 v1, s[4:5], v6, v1, s[4:5]
	global_load_dwordx2 v[0:1], v[0:1], off
.LBB3_8:
	s_or_b64 exec, exec, s[12:13]
	v_lshl_add_u32 v6, s16, 3, v8
	v_lshlrev_b32_e32 v17, 1, v3
	v_cndmask_b32_e64 v11, 0, 1, s[10:11]
	v_add_u32_e32 v7, v16, v5
	s_waitcnt vmcnt(0)
	ds_write_b64 v6, v[0:1]
	v_add_u32_e32 v0, v15, v5
	v_add_u32_e32 v1, v16, v17
	ds_write_b8 v7, v10
	ds_write_b8 v0, v11
	s_waitcnt lgkmcnt(0)
	s_barrier
	ds_read_u16 v11, v1
	s_mov_b32 s16, 1
	v_add_u32_e32 v0, v15, v17
	s_waitcnt lgkmcnt(0)
	v_cmp_le_u16_sdwa s[10:11], v11, v11 src0_sel:BYTE_0 src1_sel:BYTE_1
	v_cmp_gt_u16_sdwa s[4:5], v11, v11 src0_sel:BYTE_0 src1_sel:BYTE_1
	s_and_saveexec_b64 s[12:13], s[4:5]
	s_xor_b64 s[12:13], exec, s[12:13]
	s_cbranch_execz .LBB3_10
; %bb.9:
	ds_read_u8 v10, v0
	s_andn2_b64 s[10:11], s[10:11], exec
	s_waitcnt lgkmcnt(0)
	v_and_b32_e32 v10, 1, v10
	v_cmp_eq_u32_e64 s[4:5], 1, v10
	s_xor_b64 s[4:5], s[4:5], -1
	s_and_b64 s[4:5], s[4:5], exec
	s_or_b64 s[10:11], s[10:11], s[4:5]
.LBB3_10:
	s_or_b64 exec, exec, s[12:13]
	v_mov_b32_e32 v14, s16
	s_and_saveexec_b64 s[4:5], s[10:11]
	s_cbranch_execz .LBB3_12
; %bb.11:
	ds_read_u8 v10, v0 offset:1
	s_waitcnt lgkmcnt(0)
	v_xor_b32_e32 v14, 1, v10
.LBB3_12:
	s_or_b64 exec, exec, s[4:5]
	v_and_b32_e32 v12, 1, v3
	v_lshlrev_b32_e32 v10, 3, v3
	v_cmp_eq_u32_e64 s[4:5], v14, v12
	s_and_saveexec_b64 s[10:11], s[4:5]
	s_cbranch_execz .LBB3_14
; %bb.13:
	v_add_u32_e32 v14, v8, v10
	ds_read_b128 v[18:21], v14
	ds_read_u16 v24, v0
	v_lshlrev_b16_e32 v22, 8, v11
	v_or_b32_sdwa v11, v11, v22 dst_sel:DWORD dst_unused:UNUSED_PAD src0_sel:BYTE_1 src1_sel:DWORD
	s_mov_b32 s4, 0xc0c0001
	ds_write_b16 v1, v11
	s_waitcnt lgkmcnt(2)
	v_mov_b32_e32 v22, v18
	v_mov_b32_e32 v23, v19
	s_waitcnt lgkmcnt(1)
	v_perm_b32 v11, 0, v24, s4
	ds_write_b128 v14, v[20:23]
	ds_write_b16 v0, v11
.LBB3_14:
	s_or_b64 exec, exec, s[10:11]
	v_sub_u32_e32 v14, v17, v12
	v_add_u32_e32 v11, v16, v14
	s_waitcnt lgkmcnt(0)
	s_barrier
	ds_read_u8 v19, v11
	ds_read_u8 v20, v11 offset:2
	s_mov_b64 s[10:11], -1
	v_add_u32_e32 v12, v15, v14
                                        ; implicit-def: $sgpr16
	s_waitcnt lgkmcnt(0)
	v_cmp_gt_u16_e64 s[4:5], v19, v20
	s_and_saveexec_b64 s[12:13], s[4:5]
	s_xor_b64 s[12:13], exec, s[12:13]
	s_cbranch_execz .LBB3_16
; %bb.15:
	ds_read_u8 v18, v12
	s_mov_b32 s16, 1
	s_waitcnt lgkmcnt(0)
	v_and_b32_e32 v18, 1, v18
	v_cmp_eq_u32_e64 s[4:5], 1, v18
	s_xor_b64 s[4:5], s[4:5], -1
	s_orn2_b64 s[10:11], s[4:5], exec
.LBB3_16:
	s_or_b64 exec, exec, s[12:13]
	v_mov_b32_e32 v21, s16
	s_and_saveexec_b64 s[4:5], s[10:11]
	s_cbranch_execz .LBB3_18
; %bb.17:
	ds_read_u8 v18, v12 offset:2
	s_waitcnt lgkmcnt(0)
	v_xor_b32_e32 v21, 1, v18
.LBB3_18:
	s_or_b64 exec, exec, s[4:5]
	v_bfe_u32 v18, v3, 1, 1
	v_lshl_add_u32 v14, v14, 3, v13
	v_cmp_eq_u32_e64 s[4:5], v21, v18
	s_and_saveexec_b64 s[10:11], s[4:5]
	s_cbranch_execz .LBB3_20
; %bb.19:
	ds_read2_b64 v[22:25], v14 offset1:2
	ds_read_u8 v21, v12 offset:2
	ds_read_u8 v26, v12
	ds_write_b8 v11, v20
	ds_write_b8 v11, v19 offset:2
	s_waitcnt lgkmcnt(4)
	ds_write2_b64 v14, v[24:25], v[22:23] offset1:2
	s_waitcnt lgkmcnt(4)
	ds_write_b8 v12, v21
	s_waitcnt lgkmcnt(4)
	ds_write_b8 v12, v26 offset:2
.LBB3_20:
	s_or_b64 exec, exec, s[10:11]
	s_waitcnt lgkmcnt(0)
	s_barrier
	ds_read_u16 v19, v1
                                        ; implicit-def: $sgpr16
	s_waitcnt lgkmcnt(0)
	v_cmp_le_u16_sdwa s[10:11], v19, v19 src0_sel:BYTE_0 src1_sel:BYTE_1
	v_cmp_gt_u16_sdwa s[4:5], v19, v19 src0_sel:BYTE_0 src1_sel:BYTE_1
	s_and_saveexec_b64 s[12:13], s[4:5]
	s_cbranch_execnz .LBB3_87
; %bb.21:
	s_or_b64 exec, exec, s[12:13]
	v_mov_b32_e32 v20, s16
	s_and_saveexec_b64 s[4:5], s[10:11]
	s_cbranch_execnz .LBB3_88
.LBB3_22:
	s_or_b64 exec, exec, s[4:5]
	v_cmp_eq_u32_e64 s[4:5], v20, v18
	s_and_saveexec_b64 s[10:11], s[4:5]
	s_cbranch_execz .LBB3_24
.LBB3_23:
	v_add_u32_e32 v24, v8, v10
	ds_read_b128 v[20:23], v24
	ds_read_u16 v25, v0
	v_lshlrev_b16_e32 v18, 8, v19
	v_or_b32_sdwa v18, v19, v18 dst_sel:DWORD dst_unused:UNUSED_PAD src0_sel:BYTE_1 src1_sel:DWORD
	ds_write_b16 v1, v18
	s_waitcnt lgkmcnt(2)
	v_mov_b32_e32 v18, v22
	v_mov_b32_e32 v19, v23
	s_mov_b32 s4, 0xc0c0001
	ds_write_b128 v24, v[18:21]
	s_waitcnt lgkmcnt(2)
	v_perm_b32 v18, 0, v25, s4
	ds_write_b16 v0, v18
.LBB3_24:
	s_or_b64 exec, exec, s[10:11]
	v_and_b32_e32 v18, 3, v3
	v_sub_u32_e32 v20, v17, v18
	v_add_u32_e32 v18, v16, v20
	s_waitcnt lgkmcnt(0)
	s_barrier
	ds_read_u8 v22, v18
	ds_read_u8 v23, v18 offset:4
	v_add_u32_e32 v19, v15, v20
                                        ; implicit-def: $sgpr16
	s_waitcnt lgkmcnt(0)
	v_cmp_le_u16_e64 s[10:11], v22, v23
	v_cmp_gt_u16_e64 s[4:5], v22, v23
	s_and_saveexec_b64 s[12:13], s[4:5]
	s_cbranch_execz .LBB3_26
; %bb.25:
	ds_read_u8 v21, v19
	s_andn2_b64 s[10:11], s[10:11], exec
	s_mov_b32 s16, 1
	s_waitcnt lgkmcnt(0)
	v_and_b32_e32 v21, 1, v21
	v_cmp_eq_u32_e64 s[4:5], 1, v21
	s_xor_b64 s[4:5], s[4:5], -1
	s_and_b64 s[4:5], s[4:5], exec
	s_or_b64 s[10:11], s[10:11], s[4:5]
.LBB3_26:
	s_or_b64 exec, exec, s[12:13]
	v_mov_b32_e32 v24, s16
	s_and_saveexec_b64 s[4:5], s[10:11]
	s_cbranch_execz .LBB3_28
; %bb.27:
	ds_read_u8 v21, v19 offset:4
	s_waitcnt lgkmcnt(0)
	v_xor_b32_e32 v24, 1, v21
.LBB3_28:
	s_or_b64 exec, exec, s[4:5]
	v_bfe_u32 v21, v3, 2, 1
	v_lshl_add_u32 v20, v20, 3, v13
	v_cmp_eq_u32_e64 s[4:5], v24, v21
	s_and_saveexec_b64 s[10:11], s[4:5]
	s_cbranch_execz .LBB3_30
; %bb.29:
	ds_read2_b64 v[24:27], v20 offset1:4
	ds_read_u8 v28, v19 offset:4
	ds_read_u8 v29, v19
	ds_write_b8 v18, v23
	ds_write_b8 v18, v22 offset:4
	s_waitcnt lgkmcnt(4)
	ds_write2_b64 v20, v[26:27], v[24:25] offset1:4
	s_waitcnt lgkmcnt(4)
	ds_write_b8 v19, v28
	s_waitcnt lgkmcnt(4)
	ds_write_b8 v19, v29 offset:4
.LBB3_30:
	s_or_b64 exec, exec, s[10:11]
	s_waitcnt lgkmcnt(0)
	s_barrier
	ds_read_u8 v22, v11
	ds_read_u8 v23, v11 offset:2
                                        ; implicit-def: $sgpr16
	s_waitcnt lgkmcnt(0)
	v_cmp_le_u16_e64 s[10:11], v22, v23
	v_cmp_gt_u16_e64 s[4:5], v22, v23
	s_and_saveexec_b64 s[12:13], s[4:5]
	s_cbranch_execnz .LBB3_89
; %bb.31:
	s_or_b64 exec, exec, s[12:13]
	v_mov_b32_e32 v24, s16
	s_and_saveexec_b64 s[4:5], s[10:11]
	s_cbranch_execnz .LBB3_90
.LBB3_32:
	s_or_b64 exec, exec, s[4:5]
	v_cmp_eq_u32_e64 s[4:5], v24, v21
	s_and_saveexec_b64 s[10:11], s[4:5]
	s_cbranch_execz .LBB3_34
.LBB3_33:
	ds_read2_b64 v[24:27], v14 offset1:2
	ds_read_u8 v28, v12 offset:2
	ds_read_u8 v29, v12
	ds_write_b8 v11, v23
	ds_write_b8 v11, v22 offset:2
	s_waitcnt lgkmcnt(4)
	ds_write2_b64 v14, v[26:27], v[24:25] offset1:2
	s_waitcnt lgkmcnt(4)
	ds_write_b8 v12, v28
	s_waitcnt lgkmcnt(4)
	ds_write_b8 v12, v29 offset:2
.LBB3_34:
	s_or_b64 exec, exec, s[10:11]
	s_waitcnt lgkmcnt(0)
	s_barrier
	ds_read_u16 v22, v1
                                        ; implicit-def: $sgpr16
	s_waitcnt lgkmcnt(0)
	v_cmp_le_u16_sdwa s[10:11], v22, v22 src0_sel:BYTE_0 src1_sel:BYTE_1
	v_cmp_gt_u16_sdwa s[4:5], v22, v22 src0_sel:BYTE_0 src1_sel:BYTE_1
	s_and_saveexec_b64 s[12:13], s[4:5]
	s_cbranch_execnz .LBB3_91
; %bb.35:
	s_or_b64 exec, exec, s[12:13]
	v_mov_b32_e32 v23, s16
	s_and_saveexec_b64 s[4:5], s[10:11]
	s_cbranch_execnz .LBB3_92
.LBB3_36:
	s_or_b64 exec, exec, s[4:5]
	v_cmp_eq_u32_e64 s[4:5], v23, v21
	s_and_saveexec_b64 s[10:11], s[4:5]
	s_cbranch_execz .LBB3_38
.LBB3_37:
	v_add_u32_e32 v21, v8, v10
	ds_read_b128 v[24:27], v21
	ds_read_u16 v28, v0
	v_lshlrev_b16_e32 v23, 8, v22
	v_or_b32_sdwa v22, v22, v23 dst_sel:DWORD dst_unused:UNUSED_PAD src0_sel:BYTE_1 src1_sel:DWORD
	ds_write_b16 v1, v22
	s_waitcnt lgkmcnt(2)
	v_mov_b32_e32 v22, v26
	v_mov_b32_e32 v23, v27
	s_mov_b32 s4, 0xc0c0001
	ds_write_b128 v21, v[22:25]
	s_waitcnt lgkmcnt(2)
	v_perm_b32 v21, 0, v28, s4
	ds_write_b16 v0, v21
.LBB3_38:
	s_or_b64 exec, exec, s[10:11]
	v_and_b32_e32 v21, 7, v3
	v_sub_u32_e32 v23, v17, v21
	v_add_u32_e32 v21, v16, v23
	s_waitcnt lgkmcnt(0)
	s_barrier
	ds_read_u8 v25, v21
	ds_read_u8 v26, v21 offset:8
	v_add_u32_e32 v22, v15, v23
                                        ; implicit-def: $sgpr16
	s_waitcnt lgkmcnt(0)
	v_cmp_le_u16_e64 s[10:11], v25, v26
	v_cmp_gt_u16_e64 s[4:5], v25, v26
	s_and_saveexec_b64 s[12:13], s[4:5]
	s_cbranch_execz .LBB3_40
; %bb.39:
	ds_read_u8 v24, v22
	s_andn2_b64 s[10:11], s[10:11], exec
	s_mov_b32 s16, 1
	s_waitcnt lgkmcnt(0)
	v_and_b32_e32 v24, 1, v24
	v_cmp_eq_u32_e64 s[4:5], 1, v24
	s_xor_b64 s[4:5], s[4:5], -1
	s_and_b64 s[4:5], s[4:5], exec
	s_or_b64 s[10:11], s[10:11], s[4:5]
.LBB3_40:
	s_or_b64 exec, exec, s[12:13]
	v_mov_b32_e32 v27, s16
	s_and_saveexec_b64 s[4:5], s[10:11]
	s_cbranch_execz .LBB3_42
; %bb.41:
	ds_read_u8 v24, v22 offset:8
	s_waitcnt lgkmcnt(0)
	v_xor_b32_e32 v27, 1, v24
.LBB3_42:
	s_or_b64 exec, exec, s[4:5]
	v_bfe_u32 v24, v3, 3, 1
	v_lshl_add_u32 v23, v23, 3, v13
	v_cmp_eq_u32_e64 s[4:5], v27, v24
	s_and_saveexec_b64 s[10:11], s[4:5]
	s_cbranch_execz .LBB3_44
; %bb.43:
	ds_read2_b64 v[28:31], v23 offset1:8
	ds_read_u8 v27, v22 offset:8
	ds_read_u8 v32, v22
	ds_write_b8 v21, v26
	ds_write_b8 v21, v25 offset:8
	s_waitcnt lgkmcnt(4)
	ds_write2_b64 v23, v[30:31], v[28:29] offset1:8
	s_waitcnt lgkmcnt(4)
	ds_write_b8 v22, v27
	s_waitcnt lgkmcnt(4)
	ds_write_b8 v22, v32 offset:8
.LBB3_44:
	s_or_b64 exec, exec, s[10:11]
	s_waitcnt lgkmcnt(0)
	s_barrier
	ds_read_u8 v25, v18
	ds_read_u8 v26, v18 offset:4
                                        ; implicit-def: $sgpr16
	s_waitcnt lgkmcnt(0)
	v_cmp_le_u16_e64 s[10:11], v25, v26
	v_cmp_gt_u16_e64 s[4:5], v25, v26
	s_and_saveexec_b64 s[12:13], s[4:5]
	s_cbranch_execnz .LBB3_93
; %bb.45:
	s_or_b64 exec, exec, s[12:13]
	v_mov_b32_e32 v27, s16
	s_and_saveexec_b64 s[4:5], s[10:11]
	s_cbranch_execnz .LBB3_94
.LBB3_46:
	s_or_b64 exec, exec, s[4:5]
	v_cmp_eq_u32_e64 s[4:5], v27, v24
	s_and_saveexec_b64 s[10:11], s[4:5]
	s_cbranch_execz .LBB3_48
.LBB3_47:
	ds_read2_b64 v[28:31], v20 offset1:4
	ds_read_u8 v27, v19 offset:4
	ds_read_u8 v32, v19
	ds_write_b8 v18, v26
	ds_write_b8 v18, v25 offset:4
	s_waitcnt lgkmcnt(4)
	ds_write2_b64 v20, v[30:31], v[28:29] offset1:4
	s_waitcnt lgkmcnt(4)
	ds_write_b8 v19, v27
	s_waitcnt lgkmcnt(4)
	ds_write_b8 v19, v32 offset:4
.LBB3_48:
	s_or_b64 exec, exec, s[10:11]
	s_waitcnt lgkmcnt(0)
	s_barrier
	ds_read_u8 v25, v11
	ds_read_u8 v26, v11 offset:2
                                        ; implicit-def: $sgpr16
	s_waitcnt lgkmcnt(0)
	v_cmp_le_u16_e64 s[10:11], v25, v26
	v_cmp_gt_u16_e64 s[4:5], v25, v26
	s_and_saveexec_b64 s[12:13], s[4:5]
	s_cbranch_execnz .LBB3_95
; %bb.49:
	s_or_b64 exec, exec, s[12:13]
	v_mov_b32_e32 v27, s16
	s_and_saveexec_b64 s[4:5], s[10:11]
	s_cbranch_execnz .LBB3_96
.LBB3_50:
	s_or_b64 exec, exec, s[4:5]
	v_cmp_eq_u32_e64 s[4:5], v27, v24
	s_and_saveexec_b64 s[10:11], s[4:5]
	s_cbranch_execz .LBB3_52
.LBB3_51:
	ds_read2_b64 v[28:31], v14 offset1:2
	ds_read_u8 v27, v12 offset:2
	ds_read_u8 v32, v12
	ds_write_b8 v11, v26
	ds_write_b8 v11, v25 offset:2
	s_waitcnt lgkmcnt(4)
	ds_write2_b64 v14, v[30:31], v[28:29] offset1:2
	s_waitcnt lgkmcnt(4)
	ds_write_b8 v12, v27
	s_waitcnt lgkmcnt(4)
	ds_write_b8 v12, v32 offset:2
.LBB3_52:
	s_or_b64 exec, exec, s[10:11]
	s_waitcnt lgkmcnt(0)
	s_barrier
	ds_read_u16 v25, v1
                                        ; implicit-def: $sgpr16
	s_waitcnt lgkmcnt(0)
	v_cmp_le_u16_sdwa s[10:11], v25, v25 src0_sel:BYTE_0 src1_sel:BYTE_1
	v_cmp_gt_u16_sdwa s[4:5], v25, v25 src0_sel:BYTE_0 src1_sel:BYTE_1
	s_and_saveexec_b64 s[12:13], s[4:5]
	s_cbranch_execnz .LBB3_97
; %bb.53:
	s_or_b64 exec, exec, s[12:13]
	v_mov_b32_e32 v26, s16
	s_and_saveexec_b64 s[4:5], s[10:11]
	s_cbranch_execnz .LBB3_98
.LBB3_54:
	s_or_b64 exec, exec, s[4:5]
	v_cmp_eq_u32_e64 s[4:5], v26, v24
	s_and_saveexec_b64 s[10:11], s[4:5]
	s_cbranch_execz .LBB3_56
.LBB3_55:
	v_add_u32_e32 v30, v8, v10
	ds_read_b128 v[26:29], v30
	ds_read_u16 v31, v0
	v_lshlrev_b16_e32 v24, 8, v25
	v_or_b32_sdwa v24, v25, v24 dst_sel:DWORD dst_unused:UNUSED_PAD src0_sel:BYTE_1 src1_sel:DWORD
	ds_write_b16 v1, v24
	s_waitcnt lgkmcnt(2)
	v_mov_b32_e32 v24, v28
	v_mov_b32_e32 v25, v29
	s_mov_b32 s4, 0xc0c0001
	ds_write_b128 v30, v[24:27]
	s_waitcnt lgkmcnt(2)
	v_perm_b32 v24, 0, v31, s4
	ds_write_b16 v0, v24
.LBB3_56:
	s_or_b64 exec, exec, s[10:11]
	v_and_b32_e32 v24, 15, v3
	v_sub_u32_e32 v25, v17, v24
	v_add_u32_e32 v16, v16, v25
	s_waitcnt lgkmcnt(0)
	s_barrier
	ds_read_u8 v17, v16
	ds_read_u8 v24, v16 offset:16
	v_add_u32_e32 v15, v15, v25
	s_waitcnt lgkmcnt(0)
	v_cmp_le_u16_e64 s[12:13], v17, v24
	v_cmp_gt_u16_e64 s[4:5], v17, v24
	s_and_saveexec_b64 s[10:11], s[4:5]
	s_cbranch_execz .LBB3_58
; %bb.57:
	ds_read_u8 v26, v15
	s_andn2_b64 s[12:13], s[12:13], exec
	s_waitcnt lgkmcnt(0)
	v_and_b32_e32 v26, 1, v26
	v_cmp_eq_u32_e64 s[4:5], 1, v26
	s_xor_b64 s[4:5], s[4:5], -1
	s_and_b64 s[4:5], s[4:5], exec
	s_or_b64 s[12:13], s[12:13], s[4:5]
.LBB3_58:
	s_or_b64 exec, exec, s[10:11]
	s_and_saveexec_b64 s[10:11], s[12:13]
	s_cbranch_execz .LBB3_61
; %bb.59:
	ds_read_u8 v26, v15 offset:16
	s_waitcnt lgkmcnt(0)
	v_cmp_ne_u16_e64 s[4:5], 0, v26
	s_and_b64 exec, exec, s[4:5]
	s_cbranch_execz .LBB3_61
; %bb.60:
	v_lshl_add_u32 v13, v25, 3, v13
	ds_read2_b64 v[28:31], v13 offset1:16
	ds_read_u8 v25, v15
	ds_write_b8 v16, v24
	ds_write_b8 v16, v17 offset:16
	ds_write_b8 v15, v26
	s_waitcnt lgkmcnt(4)
	ds_write2_b64 v13, v[30:31], v[28:29] offset1:16
	s_waitcnt lgkmcnt(4)
	ds_write_b8 v15, v25 offset:16
.LBB3_61:
	s_or_b64 exec, exec, s[10:11]
	s_waitcnt lgkmcnt(0)
	s_barrier
	ds_read_u8 v13, v21
	ds_read_u8 v15, v21 offset:8
	s_waitcnt lgkmcnt(0)
	v_cmp_le_u16_e64 s[12:13], v13, v15
	v_cmp_gt_u16_e64 s[4:5], v13, v15
	s_and_saveexec_b64 s[10:11], s[4:5]
	s_cbranch_execz .LBB3_63
; %bb.62:
	ds_read_u8 v16, v22
	s_andn2_b64 s[12:13], s[12:13], exec
	s_waitcnt lgkmcnt(0)
	v_and_b32_e32 v16, 1, v16
	v_cmp_eq_u32_e64 s[4:5], 1, v16
	s_xor_b64 s[4:5], s[4:5], -1
	s_and_b64 s[4:5], s[4:5], exec
	s_or_b64 s[12:13], s[12:13], s[4:5]
.LBB3_63:
	s_or_b64 exec, exec, s[10:11]
	s_and_saveexec_b64 s[10:11], s[12:13]
	s_cbranch_execz .LBB3_66
; %bb.64:
	ds_read_u8 v16, v22 offset:8
	s_waitcnt lgkmcnt(0)
	v_cmp_ne_u16_e64 s[4:5], 0, v16
	s_and_b64 exec, exec, s[4:5]
	s_cbranch_execz .LBB3_66
; %bb.65:
	ds_read2_b64 v[24:27], v23 offset1:8
	ds_read_u8 v17, v22
	ds_write_b8 v21, v15
	ds_write_b8 v21, v13 offset:8
	ds_write_b8 v22, v16
	s_waitcnt lgkmcnt(4)
	ds_write2_b64 v23, v[26:27], v[24:25] offset1:8
	s_waitcnt lgkmcnt(4)
	ds_write_b8 v22, v17 offset:8
.LBB3_66:
	s_or_b64 exec, exec, s[10:11]
	s_waitcnt lgkmcnt(0)
	s_barrier
	ds_read_u8 v13, v18
	ds_read_u8 v15, v18 offset:4
	s_waitcnt lgkmcnt(0)
	v_cmp_le_u16_e64 s[12:13], v13, v15
	v_cmp_gt_u16_e64 s[4:5], v13, v15
	s_and_saveexec_b64 s[10:11], s[4:5]
	s_cbranch_execz .LBB3_68
; %bb.67:
	ds_read_u8 v16, v19
	s_andn2_b64 s[12:13], s[12:13], exec
	s_waitcnt lgkmcnt(0)
	v_and_b32_e32 v16, 1, v16
	v_cmp_eq_u32_e64 s[4:5], 1, v16
	s_xor_b64 s[4:5], s[4:5], -1
	s_and_b64 s[4:5], s[4:5], exec
	s_or_b64 s[12:13], s[12:13], s[4:5]
.LBB3_68:
	s_or_b64 exec, exec, s[10:11]
	s_and_saveexec_b64 s[10:11], s[12:13]
	s_cbranch_execz .LBB3_71
; %bb.69:
	ds_read_u8 v16, v19 offset:4
	s_waitcnt lgkmcnt(0)
	v_cmp_ne_u16_e64 s[4:5], 0, v16
	s_and_b64 exec, exec, s[4:5]
	s_cbranch_execz .LBB3_71
; %bb.70:
	ds_read2_b64 v[22:25], v20 offset1:4
	ds_read_u8 v17, v19
	ds_write_b8 v18, v15
	ds_write_b8 v18, v13 offset:4
	ds_write_b8 v19, v16
	s_waitcnt lgkmcnt(4)
	ds_write2_b64 v20, v[24:25], v[22:23] offset1:4
	s_waitcnt lgkmcnt(4)
	ds_write_b8 v19, v17 offset:4
.LBB3_71:
	;; [unrolled: 40-line block ×3, first 2 shown]
	s_or_b64 exec, exec, s[10:11]
	s_waitcnt lgkmcnt(0)
	s_barrier
	ds_read_u16 v11, v1
	s_waitcnt lgkmcnt(0)
	v_cmp_le_u16_sdwa s[12:13], v11, v11 src0_sel:BYTE_0 src1_sel:BYTE_1
	v_cmp_gt_u16_sdwa s[4:5], v11, v11 src0_sel:BYTE_0 src1_sel:BYTE_1
	s_and_saveexec_b64 s[10:11], s[4:5]
	s_cbranch_execz .LBB3_78
; %bb.77:
	ds_read_u8 v12, v0
	s_andn2_b64 s[12:13], s[12:13], exec
	s_waitcnt lgkmcnt(0)
	v_and_b32_e32 v12, 1, v12
	v_cmp_eq_u32_e64 s[4:5], 1, v12
	s_xor_b64 s[4:5], s[4:5], -1
	s_and_b64 s[4:5], s[4:5], exec
	s_or_b64 s[12:13], s[12:13], s[4:5]
.LBB3_78:
	s_or_b64 exec, exec, s[10:11]
	s_and_saveexec_b64 s[10:11], s[12:13]
	s_cbranch_execz .LBB3_81
; %bb.79:
	ds_read_u8 v12, v0 offset:1
	s_waitcnt lgkmcnt(0)
	v_cmp_ne_u16_e64 s[4:5], 0, v12
	s_and_b64 exec, exec, s[4:5]
	s_cbranch_execz .LBB3_81
; %bb.80:
	v_add_u32_e32 v10, v8, v10
	v_lshlrev_b16_e32 v13, 8, v11
	ds_read_b128 v[14:17], v10
	v_or_b32_sdwa v11, v11, v13 dst_sel:DWORD dst_unused:UNUSED_PAD src0_sel:BYTE_1 src1_sel:DWORD
	ds_read_u8 v13, v0
	ds_write_b16 v1, v11
	s_waitcnt lgkmcnt(2)
	v_mov_b32_e32 v18, v14
	v_mov_b32_e32 v19, v15
	s_waitcnt lgkmcnt(1)
	v_lshlrev_b16_e32 v1, 8, v13
	v_or_b32_e32 v1, v12, v1
	ds_write_b128 v10, v[16:19]
	ds_write_b16 v0, v1
.LBB3_81:
	s_or_b64 exec, exec, s[10:11]
	s_waitcnt lgkmcnt(0)
	s_barrier
	s_and_saveexec_b64 s[4:5], vcc
	s_cbranch_execz .LBB3_86
; %bb.82:
	s_and_saveexec_b64 s[4:5], s[0:1]
	s_cbranch_execz .LBB3_84
; %bb.83:
	ds_read_u8 v10, v9
	v_mad_u64_u32 v[0:1], s[0:1], v3, s14, v[2:3]
	ds_read_b64 v[8:9], v8
	s_waitcnt lgkmcnt(1)
	global_store_byte v0, v10, s[6:7]
	v_mad_u64_u32 v[0:1], s[0:1], v3, s15, v[4:5]
	v_mov_b32_e32 v1, 0
	v_lshlrev_b64 v[0:1], 3, v[0:1]
	v_mov_b32_e32 v3, s9
	v_add_co_u32_e32 v0, vcc, s8, v0
	v_addc_co_u32_e32 v1, vcc, v3, v1, vcc
	s_waitcnt lgkmcnt(0)
	global_store_dwordx2 v[0:1], v[8:9], off
.LBB3_84:
	s_or_b64 exec, exec, s[4:5]
	s_and_b64 exec, exec, s[2:3]
	s_cbranch_execz .LBB3_86
; %bb.85:
	ds_read_u8 v7, v7
	v_mad_u64_u32 v[0:1], s[0:1], v5, s14, v[2:3]
	ds_read_b64 v[2:3], v6
	s_waitcnt lgkmcnt(1)
	global_store_byte v0, v7, s[6:7]
	v_mad_u64_u32 v[0:1], s[0:1], v5, s15, v[4:5]
	v_mov_b32_e32 v1, 0
	v_lshlrev_b64 v[0:1], 3, v[0:1]
	v_mov_b32_e32 v4, s9
	v_add_co_u32_e32 v0, vcc, s8, v0
	v_addc_co_u32_e32 v1, vcc, v4, v1, vcc
	s_waitcnt lgkmcnt(0)
	global_store_dwordx2 v[0:1], v[2:3], off
.LBB3_86:
	s_endpgm
.LBB3_87:
	ds_read_u8 v20, v0
	s_andn2_b64 s[10:11], s[10:11], exec
	s_mov_b32 s16, 1
	s_waitcnt lgkmcnt(0)
	v_and_b32_e32 v20, 1, v20
	v_cmp_eq_u32_e64 s[4:5], 1, v20
	s_xor_b64 s[4:5], s[4:5], -1
	s_and_b64 s[4:5], s[4:5], exec
	s_or_b64 s[10:11], s[10:11], s[4:5]
	s_or_b64 exec, exec, s[12:13]
	v_mov_b32_e32 v20, s16
	s_and_saveexec_b64 s[4:5], s[10:11]
	s_cbranch_execz .LBB3_22
.LBB3_88:
	ds_read_u8 v20, v0 offset:1
	s_waitcnt lgkmcnt(0)
	v_xor_b32_e32 v20, 1, v20
	s_or_b64 exec, exec, s[4:5]
	v_cmp_eq_u32_e64 s[4:5], v20, v18
	s_and_saveexec_b64 s[10:11], s[4:5]
	s_cbranch_execnz .LBB3_23
	s_branch .LBB3_24
.LBB3_89:
	ds_read_u8 v24, v12
	s_andn2_b64 s[10:11], s[10:11], exec
	s_mov_b32 s16, 1
	s_waitcnt lgkmcnt(0)
	v_and_b32_e32 v24, 1, v24
	v_cmp_eq_u32_e64 s[4:5], 1, v24
	s_xor_b64 s[4:5], s[4:5], -1
	s_and_b64 s[4:5], s[4:5], exec
	s_or_b64 s[10:11], s[10:11], s[4:5]
	s_or_b64 exec, exec, s[12:13]
	v_mov_b32_e32 v24, s16
	s_and_saveexec_b64 s[4:5], s[10:11]
	s_cbranch_execz .LBB3_32
.LBB3_90:
	ds_read_u8 v24, v12 offset:2
	s_waitcnt lgkmcnt(0)
	v_xor_b32_e32 v24, 1, v24
	s_or_b64 exec, exec, s[4:5]
	v_cmp_eq_u32_e64 s[4:5], v24, v21
	s_and_saveexec_b64 s[10:11], s[4:5]
	s_cbranch_execnz .LBB3_33
	s_branch .LBB3_34
.LBB3_91:
	ds_read_u8 v23, v0
	s_andn2_b64 s[10:11], s[10:11], exec
	s_mov_b32 s16, 1
	s_waitcnt lgkmcnt(0)
	v_and_b32_e32 v23, 1, v23
	v_cmp_eq_u32_e64 s[4:5], 1, v23
	s_xor_b64 s[4:5], s[4:5], -1
	s_and_b64 s[4:5], s[4:5], exec
	s_or_b64 s[10:11], s[10:11], s[4:5]
	s_or_b64 exec, exec, s[12:13]
	v_mov_b32_e32 v23, s16
	s_and_saveexec_b64 s[4:5], s[10:11]
	s_cbranch_execz .LBB3_36
.LBB3_92:
	ds_read_u8 v23, v0 offset:1
	s_waitcnt lgkmcnt(0)
	v_xor_b32_e32 v23, 1, v23
	s_or_b64 exec, exec, s[4:5]
	v_cmp_eq_u32_e64 s[4:5], v23, v21
	s_and_saveexec_b64 s[10:11], s[4:5]
	s_cbranch_execnz .LBB3_37
	s_branch .LBB3_38
.LBB3_93:
	ds_read_u8 v27, v19
	s_andn2_b64 s[10:11], s[10:11], exec
	s_mov_b32 s16, 1
	s_waitcnt lgkmcnt(0)
	v_and_b32_e32 v27, 1, v27
	v_cmp_eq_u32_e64 s[4:5], 1, v27
	s_xor_b64 s[4:5], s[4:5], -1
	s_and_b64 s[4:5], s[4:5], exec
	s_or_b64 s[10:11], s[10:11], s[4:5]
	s_or_b64 exec, exec, s[12:13]
	v_mov_b32_e32 v27, s16
	s_and_saveexec_b64 s[4:5], s[10:11]
	s_cbranch_execz .LBB3_46
.LBB3_94:
	ds_read_u8 v27, v19 offset:4
	s_waitcnt lgkmcnt(0)
	v_xor_b32_e32 v27, 1, v27
	s_or_b64 exec, exec, s[4:5]
	v_cmp_eq_u32_e64 s[4:5], v27, v24
	s_and_saveexec_b64 s[10:11], s[4:5]
	s_cbranch_execnz .LBB3_47
	s_branch .LBB3_48
.LBB3_95:
	ds_read_u8 v27, v12
	s_andn2_b64 s[10:11], s[10:11], exec
	s_mov_b32 s16, 1
	s_waitcnt lgkmcnt(0)
	v_and_b32_e32 v27, 1, v27
	v_cmp_eq_u32_e64 s[4:5], 1, v27
	s_xor_b64 s[4:5], s[4:5], -1
	s_and_b64 s[4:5], s[4:5], exec
	s_or_b64 s[10:11], s[10:11], s[4:5]
	s_or_b64 exec, exec, s[12:13]
	v_mov_b32_e32 v27, s16
	s_and_saveexec_b64 s[4:5], s[10:11]
	s_cbranch_execz .LBB3_50
.LBB3_96:
	ds_read_u8 v27, v12 offset:2
	s_waitcnt lgkmcnt(0)
	v_xor_b32_e32 v27, 1, v27
	s_or_b64 exec, exec, s[4:5]
	v_cmp_eq_u32_e64 s[4:5], v27, v24
	s_and_saveexec_b64 s[10:11], s[4:5]
	s_cbranch_execnz .LBB3_51
	s_branch .LBB3_52
.LBB3_97:
	ds_read_u8 v26, v0
	s_andn2_b64 s[10:11], s[10:11], exec
	s_mov_b32 s16, 1
	s_waitcnt lgkmcnt(0)
	v_and_b32_e32 v26, 1, v26
	v_cmp_eq_u32_e64 s[4:5], 1, v26
	s_xor_b64 s[4:5], s[4:5], -1
	s_and_b64 s[4:5], s[4:5], exec
	s_or_b64 s[10:11], s[10:11], s[4:5]
	s_or_b64 exec, exec, s[12:13]
	v_mov_b32_e32 v26, s16
	s_and_saveexec_b64 s[4:5], s[10:11]
	s_cbranch_execz .LBB3_54
.LBB3_98:
	ds_read_u8 v26, v0 offset:1
	s_waitcnt lgkmcnt(0)
	v_xor_b32_e32 v26, 1, v26
	s_or_b64 exec, exec, s[4:5]
	v_cmp_eq_u32_e64 s[4:5], v26, v24
	s_and_saveexec_b64 s[10:11], s[4:5]
	s_cbranch_execnz .LBB3_55
	s_branch .LBB3_56
	.section	.rodata,"a",@progbits
	.p2align	6, 0x0
	.amdhsa_kernel _ZN2at6native20bitonicSortKVInPlaceILi2ELin1ELi16ELi16EhlNS0_4GTOpIhLb1EEEjEEvNS_4cuda6detail10TensorInfoIT3_T6_EES8_S8_S8_NS6_IT4_S8_EES8_T5_
		.amdhsa_group_segment_fixed_size 5120
		.amdhsa_private_segment_fixed_size 0
		.amdhsa_kernarg_size 712
		.amdhsa_user_sgpr_count 6
		.amdhsa_user_sgpr_private_segment_buffer 1
		.amdhsa_user_sgpr_dispatch_ptr 0
		.amdhsa_user_sgpr_queue_ptr 0
		.amdhsa_user_sgpr_kernarg_segment_ptr 1
		.amdhsa_user_sgpr_dispatch_id 0
		.amdhsa_user_sgpr_flat_scratch_init 0
		.amdhsa_user_sgpr_kernarg_preload_length 0
		.amdhsa_user_sgpr_kernarg_preload_offset 0
		.amdhsa_user_sgpr_private_segment_size 0
		.amdhsa_uses_dynamic_stack 0
		.amdhsa_system_sgpr_private_segment_wavefront_offset 0
		.amdhsa_system_sgpr_workgroup_id_x 1
		.amdhsa_system_sgpr_workgroup_id_y 1
		.amdhsa_system_sgpr_workgroup_id_z 1
		.amdhsa_system_sgpr_workgroup_info 0
		.amdhsa_system_vgpr_workitem_id 1
		.amdhsa_next_free_vgpr 33
		.amdhsa_next_free_sgpr 20
		.amdhsa_accum_offset 36
		.amdhsa_reserve_vcc 1
		.amdhsa_reserve_flat_scratch 0
		.amdhsa_float_round_mode_32 0
		.amdhsa_float_round_mode_16_64 0
		.amdhsa_float_denorm_mode_32 3
		.amdhsa_float_denorm_mode_16_64 3
		.amdhsa_dx10_clamp 1
		.amdhsa_ieee_mode 1
		.amdhsa_fp16_overflow 0
		.amdhsa_tg_split 0
		.amdhsa_exception_fp_ieee_invalid_op 0
		.amdhsa_exception_fp_denorm_src 0
		.amdhsa_exception_fp_ieee_div_zero 0
		.amdhsa_exception_fp_ieee_overflow 0
		.amdhsa_exception_fp_ieee_underflow 0
		.amdhsa_exception_fp_ieee_inexact 0
		.amdhsa_exception_int_div_zero 0
	.end_amdhsa_kernel
	.section	.text._ZN2at6native20bitonicSortKVInPlaceILi2ELin1ELi16ELi16EhlNS0_4GTOpIhLb1EEEjEEvNS_4cuda6detail10TensorInfoIT3_T6_EES8_S8_S8_NS6_IT4_S8_EES8_T5_,"axG",@progbits,_ZN2at6native20bitonicSortKVInPlaceILi2ELin1ELi16ELi16EhlNS0_4GTOpIhLb1EEEjEEvNS_4cuda6detail10TensorInfoIT3_T6_EES8_S8_S8_NS6_IT4_S8_EES8_T5_,comdat
.Lfunc_end3:
	.size	_ZN2at6native20bitonicSortKVInPlaceILi2ELin1ELi16ELi16EhlNS0_4GTOpIhLb1EEEjEEvNS_4cuda6detail10TensorInfoIT3_T6_EES8_S8_S8_NS6_IT4_S8_EES8_T5_, .Lfunc_end3-_ZN2at6native20bitonicSortKVInPlaceILi2ELin1ELi16ELi16EhlNS0_4GTOpIhLb1EEEjEEvNS_4cuda6detail10TensorInfoIT3_T6_EES8_S8_S8_NS6_IT4_S8_EES8_T5_
                                        ; -- End function
	.section	.AMDGPU.csdata,"",@progbits
; Kernel info:
; codeLenInByte = 4772
; NumSgprs: 24
; NumVgprs: 33
; NumAgprs: 0
; TotalNumVgprs: 33
; ScratchSize: 0
; MemoryBound: 0
; FloatMode: 240
; IeeeMode: 1
; LDSByteSize: 5120 bytes/workgroup (compile time only)
; SGPRBlocks: 2
; VGPRBlocks: 4
; NumSGPRsForWavesPerEU: 24
; NumVGPRsForWavesPerEU: 33
; AccumOffset: 36
; Occupancy: 8
; WaveLimiterHint : 1
; COMPUTE_PGM_RSRC2:SCRATCH_EN: 0
; COMPUTE_PGM_RSRC2:USER_SGPR: 6
; COMPUTE_PGM_RSRC2:TRAP_HANDLER: 0
; COMPUTE_PGM_RSRC2:TGID_X_EN: 1
; COMPUTE_PGM_RSRC2:TGID_Y_EN: 1
; COMPUTE_PGM_RSRC2:TGID_Z_EN: 1
; COMPUTE_PGM_RSRC2:TIDIG_COMP_CNT: 1
; COMPUTE_PGM_RSRC3_GFX90A:ACCUM_OFFSET: 8
; COMPUTE_PGM_RSRC3_GFX90A:TG_SPLIT: 0
	.section	.text._ZN2at6native20bitonicSortKVInPlaceILin1ELin1ELi16ELi16EhlNS0_4LTOpIhLb1EEEjEEvNS_4cuda6detail10TensorInfoIT3_T6_EES8_S8_S8_NS6_IT4_S8_EES8_T5_,"axG",@progbits,_ZN2at6native20bitonicSortKVInPlaceILin1ELin1ELi16ELi16EhlNS0_4LTOpIhLb1EEEjEEvNS_4cuda6detail10TensorInfoIT3_T6_EES8_S8_S8_NS6_IT4_S8_EES8_T5_,comdat
	.protected	_ZN2at6native20bitonicSortKVInPlaceILin1ELin1ELi16ELi16EhlNS0_4LTOpIhLb1EEEjEEvNS_4cuda6detail10TensorInfoIT3_T6_EES8_S8_S8_NS6_IT4_S8_EES8_T5_ ; -- Begin function _ZN2at6native20bitonicSortKVInPlaceILin1ELin1ELi16ELi16EhlNS0_4LTOpIhLb1EEEjEEvNS_4cuda6detail10TensorInfoIT3_T6_EES8_S8_S8_NS6_IT4_S8_EES8_T5_
	.globl	_ZN2at6native20bitonicSortKVInPlaceILin1ELin1ELi16ELi16EhlNS0_4LTOpIhLb1EEEjEEvNS_4cuda6detail10TensorInfoIT3_T6_EES8_S8_S8_NS6_IT4_S8_EES8_T5_
	.p2align	8
	.type	_ZN2at6native20bitonicSortKVInPlaceILin1ELin1ELi16ELi16EhlNS0_4LTOpIhLb1EEEjEEvNS_4cuda6detail10TensorInfoIT3_T6_EES8_S8_S8_NS6_IT4_S8_EES8_T5_,@function
_ZN2at6native20bitonicSortKVInPlaceILin1ELin1ELi16ELi16EhlNS0_4LTOpIhLb1EEEjEEvNS_4cuda6detail10TensorInfoIT3_T6_EES8_S8_S8_NS6_IT4_S8_EES8_T5_: ; @_ZN2at6native20bitonicSortKVInPlaceILin1ELin1ELi16ELi16EhlNS0_4LTOpIhLb1EEEjEEvNS_4cuda6detail10TensorInfoIT3_T6_EES8_S8_S8_NS6_IT4_S8_EES8_T5_
; %bb.0:
	s_load_dwordx2 s[2:3], s[4:5], 0x1c8
	s_load_dwordx4 s[12:15], s[4:5], 0xd8
	s_load_dword s9, s[4:5], 0x1d4
	s_add_u32 s0, s4, 0x1c8
	s_addc_u32 s1, s5, 0
	s_waitcnt lgkmcnt(0)
	s_mul_i32 s3, s3, s8
	s_add_i32 s3, s3, s7
	s_mul_i32 s2, s3, s2
	s_add_i32 s3, s2, s6
	s_lshr_b32 s2, s9, 16
	s_mul_i32 s3, s3, s2
	s_cmp_ge_u32 s3, s12
	s_cbranch_scc1 .LBB4_89
; %bb.1:
	s_load_dword s2, s[4:5], 0xd0
	v_bfe_u32 v8, v0, 10, 10
	v_add_u32_e32 v1, s3, v8
	v_mov_b32_e32 v2, 0
	v_mov_b32_e32 v6, v1
	s_waitcnt lgkmcnt(0)
	s_cmp_lt_i32 s2, 2
	s_cbranch_scc1 .LBB4_4
; %bb.2:
	s_add_i32 s6, s2, 1
	s_add_i32 s2, s2, -1
	s_mov_b32 s3, 0
	s_lshl_b64 s[2:3], s[2:3], 2
	s_add_u32 s2, s2, s4
	s_addc_u32 s3, s3, s5
	s_add_u32 s2, s2, 8
	s_addc_u32 s3, s3, 0
	v_mov_b32_e32 v2, 0
	v_mov_b32_e32 v6, v1
.LBB4_3:                                ; =>This Inner Loop Header: Depth=1
	s_load_dword s7, s[2:3], 0x0
	s_load_dword s8, s[2:3], 0x64
	v_mov_b32_e32 v3, v6
	s_add_i32 s6, s6, -1
	s_waitcnt lgkmcnt(0)
	v_cvt_f32_u32_e32 v4, s7
	s_sub_i32 s9, 0, s7
	s_add_u32 s2, s2, -4
	s_addc_u32 s3, s3, -1
	v_rcp_iflag_f32_e32 v4, v4
	s_cmp_gt_u32 s6, 2
	v_mul_f32_e32 v4, 0x4f7ffffe, v4
	v_cvt_u32_f32_e32 v4, v4
	v_mul_lo_u32 v5, s9, v4
	v_mul_hi_u32 v5, v4, v5
	v_add_u32_e32 v4, v4, v5
	v_mul_hi_u32 v4, v3, v4
	v_mul_lo_u32 v5, v4, s7
	v_sub_u32_e32 v5, v3, v5
	v_add_u32_e32 v6, 1, v4
	v_cmp_le_u32_e32 vcc, s7, v5
	v_cndmask_b32_e32 v4, v4, v6, vcc
	v_subrev_u32_e32 v6, s7, v5
	v_cndmask_b32_e32 v5, v5, v6, vcc
	v_add_u32_e32 v6, 1, v4
	v_cmp_le_u32_e32 vcc, s7, v5
	v_cndmask_b32_e32 v6, v4, v6, vcc
	v_mul_lo_u32 v4, v6, s7
	v_sub_u32_e32 v3, v3, v4
	v_mad_u64_u32 v[2:3], s[8:9], s8, v3, v[2:3]
	s_cbranch_scc1 .LBB4_3
.LBB4_4:
	s_load_dword s2, s[4:5], 0x1b8
	v_mov_b32_e32 v4, 0
	v_mov_b32_e32 v7, v1
	s_waitcnt lgkmcnt(0)
	s_cmp_lt_i32 s2, 2
	s_cbranch_scc1 .LBB4_7
; %bb.5:
	s_add_i32 s6, s2, 1
	s_add_i32 s2, s2, -1
	s_mov_b32 s3, 0
	s_lshl_b64 s[2:3], s[2:3], 2
	s_add_u32 s2, s2, s4
	s_addc_u32 s3, s3, s5
	s_add_u32 s2, s2, 0xf0
	s_addc_u32 s3, s3, 0
	v_mov_b32_e32 v4, 0
	v_mov_b32_e32 v7, v1
.LBB4_6:                                ; =>This Inner Loop Header: Depth=1
	s_load_dword s7, s[2:3], 0x0
	s_load_dword s8, s[2:3], 0x64
	v_mov_b32_e32 v3, v7
	s_add_i32 s6, s6, -1
	s_waitcnt lgkmcnt(0)
	v_cvt_f32_u32_e32 v5, s7
	s_sub_i32 s9, 0, s7
	s_add_u32 s2, s2, -4
	s_addc_u32 s3, s3, -1
	v_rcp_iflag_f32_e32 v5, v5
	s_cmp_gt_u32 s6, 2
	v_mul_f32_e32 v5, 0x4f7ffffe, v5
	v_cvt_u32_f32_e32 v5, v5
	v_mul_lo_u32 v7, s9, v5
	v_mul_hi_u32 v7, v5, v7
	v_add_u32_e32 v5, v5, v7
	v_mul_hi_u32 v5, v3, v5
	v_mul_lo_u32 v7, v5, s7
	v_sub_u32_e32 v7, v3, v7
	v_add_u32_e32 v9, 1, v5
	v_cmp_le_u32_e32 vcc, s7, v7
	v_cndmask_b32_e32 v5, v5, v9, vcc
	v_subrev_u32_e32 v9, s7, v7
	v_cndmask_b32_e32 v7, v7, v9, vcc
	v_add_u32_e32 v9, 1, v5
	v_cmp_le_u32_e32 vcc, s7, v7
	v_cndmask_b32_e32 v7, v5, v9, vcc
	v_mul_lo_u32 v5, v7, s7
	v_sub_u32_e32 v3, v3, v5
	v_mad_u64_u32 v[4:5], s[8:9], s8, v3, v[4:5]
	s_cbranch_scc1 .LBB4_6
.LBB4_7:
	s_load_dword s2, s[4:5], 0x6c
	v_cmp_gt_u32_e32 vcc, s12, v1
	v_mov_b32_e32 v10, 0
	s_waitcnt lgkmcnt(0)
	v_mad_u64_u32 v[2:3], s[2:3], s2, v6, v[2:3]
	s_load_dword s15, s[4:5], 0x1c0
	s_load_dword s2, s[4:5], 0x154
	s_load_dwordx2 s[8:9], s[4:5], 0x0
	s_load_dwordx2 s[6:7], s[4:5], 0xe8
	s_load_dword s12, s[0:1], 0xc
	v_and_b32_e32 v3, 0x3ff, v0
	v_cmp_gt_u32_e64 s[0:1], s13, v3
	s_waitcnt lgkmcnt(0)
	v_mad_u64_u32 v[4:5], s[2:3], s2, v7, v[4:5]
	v_pk_mov_b32 v[0:1], 0, 0
	s_and_b64 s[4:5], vcc, s[0:1]
	v_mov_b32_e32 v5, 0
	v_pk_mov_b32 v[6:7], v[0:1], v[0:1] op_sel:[0,1]
	s_and_saveexec_b64 s[10:11], s[4:5]
	s_cbranch_execz .LBB4_9
; %bb.8:
	v_mad_u64_u32 v[6:7], s[2:3], v3, s14, v[2:3]
	global_load_ubyte v5, v6, s[8:9]
	v_mov_b32_e32 v9, s7
	s_waitcnt vmcnt(0)
	v_mad_u64_u32 v[6:7], s[2:3], v3, s15, v[4:5]
	v_mov_b32_e32 v7, 0
	v_lshlrev_b64 v[6:7], 3, v[6:7]
	v_add_co_u32_e64 v6, s[2:3], s6, v6
	v_addc_co_u32_e64 v7, s[2:3], v9, v7, s[2:3]
	global_load_dwordx2 v[6:7], v[6:7], off
.LBB4_9:
	s_or_b64 exec, exec, s[10:11]
	v_lshlrev_b32_e32 v9, 5, v8
	v_add_u32_e32 v16, 0x1000, v9
	v_add_u32_e32 v15, 0x1200, v9
	;; [unrolled: 1-line block ×3, first 2 shown]
	s_and_b32 s16, 0xffff, s12
	v_cndmask_b32_e64 v11, 0, 1, s[4:5]
	ds_write_b8 v9, v5
	v_add_u32_e32 v5, v15, v3
	ds_write_b8 v5, v11
	v_add_u32_e32 v5, s16, v3
	v_lshlrev_b32_e32 v13, 8, v8
	v_cmp_gt_u32_e64 s[2:3], s13, v5
	v_lshl_add_u32 v8, v3, 3, v13
	s_and_b64 s[10:11], vcc, s[2:3]
	s_waitcnt vmcnt(0)
	ds_write_b64 v8, v[6:7]
	s_and_saveexec_b64 s[12:13], s[10:11]
	s_cbranch_execz .LBB4_11
; %bb.10:
	v_mad_u64_u32 v[0:1], s[4:5], v5, s14, v[2:3]
	global_load_ubyte v10, v0, s[8:9]
	v_mad_u64_u32 v[0:1], s[4:5], v5, s15, v[4:5]
	v_mov_b32_e32 v1, 0
	v_lshlrev_b64 v[0:1], 3, v[0:1]
	v_mov_b32_e32 v6, s7
	v_add_co_u32_e64 v0, s[4:5], s6, v0
	v_addc_co_u32_e64 v1, s[4:5], v6, v1, s[4:5]
	global_load_dwordx2 v[0:1], v[0:1], off
.LBB4_11:
	s_or_b64 exec, exec, s[12:13]
	v_lshl_add_u32 v6, s16, 3, v8
	v_lshlrev_b32_e32 v17, 1, v3
	v_cndmask_b32_e64 v11, 0, 1, s[10:11]
	v_add_u32_e32 v7, v16, v5
	s_waitcnt vmcnt(0)
	ds_write_b64 v6, v[0:1]
	v_add_u32_e32 v0, v15, v5
	v_add_u32_e32 v1, v16, v17
	ds_write_b8 v7, v10
	ds_write_b8 v0, v11
	s_waitcnt lgkmcnt(0)
	s_barrier
	ds_read_u16 v11, v1
	s_mov_b32 s16, 1
	v_add_u32_e32 v0, v15, v17
	s_waitcnt lgkmcnt(0)
	v_cmp_ge_u16_sdwa s[10:11], v11, v11 src0_sel:BYTE_0 src1_sel:BYTE_1
	v_cmp_lt_u16_sdwa s[4:5], v11, v11 src0_sel:BYTE_0 src1_sel:BYTE_1
	s_and_saveexec_b64 s[12:13], s[4:5]
	s_xor_b64 s[12:13], exec, s[12:13]
	s_cbranch_execz .LBB4_13
; %bb.12:
	ds_read_u8 v10, v0
	s_andn2_b64 s[10:11], s[10:11], exec
	s_waitcnt lgkmcnt(0)
	v_and_b32_e32 v10, 1, v10
	v_cmp_eq_u32_e64 s[4:5], 1, v10
	s_xor_b64 s[4:5], s[4:5], -1
	s_and_b64 s[4:5], s[4:5], exec
	s_or_b64 s[10:11], s[10:11], s[4:5]
.LBB4_13:
	s_or_b64 exec, exec, s[12:13]
	v_mov_b32_e32 v14, s16
	s_and_saveexec_b64 s[4:5], s[10:11]
	s_cbranch_execz .LBB4_15
; %bb.14:
	ds_read_u8 v10, v0 offset:1
	s_waitcnt lgkmcnt(0)
	v_xor_b32_e32 v14, 1, v10
.LBB4_15:
	s_or_b64 exec, exec, s[4:5]
	v_and_b32_e32 v12, 1, v3
	v_lshlrev_b32_e32 v10, 3, v3
	v_cmp_eq_u32_e64 s[4:5], v14, v12
	s_and_saveexec_b64 s[10:11], s[4:5]
	s_cbranch_execz .LBB4_17
; %bb.16:
	v_add_u32_e32 v14, v8, v10
	ds_read_b128 v[18:21], v14
	ds_read_u16 v24, v0
	v_lshlrev_b16_e32 v22, 8, v11
	v_or_b32_sdwa v11, v11, v22 dst_sel:DWORD dst_unused:UNUSED_PAD src0_sel:BYTE_1 src1_sel:DWORD
	s_mov_b32 s4, 0xc0c0001
	ds_write_b16 v1, v11
	s_waitcnt lgkmcnt(2)
	v_mov_b32_e32 v22, v18
	v_mov_b32_e32 v23, v19
	s_waitcnt lgkmcnt(1)
	v_perm_b32 v11, 0, v24, s4
	ds_write_b128 v14, v[20:23]
	ds_write_b16 v0, v11
.LBB4_17:
	s_or_b64 exec, exec, s[10:11]
	v_sub_u32_e32 v14, v17, v12
	v_add_u32_e32 v11, v16, v14
	s_waitcnt lgkmcnt(0)
	s_barrier
	ds_read_u8 v19, v11
	ds_read_u8 v20, v11 offset:2
	s_mov_b64 s[10:11], -1
	v_add_u32_e32 v12, v15, v14
                                        ; implicit-def: $sgpr16
	s_waitcnt lgkmcnt(0)
	v_cmp_lt_u16_e64 s[4:5], v19, v20
	s_and_saveexec_b64 s[12:13], s[4:5]
	s_xor_b64 s[12:13], exec, s[12:13]
	s_cbranch_execz .LBB4_19
; %bb.18:
	ds_read_u8 v18, v12
	s_mov_b32 s16, 1
	s_waitcnt lgkmcnt(0)
	v_and_b32_e32 v18, 1, v18
	v_cmp_eq_u32_e64 s[4:5], 1, v18
	s_xor_b64 s[4:5], s[4:5], -1
	s_orn2_b64 s[10:11], s[4:5], exec
.LBB4_19:
	s_or_b64 exec, exec, s[12:13]
	v_mov_b32_e32 v21, s16
	s_and_saveexec_b64 s[4:5], s[10:11]
	s_cbranch_execz .LBB4_21
; %bb.20:
	ds_read_u8 v18, v12 offset:2
	s_waitcnt lgkmcnt(0)
	v_xor_b32_e32 v21, 1, v18
.LBB4_21:
	s_or_b64 exec, exec, s[4:5]
	v_bfe_u32 v18, v3, 1, 1
	v_lshl_add_u32 v14, v14, 3, v13
	v_cmp_eq_u32_e64 s[4:5], v21, v18
	s_and_saveexec_b64 s[10:11], s[4:5]
	s_cbranch_execz .LBB4_23
; %bb.22:
	ds_read2_b64 v[22:25], v14 offset1:2
	ds_read_u8 v21, v12 offset:2
	ds_read_u8 v26, v12
	ds_write_b8 v11, v20
	ds_write_b8 v11, v19 offset:2
	s_waitcnt lgkmcnt(4)
	ds_write2_b64 v14, v[24:25], v[22:23] offset1:2
	s_waitcnt lgkmcnt(4)
	ds_write_b8 v12, v21
	s_waitcnt lgkmcnt(4)
	ds_write_b8 v12, v26 offset:2
.LBB4_23:
	s_or_b64 exec, exec, s[10:11]
	s_waitcnt lgkmcnt(0)
	s_barrier
	ds_read_u16 v19, v1
                                        ; implicit-def: $sgpr16
	s_waitcnt lgkmcnt(0)
	v_cmp_ge_u16_sdwa s[10:11], v19, v19 src0_sel:BYTE_0 src1_sel:BYTE_1
	v_cmp_lt_u16_sdwa s[4:5], v19, v19 src0_sel:BYTE_0 src1_sel:BYTE_1
	s_and_saveexec_b64 s[12:13], s[4:5]
	s_cbranch_execnz .LBB4_90
; %bb.24:
	s_or_b64 exec, exec, s[12:13]
	v_mov_b32_e32 v20, s16
	s_and_saveexec_b64 s[4:5], s[10:11]
	s_cbranch_execnz .LBB4_91
.LBB4_25:
	s_or_b64 exec, exec, s[4:5]
	v_cmp_eq_u32_e64 s[4:5], v20, v18
	s_and_saveexec_b64 s[10:11], s[4:5]
	s_cbranch_execz .LBB4_27
.LBB4_26:
	v_add_u32_e32 v24, v8, v10
	ds_read_b128 v[20:23], v24
	ds_read_u16 v25, v0
	v_lshlrev_b16_e32 v18, 8, v19
	v_or_b32_sdwa v18, v19, v18 dst_sel:DWORD dst_unused:UNUSED_PAD src0_sel:BYTE_1 src1_sel:DWORD
	ds_write_b16 v1, v18
	s_waitcnt lgkmcnt(2)
	v_mov_b32_e32 v18, v22
	v_mov_b32_e32 v19, v23
	s_mov_b32 s4, 0xc0c0001
	ds_write_b128 v24, v[18:21]
	s_waitcnt lgkmcnt(2)
	v_perm_b32 v18, 0, v25, s4
	ds_write_b16 v0, v18
.LBB4_27:
	s_or_b64 exec, exec, s[10:11]
	v_and_b32_e32 v18, 3, v3
	v_sub_u32_e32 v20, v17, v18
	v_add_u32_e32 v18, v16, v20
	s_waitcnt lgkmcnt(0)
	s_barrier
	ds_read_u8 v22, v18
	ds_read_u8 v23, v18 offset:4
	v_add_u32_e32 v19, v15, v20
                                        ; implicit-def: $sgpr16
	s_waitcnt lgkmcnt(0)
	v_cmp_ge_u16_e64 s[10:11], v22, v23
	v_cmp_lt_u16_e64 s[4:5], v22, v23
	s_and_saveexec_b64 s[12:13], s[4:5]
	s_cbranch_execz .LBB4_29
; %bb.28:
	ds_read_u8 v21, v19
	s_andn2_b64 s[10:11], s[10:11], exec
	s_mov_b32 s16, 1
	s_waitcnt lgkmcnt(0)
	v_and_b32_e32 v21, 1, v21
	v_cmp_eq_u32_e64 s[4:5], 1, v21
	s_xor_b64 s[4:5], s[4:5], -1
	s_and_b64 s[4:5], s[4:5], exec
	s_or_b64 s[10:11], s[10:11], s[4:5]
.LBB4_29:
	s_or_b64 exec, exec, s[12:13]
	v_mov_b32_e32 v24, s16
	s_and_saveexec_b64 s[4:5], s[10:11]
	s_cbranch_execz .LBB4_31
; %bb.30:
	ds_read_u8 v21, v19 offset:4
	s_waitcnt lgkmcnt(0)
	v_xor_b32_e32 v24, 1, v21
.LBB4_31:
	s_or_b64 exec, exec, s[4:5]
	v_bfe_u32 v21, v3, 2, 1
	v_lshl_add_u32 v20, v20, 3, v13
	v_cmp_eq_u32_e64 s[4:5], v24, v21
	s_and_saveexec_b64 s[10:11], s[4:5]
	s_cbranch_execz .LBB4_33
; %bb.32:
	ds_read2_b64 v[24:27], v20 offset1:4
	ds_read_u8 v28, v19 offset:4
	ds_read_u8 v29, v19
	ds_write_b8 v18, v23
	ds_write_b8 v18, v22 offset:4
	s_waitcnt lgkmcnt(4)
	ds_write2_b64 v20, v[26:27], v[24:25] offset1:4
	s_waitcnt lgkmcnt(4)
	ds_write_b8 v19, v28
	s_waitcnt lgkmcnt(4)
	ds_write_b8 v19, v29 offset:4
.LBB4_33:
	s_or_b64 exec, exec, s[10:11]
	s_waitcnt lgkmcnt(0)
	s_barrier
	ds_read_u8 v22, v11
	ds_read_u8 v23, v11 offset:2
                                        ; implicit-def: $sgpr16
	s_waitcnt lgkmcnt(0)
	v_cmp_ge_u16_e64 s[10:11], v22, v23
	v_cmp_lt_u16_e64 s[4:5], v22, v23
	s_and_saveexec_b64 s[12:13], s[4:5]
	s_cbranch_execnz .LBB4_92
; %bb.34:
	s_or_b64 exec, exec, s[12:13]
	v_mov_b32_e32 v24, s16
	s_and_saveexec_b64 s[4:5], s[10:11]
	s_cbranch_execnz .LBB4_93
.LBB4_35:
	s_or_b64 exec, exec, s[4:5]
	v_cmp_eq_u32_e64 s[4:5], v24, v21
	s_and_saveexec_b64 s[10:11], s[4:5]
	s_cbranch_execz .LBB4_37
.LBB4_36:
	ds_read2_b64 v[24:27], v14 offset1:2
	ds_read_u8 v28, v12 offset:2
	ds_read_u8 v29, v12
	ds_write_b8 v11, v23
	ds_write_b8 v11, v22 offset:2
	s_waitcnt lgkmcnt(4)
	ds_write2_b64 v14, v[26:27], v[24:25] offset1:2
	s_waitcnt lgkmcnt(4)
	ds_write_b8 v12, v28
	s_waitcnt lgkmcnt(4)
	ds_write_b8 v12, v29 offset:2
.LBB4_37:
	s_or_b64 exec, exec, s[10:11]
	s_waitcnt lgkmcnt(0)
	s_barrier
	ds_read_u16 v22, v1
                                        ; implicit-def: $sgpr16
	s_waitcnt lgkmcnt(0)
	v_cmp_ge_u16_sdwa s[10:11], v22, v22 src0_sel:BYTE_0 src1_sel:BYTE_1
	v_cmp_lt_u16_sdwa s[4:5], v22, v22 src0_sel:BYTE_0 src1_sel:BYTE_1
	s_and_saveexec_b64 s[12:13], s[4:5]
	s_cbranch_execnz .LBB4_94
; %bb.38:
	s_or_b64 exec, exec, s[12:13]
	v_mov_b32_e32 v23, s16
	s_and_saveexec_b64 s[4:5], s[10:11]
	s_cbranch_execnz .LBB4_95
.LBB4_39:
	s_or_b64 exec, exec, s[4:5]
	v_cmp_eq_u32_e64 s[4:5], v23, v21
	s_and_saveexec_b64 s[10:11], s[4:5]
	s_cbranch_execz .LBB4_41
.LBB4_40:
	v_add_u32_e32 v21, v8, v10
	ds_read_b128 v[24:27], v21
	ds_read_u16 v28, v0
	v_lshlrev_b16_e32 v23, 8, v22
	v_or_b32_sdwa v22, v22, v23 dst_sel:DWORD dst_unused:UNUSED_PAD src0_sel:BYTE_1 src1_sel:DWORD
	ds_write_b16 v1, v22
	s_waitcnt lgkmcnt(2)
	v_mov_b32_e32 v22, v26
	v_mov_b32_e32 v23, v27
	s_mov_b32 s4, 0xc0c0001
	ds_write_b128 v21, v[22:25]
	s_waitcnt lgkmcnt(2)
	v_perm_b32 v21, 0, v28, s4
	ds_write_b16 v0, v21
.LBB4_41:
	s_or_b64 exec, exec, s[10:11]
	v_and_b32_e32 v21, 7, v3
	v_sub_u32_e32 v23, v17, v21
	v_add_u32_e32 v21, v16, v23
	s_waitcnt lgkmcnt(0)
	s_barrier
	ds_read_u8 v25, v21
	ds_read_u8 v26, v21 offset:8
	v_add_u32_e32 v22, v15, v23
                                        ; implicit-def: $sgpr16
	s_waitcnt lgkmcnt(0)
	v_cmp_ge_u16_e64 s[10:11], v25, v26
	v_cmp_lt_u16_e64 s[4:5], v25, v26
	s_and_saveexec_b64 s[12:13], s[4:5]
	s_cbranch_execz .LBB4_43
; %bb.42:
	ds_read_u8 v24, v22
	s_andn2_b64 s[10:11], s[10:11], exec
	s_mov_b32 s16, 1
	s_waitcnt lgkmcnt(0)
	v_and_b32_e32 v24, 1, v24
	v_cmp_eq_u32_e64 s[4:5], 1, v24
	s_xor_b64 s[4:5], s[4:5], -1
	s_and_b64 s[4:5], s[4:5], exec
	s_or_b64 s[10:11], s[10:11], s[4:5]
.LBB4_43:
	s_or_b64 exec, exec, s[12:13]
	v_mov_b32_e32 v27, s16
	s_and_saveexec_b64 s[4:5], s[10:11]
	s_cbranch_execz .LBB4_45
; %bb.44:
	ds_read_u8 v24, v22 offset:8
	s_waitcnt lgkmcnt(0)
	v_xor_b32_e32 v27, 1, v24
.LBB4_45:
	s_or_b64 exec, exec, s[4:5]
	v_bfe_u32 v24, v3, 3, 1
	v_lshl_add_u32 v23, v23, 3, v13
	v_cmp_eq_u32_e64 s[4:5], v27, v24
	s_and_saveexec_b64 s[10:11], s[4:5]
	s_cbranch_execz .LBB4_47
; %bb.46:
	ds_read2_b64 v[28:31], v23 offset1:8
	ds_read_u8 v27, v22 offset:8
	ds_read_u8 v32, v22
	ds_write_b8 v21, v26
	ds_write_b8 v21, v25 offset:8
	s_waitcnt lgkmcnt(4)
	ds_write2_b64 v23, v[30:31], v[28:29] offset1:8
	s_waitcnt lgkmcnt(4)
	ds_write_b8 v22, v27
	s_waitcnt lgkmcnt(4)
	ds_write_b8 v22, v32 offset:8
.LBB4_47:
	s_or_b64 exec, exec, s[10:11]
	s_waitcnt lgkmcnt(0)
	s_barrier
	ds_read_u8 v25, v18
	ds_read_u8 v26, v18 offset:4
                                        ; implicit-def: $sgpr16
	s_waitcnt lgkmcnt(0)
	v_cmp_ge_u16_e64 s[10:11], v25, v26
	v_cmp_lt_u16_e64 s[4:5], v25, v26
	s_and_saveexec_b64 s[12:13], s[4:5]
	s_cbranch_execnz .LBB4_96
; %bb.48:
	s_or_b64 exec, exec, s[12:13]
	v_mov_b32_e32 v27, s16
	s_and_saveexec_b64 s[4:5], s[10:11]
	s_cbranch_execnz .LBB4_97
.LBB4_49:
	s_or_b64 exec, exec, s[4:5]
	v_cmp_eq_u32_e64 s[4:5], v27, v24
	s_and_saveexec_b64 s[10:11], s[4:5]
	s_cbranch_execz .LBB4_51
.LBB4_50:
	ds_read2_b64 v[28:31], v20 offset1:4
	ds_read_u8 v27, v19 offset:4
	ds_read_u8 v32, v19
	ds_write_b8 v18, v26
	ds_write_b8 v18, v25 offset:4
	s_waitcnt lgkmcnt(4)
	ds_write2_b64 v20, v[30:31], v[28:29] offset1:4
	s_waitcnt lgkmcnt(4)
	ds_write_b8 v19, v27
	s_waitcnt lgkmcnt(4)
	ds_write_b8 v19, v32 offset:4
.LBB4_51:
	s_or_b64 exec, exec, s[10:11]
	s_waitcnt lgkmcnt(0)
	s_barrier
	ds_read_u8 v25, v11
	ds_read_u8 v26, v11 offset:2
                                        ; implicit-def: $sgpr16
	s_waitcnt lgkmcnt(0)
	v_cmp_ge_u16_e64 s[10:11], v25, v26
	v_cmp_lt_u16_e64 s[4:5], v25, v26
	s_and_saveexec_b64 s[12:13], s[4:5]
	s_cbranch_execnz .LBB4_98
; %bb.52:
	s_or_b64 exec, exec, s[12:13]
	v_mov_b32_e32 v27, s16
	s_and_saveexec_b64 s[4:5], s[10:11]
	s_cbranch_execnz .LBB4_99
.LBB4_53:
	s_or_b64 exec, exec, s[4:5]
	v_cmp_eq_u32_e64 s[4:5], v27, v24
	s_and_saveexec_b64 s[10:11], s[4:5]
	s_cbranch_execz .LBB4_55
.LBB4_54:
	ds_read2_b64 v[28:31], v14 offset1:2
	ds_read_u8 v27, v12 offset:2
	ds_read_u8 v32, v12
	ds_write_b8 v11, v26
	ds_write_b8 v11, v25 offset:2
	s_waitcnt lgkmcnt(4)
	ds_write2_b64 v14, v[30:31], v[28:29] offset1:2
	s_waitcnt lgkmcnt(4)
	ds_write_b8 v12, v27
	s_waitcnt lgkmcnt(4)
	ds_write_b8 v12, v32 offset:2
.LBB4_55:
	s_or_b64 exec, exec, s[10:11]
	s_waitcnt lgkmcnt(0)
	s_barrier
	ds_read_u16 v25, v1
                                        ; implicit-def: $sgpr16
	s_waitcnt lgkmcnt(0)
	v_cmp_ge_u16_sdwa s[10:11], v25, v25 src0_sel:BYTE_0 src1_sel:BYTE_1
	v_cmp_lt_u16_sdwa s[4:5], v25, v25 src0_sel:BYTE_0 src1_sel:BYTE_1
	s_and_saveexec_b64 s[12:13], s[4:5]
	s_cbranch_execnz .LBB4_100
; %bb.56:
	s_or_b64 exec, exec, s[12:13]
	v_mov_b32_e32 v26, s16
	s_and_saveexec_b64 s[4:5], s[10:11]
	s_cbranch_execnz .LBB4_101
.LBB4_57:
	s_or_b64 exec, exec, s[4:5]
	v_cmp_eq_u32_e64 s[4:5], v26, v24
	s_and_saveexec_b64 s[10:11], s[4:5]
	s_cbranch_execz .LBB4_59
.LBB4_58:
	v_add_u32_e32 v30, v8, v10
	ds_read_b128 v[26:29], v30
	ds_read_u16 v31, v0
	v_lshlrev_b16_e32 v24, 8, v25
	v_or_b32_sdwa v24, v25, v24 dst_sel:DWORD dst_unused:UNUSED_PAD src0_sel:BYTE_1 src1_sel:DWORD
	ds_write_b16 v1, v24
	s_waitcnt lgkmcnt(2)
	v_mov_b32_e32 v24, v28
	v_mov_b32_e32 v25, v29
	s_mov_b32 s4, 0xc0c0001
	ds_write_b128 v30, v[24:27]
	s_waitcnt lgkmcnt(2)
	v_perm_b32 v24, 0, v31, s4
	ds_write_b16 v0, v24
.LBB4_59:
	s_or_b64 exec, exec, s[10:11]
	v_and_b32_e32 v24, 15, v3
	v_sub_u32_e32 v25, v17, v24
	v_add_u32_e32 v16, v16, v25
	s_waitcnt lgkmcnt(0)
	s_barrier
	ds_read_u8 v17, v16
	ds_read_u8 v24, v16 offset:16
	v_add_u32_e32 v15, v15, v25
	s_waitcnt lgkmcnt(0)
	v_cmp_ge_u16_e64 s[12:13], v17, v24
	v_cmp_lt_u16_e64 s[4:5], v17, v24
	s_and_saveexec_b64 s[10:11], s[4:5]
	s_cbranch_execz .LBB4_61
; %bb.60:
	ds_read_u8 v26, v15
	s_andn2_b64 s[12:13], s[12:13], exec
	s_waitcnt lgkmcnt(0)
	v_and_b32_e32 v26, 1, v26
	v_cmp_eq_u32_e64 s[4:5], 1, v26
	s_xor_b64 s[4:5], s[4:5], -1
	s_and_b64 s[4:5], s[4:5], exec
	s_or_b64 s[12:13], s[12:13], s[4:5]
.LBB4_61:
	s_or_b64 exec, exec, s[10:11]
	s_and_saveexec_b64 s[10:11], s[12:13]
	s_cbranch_execz .LBB4_64
; %bb.62:
	ds_read_u8 v26, v15 offset:16
	s_waitcnt lgkmcnt(0)
	v_cmp_ne_u16_e64 s[4:5], 0, v26
	s_and_b64 exec, exec, s[4:5]
	s_cbranch_execz .LBB4_64
; %bb.63:
	v_lshl_add_u32 v13, v25, 3, v13
	ds_read2_b64 v[28:31], v13 offset1:16
	ds_read_u8 v25, v15
	ds_write_b8 v16, v24
	ds_write_b8 v16, v17 offset:16
	ds_write_b8 v15, v26
	s_waitcnt lgkmcnt(4)
	ds_write2_b64 v13, v[30:31], v[28:29] offset1:16
	s_waitcnt lgkmcnt(4)
	ds_write_b8 v15, v25 offset:16
.LBB4_64:
	s_or_b64 exec, exec, s[10:11]
	s_waitcnt lgkmcnt(0)
	s_barrier
	ds_read_u8 v13, v21
	ds_read_u8 v15, v21 offset:8
	s_waitcnt lgkmcnt(0)
	v_cmp_ge_u16_e64 s[12:13], v13, v15
	v_cmp_lt_u16_e64 s[4:5], v13, v15
	s_and_saveexec_b64 s[10:11], s[4:5]
	s_cbranch_execz .LBB4_66
; %bb.65:
	ds_read_u8 v16, v22
	s_andn2_b64 s[12:13], s[12:13], exec
	s_waitcnt lgkmcnt(0)
	v_and_b32_e32 v16, 1, v16
	v_cmp_eq_u32_e64 s[4:5], 1, v16
	s_xor_b64 s[4:5], s[4:5], -1
	s_and_b64 s[4:5], s[4:5], exec
	s_or_b64 s[12:13], s[12:13], s[4:5]
.LBB4_66:
	s_or_b64 exec, exec, s[10:11]
	s_and_saveexec_b64 s[10:11], s[12:13]
	s_cbranch_execz .LBB4_69
; %bb.67:
	ds_read_u8 v16, v22 offset:8
	s_waitcnt lgkmcnt(0)
	v_cmp_ne_u16_e64 s[4:5], 0, v16
	s_and_b64 exec, exec, s[4:5]
	s_cbranch_execz .LBB4_69
; %bb.68:
	ds_read2_b64 v[24:27], v23 offset1:8
	ds_read_u8 v17, v22
	ds_write_b8 v21, v15
	ds_write_b8 v21, v13 offset:8
	ds_write_b8 v22, v16
	s_waitcnt lgkmcnt(4)
	ds_write2_b64 v23, v[26:27], v[24:25] offset1:8
	s_waitcnt lgkmcnt(4)
	ds_write_b8 v22, v17 offset:8
.LBB4_69:
	s_or_b64 exec, exec, s[10:11]
	s_waitcnt lgkmcnt(0)
	s_barrier
	ds_read_u8 v13, v18
	ds_read_u8 v15, v18 offset:4
	s_waitcnt lgkmcnt(0)
	v_cmp_ge_u16_e64 s[12:13], v13, v15
	v_cmp_lt_u16_e64 s[4:5], v13, v15
	s_and_saveexec_b64 s[10:11], s[4:5]
	s_cbranch_execz .LBB4_71
; %bb.70:
	ds_read_u8 v16, v19
	s_andn2_b64 s[12:13], s[12:13], exec
	s_waitcnt lgkmcnt(0)
	v_and_b32_e32 v16, 1, v16
	v_cmp_eq_u32_e64 s[4:5], 1, v16
	s_xor_b64 s[4:5], s[4:5], -1
	s_and_b64 s[4:5], s[4:5], exec
	s_or_b64 s[12:13], s[12:13], s[4:5]
.LBB4_71:
	s_or_b64 exec, exec, s[10:11]
	s_and_saveexec_b64 s[10:11], s[12:13]
	s_cbranch_execz .LBB4_74
; %bb.72:
	ds_read_u8 v16, v19 offset:4
	s_waitcnt lgkmcnt(0)
	v_cmp_ne_u16_e64 s[4:5], 0, v16
	s_and_b64 exec, exec, s[4:5]
	s_cbranch_execz .LBB4_74
; %bb.73:
	ds_read2_b64 v[22:25], v20 offset1:4
	ds_read_u8 v17, v19
	ds_write_b8 v18, v15
	ds_write_b8 v18, v13 offset:4
	ds_write_b8 v19, v16
	s_waitcnt lgkmcnt(4)
	ds_write2_b64 v20, v[24:25], v[22:23] offset1:4
	s_waitcnt lgkmcnt(4)
	ds_write_b8 v19, v17 offset:4
.LBB4_74:
	;; [unrolled: 40-line block ×3, first 2 shown]
	s_or_b64 exec, exec, s[10:11]
	s_waitcnt lgkmcnt(0)
	s_barrier
	ds_read_u16 v11, v1
	s_waitcnt lgkmcnt(0)
	v_cmp_ge_u16_sdwa s[12:13], v11, v11 src0_sel:BYTE_0 src1_sel:BYTE_1
	v_cmp_lt_u16_sdwa s[4:5], v11, v11 src0_sel:BYTE_0 src1_sel:BYTE_1
	s_and_saveexec_b64 s[10:11], s[4:5]
	s_cbranch_execz .LBB4_81
; %bb.80:
	ds_read_u8 v12, v0
	s_andn2_b64 s[12:13], s[12:13], exec
	s_waitcnt lgkmcnt(0)
	v_and_b32_e32 v12, 1, v12
	v_cmp_eq_u32_e64 s[4:5], 1, v12
	s_xor_b64 s[4:5], s[4:5], -1
	s_and_b64 s[4:5], s[4:5], exec
	s_or_b64 s[12:13], s[12:13], s[4:5]
.LBB4_81:
	s_or_b64 exec, exec, s[10:11]
	s_and_saveexec_b64 s[10:11], s[12:13]
	s_cbranch_execz .LBB4_84
; %bb.82:
	ds_read_u8 v12, v0 offset:1
	s_waitcnt lgkmcnt(0)
	v_cmp_ne_u16_e64 s[4:5], 0, v12
	s_and_b64 exec, exec, s[4:5]
	s_cbranch_execz .LBB4_84
; %bb.83:
	v_add_u32_e32 v10, v8, v10
	v_lshlrev_b16_e32 v13, 8, v11
	ds_read_b128 v[14:17], v10
	v_or_b32_sdwa v11, v11, v13 dst_sel:DWORD dst_unused:UNUSED_PAD src0_sel:BYTE_1 src1_sel:DWORD
	ds_read_u8 v13, v0
	ds_write_b16 v1, v11
	s_waitcnt lgkmcnt(2)
	v_mov_b32_e32 v18, v14
	v_mov_b32_e32 v19, v15
	s_waitcnt lgkmcnt(1)
	v_lshlrev_b16_e32 v1, 8, v13
	v_or_b32_e32 v1, v12, v1
	ds_write_b128 v10, v[16:19]
	ds_write_b16 v0, v1
.LBB4_84:
	s_or_b64 exec, exec, s[10:11]
	s_waitcnt lgkmcnt(0)
	s_barrier
	s_and_saveexec_b64 s[4:5], vcc
	s_cbranch_execz .LBB4_89
; %bb.85:
	s_and_saveexec_b64 s[4:5], s[0:1]
	s_cbranch_execz .LBB4_87
; %bb.86:
	ds_read_u8 v10, v9
	v_mad_u64_u32 v[0:1], s[0:1], v3, s14, v[2:3]
	ds_read_b64 v[8:9], v8
	s_waitcnt lgkmcnt(1)
	global_store_byte v0, v10, s[8:9]
	v_mad_u64_u32 v[0:1], s[0:1], v3, s15, v[4:5]
	v_mov_b32_e32 v1, 0
	v_lshlrev_b64 v[0:1], 3, v[0:1]
	v_mov_b32_e32 v3, s7
	v_add_co_u32_e32 v0, vcc, s6, v0
	v_addc_co_u32_e32 v1, vcc, v3, v1, vcc
	s_waitcnt lgkmcnt(0)
	global_store_dwordx2 v[0:1], v[8:9], off
.LBB4_87:
	s_or_b64 exec, exec, s[4:5]
	s_and_b64 exec, exec, s[2:3]
	s_cbranch_execz .LBB4_89
; %bb.88:
	ds_read_u8 v7, v7
	v_mad_u64_u32 v[0:1], s[0:1], v5, s14, v[2:3]
	ds_read_b64 v[2:3], v6
	s_waitcnt lgkmcnt(1)
	global_store_byte v0, v7, s[8:9]
	v_mad_u64_u32 v[0:1], s[0:1], v5, s15, v[4:5]
	v_mov_b32_e32 v1, 0
	v_lshlrev_b64 v[0:1], 3, v[0:1]
	v_mov_b32_e32 v4, s7
	v_add_co_u32_e32 v0, vcc, s6, v0
	v_addc_co_u32_e32 v1, vcc, v4, v1, vcc
	s_waitcnt lgkmcnt(0)
	global_store_dwordx2 v[0:1], v[2:3], off
.LBB4_89:
	s_endpgm
.LBB4_90:
	ds_read_u8 v20, v0
	s_andn2_b64 s[10:11], s[10:11], exec
	s_mov_b32 s16, 1
	s_waitcnt lgkmcnt(0)
	v_and_b32_e32 v20, 1, v20
	v_cmp_eq_u32_e64 s[4:5], 1, v20
	s_xor_b64 s[4:5], s[4:5], -1
	s_and_b64 s[4:5], s[4:5], exec
	s_or_b64 s[10:11], s[10:11], s[4:5]
	s_or_b64 exec, exec, s[12:13]
	v_mov_b32_e32 v20, s16
	s_and_saveexec_b64 s[4:5], s[10:11]
	s_cbranch_execz .LBB4_25
.LBB4_91:
	ds_read_u8 v20, v0 offset:1
	s_waitcnt lgkmcnt(0)
	v_xor_b32_e32 v20, 1, v20
	s_or_b64 exec, exec, s[4:5]
	v_cmp_eq_u32_e64 s[4:5], v20, v18
	s_and_saveexec_b64 s[10:11], s[4:5]
	s_cbranch_execnz .LBB4_26
	s_branch .LBB4_27
.LBB4_92:
	ds_read_u8 v24, v12
	s_andn2_b64 s[10:11], s[10:11], exec
	s_mov_b32 s16, 1
	s_waitcnt lgkmcnt(0)
	v_and_b32_e32 v24, 1, v24
	v_cmp_eq_u32_e64 s[4:5], 1, v24
	s_xor_b64 s[4:5], s[4:5], -1
	s_and_b64 s[4:5], s[4:5], exec
	s_or_b64 s[10:11], s[10:11], s[4:5]
	s_or_b64 exec, exec, s[12:13]
	v_mov_b32_e32 v24, s16
	s_and_saveexec_b64 s[4:5], s[10:11]
	s_cbranch_execz .LBB4_35
.LBB4_93:
	ds_read_u8 v24, v12 offset:2
	s_waitcnt lgkmcnt(0)
	v_xor_b32_e32 v24, 1, v24
	s_or_b64 exec, exec, s[4:5]
	v_cmp_eq_u32_e64 s[4:5], v24, v21
	s_and_saveexec_b64 s[10:11], s[4:5]
	s_cbranch_execnz .LBB4_36
	s_branch .LBB4_37
.LBB4_94:
	ds_read_u8 v23, v0
	s_andn2_b64 s[10:11], s[10:11], exec
	s_mov_b32 s16, 1
	s_waitcnt lgkmcnt(0)
	v_and_b32_e32 v23, 1, v23
	v_cmp_eq_u32_e64 s[4:5], 1, v23
	s_xor_b64 s[4:5], s[4:5], -1
	s_and_b64 s[4:5], s[4:5], exec
	s_or_b64 s[10:11], s[10:11], s[4:5]
	s_or_b64 exec, exec, s[12:13]
	v_mov_b32_e32 v23, s16
	s_and_saveexec_b64 s[4:5], s[10:11]
	s_cbranch_execz .LBB4_39
.LBB4_95:
	ds_read_u8 v23, v0 offset:1
	s_waitcnt lgkmcnt(0)
	v_xor_b32_e32 v23, 1, v23
	s_or_b64 exec, exec, s[4:5]
	v_cmp_eq_u32_e64 s[4:5], v23, v21
	s_and_saveexec_b64 s[10:11], s[4:5]
	s_cbranch_execnz .LBB4_40
	s_branch .LBB4_41
.LBB4_96:
	ds_read_u8 v27, v19
	s_andn2_b64 s[10:11], s[10:11], exec
	s_mov_b32 s16, 1
	s_waitcnt lgkmcnt(0)
	v_and_b32_e32 v27, 1, v27
	v_cmp_eq_u32_e64 s[4:5], 1, v27
	s_xor_b64 s[4:5], s[4:5], -1
	s_and_b64 s[4:5], s[4:5], exec
	s_or_b64 s[10:11], s[10:11], s[4:5]
	s_or_b64 exec, exec, s[12:13]
	v_mov_b32_e32 v27, s16
	s_and_saveexec_b64 s[4:5], s[10:11]
	s_cbranch_execz .LBB4_49
.LBB4_97:
	ds_read_u8 v27, v19 offset:4
	s_waitcnt lgkmcnt(0)
	v_xor_b32_e32 v27, 1, v27
	s_or_b64 exec, exec, s[4:5]
	v_cmp_eq_u32_e64 s[4:5], v27, v24
	s_and_saveexec_b64 s[10:11], s[4:5]
	s_cbranch_execnz .LBB4_50
	s_branch .LBB4_51
.LBB4_98:
	ds_read_u8 v27, v12
	s_andn2_b64 s[10:11], s[10:11], exec
	s_mov_b32 s16, 1
	s_waitcnt lgkmcnt(0)
	v_and_b32_e32 v27, 1, v27
	v_cmp_eq_u32_e64 s[4:5], 1, v27
	s_xor_b64 s[4:5], s[4:5], -1
	s_and_b64 s[4:5], s[4:5], exec
	s_or_b64 s[10:11], s[10:11], s[4:5]
	s_or_b64 exec, exec, s[12:13]
	v_mov_b32_e32 v27, s16
	s_and_saveexec_b64 s[4:5], s[10:11]
	s_cbranch_execz .LBB4_53
.LBB4_99:
	ds_read_u8 v27, v12 offset:2
	s_waitcnt lgkmcnt(0)
	v_xor_b32_e32 v27, 1, v27
	s_or_b64 exec, exec, s[4:5]
	v_cmp_eq_u32_e64 s[4:5], v27, v24
	s_and_saveexec_b64 s[10:11], s[4:5]
	s_cbranch_execnz .LBB4_54
	s_branch .LBB4_55
.LBB4_100:
	ds_read_u8 v26, v0
	s_andn2_b64 s[10:11], s[10:11], exec
	s_mov_b32 s16, 1
	s_waitcnt lgkmcnt(0)
	v_and_b32_e32 v26, 1, v26
	v_cmp_eq_u32_e64 s[4:5], 1, v26
	s_xor_b64 s[4:5], s[4:5], -1
	s_and_b64 s[4:5], s[4:5], exec
	s_or_b64 s[10:11], s[10:11], s[4:5]
	s_or_b64 exec, exec, s[12:13]
	v_mov_b32_e32 v26, s16
	s_and_saveexec_b64 s[4:5], s[10:11]
	s_cbranch_execz .LBB4_57
.LBB4_101:
	ds_read_u8 v26, v0 offset:1
	s_waitcnt lgkmcnt(0)
	v_xor_b32_e32 v26, 1, v26
	s_or_b64 exec, exec, s[4:5]
	v_cmp_eq_u32_e64 s[4:5], v26, v24
	s_and_saveexec_b64 s[10:11], s[4:5]
	s_cbranch_execnz .LBB4_58
	s_branch .LBB4_59
	.section	.rodata,"a",@progbits
	.p2align	6, 0x0
	.amdhsa_kernel _ZN2at6native20bitonicSortKVInPlaceILin1ELin1ELi16ELi16EhlNS0_4LTOpIhLb1EEEjEEvNS_4cuda6detail10TensorInfoIT3_T6_EES8_S8_S8_NS6_IT4_S8_EES8_T5_
		.amdhsa_group_segment_fixed_size 5120
		.amdhsa_private_segment_fixed_size 0
		.amdhsa_kernarg_size 712
		.amdhsa_user_sgpr_count 6
		.amdhsa_user_sgpr_private_segment_buffer 1
		.amdhsa_user_sgpr_dispatch_ptr 0
		.amdhsa_user_sgpr_queue_ptr 0
		.amdhsa_user_sgpr_kernarg_segment_ptr 1
		.amdhsa_user_sgpr_dispatch_id 0
		.amdhsa_user_sgpr_flat_scratch_init 0
		.amdhsa_user_sgpr_kernarg_preload_length 0
		.amdhsa_user_sgpr_kernarg_preload_offset 0
		.amdhsa_user_sgpr_private_segment_size 0
		.amdhsa_uses_dynamic_stack 0
		.amdhsa_system_sgpr_private_segment_wavefront_offset 0
		.amdhsa_system_sgpr_workgroup_id_x 1
		.amdhsa_system_sgpr_workgroup_id_y 1
		.amdhsa_system_sgpr_workgroup_id_z 1
		.amdhsa_system_sgpr_workgroup_info 0
		.amdhsa_system_vgpr_workitem_id 1
		.amdhsa_next_free_vgpr 33
		.amdhsa_next_free_sgpr 17
		.amdhsa_accum_offset 36
		.amdhsa_reserve_vcc 1
		.amdhsa_reserve_flat_scratch 0
		.amdhsa_float_round_mode_32 0
		.amdhsa_float_round_mode_16_64 0
		.amdhsa_float_denorm_mode_32 3
		.amdhsa_float_denorm_mode_16_64 3
		.amdhsa_dx10_clamp 1
		.amdhsa_ieee_mode 1
		.amdhsa_fp16_overflow 0
		.amdhsa_tg_split 0
		.amdhsa_exception_fp_ieee_invalid_op 0
		.amdhsa_exception_fp_denorm_src 0
		.amdhsa_exception_fp_ieee_div_zero 0
		.amdhsa_exception_fp_ieee_overflow 0
		.amdhsa_exception_fp_ieee_underflow 0
		.amdhsa_exception_fp_ieee_inexact 0
		.amdhsa_exception_int_div_zero 0
	.end_amdhsa_kernel
	.section	.text._ZN2at6native20bitonicSortKVInPlaceILin1ELin1ELi16ELi16EhlNS0_4LTOpIhLb1EEEjEEvNS_4cuda6detail10TensorInfoIT3_T6_EES8_S8_S8_NS6_IT4_S8_EES8_T5_,"axG",@progbits,_ZN2at6native20bitonicSortKVInPlaceILin1ELin1ELi16ELi16EhlNS0_4LTOpIhLb1EEEjEEvNS_4cuda6detail10TensorInfoIT3_T6_EES8_S8_S8_NS6_IT4_S8_EES8_T5_,comdat
.Lfunc_end4:
	.size	_ZN2at6native20bitonicSortKVInPlaceILin1ELin1ELi16ELi16EhlNS0_4LTOpIhLb1EEEjEEvNS_4cuda6detail10TensorInfoIT3_T6_EES8_S8_S8_NS6_IT4_S8_EES8_T5_, .Lfunc_end4-_ZN2at6native20bitonicSortKVInPlaceILin1ELin1ELi16ELi16EhlNS0_4LTOpIhLb1EEEjEEvNS_4cuda6detail10TensorInfoIT3_T6_EES8_S8_S8_NS6_IT4_S8_EES8_T5_
                                        ; -- End function
	.section	.AMDGPU.csdata,"",@progbits
; Kernel info:
; codeLenInByte = 4848
; NumSgprs: 21
; NumVgprs: 33
; NumAgprs: 0
; TotalNumVgprs: 33
; ScratchSize: 0
; MemoryBound: 0
; FloatMode: 240
; IeeeMode: 1
; LDSByteSize: 5120 bytes/workgroup (compile time only)
; SGPRBlocks: 2
; VGPRBlocks: 4
; NumSGPRsForWavesPerEU: 21
; NumVGPRsForWavesPerEU: 33
; AccumOffset: 36
; Occupancy: 8
; WaveLimiterHint : 1
; COMPUTE_PGM_RSRC2:SCRATCH_EN: 0
; COMPUTE_PGM_RSRC2:USER_SGPR: 6
; COMPUTE_PGM_RSRC2:TRAP_HANDLER: 0
; COMPUTE_PGM_RSRC2:TGID_X_EN: 1
; COMPUTE_PGM_RSRC2:TGID_Y_EN: 1
; COMPUTE_PGM_RSRC2:TGID_Z_EN: 1
; COMPUTE_PGM_RSRC2:TIDIG_COMP_CNT: 1
; COMPUTE_PGM_RSRC3_GFX90A:ACCUM_OFFSET: 8
; COMPUTE_PGM_RSRC3_GFX90A:TG_SPLIT: 0
	.section	.text._ZN2at6native20bitonicSortKVInPlaceILin1ELin1ELi16ELi16EhlNS0_4GTOpIhLb1EEEjEEvNS_4cuda6detail10TensorInfoIT3_T6_EES8_S8_S8_NS6_IT4_S8_EES8_T5_,"axG",@progbits,_ZN2at6native20bitonicSortKVInPlaceILin1ELin1ELi16ELi16EhlNS0_4GTOpIhLb1EEEjEEvNS_4cuda6detail10TensorInfoIT3_T6_EES8_S8_S8_NS6_IT4_S8_EES8_T5_,comdat
	.protected	_ZN2at6native20bitonicSortKVInPlaceILin1ELin1ELi16ELi16EhlNS0_4GTOpIhLb1EEEjEEvNS_4cuda6detail10TensorInfoIT3_T6_EES8_S8_S8_NS6_IT4_S8_EES8_T5_ ; -- Begin function _ZN2at6native20bitonicSortKVInPlaceILin1ELin1ELi16ELi16EhlNS0_4GTOpIhLb1EEEjEEvNS_4cuda6detail10TensorInfoIT3_T6_EES8_S8_S8_NS6_IT4_S8_EES8_T5_
	.globl	_ZN2at6native20bitonicSortKVInPlaceILin1ELin1ELi16ELi16EhlNS0_4GTOpIhLb1EEEjEEvNS_4cuda6detail10TensorInfoIT3_T6_EES8_S8_S8_NS6_IT4_S8_EES8_T5_
	.p2align	8
	.type	_ZN2at6native20bitonicSortKVInPlaceILin1ELin1ELi16ELi16EhlNS0_4GTOpIhLb1EEEjEEvNS_4cuda6detail10TensorInfoIT3_T6_EES8_S8_S8_NS6_IT4_S8_EES8_T5_,@function
_ZN2at6native20bitonicSortKVInPlaceILin1ELin1ELi16ELi16EhlNS0_4GTOpIhLb1EEEjEEvNS_4cuda6detail10TensorInfoIT3_T6_EES8_S8_S8_NS6_IT4_S8_EES8_T5_: ; @_ZN2at6native20bitonicSortKVInPlaceILin1ELin1ELi16ELi16EhlNS0_4GTOpIhLb1EEEjEEvNS_4cuda6detail10TensorInfoIT3_T6_EES8_S8_S8_NS6_IT4_S8_EES8_T5_
; %bb.0:
	s_load_dwordx2 s[2:3], s[4:5], 0x1c8
	s_load_dwordx4 s[12:15], s[4:5], 0xd8
	s_load_dword s9, s[4:5], 0x1d4
	s_add_u32 s0, s4, 0x1c8
	s_addc_u32 s1, s5, 0
	s_waitcnt lgkmcnt(0)
	s_mul_i32 s3, s3, s8
	s_add_i32 s3, s3, s7
	s_mul_i32 s2, s3, s2
	s_add_i32 s3, s2, s6
	s_lshr_b32 s2, s9, 16
	s_mul_i32 s3, s3, s2
	s_cmp_ge_u32 s3, s12
	s_cbranch_scc1 .LBB5_89
; %bb.1:
	s_load_dword s2, s[4:5], 0xd0
	v_bfe_u32 v8, v0, 10, 10
	v_add_u32_e32 v1, s3, v8
	v_mov_b32_e32 v2, 0
	v_mov_b32_e32 v6, v1
	s_waitcnt lgkmcnt(0)
	s_cmp_lt_i32 s2, 2
	s_cbranch_scc1 .LBB5_4
; %bb.2:
	s_add_i32 s6, s2, 1
	s_add_i32 s2, s2, -1
	s_mov_b32 s3, 0
	s_lshl_b64 s[2:3], s[2:3], 2
	s_add_u32 s2, s2, s4
	s_addc_u32 s3, s3, s5
	s_add_u32 s2, s2, 8
	s_addc_u32 s3, s3, 0
	v_mov_b32_e32 v2, 0
	v_mov_b32_e32 v6, v1
.LBB5_3:                                ; =>This Inner Loop Header: Depth=1
	s_load_dword s7, s[2:3], 0x0
	s_load_dword s8, s[2:3], 0x64
	v_mov_b32_e32 v3, v6
	s_add_i32 s6, s6, -1
	s_waitcnt lgkmcnt(0)
	v_cvt_f32_u32_e32 v4, s7
	s_sub_i32 s9, 0, s7
	s_add_u32 s2, s2, -4
	s_addc_u32 s3, s3, -1
	v_rcp_iflag_f32_e32 v4, v4
	s_cmp_gt_u32 s6, 2
	v_mul_f32_e32 v4, 0x4f7ffffe, v4
	v_cvt_u32_f32_e32 v4, v4
	v_mul_lo_u32 v5, s9, v4
	v_mul_hi_u32 v5, v4, v5
	v_add_u32_e32 v4, v4, v5
	v_mul_hi_u32 v4, v3, v4
	v_mul_lo_u32 v5, v4, s7
	v_sub_u32_e32 v5, v3, v5
	v_add_u32_e32 v6, 1, v4
	v_cmp_le_u32_e32 vcc, s7, v5
	v_cndmask_b32_e32 v4, v4, v6, vcc
	v_subrev_u32_e32 v6, s7, v5
	v_cndmask_b32_e32 v5, v5, v6, vcc
	v_add_u32_e32 v6, 1, v4
	v_cmp_le_u32_e32 vcc, s7, v5
	v_cndmask_b32_e32 v6, v4, v6, vcc
	v_mul_lo_u32 v4, v6, s7
	v_sub_u32_e32 v3, v3, v4
	v_mad_u64_u32 v[2:3], s[8:9], s8, v3, v[2:3]
	s_cbranch_scc1 .LBB5_3
.LBB5_4:
	s_load_dword s2, s[4:5], 0x1b8
	v_mov_b32_e32 v4, 0
	v_mov_b32_e32 v7, v1
	s_waitcnt lgkmcnt(0)
	s_cmp_lt_i32 s2, 2
	s_cbranch_scc1 .LBB5_7
; %bb.5:
	s_add_i32 s6, s2, 1
	s_add_i32 s2, s2, -1
	s_mov_b32 s3, 0
	s_lshl_b64 s[2:3], s[2:3], 2
	s_add_u32 s2, s2, s4
	s_addc_u32 s3, s3, s5
	s_add_u32 s2, s2, 0xf0
	s_addc_u32 s3, s3, 0
	v_mov_b32_e32 v4, 0
	v_mov_b32_e32 v7, v1
.LBB5_6:                                ; =>This Inner Loop Header: Depth=1
	s_load_dword s7, s[2:3], 0x0
	s_load_dword s8, s[2:3], 0x64
	v_mov_b32_e32 v3, v7
	s_add_i32 s6, s6, -1
	s_waitcnt lgkmcnt(0)
	v_cvt_f32_u32_e32 v5, s7
	s_sub_i32 s9, 0, s7
	s_add_u32 s2, s2, -4
	s_addc_u32 s3, s3, -1
	v_rcp_iflag_f32_e32 v5, v5
	s_cmp_gt_u32 s6, 2
	v_mul_f32_e32 v5, 0x4f7ffffe, v5
	v_cvt_u32_f32_e32 v5, v5
	v_mul_lo_u32 v7, s9, v5
	v_mul_hi_u32 v7, v5, v7
	v_add_u32_e32 v5, v5, v7
	v_mul_hi_u32 v5, v3, v5
	v_mul_lo_u32 v7, v5, s7
	v_sub_u32_e32 v7, v3, v7
	v_add_u32_e32 v9, 1, v5
	v_cmp_le_u32_e32 vcc, s7, v7
	v_cndmask_b32_e32 v5, v5, v9, vcc
	v_subrev_u32_e32 v9, s7, v7
	v_cndmask_b32_e32 v7, v7, v9, vcc
	v_add_u32_e32 v9, 1, v5
	v_cmp_le_u32_e32 vcc, s7, v7
	v_cndmask_b32_e32 v7, v5, v9, vcc
	v_mul_lo_u32 v5, v7, s7
	v_sub_u32_e32 v3, v3, v5
	v_mad_u64_u32 v[4:5], s[8:9], s8, v3, v[4:5]
	s_cbranch_scc1 .LBB5_6
.LBB5_7:
	s_load_dword s2, s[4:5], 0x6c
	v_cmp_gt_u32_e32 vcc, s12, v1
	v_mov_b32_e32 v10, 0
	s_waitcnt lgkmcnt(0)
	v_mad_u64_u32 v[2:3], s[2:3], s2, v6, v[2:3]
	s_load_dword s15, s[4:5], 0x1c0
	s_load_dword s2, s[4:5], 0x154
	s_load_dwordx2 s[8:9], s[4:5], 0x0
	s_load_dwordx2 s[6:7], s[4:5], 0xe8
	s_load_dword s12, s[0:1], 0xc
	v_and_b32_e32 v3, 0x3ff, v0
	v_cmp_gt_u32_e64 s[0:1], s13, v3
	s_waitcnt lgkmcnt(0)
	v_mad_u64_u32 v[4:5], s[2:3], s2, v7, v[4:5]
	v_pk_mov_b32 v[0:1], 0, 0
	s_and_b64 s[4:5], vcc, s[0:1]
	v_mov_b32_e32 v5, 0
	v_pk_mov_b32 v[6:7], v[0:1], v[0:1] op_sel:[0,1]
	s_and_saveexec_b64 s[10:11], s[4:5]
	s_cbranch_execz .LBB5_9
; %bb.8:
	v_mad_u64_u32 v[6:7], s[2:3], v3, s14, v[2:3]
	global_load_ubyte v5, v6, s[8:9]
	v_mov_b32_e32 v9, s7
	s_waitcnt vmcnt(0)
	v_mad_u64_u32 v[6:7], s[2:3], v3, s15, v[4:5]
	v_mov_b32_e32 v7, 0
	v_lshlrev_b64 v[6:7], 3, v[6:7]
	v_add_co_u32_e64 v6, s[2:3], s6, v6
	v_addc_co_u32_e64 v7, s[2:3], v9, v7, s[2:3]
	global_load_dwordx2 v[6:7], v[6:7], off
.LBB5_9:
	s_or_b64 exec, exec, s[10:11]
	v_lshlrev_b32_e32 v9, 5, v8
	v_add_u32_e32 v16, 0x1000, v9
	v_add_u32_e32 v15, 0x1200, v9
	;; [unrolled: 1-line block ×3, first 2 shown]
	s_and_b32 s16, 0xffff, s12
	v_cndmask_b32_e64 v11, 0, 1, s[4:5]
	ds_write_b8 v9, v5
	v_add_u32_e32 v5, v15, v3
	ds_write_b8 v5, v11
	v_add_u32_e32 v5, s16, v3
	v_lshlrev_b32_e32 v13, 8, v8
	v_cmp_gt_u32_e64 s[2:3], s13, v5
	v_lshl_add_u32 v8, v3, 3, v13
	s_and_b64 s[10:11], vcc, s[2:3]
	s_waitcnt vmcnt(0)
	ds_write_b64 v8, v[6:7]
	s_and_saveexec_b64 s[12:13], s[10:11]
	s_cbranch_execz .LBB5_11
; %bb.10:
	v_mad_u64_u32 v[0:1], s[4:5], v5, s14, v[2:3]
	global_load_ubyte v10, v0, s[8:9]
	v_mad_u64_u32 v[0:1], s[4:5], v5, s15, v[4:5]
	v_mov_b32_e32 v1, 0
	v_lshlrev_b64 v[0:1], 3, v[0:1]
	v_mov_b32_e32 v6, s7
	v_add_co_u32_e64 v0, s[4:5], s6, v0
	v_addc_co_u32_e64 v1, s[4:5], v6, v1, s[4:5]
	global_load_dwordx2 v[0:1], v[0:1], off
.LBB5_11:
	s_or_b64 exec, exec, s[12:13]
	v_lshl_add_u32 v6, s16, 3, v8
	v_lshlrev_b32_e32 v17, 1, v3
	v_cndmask_b32_e64 v11, 0, 1, s[10:11]
	v_add_u32_e32 v7, v16, v5
	s_waitcnt vmcnt(0)
	ds_write_b64 v6, v[0:1]
	v_add_u32_e32 v0, v15, v5
	v_add_u32_e32 v1, v16, v17
	ds_write_b8 v7, v10
	ds_write_b8 v0, v11
	s_waitcnt lgkmcnt(0)
	s_barrier
	ds_read_u16 v11, v1
	s_mov_b32 s16, 1
	v_add_u32_e32 v0, v15, v17
	s_waitcnt lgkmcnt(0)
	v_cmp_le_u16_sdwa s[10:11], v11, v11 src0_sel:BYTE_0 src1_sel:BYTE_1
	v_cmp_gt_u16_sdwa s[4:5], v11, v11 src0_sel:BYTE_0 src1_sel:BYTE_1
	s_and_saveexec_b64 s[12:13], s[4:5]
	s_xor_b64 s[12:13], exec, s[12:13]
	s_cbranch_execz .LBB5_13
; %bb.12:
	ds_read_u8 v10, v0
	s_andn2_b64 s[10:11], s[10:11], exec
	s_waitcnt lgkmcnt(0)
	v_and_b32_e32 v10, 1, v10
	v_cmp_eq_u32_e64 s[4:5], 1, v10
	s_xor_b64 s[4:5], s[4:5], -1
	s_and_b64 s[4:5], s[4:5], exec
	s_or_b64 s[10:11], s[10:11], s[4:5]
.LBB5_13:
	s_or_b64 exec, exec, s[12:13]
	v_mov_b32_e32 v14, s16
	s_and_saveexec_b64 s[4:5], s[10:11]
	s_cbranch_execz .LBB5_15
; %bb.14:
	ds_read_u8 v10, v0 offset:1
	s_waitcnt lgkmcnt(0)
	v_xor_b32_e32 v14, 1, v10
.LBB5_15:
	s_or_b64 exec, exec, s[4:5]
	v_and_b32_e32 v12, 1, v3
	v_lshlrev_b32_e32 v10, 3, v3
	v_cmp_eq_u32_e64 s[4:5], v14, v12
	s_and_saveexec_b64 s[10:11], s[4:5]
	s_cbranch_execz .LBB5_17
; %bb.16:
	v_add_u32_e32 v14, v8, v10
	ds_read_b128 v[18:21], v14
	ds_read_u16 v24, v0
	v_lshlrev_b16_e32 v22, 8, v11
	v_or_b32_sdwa v11, v11, v22 dst_sel:DWORD dst_unused:UNUSED_PAD src0_sel:BYTE_1 src1_sel:DWORD
	s_mov_b32 s4, 0xc0c0001
	ds_write_b16 v1, v11
	s_waitcnt lgkmcnt(2)
	v_mov_b32_e32 v22, v18
	v_mov_b32_e32 v23, v19
	s_waitcnt lgkmcnt(1)
	v_perm_b32 v11, 0, v24, s4
	ds_write_b128 v14, v[20:23]
	ds_write_b16 v0, v11
.LBB5_17:
	s_or_b64 exec, exec, s[10:11]
	v_sub_u32_e32 v14, v17, v12
	v_add_u32_e32 v11, v16, v14
	s_waitcnt lgkmcnt(0)
	s_barrier
	ds_read_u8 v19, v11
	ds_read_u8 v20, v11 offset:2
	s_mov_b64 s[10:11], -1
	v_add_u32_e32 v12, v15, v14
                                        ; implicit-def: $sgpr16
	s_waitcnt lgkmcnt(0)
	v_cmp_gt_u16_e64 s[4:5], v19, v20
	s_and_saveexec_b64 s[12:13], s[4:5]
	s_xor_b64 s[12:13], exec, s[12:13]
	s_cbranch_execz .LBB5_19
; %bb.18:
	ds_read_u8 v18, v12
	s_mov_b32 s16, 1
	s_waitcnt lgkmcnt(0)
	v_and_b32_e32 v18, 1, v18
	v_cmp_eq_u32_e64 s[4:5], 1, v18
	s_xor_b64 s[4:5], s[4:5], -1
	s_orn2_b64 s[10:11], s[4:5], exec
.LBB5_19:
	s_or_b64 exec, exec, s[12:13]
	v_mov_b32_e32 v21, s16
	s_and_saveexec_b64 s[4:5], s[10:11]
	s_cbranch_execz .LBB5_21
; %bb.20:
	ds_read_u8 v18, v12 offset:2
	s_waitcnt lgkmcnt(0)
	v_xor_b32_e32 v21, 1, v18
.LBB5_21:
	s_or_b64 exec, exec, s[4:5]
	v_bfe_u32 v18, v3, 1, 1
	v_lshl_add_u32 v14, v14, 3, v13
	v_cmp_eq_u32_e64 s[4:5], v21, v18
	s_and_saveexec_b64 s[10:11], s[4:5]
	s_cbranch_execz .LBB5_23
; %bb.22:
	ds_read2_b64 v[22:25], v14 offset1:2
	ds_read_u8 v21, v12 offset:2
	ds_read_u8 v26, v12
	ds_write_b8 v11, v20
	ds_write_b8 v11, v19 offset:2
	s_waitcnt lgkmcnt(4)
	ds_write2_b64 v14, v[24:25], v[22:23] offset1:2
	s_waitcnt lgkmcnt(4)
	ds_write_b8 v12, v21
	s_waitcnt lgkmcnt(4)
	ds_write_b8 v12, v26 offset:2
.LBB5_23:
	s_or_b64 exec, exec, s[10:11]
	s_waitcnt lgkmcnt(0)
	s_barrier
	ds_read_u16 v19, v1
                                        ; implicit-def: $sgpr16
	s_waitcnt lgkmcnt(0)
	v_cmp_le_u16_sdwa s[10:11], v19, v19 src0_sel:BYTE_0 src1_sel:BYTE_1
	v_cmp_gt_u16_sdwa s[4:5], v19, v19 src0_sel:BYTE_0 src1_sel:BYTE_1
	s_and_saveexec_b64 s[12:13], s[4:5]
	s_cbranch_execnz .LBB5_90
; %bb.24:
	s_or_b64 exec, exec, s[12:13]
	v_mov_b32_e32 v20, s16
	s_and_saveexec_b64 s[4:5], s[10:11]
	s_cbranch_execnz .LBB5_91
.LBB5_25:
	s_or_b64 exec, exec, s[4:5]
	v_cmp_eq_u32_e64 s[4:5], v20, v18
	s_and_saveexec_b64 s[10:11], s[4:5]
	s_cbranch_execz .LBB5_27
.LBB5_26:
	v_add_u32_e32 v24, v8, v10
	ds_read_b128 v[20:23], v24
	ds_read_u16 v25, v0
	v_lshlrev_b16_e32 v18, 8, v19
	v_or_b32_sdwa v18, v19, v18 dst_sel:DWORD dst_unused:UNUSED_PAD src0_sel:BYTE_1 src1_sel:DWORD
	ds_write_b16 v1, v18
	s_waitcnt lgkmcnt(2)
	v_mov_b32_e32 v18, v22
	v_mov_b32_e32 v19, v23
	s_mov_b32 s4, 0xc0c0001
	ds_write_b128 v24, v[18:21]
	s_waitcnt lgkmcnt(2)
	v_perm_b32 v18, 0, v25, s4
	ds_write_b16 v0, v18
.LBB5_27:
	s_or_b64 exec, exec, s[10:11]
	v_and_b32_e32 v18, 3, v3
	v_sub_u32_e32 v20, v17, v18
	v_add_u32_e32 v18, v16, v20
	s_waitcnt lgkmcnt(0)
	s_barrier
	ds_read_u8 v22, v18
	ds_read_u8 v23, v18 offset:4
	v_add_u32_e32 v19, v15, v20
                                        ; implicit-def: $sgpr16
	s_waitcnt lgkmcnt(0)
	v_cmp_le_u16_e64 s[10:11], v22, v23
	v_cmp_gt_u16_e64 s[4:5], v22, v23
	s_and_saveexec_b64 s[12:13], s[4:5]
	s_cbranch_execz .LBB5_29
; %bb.28:
	ds_read_u8 v21, v19
	s_andn2_b64 s[10:11], s[10:11], exec
	s_mov_b32 s16, 1
	s_waitcnt lgkmcnt(0)
	v_and_b32_e32 v21, 1, v21
	v_cmp_eq_u32_e64 s[4:5], 1, v21
	s_xor_b64 s[4:5], s[4:5], -1
	s_and_b64 s[4:5], s[4:5], exec
	s_or_b64 s[10:11], s[10:11], s[4:5]
.LBB5_29:
	s_or_b64 exec, exec, s[12:13]
	v_mov_b32_e32 v24, s16
	s_and_saveexec_b64 s[4:5], s[10:11]
	s_cbranch_execz .LBB5_31
; %bb.30:
	ds_read_u8 v21, v19 offset:4
	s_waitcnt lgkmcnt(0)
	v_xor_b32_e32 v24, 1, v21
.LBB5_31:
	s_or_b64 exec, exec, s[4:5]
	v_bfe_u32 v21, v3, 2, 1
	v_lshl_add_u32 v20, v20, 3, v13
	v_cmp_eq_u32_e64 s[4:5], v24, v21
	s_and_saveexec_b64 s[10:11], s[4:5]
	s_cbranch_execz .LBB5_33
; %bb.32:
	ds_read2_b64 v[24:27], v20 offset1:4
	ds_read_u8 v28, v19 offset:4
	ds_read_u8 v29, v19
	ds_write_b8 v18, v23
	ds_write_b8 v18, v22 offset:4
	s_waitcnt lgkmcnt(4)
	ds_write2_b64 v20, v[26:27], v[24:25] offset1:4
	s_waitcnt lgkmcnt(4)
	ds_write_b8 v19, v28
	s_waitcnt lgkmcnt(4)
	ds_write_b8 v19, v29 offset:4
.LBB5_33:
	s_or_b64 exec, exec, s[10:11]
	s_waitcnt lgkmcnt(0)
	s_barrier
	ds_read_u8 v22, v11
	ds_read_u8 v23, v11 offset:2
                                        ; implicit-def: $sgpr16
	s_waitcnt lgkmcnt(0)
	v_cmp_le_u16_e64 s[10:11], v22, v23
	v_cmp_gt_u16_e64 s[4:5], v22, v23
	s_and_saveexec_b64 s[12:13], s[4:5]
	s_cbranch_execnz .LBB5_92
; %bb.34:
	s_or_b64 exec, exec, s[12:13]
	v_mov_b32_e32 v24, s16
	s_and_saveexec_b64 s[4:5], s[10:11]
	s_cbranch_execnz .LBB5_93
.LBB5_35:
	s_or_b64 exec, exec, s[4:5]
	v_cmp_eq_u32_e64 s[4:5], v24, v21
	s_and_saveexec_b64 s[10:11], s[4:5]
	s_cbranch_execz .LBB5_37
.LBB5_36:
	ds_read2_b64 v[24:27], v14 offset1:2
	ds_read_u8 v28, v12 offset:2
	ds_read_u8 v29, v12
	ds_write_b8 v11, v23
	ds_write_b8 v11, v22 offset:2
	s_waitcnt lgkmcnt(4)
	ds_write2_b64 v14, v[26:27], v[24:25] offset1:2
	s_waitcnt lgkmcnt(4)
	ds_write_b8 v12, v28
	s_waitcnt lgkmcnt(4)
	ds_write_b8 v12, v29 offset:2
.LBB5_37:
	s_or_b64 exec, exec, s[10:11]
	s_waitcnt lgkmcnt(0)
	s_barrier
	ds_read_u16 v22, v1
                                        ; implicit-def: $sgpr16
	s_waitcnt lgkmcnt(0)
	v_cmp_le_u16_sdwa s[10:11], v22, v22 src0_sel:BYTE_0 src1_sel:BYTE_1
	v_cmp_gt_u16_sdwa s[4:5], v22, v22 src0_sel:BYTE_0 src1_sel:BYTE_1
	s_and_saveexec_b64 s[12:13], s[4:5]
	s_cbranch_execnz .LBB5_94
; %bb.38:
	s_or_b64 exec, exec, s[12:13]
	v_mov_b32_e32 v23, s16
	s_and_saveexec_b64 s[4:5], s[10:11]
	s_cbranch_execnz .LBB5_95
.LBB5_39:
	s_or_b64 exec, exec, s[4:5]
	v_cmp_eq_u32_e64 s[4:5], v23, v21
	s_and_saveexec_b64 s[10:11], s[4:5]
	s_cbranch_execz .LBB5_41
.LBB5_40:
	v_add_u32_e32 v21, v8, v10
	ds_read_b128 v[24:27], v21
	ds_read_u16 v28, v0
	v_lshlrev_b16_e32 v23, 8, v22
	v_or_b32_sdwa v22, v22, v23 dst_sel:DWORD dst_unused:UNUSED_PAD src0_sel:BYTE_1 src1_sel:DWORD
	ds_write_b16 v1, v22
	s_waitcnt lgkmcnt(2)
	v_mov_b32_e32 v22, v26
	v_mov_b32_e32 v23, v27
	s_mov_b32 s4, 0xc0c0001
	ds_write_b128 v21, v[22:25]
	s_waitcnt lgkmcnt(2)
	v_perm_b32 v21, 0, v28, s4
	ds_write_b16 v0, v21
.LBB5_41:
	s_or_b64 exec, exec, s[10:11]
	v_and_b32_e32 v21, 7, v3
	v_sub_u32_e32 v23, v17, v21
	v_add_u32_e32 v21, v16, v23
	s_waitcnt lgkmcnt(0)
	s_barrier
	ds_read_u8 v25, v21
	ds_read_u8 v26, v21 offset:8
	v_add_u32_e32 v22, v15, v23
                                        ; implicit-def: $sgpr16
	s_waitcnt lgkmcnt(0)
	v_cmp_le_u16_e64 s[10:11], v25, v26
	v_cmp_gt_u16_e64 s[4:5], v25, v26
	s_and_saveexec_b64 s[12:13], s[4:5]
	s_cbranch_execz .LBB5_43
; %bb.42:
	ds_read_u8 v24, v22
	s_andn2_b64 s[10:11], s[10:11], exec
	s_mov_b32 s16, 1
	s_waitcnt lgkmcnt(0)
	v_and_b32_e32 v24, 1, v24
	v_cmp_eq_u32_e64 s[4:5], 1, v24
	s_xor_b64 s[4:5], s[4:5], -1
	s_and_b64 s[4:5], s[4:5], exec
	s_or_b64 s[10:11], s[10:11], s[4:5]
.LBB5_43:
	s_or_b64 exec, exec, s[12:13]
	v_mov_b32_e32 v27, s16
	s_and_saveexec_b64 s[4:5], s[10:11]
	s_cbranch_execz .LBB5_45
; %bb.44:
	ds_read_u8 v24, v22 offset:8
	s_waitcnt lgkmcnt(0)
	v_xor_b32_e32 v27, 1, v24
.LBB5_45:
	s_or_b64 exec, exec, s[4:5]
	v_bfe_u32 v24, v3, 3, 1
	v_lshl_add_u32 v23, v23, 3, v13
	v_cmp_eq_u32_e64 s[4:5], v27, v24
	s_and_saveexec_b64 s[10:11], s[4:5]
	s_cbranch_execz .LBB5_47
; %bb.46:
	ds_read2_b64 v[28:31], v23 offset1:8
	ds_read_u8 v27, v22 offset:8
	ds_read_u8 v32, v22
	ds_write_b8 v21, v26
	ds_write_b8 v21, v25 offset:8
	s_waitcnt lgkmcnt(4)
	ds_write2_b64 v23, v[30:31], v[28:29] offset1:8
	s_waitcnt lgkmcnt(4)
	ds_write_b8 v22, v27
	s_waitcnt lgkmcnt(4)
	ds_write_b8 v22, v32 offset:8
.LBB5_47:
	s_or_b64 exec, exec, s[10:11]
	s_waitcnt lgkmcnt(0)
	s_barrier
	ds_read_u8 v25, v18
	ds_read_u8 v26, v18 offset:4
                                        ; implicit-def: $sgpr16
	s_waitcnt lgkmcnt(0)
	v_cmp_le_u16_e64 s[10:11], v25, v26
	v_cmp_gt_u16_e64 s[4:5], v25, v26
	s_and_saveexec_b64 s[12:13], s[4:5]
	s_cbranch_execnz .LBB5_96
; %bb.48:
	s_or_b64 exec, exec, s[12:13]
	v_mov_b32_e32 v27, s16
	s_and_saveexec_b64 s[4:5], s[10:11]
	s_cbranch_execnz .LBB5_97
.LBB5_49:
	s_or_b64 exec, exec, s[4:5]
	v_cmp_eq_u32_e64 s[4:5], v27, v24
	s_and_saveexec_b64 s[10:11], s[4:5]
	s_cbranch_execz .LBB5_51
.LBB5_50:
	ds_read2_b64 v[28:31], v20 offset1:4
	ds_read_u8 v27, v19 offset:4
	ds_read_u8 v32, v19
	ds_write_b8 v18, v26
	ds_write_b8 v18, v25 offset:4
	s_waitcnt lgkmcnt(4)
	ds_write2_b64 v20, v[30:31], v[28:29] offset1:4
	s_waitcnt lgkmcnt(4)
	ds_write_b8 v19, v27
	s_waitcnt lgkmcnt(4)
	ds_write_b8 v19, v32 offset:4
.LBB5_51:
	s_or_b64 exec, exec, s[10:11]
	s_waitcnt lgkmcnt(0)
	s_barrier
	ds_read_u8 v25, v11
	ds_read_u8 v26, v11 offset:2
                                        ; implicit-def: $sgpr16
	s_waitcnt lgkmcnt(0)
	v_cmp_le_u16_e64 s[10:11], v25, v26
	v_cmp_gt_u16_e64 s[4:5], v25, v26
	s_and_saveexec_b64 s[12:13], s[4:5]
	s_cbranch_execnz .LBB5_98
; %bb.52:
	s_or_b64 exec, exec, s[12:13]
	v_mov_b32_e32 v27, s16
	s_and_saveexec_b64 s[4:5], s[10:11]
	s_cbranch_execnz .LBB5_99
.LBB5_53:
	s_or_b64 exec, exec, s[4:5]
	v_cmp_eq_u32_e64 s[4:5], v27, v24
	s_and_saveexec_b64 s[10:11], s[4:5]
	s_cbranch_execz .LBB5_55
.LBB5_54:
	ds_read2_b64 v[28:31], v14 offset1:2
	ds_read_u8 v27, v12 offset:2
	ds_read_u8 v32, v12
	ds_write_b8 v11, v26
	ds_write_b8 v11, v25 offset:2
	s_waitcnt lgkmcnt(4)
	ds_write2_b64 v14, v[30:31], v[28:29] offset1:2
	s_waitcnt lgkmcnt(4)
	ds_write_b8 v12, v27
	s_waitcnt lgkmcnt(4)
	ds_write_b8 v12, v32 offset:2
.LBB5_55:
	s_or_b64 exec, exec, s[10:11]
	s_waitcnt lgkmcnt(0)
	s_barrier
	ds_read_u16 v25, v1
                                        ; implicit-def: $sgpr16
	s_waitcnt lgkmcnt(0)
	v_cmp_le_u16_sdwa s[10:11], v25, v25 src0_sel:BYTE_0 src1_sel:BYTE_1
	v_cmp_gt_u16_sdwa s[4:5], v25, v25 src0_sel:BYTE_0 src1_sel:BYTE_1
	s_and_saveexec_b64 s[12:13], s[4:5]
	s_cbranch_execnz .LBB5_100
; %bb.56:
	s_or_b64 exec, exec, s[12:13]
	v_mov_b32_e32 v26, s16
	s_and_saveexec_b64 s[4:5], s[10:11]
	s_cbranch_execnz .LBB5_101
.LBB5_57:
	s_or_b64 exec, exec, s[4:5]
	v_cmp_eq_u32_e64 s[4:5], v26, v24
	s_and_saveexec_b64 s[10:11], s[4:5]
	s_cbranch_execz .LBB5_59
.LBB5_58:
	v_add_u32_e32 v30, v8, v10
	ds_read_b128 v[26:29], v30
	ds_read_u16 v31, v0
	v_lshlrev_b16_e32 v24, 8, v25
	v_or_b32_sdwa v24, v25, v24 dst_sel:DWORD dst_unused:UNUSED_PAD src0_sel:BYTE_1 src1_sel:DWORD
	ds_write_b16 v1, v24
	s_waitcnt lgkmcnt(2)
	v_mov_b32_e32 v24, v28
	v_mov_b32_e32 v25, v29
	s_mov_b32 s4, 0xc0c0001
	ds_write_b128 v30, v[24:27]
	s_waitcnt lgkmcnt(2)
	v_perm_b32 v24, 0, v31, s4
	ds_write_b16 v0, v24
.LBB5_59:
	s_or_b64 exec, exec, s[10:11]
	v_and_b32_e32 v24, 15, v3
	v_sub_u32_e32 v25, v17, v24
	v_add_u32_e32 v16, v16, v25
	s_waitcnt lgkmcnt(0)
	s_barrier
	ds_read_u8 v17, v16
	ds_read_u8 v24, v16 offset:16
	v_add_u32_e32 v15, v15, v25
	s_waitcnt lgkmcnt(0)
	v_cmp_le_u16_e64 s[12:13], v17, v24
	v_cmp_gt_u16_e64 s[4:5], v17, v24
	s_and_saveexec_b64 s[10:11], s[4:5]
	s_cbranch_execz .LBB5_61
; %bb.60:
	ds_read_u8 v26, v15
	s_andn2_b64 s[12:13], s[12:13], exec
	s_waitcnt lgkmcnt(0)
	v_and_b32_e32 v26, 1, v26
	v_cmp_eq_u32_e64 s[4:5], 1, v26
	s_xor_b64 s[4:5], s[4:5], -1
	s_and_b64 s[4:5], s[4:5], exec
	s_or_b64 s[12:13], s[12:13], s[4:5]
.LBB5_61:
	s_or_b64 exec, exec, s[10:11]
	s_and_saveexec_b64 s[10:11], s[12:13]
	s_cbranch_execz .LBB5_64
; %bb.62:
	ds_read_u8 v26, v15 offset:16
	s_waitcnt lgkmcnt(0)
	v_cmp_ne_u16_e64 s[4:5], 0, v26
	s_and_b64 exec, exec, s[4:5]
	s_cbranch_execz .LBB5_64
; %bb.63:
	v_lshl_add_u32 v13, v25, 3, v13
	ds_read2_b64 v[28:31], v13 offset1:16
	ds_read_u8 v25, v15
	ds_write_b8 v16, v24
	ds_write_b8 v16, v17 offset:16
	ds_write_b8 v15, v26
	s_waitcnt lgkmcnt(4)
	ds_write2_b64 v13, v[30:31], v[28:29] offset1:16
	s_waitcnt lgkmcnt(4)
	ds_write_b8 v15, v25 offset:16
.LBB5_64:
	s_or_b64 exec, exec, s[10:11]
	s_waitcnt lgkmcnt(0)
	s_barrier
	ds_read_u8 v13, v21
	ds_read_u8 v15, v21 offset:8
	s_waitcnt lgkmcnt(0)
	v_cmp_le_u16_e64 s[12:13], v13, v15
	v_cmp_gt_u16_e64 s[4:5], v13, v15
	s_and_saveexec_b64 s[10:11], s[4:5]
	s_cbranch_execz .LBB5_66
; %bb.65:
	ds_read_u8 v16, v22
	s_andn2_b64 s[12:13], s[12:13], exec
	s_waitcnt lgkmcnt(0)
	v_and_b32_e32 v16, 1, v16
	v_cmp_eq_u32_e64 s[4:5], 1, v16
	s_xor_b64 s[4:5], s[4:5], -1
	s_and_b64 s[4:5], s[4:5], exec
	s_or_b64 s[12:13], s[12:13], s[4:5]
.LBB5_66:
	s_or_b64 exec, exec, s[10:11]
	s_and_saveexec_b64 s[10:11], s[12:13]
	s_cbranch_execz .LBB5_69
; %bb.67:
	ds_read_u8 v16, v22 offset:8
	s_waitcnt lgkmcnt(0)
	v_cmp_ne_u16_e64 s[4:5], 0, v16
	s_and_b64 exec, exec, s[4:5]
	s_cbranch_execz .LBB5_69
; %bb.68:
	ds_read2_b64 v[24:27], v23 offset1:8
	ds_read_u8 v17, v22
	ds_write_b8 v21, v15
	ds_write_b8 v21, v13 offset:8
	ds_write_b8 v22, v16
	s_waitcnt lgkmcnt(4)
	ds_write2_b64 v23, v[26:27], v[24:25] offset1:8
	s_waitcnt lgkmcnt(4)
	ds_write_b8 v22, v17 offset:8
.LBB5_69:
	s_or_b64 exec, exec, s[10:11]
	s_waitcnt lgkmcnt(0)
	s_barrier
	ds_read_u8 v13, v18
	ds_read_u8 v15, v18 offset:4
	s_waitcnt lgkmcnt(0)
	v_cmp_le_u16_e64 s[12:13], v13, v15
	v_cmp_gt_u16_e64 s[4:5], v13, v15
	s_and_saveexec_b64 s[10:11], s[4:5]
	s_cbranch_execz .LBB5_71
; %bb.70:
	ds_read_u8 v16, v19
	s_andn2_b64 s[12:13], s[12:13], exec
	s_waitcnt lgkmcnt(0)
	v_and_b32_e32 v16, 1, v16
	v_cmp_eq_u32_e64 s[4:5], 1, v16
	s_xor_b64 s[4:5], s[4:5], -1
	s_and_b64 s[4:5], s[4:5], exec
	s_or_b64 s[12:13], s[12:13], s[4:5]
.LBB5_71:
	s_or_b64 exec, exec, s[10:11]
	s_and_saveexec_b64 s[10:11], s[12:13]
	s_cbranch_execz .LBB5_74
; %bb.72:
	ds_read_u8 v16, v19 offset:4
	s_waitcnt lgkmcnt(0)
	v_cmp_ne_u16_e64 s[4:5], 0, v16
	s_and_b64 exec, exec, s[4:5]
	s_cbranch_execz .LBB5_74
; %bb.73:
	ds_read2_b64 v[22:25], v20 offset1:4
	ds_read_u8 v17, v19
	ds_write_b8 v18, v15
	ds_write_b8 v18, v13 offset:4
	ds_write_b8 v19, v16
	s_waitcnt lgkmcnt(4)
	ds_write2_b64 v20, v[24:25], v[22:23] offset1:4
	s_waitcnt lgkmcnt(4)
	ds_write_b8 v19, v17 offset:4
.LBB5_74:
	;; [unrolled: 40-line block ×3, first 2 shown]
	s_or_b64 exec, exec, s[10:11]
	s_waitcnt lgkmcnt(0)
	s_barrier
	ds_read_u16 v11, v1
	s_waitcnt lgkmcnt(0)
	v_cmp_le_u16_sdwa s[12:13], v11, v11 src0_sel:BYTE_0 src1_sel:BYTE_1
	v_cmp_gt_u16_sdwa s[4:5], v11, v11 src0_sel:BYTE_0 src1_sel:BYTE_1
	s_and_saveexec_b64 s[10:11], s[4:5]
	s_cbranch_execz .LBB5_81
; %bb.80:
	ds_read_u8 v12, v0
	s_andn2_b64 s[12:13], s[12:13], exec
	s_waitcnt lgkmcnt(0)
	v_and_b32_e32 v12, 1, v12
	v_cmp_eq_u32_e64 s[4:5], 1, v12
	s_xor_b64 s[4:5], s[4:5], -1
	s_and_b64 s[4:5], s[4:5], exec
	s_or_b64 s[12:13], s[12:13], s[4:5]
.LBB5_81:
	s_or_b64 exec, exec, s[10:11]
	s_and_saveexec_b64 s[10:11], s[12:13]
	s_cbranch_execz .LBB5_84
; %bb.82:
	ds_read_u8 v12, v0 offset:1
	s_waitcnt lgkmcnt(0)
	v_cmp_ne_u16_e64 s[4:5], 0, v12
	s_and_b64 exec, exec, s[4:5]
	s_cbranch_execz .LBB5_84
; %bb.83:
	v_add_u32_e32 v10, v8, v10
	v_lshlrev_b16_e32 v13, 8, v11
	ds_read_b128 v[14:17], v10
	v_or_b32_sdwa v11, v11, v13 dst_sel:DWORD dst_unused:UNUSED_PAD src0_sel:BYTE_1 src1_sel:DWORD
	ds_read_u8 v13, v0
	ds_write_b16 v1, v11
	s_waitcnt lgkmcnt(2)
	v_mov_b32_e32 v18, v14
	v_mov_b32_e32 v19, v15
	s_waitcnt lgkmcnt(1)
	v_lshlrev_b16_e32 v1, 8, v13
	v_or_b32_e32 v1, v12, v1
	ds_write_b128 v10, v[16:19]
	ds_write_b16 v0, v1
.LBB5_84:
	s_or_b64 exec, exec, s[10:11]
	s_waitcnt lgkmcnt(0)
	s_barrier
	s_and_saveexec_b64 s[4:5], vcc
	s_cbranch_execz .LBB5_89
; %bb.85:
	s_and_saveexec_b64 s[4:5], s[0:1]
	s_cbranch_execz .LBB5_87
; %bb.86:
	ds_read_u8 v10, v9
	v_mad_u64_u32 v[0:1], s[0:1], v3, s14, v[2:3]
	ds_read_b64 v[8:9], v8
	s_waitcnt lgkmcnt(1)
	global_store_byte v0, v10, s[8:9]
	v_mad_u64_u32 v[0:1], s[0:1], v3, s15, v[4:5]
	v_mov_b32_e32 v1, 0
	v_lshlrev_b64 v[0:1], 3, v[0:1]
	v_mov_b32_e32 v3, s7
	v_add_co_u32_e32 v0, vcc, s6, v0
	v_addc_co_u32_e32 v1, vcc, v3, v1, vcc
	s_waitcnt lgkmcnt(0)
	global_store_dwordx2 v[0:1], v[8:9], off
.LBB5_87:
	s_or_b64 exec, exec, s[4:5]
	s_and_b64 exec, exec, s[2:3]
	s_cbranch_execz .LBB5_89
; %bb.88:
	ds_read_u8 v7, v7
	v_mad_u64_u32 v[0:1], s[0:1], v5, s14, v[2:3]
	ds_read_b64 v[2:3], v6
	s_waitcnt lgkmcnt(1)
	global_store_byte v0, v7, s[8:9]
	v_mad_u64_u32 v[0:1], s[0:1], v5, s15, v[4:5]
	v_mov_b32_e32 v1, 0
	v_lshlrev_b64 v[0:1], 3, v[0:1]
	v_mov_b32_e32 v4, s7
	v_add_co_u32_e32 v0, vcc, s6, v0
	v_addc_co_u32_e32 v1, vcc, v4, v1, vcc
	s_waitcnt lgkmcnt(0)
	global_store_dwordx2 v[0:1], v[2:3], off
.LBB5_89:
	s_endpgm
.LBB5_90:
	ds_read_u8 v20, v0
	s_andn2_b64 s[10:11], s[10:11], exec
	s_mov_b32 s16, 1
	s_waitcnt lgkmcnt(0)
	v_and_b32_e32 v20, 1, v20
	v_cmp_eq_u32_e64 s[4:5], 1, v20
	s_xor_b64 s[4:5], s[4:5], -1
	s_and_b64 s[4:5], s[4:5], exec
	s_or_b64 s[10:11], s[10:11], s[4:5]
	s_or_b64 exec, exec, s[12:13]
	v_mov_b32_e32 v20, s16
	s_and_saveexec_b64 s[4:5], s[10:11]
	s_cbranch_execz .LBB5_25
.LBB5_91:
	ds_read_u8 v20, v0 offset:1
	s_waitcnt lgkmcnt(0)
	v_xor_b32_e32 v20, 1, v20
	s_or_b64 exec, exec, s[4:5]
	v_cmp_eq_u32_e64 s[4:5], v20, v18
	s_and_saveexec_b64 s[10:11], s[4:5]
	s_cbranch_execnz .LBB5_26
	s_branch .LBB5_27
.LBB5_92:
	ds_read_u8 v24, v12
	s_andn2_b64 s[10:11], s[10:11], exec
	s_mov_b32 s16, 1
	s_waitcnt lgkmcnt(0)
	v_and_b32_e32 v24, 1, v24
	v_cmp_eq_u32_e64 s[4:5], 1, v24
	s_xor_b64 s[4:5], s[4:5], -1
	s_and_b64 s[4:5], s[4:5], exec
	s_or_b64 s[10:11], s[10:11], s[4:5]
	s_or_b64 exec, exec, s[12:13]
	v_mov_b32_e32 v24, s16
	s_and_saveexec_b64 s[4:5], s[10:11]
	s_cbranch_execz .LBB5_35
.LBB5_93:
	ds_read_u8 v24, v12 offset:2
	s_waitcnt lgkmcnt(0)
	v_xor_b32_e32 v24, 1, v24
	s_or_b64 exec, exec, s[4:5]
	v_cmp_eq_u32_e64 s[4:5], v24, v21
	s_and_saveexec_b64 s[10:11], s[4:5]
	s_cbranch_execnz .LBB5_36
	s_branch .LBB5_37
.LBB5_94:
	ds_read_u8 v23, v0
	s_andn2_b64 s[10:11], s[10:11], exec
	s_mov_b32 s16, 1
	s_waitcnt lgkmcnt(0)
	v_and_b32_e32 v23, 1, v23
	v_cmp_eq_u32_e64 s[4:5], 1, v23
	s_xor_b64 s[4:5], s[4:5], -1
	s_and_b64 s[4:5], s[4:5], exec
	s_or_b64 s[10:11], s[10:11], s[4:5]
	s_or_b64 exec, exec, s[12:13]
	v_mov_b32_e32 v23, s16
	s_and_saveexec_b64 s[4:5], s[10:11]
	s_cbranch_execz .LBB5_39
.LBB5_95:
	ds_read_u8 v23, v0 offset:1
	s_waitcnt lgkmcnt(0)
	v_xor_b32_e32 v23, 1, v23
	s_or_b64 exec, exec, s[4:5]
	v_cmp_eq_u32_e64 s[4:5], v23, v21
	s_and_saveexec_b64 s[10:11], s[4:5]
	s_cbranch_execnz .LBB5_40
	s_branch .LBB5_41
.LBB5_96:
	ds_read_u8 v27, v19
	s_andn2_b64 s[10:11], s[10:11], exec
	s_mov_b32 s16, 1
	s_waitcnt lgkmcnt(0)
	v_and_b32_e32 v27, 1, v27
	v_cmp_eq_u32_e64 s[4:5], 1, v27
	s_xor_b64 s[4:5], s[4:5], -1
	s_and_b64 s[4:5], s[4:5], exec
	s_or_b64 s[10:11], s[10:11], s[4:5]
	s_or_b64 exec, exec, s[12:13]
	v_mov_b32_e32 v27, s16
	s_and_saveexec_b64 s[4:5], s[10:11]
	s_cbranch_execz .LBB5_49
.LBB5_97:
	ds_read_u8 v27, v19 offset:4
	s_waitcnt lgkmcnt(0)
	v_xor_b32_e32 v27, 1, v27
	s_or_b64 exec, exec, s[4:5]
	v_cmp_eq_u32_e64 s[4:5], v27, v24
	s_and_saveexec_b64 s[10:11], s[4:5]
	s_cbranch_execnz .LBB5_50
	s_branch .LBB5_51
.LBB5_98:
	ds_read_u8 v27, v12
	s_andn2_b64 s[10:11], s[10:11], exec
	s_mov_b32 s16, 1
	s_waitcnt lgkmcnt(0)
	v_and_b32_e32 v27, 1, v27
	v_cmp_eq_u32_e64 s[4:5], 1, v27
	s_xor_b64 s[4:5], s[4:5], -1
	s_and_b64 s[4:5], s[4:5], exec
	s_or_b64 s[10:11], s[10:11], s[4:5]
	s_or_b64 exec, exec, s[12:13]
	v_mov_b32_e32 v27, s16
	s_and_saveexec_b64 s[4:5], s[10:11]
	s_cbranch_execz .LBB5_53
.LBB5_99:
	ds_read_u8 v27, v12 offset:2
	s_waitcnt lgkmcnt(0)
	v_xor_b32_e32 v27, 1, v27
	s_or_b64 exec, exec, s[4:5]
	v_cmp_eq_u32_e64 s[4:5], v27, v24
	s_and_saveexec_b64 s[10:11], s[4:5]
	s_cbranch_execnz .LBB5_54
	s_branch .LBB5_55
.LBB5_100:
	ds_read_u8 v26, v0
	s_andn2_b64 s[10:11], s[10:11], exec
	s_mov_b32 s16, 1
	s_waitcnt lgkmcnt(0)
	v_and_b32_e32 v26, 1, v26
	v_cmp_eq_u32_e64 s[4:5], 1, v26
	s_xor_b64 s[4:5], s[4:5], -1
	s_and_b64 s[4:5], s[4:5], exec
	s_or_b64 s[10:11], s[10:11], s[4:5]
	s_or_b64 exec, exec, s[12:13]
	v_mov_b32_e32 v26, s16
	s_and_saveexec_b64 s[4:5], s[10:11]
	s_cbranch_execz .LBB5_57
.LBB5_101:
	ds_read_u8 v26, v0 offset:1
	s_waitcnt lgkmcnt(0)
	v_xor_b32_e32 v26, 1, v26
	s_or_b64 exec, exec, s[4:5]
	v_cmp_eq_u32_e64 s[4:5], v26, v24
	s_and_saveexec_b64 s[10:11], s[4:5]
	s_cbranch_execnz .LBB5_58
	s_branch .LBB5_59
	.section	.rodata,"a",@progbits
	.p2align	6, 0x0
	.amdhsa_kernel _ZN2at6native20bitonicSortKVInPlaceILin1ELin1ELi16ELi16EhlNS0_4GTOpIhLb1EEEjEEvNS_4cuda6detail10TensorInfoIT3_T6_EES8_S8_S8_NS6_IT4_S8_EES8_T5_
		.amdhsa_group_segment_fixed_size 5120
		.amdhsa_private_segment_fixed_size 0
		.amdhsa_kernarg_size 712
		.amdhsa_user_sgpr_count 6
		.amdhsa_user_sgpr_private_segment_buffer 1
		.amdhsa_user_sgpr_dispatch_ptr 0
		.amdhsa_user_sgpr_queue_ptr 0
		.amdhsa_user_sgpr_kernarg_segment_ptr 1
		.amdhsa_user_sgpr_dispatch_id 0
		.amdhsa_user_sgpr_flat_scratch_init 0
		.amdhsa_user_sgpr_kernarg_preload_length 0
		.amdhsa_user_sgpr_kernarg_preload_offset 0
		.amdhsa_user_sgpr_private_segment_size 0
		.amdhsa_uses_dynamic_stack 0
		.amdhsa_system_sgpr_private_segment_wavefront_offset 0
		.amdhsa_system_sgpr_workgroup_id_x 1
		.amdhsa_system_sgpr_workgroup_id_y 1
		.amdhsa_system_sgpr_workgroup_id_z 1
		.amdhsa_system_sgpr_workgroup_info 0
		.amdhsa_system_vgpr_workitem_id 1
		.amdhsa_next_free_vgpr 33
		.amdhsa_next_free_sgpr 17
		.amdhsa_accum_offset 36
		.amdhsa_reserve_vcc 1
		.amdhsa_reserve_flat_scratch 0
		.amdhsa_float_round_mode_32 0
		.amdhsa_float_round_mode_16_64 0
		.amdhsa_float_denorm_mode_32 3
		.amdhsa_float_denorm_mode_16_64 3
		.amdhsa_dx10_clamp 1
		.amdhsa_ieee_mode 1
		.amdhsa_fp16_overflow 0
		.amdhsa_tg_split 0
		.amdhsa_exception_fp_ieee_invalid_op 0
		.amdhsa_exception_fp_denorm_src 0
		.amdhsa_exception_fp_ieee_div_zero 0
		.amdhsa_exception_fp_ieee_overflow 0
		.amdhsa_exception_fp_ieee_underflow 0
		.amdhsa_exception_fp_ieee_inexact 0
		.amdhsa_exception_int_div_zero 0
	.end_amdhsa_kernel
	.section	.text._ZN2at6native20bitonicSortKVInPlaceILin1ELin1ELi16ELi16EhlNS0_4GTOpIhLb1EEEjEEvNS_4cuda6detail10TensorInfoIT3_T6_EES8_S8_S8_NS6_IT4_S8_EES8_T5_,"axG",@progbits,_ZN2at6native20bitonicSortKVInPlaceILin1ELin1ELi16ELi16EhlNS0_4GTOpIhLb1EEEjEEvNS_4cuda6detail10TensorInfoIT3_T6_EES8_S8_S8_NS6_IT4_S8_EES8_T5_,comdat
.Lfunc_end5:
	.size	_ZN2at6native20bitonicSortKVInPlaceILin1ELin1ELi16ELi16EhlNS0_4GTOpIhLb1EEEjEEvNS_4cuda6detail10TensorInfoIT3_T6_EES8_S8_S8_NS6_IT4_S8_EES8_T5_, .Lfunc_end5-_ZN2at6native20bitonicSortKVInPlaceILin1ELin1ELi16ELi16EhlNS0_4GTOpIhLb1EEEjEEvNS_4cuda6detail10TensorInfoIT3_T6_EES8_S8_S8_NS6_IT4_S8_EES8_T5_
                                        ; -- End function
	.section	.AMDGPU.csdata,"",@progbits
; Kernel info:
; codeLenInByte = 4848
; NumSgprs: 21
; NumVgprs: 33
; NumAgprs: 0
; TotalNumVgprs: 33
; ScratchSize: 0
; MemoryBound: 0
; FloatMode: 240
; IeeeMode: 1
; LDSByteSize: 5120 bytes/workgroup (compile time only)
; SGPRBlocks: 2
; VGPRBlocks: 4
; NumSGPRsForWavesPerEU: 21
; NumVGPRsForWavesPerEU: 33
; AccumOffset: 36
; Occupancy: 8
; WaveLimiterHint : 1
; COMPUTE_PGM_RSRC2:SCRATCH_EN: 0
; COMPUTE_PGM_RSRC2:USER_SGPR: 6
; COMPUTE_PGM_RSRC2:TRAP_HANDLER: 0
; COMPUTE_PGM_RSRC2:TGID_X_EN: 1
; COMPUTE_PGM_RSRC2:TGID_Y_EN: 1
; COMPUTE_PGM_RSRC2:TGID_Z_EN: 1
; COMPUTE_PGM_RSRC2:TIDIG_COMP_CNT: 1
; COMPUTE_PGM_RSRC3_GFX90A:ACCUM_OFFSET: 8
; COMPUTE_PGM_RSRC3_GFX90A:TG_SPLIT: 0
	.section	.text._ZN2at6native20bitonicSortKVInPlaceILin1ELin1ELi16ELi16EhlNS0_4LTOpIhLb1EEEmEEvNS_4cuda6detail10TensorInfoIT3_T6_EES8_S8_S8_NS6_IT4_S8_EES8_T5_,"axG",@progbits,_ZN2at6native20bitonicSortKVInPlaceILin1ELin1ELi16ELi16EhlNS0_4LTOpIhLb1EEEmEEvNS_4cuda6detail10TensorInfoIT3_T6_EES8_S8_S8_NS6_IT4_S8_EES8_T5_,comdat
	.protected	_ZN2at6native20bitonicSortKVInPlaceILin1ELin1ELi16ELi16EhlNS0_4LTOpIhLb1EEEmEEvNS_4cuda6detail10TensorInfoIT3_T6_EES8_S8_S8_NS6_IT4_S8_EES8_T5_ ; -- Begin function _ZN2at6native20bitonicSortKVInPlaceILin1ELin1ELi16ELi16EhlNS0_4LTOpIhLb1EEEmEEvNS_4cuda6detail10TensorInfoIT3_T6_EES8_S8_S8_NS6_IT4_S8_EES8_T5_
	.globl	_ZN2at6native20bitonicSortKVInPlaceILin1ELin1ELi16ELi16EhlNS0_4LTOpIhLb1EEEmEEvNS_4cuda6detail10TensorInfoIT3_T6_EES8_S8_S8_NS6_IT4_S8_EES8_T5_
	.p2align	8
	.type	_ZN2at6native20bitonicSortKVInPlaceILin1ELin1ELi16ELi16EhlNS0_4LTOpIhLb1EEEmEEvNS_4cuda6detail10TensorInfoIT3_T6_EES8_S8_S8_NS6_IT4_S8_EES8_T5_,@function
_ZN2at6native20bitonicSortKVInPlaceILin1ELin1ELi16ELi16EhlNS0_4LTOpIhLb1EEEmEEvNS_4cuda6detail10TensorInfoIT3_T6_EES8_S8_S8_NS6_IT4_S8_EES8_T5_: ; @_ZN2at6native20bitonicSortKVInPlaceILin1ELin1ELi16ELi16EhlNS0_4LTOpIhLb1EEEmEEvNS_4cuda6detail10TensorInfoIT3_T6_EES8_S8_S8_NS6_IT4_S8_EES8_T5_
; %bb.0:
	s_load_dwordx2 s[0:1], s[4:5], 0x368
	s_load_dwordx4 s[12:15], s[4:5], 0x1a0
	s_load_dword s9, s[4:5], 0x374
	s_add_u32 s2, s4, 0x368
	s_addc_u32 s3, s5, 0
	s_waitcnt lgkmcnt(0)
	s_mul_i32 s1, s1, s8
	s_add_i32 s1, s1, s7
	s_mul_i32 s0, s1, s0
	s_add_i32 s0, s0, s6
	s_lshr_b32 s6, s9, 16
	s_mul_hi_u32 s1, s0, s6
	s_mul_i32 s0, s0, s6
	v_pk_mov_b32 v[2:3], s[12:13], s[12:13] op_sel:[0,1]
	v_cmp_ge_u64_e32 vcc, s[0:1], v[2:3]
	s_cbranch_vccnz .LBB6_99
; %bb.1:
	v_mov_b32_e32 v1, s1
	s_load_dwordx2 s[6:7], s[4:5], 0x1b0
	s_load_dword s1, s[4:5], 0x198
	v_bfe_u32 v16, v0, 10, 10
	v_add_co_u32_e32 v4, vcc, s0, v16
	v_addc_co_u32_e32 v5, vcc, 0, v1, vcc
	v_mov_b32_e32 v8, 0
	s_waitcnt lgkmcnt(0)
	s_cmp_lt_i32 s1, 2
	v_pk_mov_b32 v[2:3], 0, 0
	v_pk_mov_b32 v[6:7], v[4:5], v[4:5] op_sel:[0,1]
	s_cbranch_scc1 .LBB6_9
; %bb.2:
	s_add_i32 s18, s1, 1
	s_add_i32 s0, s1, -1
	s_mov_b32 s1, 0
	s_lshl_b64 s[0:1], s[0:1], 3
	s_add_u32 s0, s0, s4
	s_addc_u32 s1, s1, s5
	s_add_u32 s8, s0, 8
	s_addc_u32 s9, s1, 0
	v_pk_mov_b32 v[2:3], 0, 0
	v_pk_mov_b32 v[10:11], v[4:5], v[4:5] op_sel:[0,1]
.LBB6_3:                                ; =>This Inner Loop Header: Depth=1
	s_load_dwordx2 s[10:11], s[8:9], 0x0
                                        ; implicit-def: $vgpr6_vgpr7
	s_waitcnt lgkmcnt(0)
	v_or_b32_e32 v9, s11, v11
	v_cmp_ne_u64_e32 vcc, 0, v[8:9]
	s_and_saveexec_b64 s[0:1], vcc
	s_xor_b64 s[16:17], exec, s[0:1]
	s_cbranch_execz .LBB6_5
; %bb.4:                                ;   in Loop: Header=BB6_3 Depth=1
	v_cvt_f32_u32_e32 v1, s10
	v_cvt_f32_u32_e32 v6, s11
	s_sub_u32 s0, 0, s10
	s_subb_u32 s1, 0, s11
	v_mac_f32_e32 v1, 0x4f800000, v6
	v_rcp_f32_e32 v1, v1
	v_mul_f32_e32 v1, 0x5f7ffffc, v1
	v_mul_f32_e32 v6, 0x2f800000, v1
	v_trunc_f32_e32 v6, v6
	v_mac_f32_e32 v1, 0xcf800000, v6
	v_cvt_u32_f32_e32 v6, v6
	v_cvt_u32_f32_e32 v1, v1
	v_mul_lo_u32 v7, s0, v6
	v_mul_hi_u32 v12, s0, v1
	v_mul_lo_u32 v9, s1, v1
	v_add_u32_e32 v7, v12, v7
	v_mul_lo_u32 v13, s0, v1
	v_add_u32_e32 v7, v7, v9
	v_mul_hi_u32 v12, v1, v13
	v_mul_lo_u32 v14, v1, v7
	v_mul_hi_u32 v9, v1, v7
	v_add_co_u32_e32 v12, vcc, v12, v14
	v_addc_co_u32_e32 v9, vcc, 0, v9, vcc
	v_mul_hi_u32 v15, v6, v13
	v_mul_lo_u32 v13, v6, v13
	v_add_co_u32_e32 v12, vcc, v12, v13
	v_mul_hi_u32 v14, v6, v7
	v_addc_co_u32_e32 v9, vcc, v9, v15, vcc
	v_addc_co_u32_e32 v12, vcc, 0, v14, vcc
	v_mul_lo_u32 v7, v6, v7
	v_add_co_u32_e32 v7, vcc, v9, v7
	v_addc_co_u32_e32 v9, vcc, 0, v12, vcc
	v_add_co_u32_e32 v1, vcc, v1, v7
	v_addc_co_u32_e32 v6, vcc, v6, v9, vcc
	v_mul_lo_u32 v7, s0, v6
	v_mul_hi_u32 v9, s0, v1
	v_add_u32_e32 v7, v9, v7
	v_mul_lo_u32 v9, s1, v1
	v_add_u32_e32 v7, v7, v9
	v_mul_lo_u32 v12, s0, v1
	v_mul_hi_u32 v13, v6, v12
	v_mul_lo_u32 v14, v6, v12
	v_mul_lo_u32 v17, v1, v7
	v_mul_hi_u32 v12, v1, v12
	v_mul_hi_u32 v15, v1, v7
	v_add_co_u32_e32 v12, vcc, v12, v17
	v_addc_co_u32_e32 v15, vcc, 0, v15, vcc
	v_add_co_u32_e32 v12, vcc, v12, v14
	v_mul_hi_u32 v9, v6, v7
	v_addc_co_u32_e32 v12, vcc, v15, v13, vcc
	v_addc_co_u32_e32 v9, vcc, 0, v9, vcc
	v_mul_lo_u32 v7, v6, v7
	v_add_co_u32_e32 v7, vcc, v12, v7
	v_addc_co_u32_e32 v9, vcc, 0, v9, vcc
	v_add_co_u32_e32 v1, vcc, v1, v7
	v_addc_co_u32_e32 v9, vcc, v6, v9, vcc
	v_mad_u64_u32 v[6:7], s[0:1], v10, v9, 0
	v_mul_hi_u32 v12, v10, v1
	v_add_co_u32_e32 v14, vcc, v12, v6
	v_addc_co_u32_e32 v15, vcc, 0, v7, vcc
	v_mad_u64_u32 v[12:13], s[0:1], v11, v1, 0
	v_add_co_u32_e32 v1, vcc, v14, v12
	v_mad_u64_u32 v[6:7], s[0:1], v11, v9, 0
	v_addc_co_u32_e32 v1, vcc, v15, v13, vcc
	v_addc_co_u32_e32 v7, vcc, 0, v7, vcc
	v_add_co_u32_e32 v1, vcc, v1, v6
	v_addc_co_u32_e32 v9, vcc, 0, v7, vcc
	v_mul_lo_u32 v12, s11, v1
	v_mul_lo_u32 v13, s10, v9
	v_mad_u64_u32 v[6:7], s[0:1], s10, v1, 0
	v_add3_u32 v7, v7, v13, v12
	v_sub_u32_e32 v12, v11, v7
	v_mov_b32_e32 v13, s11
	v_sub_co_u32_e32 v6, vcc, v10, v6
	v_subb_co_u32_e64 v12, s[0:1], v12, v13, vcc
	v_subrev_co_u32_e64 v13, s[0:1], s10, v6
	v_subbrev_co_u32_e64 v12, s[0:1], 0, v12, s[0:1]
	v_cmp_le_u32_e64 s[0:1], s11, v12
	v_cndmask_b32_e64 v14, 0, -1, s[0:1]
	v_cmp_le_u32_e64 s[0:1], s10, v13
	v_cndmask_b32_e64 v13, 0, -1, s[0:1]
	v_cmp_eq_u32_e64 s[0:1], s11, v12
	v_cndmask_b32_e64 v12, v14, v13, s[0:1]
	v_add_co_u32_e64 v13, s[0:1], 2, v1
	v_addc_co_u32_e64 v14, s[0:1], 0, v9, s[0:1]
	v_add_co_u32_e64 v15, s[0:1], 1, v1
	v_addc_co_u32_e64 v17, s[0:1], 0, v9, s[0:1]
	v_subb_co_u32_e32 v7, vcc, v11, v7, vcc
	v_cmp_ne_u32_e64 s[0:1], 0, v12
	v_cmp_le_u32_e32 vcc, s11, v7
	v_cndmask_b32_e64 v12, v17, v14, s[0:1]
	v_cndmask_b32_e64 v14, 0, -1, vcc
	v_cmp_le_u32_e32 vcc, s10, v6
	v_cndmask_b32_e64 v6, 0, -1, vcc
	v_cmp_eq_u32_e32 vcc, s11, v7
	v_cndmask_b32_e32 v6, v14, v6, vcc
	v_cmp_ne_u32_e32 vcc, 0, v6
	v_cndmask_b32_e64 v6, v15, v13, s[0:1]
	v_cndmask_b32_e32 v7, v9, v12, vcc
	v_cndmask_b32_e32 v6, v1, v6, vcc
.LBB6_5:                                ;   in Loop: Header=BB6_3 Depth=1
	s_andn2_saveexec_b64 s[0:1], s[16:17]
	s_cbranch_execz .LBB6_7
; %bb.6:                                ;   in Loop: Header=BB6_3 Depth=1
	v_cvt_f32_u32_e32 v1, s10
	s_sub_i32 s16, 0, s10
	v_rcp_iflag_f32_e32 v1, v1
	v_mul_f32_e32 v1, 0x4f7ffffe, v1
	v_cvt_u32_f32_e32 v1, v1
	v_mul_lo_u32 v6, s16, v1
	v_mul_hi_u32 v6, v1, v6
	v_add_u32_e32 v1, v1, v6
	v_mul_hi_u32 v1, v10, v1
	v_mul_lo_u32 v6, v1, s10
	v_sub_u32_e32 v6, v10, v6
	v_add_u32_e32 v7, 1, v1
	v_subrev_u32_e32 v9, s10, v6
	v_cmp_le_u32_e32 vcc, s10, v6
	v_cndmask_b32_e32 v6, v6, v9, vcc
	v_cndmask_b32_e32 v1, v1, v7, vcc
	v_add_u32_e32 v7, 1, v1
	v_cmp_le_u32_e32 vcc, s10, v6
	v_cndmask_b32_e32 v6, v1, v7, vcc
	v_mov_b32_e32 v7, v8
.LBB6_7:                                ;   in Loop: Header=BB6_3 Depth=1
	s_or_b64 exec, exec, s[0:1]
	v_mad_u64_u32 v[12:13], s[0:1], v6, s10, 0
	s_load_dwordx2 s[0:1], s[8:9], 0xc8
	v_mul_lo_u32 v1, v7, s10
	v_mul_lo_u32 v9, v6, s11
	v_add3_u32 v1, v13, v9, v1
	v_sub_co_u32_e32 v9, vcc, v10, v12
	s_add_i32 s18, s18, -1
	v_subb_co_u32_e32 v1, vcc, v11, v1, vcc
	s_add_u32 s8, s8, -8
	s_waitcnt lgkmcnt(0)
	v_mul_lo_u32 v1, s0, v1
	v_mul_lo_u32 v10, s1, v9
	v_mad_u64_u32 v[2:3], s[0:1], s0, v9, v[2:3]
	s_addc_u32 s9, s9, -1
	s_cmp_gt_u32 s18, 2
	v_add3_u32 v3, v10, v3, v1
	s_cbranch_scc0 .LBB6_9
; %bb.8:                                ;   in Loop: Header=BB6_3 Depth=1
	v_pk_mov_b32 v[10:11], v[6:7], v[6:7] op_sel:[0,1]
	s_branch .LBB6_3
.LBB6_9:
	s_load_dword s0, s[4:5], 0x350
	s_load_dwordx2 s[10:11], s[4:5], 0xd0
	v_pk_mov_b32 v[8:9], 0, 0
	v_pk_mov_b32 v[14:15], v[4:5], v[4:5] op_sel:[0,1]
	s_waitcnt lgkmcnt(0)
	s_cmp_lt_i32 s0, 2
	s_cbranch_scc1 .LBB6_17
; %bb.10:
	s_add_i32 s20, s0, 1
	s_add_i32 s0, s0, -1
	s_mov_b32 s1, 0
	s_lshl_b64 s[0:1], s[0:1], 3
	s_add_u32 s0, s0, s4
	s_addc_u32 s1, s1, s5
	s_add_u32 s8, s0, 0x1c0
	s_addc_u32 s9, s1, 0
	v_pk_mov_b32 v[8:9], 0, 0
	v_mov_b32_e32 v10, 0
	v_pk_mov_b32 v[12:13], v[4:5], v[4:5] op_sel:[0,1]
.LBB6_11:                               ; =>This Inner Loop Header: Depth=1
	s_load_dwordx2 s[16:17], s[8:9], 0x0
                                        ; implicit-def: $vgpr14_vgpr15
	s_waitcnt lgkmcnt(0)
	v_or_b32_e32 v11, s17, v13
	v_cmp_ne_u64_e32 vcc, 0, v[10:11]
	s_and_saveexec_b64 s[0:1], vcc
	s_xor_b64 s[18:19], exec, s[0:1]
	s_cbranch_execz .LBB6_13
; %bb.12:                               ;   in Loop: Header=BB6_11 Depth=1
	v_cvt_f32_u32_e32 v1, s16
	v_cvt_f32_u32_e32 v11, s17
	s_sub_u32 s0, 0, s16
	s_subb_u32 s1, 0, s17
	v_mac_f32_e32 v1, 0x4f800000, v11
	v_rcp_f32_e32 v1, v1
	v_mul_f32_e32 v1, 0x5f7ffffc, v1
	v_mul_f32_e32 v11, 0x2f800000, v1
	v_trunc_f32_e32 v11, v11
	v_mac_f32_e32 v1, 0xcf800000, v11
	v_cvt_u32_f32_e32 v11, v11
	v_cvt_u32_f32_e32 v1, v1
	v_mul_lo_u32 v14, s0, v11
	v_mul_hi_u32 v17, s0, v1
	v_mul_lo_u32 v15, s1, v1
	v_add_u32_e32 v14, v17, v14
	v_mul_lo_u32 v18, s0, v1
	v_add_u32_e32 v14, v14, v15
	v_mul_hi_u32 v17, v1, v18
	v_mul_lo_u32 v19, v1, v14
	v_mul_hi_u32 v15, v1, v14
	v_add_co_u32_e32 v17, vcc, v17, v19
	v_addc_co_u32_e32 v15, vcc, 0, v15, vcc
	v_mul_hi_u32 v20, v11, v18
	v_mul_lo_u32 v18, v11, v18
	v_add_co_u32_e32 v17, vcc, v17, v18
	v_mul_hi_u32 v19, v11, v14
	v_addc_co_u32_e32 v15, vcc, v15, v20, vcc
	v_addc_co_u32_e32 v17, vcc, 0, v19, vcc
	v_mul_lo_u32 v14, v11, v14
	v_add_co_u32_e32 v14, vcc, v15, v14
	v_addc_co_u32_e32 v15, vcc, 0, v17, vcc
	v_add_co_u32_e32 v1, vcc, v1, v14
	v_addc_co_u32_e32 v11, vcc, v11, v15, vcc
	v_mul_lo_u32 v14, s0, v11
	v_mul_hi_u32 v15, s0, v1
	v_add_u32_e32 v14, v15, v14
	v_mul_lo_u32 v15, s1, v1
	v_add_u32_e32 v14, v14, v15
	v_mul_lo_u32 v17, s0, v1
	v_mul_hi_u32 v18, v11, v17
	v_mul_lo_u32 v19, v11, v17
	v_mul_lo_u32 v21, v1, v14
	v_mul_hi_u32 v17, v1, v17
	v_mul_hi_u32 v20, v1, v14
	v_add_co_u32_e32 v17, vcc, v17, v21
	v_addc_co_u32_e32 v20, vcc, 0, v20, vcc
	v_add_co_u32_e32 v17, vcc, v17, v19
	v_mul_hi_u32 v15, v11, v14
	v_addc_co_u32_e32 v17, vcc, v20, v18, vcc
	v_addc_co_u32_e32 v15, vcc, 0, v15, vcc
	v_mul_lo_u32 v14, v11, v14
	v_add_co_u32_e32 v14, vcc, v17, v14
	v_addc_co_u32_e32 v15, vcc, 0, v15, vcc
	v_add_co_u32_e32 v1, vcc, v1, v14
	v_addc_co_u32_e32 v11, vcc, v11, v15, vcc
	v_mad_u64_u32 v[14:15], s[0:1], v12, v11, 0
	v_mul_hi_u32 v17, v12, v1
	v_add_co_u32_e32 v17, vcc, v17, v14
	v_addc_co_u32_e32 v20, vcc, 0, v15, vcc
	v_mad_u64_u32 v[18:19], s[0:1], v13, v1, 0
	v_add_co_u32_e32 v1, vcc, v17, v18
	v_mad_u64_u32 v[14:15], s[0:1], v13, v11, 0
	v_addc_co_u32_e32 v1, vcc, v20, v19, vcc
	v_addc_co_u32_e32 v11, vcc, 0, v15, vcc
	v_add_co_u32_e32 v1, vcc, v1, v14
	v_addc_co_u32_e32 v11, vcc, 0, v11, vcc
	v_mul_lo_u32 v17, s17, v1
	v_mul_lo_u32 v18, s16, v11
	v_mad_u64_u32 v[14:15], s[0:1], s16, v1, 0
	v_add3_u32 v15, v15, v18, v17
	v_sub_u32_e32 v17, v13, v15
	v_mov_b32_e32 v18, s17
	v_sub_co_u32_e32 v14, vcc, v12, v14
	v_subb_co_u32_e64 v17, s[0:1], v17, v18, vcc
	v_subrev_co_u32_e64 v18, s[0:1], s16, v14
	v_subbrev_co_u32_e64 v17, s[0:1], 0, v17, s[0:1]
	v_cmp_le_u32_e64 s[0:1], s17, v17
	v_cndmask_b32_e64 v19, 0, -1, s[0:1]
	v_cmp_le_u32_e64 s[0:1], s16, v18
	v_cndmask_b32_e64 v18, 0, -1, s[0:1]
	v_cmp_eq_u32_e64 s[0:1], s17, v17
	v_cndmask_b32_e64 v17, v19, v18, s[0:1]
	v_add_co_u32_e64 v18, s[0:1], 2, v1
	v_addc_co_u32_e64 v19, s[0:1], 0, v11, s[0:1]
	v_add_co_u32_e64 v20, s[0:1], 1, v1
	v_addc_co_u32_e64 v21, s[0:1], 0, v11, s[0:1]
	v_subb_co_u32_e32 v15, vcc, v13, v15, vcc
	v_cmp_ne_u32_e64 s[0:1], 0, v17
	v_cmp_le_u32_e32 vcc, s17, v15
	v_cndmask_b32_e64 v17, v21, v19, s[0:1]
	v_cndmask_b32_e64 v19, 0, -1, vcc
	v_cmp_le_u32_e32 vcc, s16, v14
	v_cndmask_b32_e64 v14, 0, -1, vcc
	v_cmp_eq_u32_e32 vcc, s17, v15
	v_cndmask_b32_e32 v14, v19, v14, vcc
	v_cmp_ne_u32_e32 vcc, 0, v14
	v_cndmask_b32_e32 v15, v11, v17, vcc
	v_cndmask_b32_e64 v11, v20, v18, s[0:1]
	v_cndmask_b32_e32 v14, v1, v11, vcc
.LBB6_13:                               ;   in Loop: Header=BB6_11 Depth=1
	s_andn2_saveexec_b64 s[0:1], s[18:19]
	s_cbranch_execz .LBB6_15
; %bb.14:                               ;   in Loop: Header=BB6_11 Depth=1
	v_cvt_f32_u32_e32 v1, s16
	s_sub_i32 s18, 0, s16
	v_rcp_iflag_f32_e32 v1, v1
	v_mul_f32_e32 v1, 0x4f7ffffe, v1
	v_cvt_u32_f32_e32 v1, v1
	v_mul_lo_u32 v11, s18, v1
	v_mul_hi_u32 v11, v1, v11
	v_add_u32_e32 v1, v1, v11
	v_mul_hi_u32 v1, v12, v1
	v_mul_lo_u32 v11, v1, s16
	v_sub_u32_e32 v11, v12, v11
	v_add_u32_e32 v14, 1, v1
	v_subrev_u32_e32 v15, s16, v11
	v_cmp_le_u32_e32 vcc, s16, v11
	v_cndmask_b32_e32 v11, v11, v15, vcc
	v_cndmask_b32_e32 v1, v1, v14, vcc
	v_add_u32_e32 v14, 1, v1
	v_cmp_le_u32_e32 vcc, s16, v11
	v_cndmask_b32_e32 v14, v1, v14, vcc
	v_mov_b32_e32 v15, v10
.LBB6_15:                               ;   in Loop: Header=BB6_11 Depth=1
	s_or_b64 exec, exec, s[0:1]
	v_mad_u64_u32 v[18:19], s[0:1], v14, s16, 0
	s_load_dwordx2 s[0:1], s[8:9], 0xc8
	v_mul_lo_u32 v1, v15, s16
	v_mul_lo_u32 v11, v14, s17
	v_add3_u32 v1, v19, v11, v1
	v_sub_co_u32_e32 v11, vcc, v12, v18
	s_add_i32 s20, s20, -1
	v_subb_co_u32_e32 v1, vcc, v13, v1, vcc
	s_add_u32 s8, s8, -8
	s_waitcnt lgkmcnt(0)
	v_mul_lo_u32 v1, s0, v1
	v_mul_lo_u32 v12, s1, v11
	v_mad_u64_u32 v[8:9], s[0:1], s0, v11, v[8:9]
	s_addc_u32 s9, s9, -1
	s_cmp_gt_u32 s20, 2
	v_add3_u32 v9, v12, v9, v1
	s_cbranch_scc0 .LBB6_17
; %bb.16:                               ;   in Loop: Header=BB6_11 Depth=1
	v_pk_mov_b32 v[12:13], v[14:15], v[14:15] op_sel:[0,1]
	s_branch .LBB6_11
.LBB6_17:
	s_load_dwordx2 s[0:1], s[4:5], 0x288
	s_load_dwordx2 s[8:9], s[4:5], 0x358
	;; [unrolled: 1-line block ×4, first 2 shown]
	v_cmp_gt_u64_e32 vcc, s[12:13], v[4:5]
	s_load_dword s12, s[2:3], 0xc
	s_waitcnt lgkmcnt(0)
	v_mul_lo_u32 v1, s1, v14
	v_mul_lo_u32 v10, s0, v15
	v_mad_u64_u32 v[4:5], s[0:1], s0, v14, 0
	v_add3_u32 v5, v5, v10, v1
	v_pk_mov_b32 v[10:11], s[16:17], s[16:17] op_sel:[0,1]
	v_mad_u64_u32 v[10:11], s[0:1], s10, v6, v[10:11]
	v_mul_lo_u32 v1, s10, v7
	v_mul_lo_u32 v6, s11, v6
	v_add3_u32 v1, v6, v11, v1
	v_add_co_u32_e64 v2, s[0:1], v10, v2
	v_addc_co_u32_e64 v3, s[0:1], v1, v3, s[0:1]
	v_lshlrev_b64 v[4:5], 3, v[4:5]
	v_mov_b32_e32 v1, s19
	v_add_co_u32_e64 v6, s[0:1], s18, v4
	v_addc_co_u32_e64 v1, s[0:1], v1, v5, s[0:1]
	v_lshlrev_b64 v[4:5], 3, v[8:9]
	v_add_co_u32_e64 v10, s[0:1], v6, v4
	v_addc_co_u32_e64 v11, s[0:1], v1, v5, s[0:1]
	v_mov_b32_e32 v1, 0
	v_and_b32_e32 v4, 0x3ff, v0
	v_mov_b32_e32 v5, v1
	v_cmp_gt_u64_e64 s[0:1], s[14:15], v[4:5]
	v_pk_mov_b32 v[6:7], 0, 0
	s_and_b64 s[4:5], vcc, s[0:1]
	v_mov_b32_e32 v0, 0
	v_pk_mov_b32 v[8:9], v[6:7], v[6:7] op_sel:[0,1]
	s_and_saveexec_b64 s[10:11], s[4:5]
	s_cbranch_execz .LBB6_19
; %bb.18:
	v_mad_u64_u32 v[8:9], s[2:3], v4, s6, v[2:3]
	v_mov_b32_e32 v0, v9
	v_mad_u64_u32 v[12:13], s[2:3], v4, s7, v[0:1]
	v_mov_b32_e32 v9, v12
	global_load_ubyte v0, v[8:9], off
	v_mad_u64_u32 v[8:9], s[2:3], v4, s8, 0
	v_mov_b32_e32 v12, v9
	v_mad_u64_u32 v[12:13], s[2:3], v4, s9, v[12:13]
	v_mov_b32_e32 v9, v12
	v_lshlrev_b64 v[8:9], 3, v[8:9]
	v_add_co_u32_e64 v8, s[2:3], v10, v8
	v_addc_co_u32_e64 v9, s[2:3], v11, v9, s[2:3]
	global_load_dwordx2 v[8:9], v[8:9], off
.LBB6_19:
	s_or_b64 exec, exec, s[10:11]
	v_lshlrev_b32_e32 v5, 5, v16
	v_add_u32_e32 v18, 0x1000, v5
	v_add_u32_e32 v17, 0x1200, v5
	;; [unrolled: 1-line block ×3, first 2 shown]
	s_and_b32 s16, 0xffff, s12
	v_cndmask_b32_e64 v13, 0, 1, s[4:5]
	s_waitcnt vmcnt(1)
	ds_write_b8 v12, v0
	v_add_u32_e32 v0, v17, v4
	ds_write_b8 v0, v13
	v_add_u32_e32 v0, s16, v4
	v_lshlrev_b32_e32 v15, 8, v16
	v_cmp_gt_u64_e64 s[2:3], s[14:15], v[0:1]
	v_lshl_add_u32 v5, v4, 3, v15
	s_and_b64 s[10:11], vcc, s[2:3]
	s_waitcnt vmcnt(0)
	ds_write_b64 v5, v[8:9]
	s_and_saveexec_b64 s[12:13], s[10:11]
	s_cbranch_execz .LBB6_21
; %bb.20:
	v_mad_u64_u32 v[6:7], s[4:5], v0, s6, v[2:3]
	v_mov_b32_e32 v8, v7
	v_mad_u64_u32 v[8:9], s[4:5], v0, s7, v[8:9]
	v_mov_b32_e32 v7, v8
	global_load_ubyte v1, v[6:7], off
	v_mad_u64_u32 v[6:7], s[4:5], v0, s8, 0
	v_mov_b32_e32 v8, v7
	v_mad_u64_u32 v[8:9], s[4:5], v0, s9, v[8:9]
	v_mov_b32_e32 v7, v8
	v_lshlrev_b64 v[6:7], 3, v[6:7]
	v_add_co_u32_e64 v6, s[4:5], v10, v6
	v_addc_co_u32_e64 v7, s[4:5], v11, v7, s[4:5]
	global_load_dwordx2 v[6:7], v[6:7], off
.LBB6_21:
	s_or_b64 exec, exec, s[12:13]
	v_add_u32_e32 v8, v18, v0
	s_waitcnt vmcnt(1)
	ds_write_b8 v8, v1
	v_lshl_add_u32 v1, s16, 3, v5
	v_lshlrev_b32_e32 v19, 1, v4
	v_cndmask_b32_e64 v9, 0, 1, s[10:11]
	s_waitcnt vmcnt(0)
	ds_write_b64 v1, v[6:7]
	v_add_u32_e32 v6, v17, v0
	v_add_u32_e32 v7, v18, v19
	ds_write_b8 v6, v9
	s_waitcnt lgkmcnt(0)
	s_barrier
	ds_read_u16 v13, v7
	s_mov_b32 s14, 1
	v_add_u32_e32 v6, v17, v19
	s_waitcnt lgkmcnt(0)
	v_cmp_ge_u16_sdwa s[10:11], v13, v13 src0_sel:BYTE_0 src1_sel:BYTE_1
	v_cmp_lt_u16_sdwa s[4:5], v13, v13 src0_sel:BYTE_0 src1_sel:BYTE_1
	s_and_saveexec_b64 s[12:13], s[4:5]
	s_xor_b64 s[12:13], exec, s[12:13]
	s_cbranch_execz .LBB6_23
; %bb.22:
	ds_read_u8 v9, v6
	s_andn2_b64 s[10:11], s[10:11], exec
	s_waitcnt lgkmcnt(0)
	v_and_b32_e32 v9, 1, v9
	v_cmp_eq_u32_e64 s[4:5], 1, v9
	s_xor_b64 s[4:5], s[4:5], -1
	s_and_b64 s[4:5], s[4:5], exec
	s_or_b64 s[10:11], s[10:11], s[4:5]
.LBB6_23:
	s_or_b64 exec, exec, s[12:13]
	v_mov_b32_e32 v16, s14
	s_and_saveexec_b64 s[4:5], s[10:11]
	s_cbranch_execz .LBB6_25
; %bb.24:
	ds_read_u8 v9, v6 offset:1
	s_waitcnt lgkmcnt(0)
	v_xor_b32_e32 v16, 1, v9
.LBB6_25:
	s_or_b64 exec, exec, s[4:5]
	v_and_b32_e32 v14, 1, v4
	v_lshlrev_b32_e32 v9, 3, v4
	v_cmp_eq_u32_e64 s[4:5], v16, v14
	s_and_saveexec_b64 s[10:11], s[4:5]
	s_cbranch_execz .LBB6_27
; %bb.26:
	v_add_u32_e32 v16, v5, v9
	ds_read_b128 v[20:23], v16
	ds_read_u16 v26, v6
	v_lshlrev_b16_e32 v24, 8, v13
	v_or_b32_sdwa v13, v13, v24 dst_sel:DWORD dst_unused:UNUSED_PAD src0_sel:BYTE_1 src1_sel:DWORD
	s_mov_b32 s4, 0xc0c0001
	ds_write_b16 v7, v13
	s_waitcnt lgkmcnt(2)
	v_mov_b32_e32 v24, v20
	v_mov_b32_e32 v25, v21
	s_waitcnt lgkmcnt(1)
	v_perm_b32 v13, 0, v26, s4
	ds_write_b128 v16, v[22:25]
	ds_write_b16 v6, v13
.LBB6_27:
	s_or_b64 exec, exec, s[10:11]
	v_sub_u32_e32 v16, v19, v14
	v_add_u32_e32 v13, v18, v16
	s_waitcnt lgkmcnt(0)
	s_barrier
	ds_read_u8 v21, v13
	ds_read_u8 v22, v13 offset:2
	s_mov_b64 s[10:11], -1
	v_add_u32_e32 v14, v17, v16
                                        ; implicit-def: $sgpr14
	s_waitcnt lgkmcnt(0)
	v_cmp_lt_u16_e64 s[4:5], v21, v22
	s_and_saveexec_b64 s[12:13], s[4:5]
	s_xor_b64 s[12:13], exec, s[12:13]
	s_cbranch_execz .LBB6_29
; %bb.28:
	ds_read_u8 v20, v14
	s_mov_b32 s14, 1
	s_waitcnt lgkmcnt(0)
	v_and_b32_e32 v20, 1, v20
	v_cmp_eq_u32_e64 s[4:5], 1, v20
	s_xor_b64 s[4:5], s[4:5], -1
	s_orn2_b64 s[10:11], s[4:5], exec
.LBB6_29:
	s_or_b64 exec, exec, s[12:13]
	v_mov_b32_e32 v23, s14
	s_and_saveexec_b64 s[4:5], s[10:11]
	s_cbranch_execz .LBB6_31
; %bb.30:
	ds_read_u8 v20, v14 offset:2
	s_waitcnt lgkmcnt(0)
	v_xor_b32_e32 v23, 1, v20
.LBB6_31:
	s_or_b64 exec, exec, s[4:5]
	v_bfe_u32 v20, v4, 1, 1
	v_lshl_add_u32 v16, v16, 3, v15
	v_cmp_eq_u32_e64 s[4:5], v23, v20
	s_and_saveexec_b64 s[10:11], s[4:5]
	s_cbranch_execz .LBB6_33
; %bb.32:
	ds_read2_b64 v[24:27], v16 offset1:2
	ds_read_u8 v23, v14 offset:2
	ds_read_u8 v28, v14
	ds_write_b8 v13, v22
	ds_write_b8 v13, v21 offset:2
	s_waitcnt lgkmcnt(4)
	ds_write2_b64 v16, v[26:27], v[24:25] offset1:2
	s_waitcnt lgkmcnt(4)
	ds_write_b8 v14, v23
	s_waitcnt lgkmcnt(4)
	ds_write_b8 v14, v28 offset:2
.LBB6_33:
	s_or_b64 exec, exec, s[10:11]
	s_waitcnt lgkmcnt(0)
	s_barrier
	ds_read_u16 v21, v7
                                        ; implicit-def: $sgpr14
	s_waitcnt lgkmcnt(0)
	v_cmp_ge_u16_sdwa s[10:11], v21, v21 src0_sel:BYTE_0 src1_sel:BYTE_1
	v_cmp_lt_u16_sdwa s[4:5], v21, v21 src0_sel:BYTE_0 src1_sel:BYTE_1
	s_and_saveexec_b64 s[12:13], s[4:5]
	s_cbranch_execnz .LBB6_100
; %bb.34:
	s_or_b64 exec, exec, s[12:13]
	v_mov_b32_e32 v22, s14
	s_and_saveexec_b64 s[4:5], s[10:11]
	s_cbranch_execnz .LBB6_101
.LBB6_35:
	s_or_b64 exec, exec, s[4:5]
	v_cmp_eq_u32_e64 s[4:5], v22, v20
	s_and_saveexec_b64 s[10:11], s[4:5]
	s_cbranch_execz .LBB6_37
.LBB6_36:
	v_add_u32_e32 v26, v5, v9
	ds_read_b128 v[22:25], v26
	ds_read_u16 v27, v6
	v_lshlrev_b16_e32 v20, 8, v21
	v_or_b32_sdwa v20, v21, v20 dst_sel:DWORD dst_unused:UNUSED_PAD src0_sel:BYTE_1 src1_sel:DWORD
	ds_write_b16 v7, v20
	s_waitcnt lgkmcnt(2)
	v_mov_b32_e32 v20, v24
	v_mov_b32_e32 v21, v25
	s_mov_b32 s4, 0xc0c0001
	ds_write_b128 v26, v[20:23]
	s_waitcnt lgkmcnt(2)
	v_perm_b32 v20, 0, v27, s4
	ds_write_b16 v6, v20
.LBB6_37:
	s_or_b64 exec, exec, s[10:11]
	v_and_b32_e32 v20, 3, v4
	v_sub_u32_e32 v22, v19, v20
	v_add_u32_e32 v20, v18, v22
	s_waitcnt lgkmcnt(0)
	s_barrier
	ds_read_u8 v24, v20
	ds_read_u8 v25, v20 offset:4
	v_add_u32_e32 v21, v17, v22
                                        ; implicit-def: $sgpr14
	s_waitcnt lgkmcnt(0)
	v_cmp_ge_u16_e64 s[10:11], v24, v25
	v_cmp_lt_u16_e64 s[4:5], v24, v25
	s_and_saveexec_b64 s[12:13], s[4:5]
	s_cbranch_execz .LBB6_39
; %bb.38:
	ds_read_u8 v23, v21
	s_andn2_b64 s[10:11], s[10:11], exec
	s_mov_b32 s14, 1
	s_waitcnt lgkmcnt(0)
	v_and_b32_e32 v23, 1, v23
	v_cmp_eq_u32_e64 s[4:5], 1, v23
	s_xor_b64 s[4:5], s[4:5], -1
	s_and_b64 s[4:5], s[4:5], exec
	s_or_b64 s[10:11], s[10:11], s[4:5]
.LBB6_39:
	s_or_b64 exec, exec, s[12:13]
	v_mov_b32_e32 v26, s14
	s_and_saveexec_b64 s[4:5], s[10:11]
	s_cbranch_execz .LBB6_41
; %bb.40:
	ds_read_u8 v23, v21 offset:4
	s_waitcnt lgkmcnt(0)
	v_xor_b32_e32 v26, 1, v23
.LBB6_41:
	s_or_b64 exec, exec, s[4:5]
	v_bfe_u32 v23, v4, 2, 1
	v_lshl_add_u32 v22, v22, 3, v15
	v_cmp_eq_u32_e64 s[4:5], v26, v23
	s_and_saveexec_b64 s[10:11], s[4:5]
	s_cbranch_execz .LBB6_43
; %bb.42:
	ds_read2_b64 v[26:29], v22 offset1:4
	ds_read_u8 v30, v21 offset:4
	ds_read_u8 v31, v21
	ds_write_b8 v20, v25
	ds_write_b8 v20, v24 offset:4
	s_waitcnt lgkmcnt(4)
	ds_write2_b64 v22, v[28:29], v[26:27] offset1:4
	s_waitcnt lgkmcnt(4)
	ds_write_b8 v21, v30
	s_waitcnt lgkmcnt(4)
	ds_write_b8 v21, v31 offset:4
.LBB6_43:
	s_or_b64 exec, exec, s[10:11]
	s_waitcnt lgkmcnt(0)
	s_barrier
	ds_read_u8 v24, v13
	ds_read_u8 v25, v13 offset:2
                                        ; implicit-def: $sgpr14
	s_waitcnt lgkmcnt(0)
	v_cmp_ge_u16_e64 s[10:11], v24, v25
	v_cmp_lt_u16_e64 s[4:5], v24, v25
	s_and_saveexec_b64 s[12:13], s[4:5]
	s_cbranch_execnz .LBB6_102
; %bb.44:
	s_or_b64 exec, exec, s[12:13]
	v_mov_b32_e32 v26, s14
	s_and_saveexec_b64 s[4:5], s[10:11]
	s_cbranch_execnz .LBB6_103
.LBB6_45:
	s_or_b64 exec, exec, s[4:5]
	v_cmp_eq_u32_e64 s[4:5], v26, v23
	s_and_saveexec_b64 s[10:11], s[4:5]
	s_cbranch_execz .LBB6_47
.LBB6_46:
	ds_read2_b64 v[26:29], v16 offset1:2
	ds_read_u8 v30, v14 offset:2
	ds_read_u8 v31, v14
	ds_write_b8 v13, v25
	ds_write_b8 v13, v24 offset:2
	s_waitcnt lgkmcnt(4)
	ds_write2_b64 v16, v[28:29], v[26:27] offset1:2
	s_waitcnt lgkmcnt(4)
	ds_write_b8 v14, v30
	s_waitcnt lgkmcnt(4)
	ds_write_b8 v14, v31 offset:2
.LBB6_47:
	s_or_b64 exec, exec, s[10:11]
	s_waitcnt lgkmcnt(0)
	s_barrier
	ds_read_u16 v24, v7
                                        ; implicit-def: $sgpr14
	s_waitcnt lgkmcnt(0)
	v_cmp_ge_u16_sdwa s[10:11], v24, v24 src0_sel:BYTE_0 src1_sel:BYTE_1
	v_cmp_lt_u16_sdwa s[4:5], v24, v24 src0_sel:BYTE_0 src1_sel:BYTE_1
	s_and_saveexec_b64 s[12:13], s[4:5]
	s_cbranch_execnz .LBB6_104
; %bb.48:
	s_or_b64 exec, exec, s[12:13]
	v_mov_b32_e32 v25, s14
	s_and_saveexec_b64 s[4:5], s[10:11]
	s_cbranch_execnz .LBB6_105
.LBB6_49:
	s_or_b64 exec, exec, s[4:5]
	v_cmp_eq_u32_e64 s[4:5], v25, v23
	s_and_saveexec_b64 s[10:11], s[4:5]
	s_cbranch_execz .LBB6_51
.LBB6_50:
	v_add_u32_e32 v23, v5, v9
	ds_read_b128 v[26:29], v23
	ds_read_u16 v30, v6
	v_lshlrev_b16_e32 v25, 8, v24
	v_or_b32_sdwa v24, v24, v25 dst_sel:DWORD dst_unused:UNUSED_PAD src0_sel:BYTE_1 src1_sel:DWORD
	ds_write_b16 v7, v24
	s_waitcnt lgkmcnt(2)
	v_mov_b32_e32 v24, v28
	v_mov_b32_e32 v25, v29
	s_mov_b32 s4, 0xc0c0001
	ds_write_b128 v23, v[24:27]
	s_waitcnt lgkmcnt(2)
	v_perm_b32 v23, 0, v30, s4
	ds_write_b16 v6, v23
.LBB6_51:
	s_or_b64 exec, exec, s[10:11]
	v_and_b32_e32 v23, 7, v4
	v_sub_u32_e32 v25, v19, v23
	v_add_u32_e32 v23, v18, v25
	s_waitcnt lgkmcnt(0)
	s_barrier
	ds_read_u8 v27, v23
	ds_read_u8 v28, v23 offset:8
	v_add_u32_e32 v24, v17, v25
                                        ; implicit-def: $sgpr14
	s_waitcnt lgkmcnt(0)
	v_cmp_ge_u16_e64 s[10:11], v27, v28
	v_cmp_lt_u16_e64 s[4:5], v27, v28
	s_and_saveexec_b64 s[12:13], s[4:5]
	s_cbranch_execz .LBB6_53
; %bb.52:
	ds_read_u8 v26, v24
	s_andn2_b64 s[10:11], s[10:11], exec
	s_mov_b32 s14, 1
	s_waitcnt lgkmcnt(0)
	v_and_b32_e32 v26, 1, v26
	v_cmp_eq_u32_e64 s[4:5], 1, v26
	s_xor_b64 s[4:5], s[4:5], -1
	s_and_b64 s[4:5], s[4:5], exec
	s_or_b64 s[10:11], s[10:11], s[4:5]
.LBB6_53:
	s_or_b64 exec, exec, s[12:13]
	v_mov_b32_e32 v29, s14
	s_and_saveexec_b64 s[4:5], s[10:11]
	s_cbranch_execz .LBB6_55
; %bb.54:
	ds_read_u8 v26, v24 offset:8
	s_waitcnt lgkmcnt(0)
	v_xor_b32_e32 v29, 1, v26
.LBB6_55:
	s_or_b64 exec, exec, s[4:5]
	v_bfe_u32 v26, v4, 3, 1
	v_lshl_add_u32 v25, v25, 3, v15
	v_cmp_eq_u32_e64 s[4:5], v29, v26
	s_and_saveexec_b64 s[10:11], s[4:5]
	s_cbranch_execz .LBB6_57
; %bb.56:
	ds_read2_b64 v[30:33], v25 offset1:8
	ds_read_u8 v29, v24 offset:8
	ds_read_u8 v34, v24
	ds_write_b8 v23, v28
	ds_write_b8 v23, v27 offset:8
	s_waitcnt lgkmcnt(4)
	ds_write2_b64 v25, v[32:33], v[30:31] offset1:8
	s_waitcnt lgkmcnt(4)
	ds_write_b8 v24, v29
	s_waitcnt lgkmcnt(4)
	ds_write_b8 v24, v34 offset:8
.LBB6_57:
	s_or_b64 exec, exec, s[10:11]
	s_waitcnt lgkmcnt(0)
	s_barrier
	ds_read_u8 v27, v20
	ds_read_u8 v28, v20 offset:4
                                        ; implicit-def: $sgpr14
	s_waitcnt lgkmcnt(0)
	v_cmp_ge_u16_e64 s[10:11], v27, v28
	v_cmp_lt_u16_e64 s[4:5], v27, v28
	s_and_saveexec_b64 s[12:13], s[4:5]
	s_cbranch_execnz .LBB6_106
; %bb.58:
	s_or_b64 exec, exec, s[12:13]
	v_mov_b32_e32 v29, s14
	s_and_saveexec_b64 s[4:5], s[10:11]
	s_cbranch_execnz .LBB6_107
.LBB6_59:
	s_or_b64 exec, exec, s[4:5]
	v_cmp_eq_u32_e64 s[4:5], v29, v26
	s_and_saveexec_b64 s[10:11], s[4:5]
	s_cbranch_execz .LBB6_61
.LBB6_60:
	ds_read2_b64 v[30:33], v22 offset1:4
	ds_read_u8 v29, v21 offset:4
	ds_read_u8 v34, v21
	ds_write_b8 v20, v28
	ds_write_b8 v20, v27 offset:4
	s_waitcnt lgkmcnt(4)
	ds_write2_b64 v22, v[32:33], v[30:31] offset1:4
	s_waitcnt lgkmcnt(4)
	ds_write_b8 v21, v29
	s_waitcnt lgkmcnt(4)
	ds_write_b8 v21, v34 offset:4
.LBB6_61:
	s_or_b64 exec, exec, s[10:11]
	s_waitcnt lgkmcnt(0)
	s_barrier
	ds_read_u8 v27, v13
	ds_read_u8 v28, v13 offset:2
                                        ; implicit-def: $sgpr14
	s_waitcnt lgkmcnt(0)
	v_cmp_ge_u16_e64 s[10:11], v27, v28
	v_cmp_lt_u16_e64 s[4:5], v27, v28
	s_and_saveexec_b64 s[12:13], s[4:5]
	s_cbranch_execnz .LBB6_108
; %bb.62:
	s_or_b64 exec, exec, s[12:13]
	v_mov_b32_e32 v29, s14
	s_and_saveexec_b64 s[4:5], s[10:11]
	s_cbranch_execnz .LBB6_109
.LBB6_63:
	s_or_b64 exec, exec, s[4:5]
	v_cmp_eq_u32_e64 s[4:5], v29, v26
	s_and_saveexec_b64 s[10:11], s[4:5]
	s_cbranch_execz .LBB6_65
.LBB6_64:
	ds_read2_b64 v[30:33], v16 offset1:2
	ds_read_u8 v29, v14 offset:2
	ds_read_u8 v34, v14
	ds_write_b8 v13, v28
	ds_write_b8 v13, v27 offset:2
	s_waitcnt lgkmcnt(4)
	ds_write2_b64 v16, v[32:33], v[30:31] offset1:2
	s_waitcnt lgkmcnt(4)
	ds_write_b8 v14, v29
	s_waitcnt lgkmcnt(4)
	ds_write_b8 v14, v34 offset:2
.LBB6_65:
	s_or_b64 exec, exec, s[10:11]
	s_waitcnt lgkmcnt(0)
	s_barrier
	ds_read_u16 v27, v7
                                        ; implicit-def: $sgpr14
	s_waitcnt lgkmcnt(0)
	v_cmp_ge_u16_sdwa s[10:11], v27, v27 src0_sel:BYTE_0 src1_sel:BYTE_1
	v_cmp_lt_u16_sdwa s[4:5], v27, v27 src0_sel:BYTE_0 src1_sel:BYTE_1
	s_and_saveexec_b64 s[12:13], s[4:5]
	s_cbranch_execnz .LBB6_110
; %bb.66:
	s_or_b64 exec, exec, s[12:13]
	v_mov_b32_e32 v28, s14
	s_and_saveexec_b64 s[4:5], s[10:11]
	s_cbranch_execnz .LBB6_111
.LBB6_67:
	s_or_b64 exec, exec, s[4:5]
	v_cmp_eq_u32_e64 s[4:5], v28, v26
	s_and_saveexec_b64 s[10:11], s[4:5]
	s_cbranch_execz .LBB6_69
.LBB6_68:
	v_add_u32_e32 v32, v5, v9
	ds_read_b128 v[28:31], v32
	ds_read_u16 v33, v6
	v_lshlrev_b16_e32 v26, 8, v27
	v_or_b32_sdwa v26, v27, v26 dst_sel:DWORD dst_unused:UNUSED_PAD src0_sel:BYTE_1 src1_sel:DWORD
	ds_write_b16 v7, v26
	s_waitcnt lgkmcnt(2)
	v_mov_b32_e32 v26, v30
	v_mov_b32_e32 v27, v31
	s_mov_b32 s4, 0xc0c0001
	ds_write_b128 v32, v[26:29]
	s_waitcnt lgkmcnt(2)
	v_perm_b32 v26, 0, v33, s4
	ds_write_b16 v6, v26
.LBB6_69:
	s_or_b64 exec, exec, s[10:11]
	v_and_b32_e32 v26, 15, v4
	v_sub_u32_e32 v27, v19, v26
	v_add_u32_e32 v18, v18, v27
	s_waitcnt lgkmcnt(0)
	s_barrier
	ds_read_u8 v19, v18
	ds_read_u8 v26, v18 offset:16
	v_add_u32_e32 v17, v17, v27
	s_waitcnt lgkmcnt(0)
	v_cmp_ge_u16_e64 s[12:13], v19, v26
	v_cmp_lt_u16_e64 s[4:5], v19, v26
	s_and_saveexec_b64 s[10:11], s[4:5]
	s_cbranch_execz .LBB6_71
; %bb.70:
	ds_read_u8 v28, v17
	s_andn2_b64 s[12:13], s[12:13], exec
	s_waitcnt lgkmcnt(0)
	v_and_b32_e32 v28, 1, v28
	v_cmp_eq_u32_e64 s[4:5], 1, v28
	s_xor_b64 s[4:5], s[4:5], -1
	s_and_b64 s[4:5], s[4:5], exec
	s_or_b64 s[12:13], s[12:13], s[4:5]
.LBB6_71:
	s_or_b64 exec, exec, s[10:11]
	s_and_saveexec_b64 s[10:11], s[12:13]
	s_cbranch_execz .LBB6_74
; %bb.72:
	ds_read_u8 v28, v17 offset:16
	s_waitcnt lgkmcnt(0)
	v_cmp_ne_u16_e64 s[4:5], 0, v28
	s_and_b64 exec, exec, s[4:5]
	s_cbranch_execz .LBB6_74
; %bb.73:
	v_lshl_add_u32 v15, v27, 3, v15
	ds_read2_b64 v[30:33], v15 offset1:16
	ds_read_u8 v27, v17
	ds_write_b8 v18, v26
	ds_write_b8 v18, v19 offset:16
	ds_write_b8 v17, v28
	s_waitcnt lgkmcnt(4)
	ds_write2_b64 v15, v[32:33], v[30:31] offset1:16
	s_waitcnt lgkmcnt(4)
	ds_write_b8 v17, v27 offset:16
.LBB6_74:
	s_or_b64 exec, exec, s[10:11]
	s_waitcnt lgkmcnt(0)
	s_barrier
	ds_read_u8 v15, v23
	ds_read_u8 v17, v23 offset:8
	s_waitcnt lgkmcnt(0)
	v_cmp_ge_u16_e64 s[12:13], v15, v17
	v_cmp_lt_u16_e64 s[4:5], v15, v17
	s_and_saveexec_b64 s[10:11], s[4:5]
	s_cbranch_execz .LBB6_76
; %bb.75:
	ds_read_u8 v18, v24
	s_andn2_b64 s[12:13], s[12:13], exec
	s_waitcnt lgkmcnt(0)
	v_and_b32_e32 v18, 1, v18
	v_cmp_eq_u32_e64 s[4:5], 1, v18
	s_xor_b64 s[4:5], s[4:5], -1
	s_and_b64 s[4:5], s[4:5], exec
	s_or_b64 s[12:13], s[12:13], s[4:5]
.LBB6_76:
	s_or_b64 exec, exec, s[10:11]
	s_and_saveexec_b64 s[10:11], s[12:13]
	s_cbranch_execz .LBB6_79
; %bb.77:
	ds_read_u8 v18, v24 offset:8
	s_waitcnt lgkmcnt(0)
	v_cmp_ne_u16_e64 s[4:5], 0, v18
	s_and_b64 exec, exec, s[4:5]
	s_cbranch_execz .LBB6_79
; %bb.78:
	ds_read2_b64 v[26:29], v25 offset1:8
	ds_read_u8 v19, v24
	ds_write_b8 v23, v17
	ds_write_b8 v23, v15 offset:8
	ds_write_b8 v24, v18
	s_waitcnt lgkmcnt(4)
	ds_write2_b64 v25, v[28:29], v[26:27] offset1:8
	s_waitcnt lgkmcnt(4)
	ds_write_b8 v24, v19 offset:8
.LBB6_79:
	s_or_b64 exec, exec, s[10:11]
	s_waitcnt lgkmcnt(0)
	s_barrier
	ds_read_u8 v15, v20
	ds_read_u8 v17, v20 offset:4
	s_waitcnt lgkmcnt(0)
	v_cmp_ge_u16_e64 s[12:13], v15, v17
	v_cmp_lt_u16_e64 s[4:5], v15, v17
	s_and_saveexec_b64 s[10:11], s[4:5]
	s_cbranch_execz .LBB6_81
; %bb.80:
	ds_read_u8 v18, v21
	s_andn2_b64 s[12:13], s[12:13], exec
	s_waitcnt lgkmcnt(0)
	v_and_b32_e32 v18, 1, v18
	v_cmp_eq_u32_e64 s[4:5], 1, v18
	s_xor_b64 s[4:5], s[4:5], -1
	s_and_b64 s[4:5], s[4:5], exec
	s_or_b64 s[12:13], s[12:13], s[4:5]
.LBB6_81:
	s_or_b64 exec, exec, s[10:11]
	s_and_saveexec_b64 s[10:11], s[12:13]
	s_cbranch_execz .LBB6_84
; %bb.82:
	ds_read_u8 v18, v21 offset:4
	s_waitcnt lgkmcnt(0)
	v_cmp_ne_u16_e64 s[4:5], 0, v18
	s_and_b64 exec, exec, s[4:5]
	s_cbranch_execz .LBB6_84
; %bb.83:
	ds_read2_b64 v[24:27], v22 offset1:4
	ds_read_u8 v19, v21
	ds_write_b8 v20, v17
	ds_write_b8 v20, v15 offset:4
	ds_write_b8 v21, v18
	s_waitcnt lgkmcnt(4)
	ds_write2_b64 v22, v[26:27], v[24:25] offset1:4
	s_waitcnt lgkmcnt(4)
	ds_write_b8 v21, v19 offset:4
.LBB6_84:
	;; [unrolled: 40-line block ×3, first 2 shown]
	s_or_b64 exec, exec, s[10:11]
	s_waitcnt lgkmcnt(0)
	s_barrier
	ds_read_u16 v13, v7
	s_waitcnt lgkmcnt(0)
	v_cmp_ge_u16_sdwa s[12:13], v13, v13 src0_sel:BYTE_0 src1_sel:BYTE_1
	v_cmp_lt_u16_sdwa s[4:5], v13, v13 src0_sel:BYTE_0 src1_sel:BYTE_1
	s_and_saveexec_b64 s[10:11], s[4:5]
	s_cbranch_execz .LBB6_91
; %bb.90:
	ds_read_u8 v14, v6
	s_andn2_b64 s[12:13], s[12:13], exec
	s_waitcnt lgkmcnt(0)
	v_and_b32_e32 v14, 1, v14
	v_cmp_eq_u32_e64 s[4:5], 1, v14
	s_xor_b64 s[4:5], s[4:5], -1
	s_and_b64 s[4:5], s[4:5], exec
	s_or_b64 s[12:13], s[12:13], s[4:5]
.LBB6_91:
	s_or_b64 exec, exec, s[10:11]
	s_and_saveexec_b64 s[10:11], s[12:13]
	s_cbranch_execz .LBB6_94
; %bb.92:
	ds_read_u8 v14, v6 offset:1
	s_waitcnt lgkmcnt(0)
	v_cmp_ne_u16_e64 s[4:5], 0, v14
	s_and_b64 exec, exec, s[4:5]
	s_cbranch_execz .LBB6_94
; %bb.93:
	v_add_u32_e32 v9, v5, v9
	v_lshlrev_b16_e32 v15, 8, v13
	ds_read_b128 v[16:19], v9
	v_or_b32_sdwa v13, v13, v15 dst_sel:DWORD dst_unused:UNUSED_PAD src0_sel:BYTE_1 src1_sel:DWORD
	ds_read_u8 v15, v6
	ds_write_b16 v7, v13
	s_waitcnt lgkmcnt(2)
	v_mov_b32_e32 v20, v16
	v_mov_b32_e32 v21, v17
	s_waitcnt lgkmcnt(1)
	v_lshlrev_b16_e32 v7, 8, v15
	v_or_b32_e32 v7, v14, v7
	ds_write_b128 v9, v[18:21]
	ds_write_b16 v6, v7
.LBB6_94:
	s_or_b64 exec, exec, s[10:11]
	s_waitcnt lgkmcnt(0)
	s_barrier
	s_and_saveexec_b64 s[4:5], vcc
	s_cbranch_execz .LBB6_99
; %bb.95:
	s_and_saveexec_b64 s[4:5], s[0:1]
	s_cbranch_execz .LBB6_97
; %bb.96:
	ds_read_u8 v9, v12
	v_mad_u64_u32 v[6:7], s[0:1], v4, s6, v[2:3]
	v_mov_b32_e32 v14, v7
	v_mad_u64_u32 v[12:13], s[0:1], v4, s7, v[14:15]
	v_mov_b32_e32 v7, v12
	s_waitcnt lgkmcnt(0)
	global_store_byte v[6:7], v9, off
	v_mad_u64_u32 v[6:7], s[0:1], v4, s8, 0
	v_mov_b32_e32 v14, v7
	ds_read_b64 v[12:13], v5
	v_mad_u64_u32 v[4:5], s[0:1], v4, s9, v[14:15]
	v_mov_b32_e32 v7, v4
	v_lshlrev_b64 v[4:5], 3, v[6:7]
	v_add_co_u32_e32 v4, vcc, v10, v4
	v_addc_co_u32_e32 v5, vcc, v11, v5, vcc
	s_waitcnt lgkmcnt(0)
	global_store_dwordx2 v[4:5], v[12:13], off
.LBB6_97:
	s_or_b64 exec, exec, s[4:5]
	s_and_b64 exec, exec, s[2:3]
	s_cbranch_execz .LBB6_99
; %bb.98:
	ds_read_u8 v6, v8
	v_mad_u64_u32 v[2:3], s[0:1], v0, s6, v[2:3]
	v_mov_b32_e32 v4, v3
	v_mad_u64_u32 v[4:5], s[0:1], v0, s7, v[4:5]
	v_mov_b32_e32 v3, v4
	ds_read_b64 v[4:5], v1
	s_waitcnt lgkmcnt(1)
	global_store_byte v[2:3], v6, off
	v_mad_u64_u32 v[2:3], s[0:1], v0, s8, 0
	v_mov_b32_e32 v6, v3
	v_mad_u64_u32 v[0:1], s[0:1], v0, s9, v[6:7]
	v_mov_b32_e32 v3, v0
	v_lshlrev_b64 v[0:1], 3, v[2:3]
	v_add_co_u32_e32 v0, vcc, v10, v0
	v_addc_co_u32_e32 v1, vcc, v11, v1, vcc
	s_waitcnt lgkmcnt(0)
	global_store_dwordx2 v[0:1], v[4:5], off
.LBB6_99:
	s_endpgm
.LBB6_100:
	ds_read_u8 v22, v6
	s_andn2_b64 s[10:11], s[10:11], exec
	s_mov_b32 s14, 1
	s_waitcnt lgkmcnt(0)
	v_and_b32_e32 v22, 1, v22
	v_cmp_eq_u32_e64 s[4:5], 1, v22
	s_xor_b64 s[4:5], s[4:5], -1
	s_and_b64 s[4:5], s[4:5], exec
	s_or_b64 s[10:11], s[10:11], s[4:5]
	s_or_b64 exec, exec, s[12:13]
	v_mov_b32_e32 v22, s14
	s_and_saveexec_b64 s[4:5], s[10:11]
	s_cbranch_execz .LBB6_35
.LBB6_101:
	ds_read_u8 v22, v6 offset:1
	s_waitcnt lgkmcnt(0)
	v_xor_b32_e32 v22, 1, v22
	s_or_b64 exec, exec, s[4:5]
	v_cmp_eq_u32_e64 s[4:5], v22, v20
	s_and_saveexec_b64 s[10:11], s[4:5]
	s_cbranch_execnz .LBB6_36
	s_branch .LBB6_37
.LBB6_102:
	ds_read_u8 v26, v14
	s_andn2_b64 s[10:11], s[10:11], exec
	s_mov_b32 s14, 1
	s_waitcnt lgkmcnt(0)
	v_and_b32_e32 v26, 1, v26
	v_cmp_eq_u32_e64 s[4:5], 1, v26
	s_xor_b64 s[4:5], s[4:5], -1
	s_and_b64 s[4:5], s[4:5], exec
	s_or_b64 s[10:11], s[10:11], s[4:5]
	s_or_b64 exec, exec, s[12:13]
	v_mov_b32_e32 v26, s14
	s_and_saveexec_b64 s[4:5], s[10:11]
	s_cbranch_execz .LBB6_45
.LBB6_103:
	ds_read_u8 v26, v14 offset:2
	s_waitcnt lgkmcnt(0)
	v_xor_b32_e32 v26, 1, v26
	s_or_b64 exec, exec, s[4:5]
	v_cmp_eq_u32_e64 s[4:5], v26, v23
	s_and_saveexec_b64 s[10:11], s[4:5]
	s_cbranch_execnz .LBB6_46
	s_branch .LBB6_47
.LBB6_104:
	ds_read_u8 v25, v6
	s_andn2_b64 s[10:11], s[10:11], exec
	s_mov_b32 s14, 1
	s_waitcnt lgkmcnt(0)
	v_and_b32_e32 v25, 1, v25
	v_cmp_eq_u32_e64 s[4:5], 1, v25
	s_xor_b64 s[4:5], s[4:5], -1
	s_and_b64 s[4:5], s[4:5], exec
	s_or_b64 s[10:11], s[10:11], s[4:5]
	s_or_b64 exec, exec, s[12:13]
	v_mov_b32_e32 v25, s14
	s_and_saveexec_b64 s[4:5], s[10:11]
	s_cbranch_execz .LBB6_49
.LBB6_105:
	ds_read_u8 v25, v6 offset:1
	s_waitcnt lgkmcnt(0)
	v_xor_b32_e32 v25, 1, v25
	s_or_b64 exec, exec, s[4:5]
	v_cmp_eq_u32_e64 s[4:5], v25, v23
	s_and_saveexec_b64 s[10:11], s[4:5]
	s_cbranch_execnz .LBB6_50
	s_branch .LBB6_51
.LBB6_106:
	ds_read_u8 v29, v21
	s_andn2_b64 s[10:11], s[10:11], exec
	s_mov_b32 s14, 1
	s_waitcnt lgkmcnt(0)
	v_and_b32_e32 v29, 1, v29
	v_cmp_eq_u32_e64 s[4:5], 1, v29
	s_xor_b64 s[4:5], s[4:5], -1
	s_and_b64 s[4:5], s[4:5], exec
	s_or_b64 s[10:11], s[10:11], s[4:5]
	s_or_b64 exec, exec, s[12:13]
	v_mov_b32_e32 v29, s14
	s_and_saveexec_b64 s[4:5], s[10:11]
	s_cbranch_execz .LBB6_59
.LBB6_107:
	ds_read_u8 v29, v21 offset:4
	s_waitcnt lgkmcnt(0)
	v_xor_b32_e32 v29, 1, v29
	s_or_b64 exec, exec, s[4:5]
	v_cmp_eq_u32_e64 s[4:5], v29, v26
	s_and_saveexec_b64 s[10:11], s[4:5]
	s_cbranch_execnz .LBB6_60
	s_branch .LBB6_61
.LBB6_108:
	ds_read_u8 v29, v14
	s_andn2_b64 s[10:11], s[10:11], exec
	s_mov_b32 s14, 1
	s_waitcnt lgkmcnt(0)
	v_and_b32_e32 v29, 1, v29
	v_cmp_eq_u32_e64 s[4:5], 1, v29
	s_xor_b64 s[4:5], s[4:5], -1
	s_and_b64 s[4:5], s[4:5], exec
	s_or_b64 s[10:11], s[10:11], s[4:5]
	s_or_b64 exec, exec, s[12:13]
	v_mov_b32_e32 v29, s14
	s_and_saveexec_b64 s[4:5], s[10:11]
	s_cbranch_execz .LBB6_63
.LBB6_109:
	ds_read_u8 v29, v14 offset:2
	s_waitcnt lgkmcnt(0)
	v_xor_b32_e32 v29, 1, v29
	s_or_b64 exec, exec, s[4:5]
	v_cmp_eq_u32_e64 s[4:5], v29, v26
	s_and_saveexec_b64 s[10:11], s[4:5]
	s_cbranch_execnz .LBB6_64
	s_branch .LBB6_65
.LBB6_110:
	ds_read_u8 v28, v6
	s_andn2_b64 s[10:11], s[10:11], exec
	s_mov_b32 s14, 1
	s_waitcnt lgkmcnt(0)
	v_and_b32_e32 v28, 1, v28
	v_cmp_eq_u32_e64 s[4:5], 1, v28
	s_xor_b64 s[4:5], s[4:5], -1
	s_and_b64 s[4:5], s[4:5], exec
	s_or_b64 s[10:11], s[10:11], s[4:5]
	s_or_b64 exec, exec, s[12:13]
	v_mov_b32_e32 v28, s14
	s_and_saveexec_b64 s[4:5], s[10:11]
	s_cbranch_execz .LBB6_67
.LBB6_111:
	ds_read_u8 v28, v6 offset:1
	s_waitcnt lgkmcnt(0)
	v_xor_b32_e32 v28, 1, v28
	s_or_b64 exec, exec, s[4:5]
	v_cmp_eq_u32_e64 s[4:5], v28, v26
	s_and_saveexec_b64 s[10:11], s[4:5]
	s_cbranch_execnz .LBB6_68
	s_branch .LBB6_69
	.section	.rodata,"a",@progbits
	.p2align	6, 0x0
	.amdhsa_kernel _ZN2at6native20bitonicSortKVInPlaceILin1ELin1ELi16ELi16EhlNS0_4LTOpIhLb1EEEmEEvNS_4cuda6detail10TensorInfoIT3_T6_EES8_S8_S8_NS6_IT4_S8_EES8_T5_
		.amdhsa_group_segment_fixed_size 5120
		.amdhsa_private_segment_fixed_size 0
		.amdhsa_kernarg_size 1128
		.amdhsa_user_sgpr_count 6
		.amdhsa_user_sgpr_private_segment_buffer 1
		.amdhsa_user_sgpr_dispatch_ptr 0
		.amdhsa_user_sgpr_queue_ptr 0
		.amdhsa_user_sgpr_kernarg_segment_ptr 1
		.amdhsa_user_sgpr_dispatch_id 0
		.amdhsa_user_sgpr_flat_scratch_init 0
		.amdhsa_user_sgpr_kernarg_preload_length 0
		.amdhsa_user_sgpr_kernarg_preload_offset 0
		.amdhsa_user_sgpr_private_segment_size 0
		.amdhsa_uses_dynamic_stack 0
		.amdhsa_system_sgpr_private_segment_wavefront_offset 0
		.amdhsa_system_sgpr_workgroup_id_x 1
		.amdhsa_system_sgpr_workgroup_id_y 1
		.amdhsa_system_sgpr_workgroup_id_z 1
		.amdhsa_system_sgpr_workgroup_info 0
		.amdhsa_system_vgpr_workitem_id 1
		.amdhsa_next_free_vgpr 35
		.amdhsa_next_free_sgpr 21
		.amdhsa_accum_offset 36
		.amdhsa_reserve_vcc 1
		.amdhsa_reserve_flat_scratch 0
		.amdhsa_float_round_mode_32 0
		.amdhsa_float_round_mode_16_64 0
		.amdhsa_float_denorm_mode_32 3
		.amdhsa_float_denorm_mode_16_64 3
		.amdhsa_dx10_clamp 1
		.amdhsa_ieee_mode 1
		.amdhsa_fp16_overflow 0
		.amdhsa_tg_split 0
		.amdhsa_exception_fp_ieee_invalid_op 0
		.amdhsa_exception_fp_denorm_src 0
		.amdhsa_exception_fp_ieee_div_zero 0
		.amdhsa_exception_fp_ieee_overflow 0
		.amdhsa_exception_fp_ieee_underflow 0
		.amdhsa_exception_fp_ieee_inexact 0
		.amdhsa_exception_int_div_zero 0
	.end_amdhsa_kernel
	.section	.text._ZN2at6native20bitonicSortKVInPlaceILin1ELin1ELi16ELi16EhlNS0_4LTOpIhLb1EEEmEEvNS_4cuda6detail10TensorInfoIT3_T6_EES8_S8_S8_NS6_IT4_S8_EES8_T5_,"axG",@progbits,_ZN2at6native20bitonicSortKVInPlaceILin1ELin1ELi16ELi16EhlNS0_4LTOpIhLb1EEEmEEvNS_4cuda6detail10TensorInfoIT3_T6_EES8_S8_S8_NS6_IT4_S8_EES8_T5_,comdat
.Lfunc_end6:
	.size	_ZN2at6native20bitonicSortKVInPlaceILin1ELin1ELi16ELi16EhlNS0_4LTOpIhLb1EEEmEEvNS_4cuda6detail10TensorInfoIT3_T6_EES8_S8_S8_NS6_IT4_S8_EES8_T5_, .Lfunc_end6-_ZN2at6native20bitonicSortKVInPlaceILin1ELin1ELi16ELi16EhlNS0_4LTOpIhLb1EEEmEEvNS_4cuda6detail10TensorInfoIT3_T6_EES8_S8_S8_NS6_IT4_S8_EES8_T5_
                                        ; -- End function
	.section	.AMDGPU.csdata,"",@progbits
; Kernel info:
; codeLenInByte = 6556
; NumSgprs: 25
; NumVgprs: 35
; NumAgprs: 0
; TotalNumVgprs: 35
; ScratchSize: 0
; MemoryBound: 0
; FloatMode: 240
; IeeeMode: 1
; LDSByteSize: 5120 bytes/workgroup (compile time only)
; SGPRBlocks: 3
; VGPRBlocks: 4
; NumSGPRsForWavesPerEU: 25
; NumVGPRsForWavesPerEU: 35
; AccumOffset: 36
; Occupancy: 8
; WaveLimiterHint : 1
; COMPUTE_PGM_RSRC2:SCRATCH_EN: 0
; COMPUTE_PGM_RSRC2:USER_SGPR: 6
; COMPUTE_PGM_RSRC2:TRAP_HANDLER: 0
; COMPUTE_PGM_RSRC2:TGID_X_EN: 1
; COMPUTE_PGM_RSRC2:TGID_Y_EN: 1
; COMPUTE_PGM_RSRC2:TGID_Z_EN: 1
; COMPUTE_PGM_RSRC2:TIDIG_COMP_CNT: 1
; COMPUTE_PGM_RSRC3_GFX90A:ACCUM_OFFSET: 8
; COMPUTE_PGM_RSRC3_GFX90A:TG_SPLIT: 0
	.section	.text._ZN2at6native20bitonicSortKVInPlaceILin1ELin1ELi16ELi16EhlNS0_4GTOpIhLb1EEEmEEvNS_4cuda6detail10TensorInfoIT3_T6_EES8_S8_S8_NS6_IT4_S8_EES8_T5_,"axG",@progbits,_ZN2at6native20bitonicSortKVInPlaceILin1ELin1ELi16ELi16EhlNS0_4GTOpIhLb1EEEmEEvNS_4cuda6detail10TensorInfoIT3_T6_EES8_S8_S8_NS6_IT4_S8_EES8_T5_,comdat
	.protected	_ZN2at6native20bitonicSortKVInPlaceILin1ELin1ELi16ELi16EhlNS0_4GTOpIhLb1EEEmEEvNS_4cuda6detail10TensorInfoIT3_T6_EES8_S8_S8_NS6_IT4_S8_EES8_T5_ ; -- Begin function _ZN2at6native20bitonicSortKVInPlaceILin1ELin1ELi16ELi16EhlNS0_4GTOpIhLb1EEEmEEvNS_4cuda6detail10TensorInfoIT3_T6_EES8_S8_S8_NS6_IT4_S8_EES8_T5_
	.globl	_ZN2at6native20bitonicSortKVInPlaceILin1ELin1ELi16ELi16EhlNS0_4GTOpIhLb1EEEmEEvNS_4cuda6detail10TensorInfoIT3_T6_EES8_S8_S8_NS6_IT4_S8_EES8_T5_
	.p2align	8
	.type	_ZN2at6native20bitonicSortKVInPlaceILin1ELin1ELi16ELi16EhlNS0_4GTOpIhLb1EEEmEEvNS_4cuda6detail10TensorInfoIT3_T6_EES8_S8_S8_NS6_IT4_S8_EES8_T5_,@function
_ZN2at6native20bitonicSortKVInPlaceILin1ELin1ELi16ELi16EhlNS0_4GTOpIhLb1EEEmEEvNS_4cuda6detail10TensorInfoIT3_T6_EES8_S8_S8_NS6_IT4_S8_EES8_T5_: ; @_ZN2at6native20bitonicSortKVInPlaceILin1ELin1ELi16ELi16EhlNS0_4GTOpIhLb1EEEmEEvNS_4cuda6detail10TensorInfoIT3_T6_EES8_S8_S8_NS6_IT4_S8_EES8_T5_
; %bb.0:
	s_load_dwordx2 s[0:1], s[4:5], 0x368
	s_load_dwordx4 s[12:15], s[4:5], 0x1a0
	s_load_dword s9, s[4:5], 0x374
	s_add_u32 s2, s4, 0x368
	s_addc_u32 s3, s5, 0
	s_waitcnt lgkmcnt(0)
	s_mul_i32 s1, s1, s8
	s_add_i32 s1, s1, s7
	s_mul_i32 s0, s1, s0
	s_add_i32 s0, s0, s6
	s_lshr_b32 s6, s9, 16
	s_mul_hi_u32 s1, s0, s6
	s_mul_i32 s0, s0, s6
	v_pk_mov_b32 v[2:3], s[12:13], s[12:13] op_sel:[0,1]
	v_cmp_ge_u64_e32 vcc, s[0:1], v[2:3]
	s_cbranch_vccnz .LBB7_99
; %bb.1:
	v_mov_b32_e32 v1, s1
	s_load_dwordx2 s[6:7], s[4:5], 0x1b0
	s_load_dword s1, s[4:5], 0x198
	v_bfe_u32 v16, v0, 10, 10
	v_add_co_u32_e32 v4, vcc, s0, v16
	v_addc_co_u32_e32 v5, vcc, 0, v1, vcc
	v_mov_b32_e32 v8, 0
	s_waitcnt lgkmcnt(0)
	s_cmp_lt_i32 s1, 2
	v_pk_mov_b32 v[2:3], 0, 0
	v_pk_mov_b32 v[6:7], v[4:5], v[4:5] op_sel:[0,1]
	s_cbranch_scc1 .LBB7_9
; %bb.2:
	s_add_i32 s18, s1, 1
	s_add_i32 s0, s1, -1
	s_mov_b32 s1, 0
	s_lshl_b64 s[0:1], s[0:1], 3
	s_add_u32 s0, s0, s4
	s_addc_u32 s1, s1, s5
	s_add_u32 s8, s0, 8
	s_addc_u32 s9, s1, 0
	v_pk_mov_b32 v[2:3], 0, 0
	v_pk_mov_b32 v[10:11], v[4:5], v[4:5] op_sel:[0,1]
.LBB7_3:                                ; =>This Inner Loop Header: Depth=1
	s_load_dwordx2 s[10:11], s[8:9], 0x0
                                        ; implicit-def: $vgpr6_vgpr7
	s_waitcnt lgkmcnt(0)
	v_or_b32_e32 v9, s11, v11
	v_cmp_ne_u64_e32 vcc, 0, v[8:9]
	s_and_saveexec_b64 s[0:1], vcc
	s_xor_b64 s[16:17], exec, s[0:1]
	s_cbranch_execz .LBB7_5
; %bb.4:                                ;   in Loop: Header=BB7_3 Depth=1
	v_cvt_f32_u32_e32 v1, s10
	v_cvt_f32_u32_e32 v6, s11
	s_sub_u32 s0, 0, s10
	s_subb_u32 s1, 0, s11
	v_mac_f32_e32 v1, 0x4f800000, v6
	v_rcp_f32_e32 v1, v1
	v_mul_f32_e32 v1, 0x5f7ffffc, v1
	v_mul_f32_e32 v6, 0x2f800000, v1
	v_trunc_f32_e32 v6, v6
	v_mac_f32_e32 v1, 0xcf800000, v6
	v_cvt_u32_f32_e32 v6, v6
	v_cvt_u32_f32_e32 v1, v1
	v_mul_lo_u32 v7, s0, v6
	v_mul_hi_u32 v12, s0, v1
	v_mul_lo_u32 v9, s1, v1
	v_add_u32_e32 v7, v12, v7
	v_mul_lo_u32 v13, s0, v1
	v_add_u32_e32 v7, v7, v9
	v_mul_hi_u32 v12, v1, v13
	v_mul_lo_u32 v14, v1, v7
	v_mul_hi_u32 v9, v1, v7
	v_add_co_u32_e32 v12, vcc, v12, v14
	v_addc_co_u32_e32 v9, vcc, 0, v9, vcc
	v_mul_hi_u32 v15, v6, v13
	v_mul_lo_u32 v13, v6, v13
	v_add_co_u32_e32 v12, vcc, v12, v13
	v_mul_hi_u32 v14, v6, v7
	v_addc_co_u32_e32 v9, vcc, v9, v15, vcc
	v_addc_co_u32_e32 v12, vcc, 0, v14, vcc
	v_mul_lo_u32 v7, v6, v7
	v_add_co_u32_e32 v7, vcc, v9, v7
	v_addc_co_u32_e32 v9, vcc, 0, v12, vcc
	v_add_co_u32_e32 v1, vcc, v1, v7
	v_addc_co_u32_e32 v6, vcc, v6, v9, vcc
	v_mul_lo_u32 v7, s0, v6
	v_mul_hi_u32 v9, s0, v1
	v_add_u32_e32 v7, v9, v7
	v_mul_lo_u32 v9, s1, v1
	v_add_u32_e32 v7, v7, v9
	v_mul_lo_u32 v12, s0, v1
	v_mul_hi_u32 v13, v6, v12
	v_mul_lo_u32 v14, v6, v12
	v_mul_lo_u32 v17, v1, v7
	v_mul_hi_u32 v12, v1, v12
	v_mul_hi_u32 v15, v1, v7
	v_add_co_u32_e32 v12, vcc, v12, v17
	v_addc_co_u32_e32 v15, vcc, 0, v15, vcc
	v_add_co_u32_e32 v12, vcc, v12, v14
	v_mul_hi_u32 v9, v6, v7
	v_addc_co_u32_e32 v12, vcc, v15, v13, vcc
	v_addc_co_u32_e32 v9, vcc, 0, v9, vcc
	v_mul_lo_u32 v7, v6, v7
	v_add_co_u32_e32 v7, vcc, v12, v7
	v_addc_co_u32_e32 v9, vcc, 0, v9, vcc
	v_add_co_u32_e32 v1, vcc, v1, v7
	v_addc_co_u32_e32 v9, vcc, v6, v9, vcc
	v_mad_u64_u32 v[6:7], s[0:1], v10, v9, 0
	v_mul_hi_u32 v12, v10, v1
	v_add_co_u32_e32 v14, vcc, v12, v6
	v_addc_co_u32_e32 v15, vcc, 0, v7, vcc
	v_mad_u64_u32 v[12:13], s[0:1], v11, v1, 0
	v_add_co_u32_e32 v1, vcc, v14, v12
	v_mad_u64_u32 v[6:7], s[0:1], v11, v9, 0
	v_addc_co_u32_e32 v1, vcc, v15, v13, vcc
	v_addc_co_u32_e32 v7, vcc, 0, v7, vcc
	v_add_co_u32_e32 v1, vcc, v1, v6
	v_addc_co_u32_e32 v9, vcc, 0, v7, vcc
	v_mul_lo_u32 v12, s11, v1
	v_mul_lo_u32 v13, s10, v9
	v_mad_u64_u32 v[6:7], s[0:1], s10, v1, 0
	v_add3_u32 v7, v7, v13, v12
	v_sub_u32_e32 v12, v11, v7
	v_mov_b32_e32 v13, s11
	v_sub_co_u32_e32 v6, vcc, v10, v6
	v_subb_co_u32_e64 v12, s[0:1], v12, v13, vcc
	v_subrev_co_u32_e64 v13, s[0:1], s10, v6
	v_subbrev_co_u32_e64 v12, s[0:1], 0, v12, s[0:1]
	v_cmp_le_u32_e64 s[0:1], s11, v12
	v_cndmask_b32_e64 v14, 0, -1, s[0:1]
	v_cmp_le_u32_e64 s[0:1], s10, v13
	v_cndmask_b32_e64 v13, 0, -1, s[0:1]
	v_cmp_eq_u32_e64 s[0:1], s11, v12
	v_cndmask_b32_e64 v12, v14, v13, s[0:1]
	v_add_co_u32_e64 v13, s[0:1], 2, v1
	v_addc_co_u32_e64 v14, s[0:1], 0, v9, s[0:1]
	v_add_co_u32_e64 v15, s[0:1], 1, v1
	v_addc_co_u32_e64 v17, s[0:1], 0, v9, s[0:1]
	v_subb_co_u32_e32 v7, vcc, v11, v7, vcc
	v_cmp_ne_u32_e64 s[0:1], 0, v12
	v_cmp_le_u32_e32 vcc, s11, v7
	v_cndmask_b32_e64 v12, v17, v14, s[0:1]
	v_cndmask_b32_e64 v14, 0, -1, vcc
	v_cmp_le_u32_e32 vcc, s10, v6
	v_cndmask_b32_e64 v6, 0, -1, vcc
	v_cmp_eq_u32_e32 vcc, s11, v7
	v_cndmask_b32_e32 v6, v14, v6, vcc
	v_cmp_ne_u32_e32 vcc, 0, v6
	v_cndmask_b32_e64 v6, v15, v13, s[0:1]
	v_cndmask_b32_e32 v7, v9, v12, vcc
	v_cndmask_b32_e32 v6, v1, v6, vcc
.LBB7_5:                                ;   in Loop: Header=BB7_3 Depth=1
	s_andn2_saveexec_b64 s[0:1], s[16:17]
	s_cbranch_execz .LBB7_7
; %bb.6:                                ;   in Loop: Header=BB7_3 Depth=1
	v_cvt_f32_u32_e32 v1, s10
	s_sub_i32 s16, 0, s10
	v_rcp_iflag_f32_e32 v1, v1
	v_mul_f32_e32 v1, 0x4f7ffffe, v1
	v_cvt_u32_f32_e32 v1, v1
	v_mul_lo_u32 v6, s16, v1
	v_mul_hi_u32 v6, v1, v6
	v_add_u32_e32 v1, v1, v6
	v_mul_hi_u32 v1, v10, v1
	v_mul_lo_u32 v6, v1, s10
	v_sub_u32_e32 v6, v10, v6
	v_add_u32_e32 v7, 1, v1
	v_subrev_u32_e32 v9, s10, v6
	v_cmp_le_u32_e32 vcc, s10, v6
	v_cndmask_b32_e32 v6, v6, v9, vcc
	v_cndmask_b32_e32 v1, v1, v7, vcc
	v_add_u32_e32 v7, 1, v1
	v_cmp_le_u32_e32 vcc, s10, v6
	v_cndmask_b32_e32 v6, v1, v7, vcc
	v_mov_b32_e32 v7, v8
.LBB7_7:                                ;   in Loop: Header=BB7_3 Depth=1
	s_or_b64 exec, exec, s[0:1]
	v_mad_u64_u32 v[12:13], s[0:1], v6, s10, 0
	s_load_dwordx2 s[0:1], s[8:9], 0xc8
	v_mul_lo_u32 v1, v7, s10
	v_mul_lo_u32 v9, v6, s11
	v_add3_u32 v1, v13, v9, v1
	v_sub_co_u32_e32 v9, vcc, v10, v12
	s_add_i32 s18, s18, -1
	v_subb_co_u32_e32 v1, vcc, v11, v1, vcc
	s_add_u32 s8, s8, -8
	s_waitcnt lgkmcnt(0)
	v_mul_lo_u32 v1, s0, v1
	v_mul_lo_u32 v10, s1, v9
	v_mad_u64_u32 v[2:3], s[0:1], s0, v9, v[2:3]
	s_addc_u32 s9, s9, -1
	s_cmp_gt_u32 s18, 2
	v_add3_u32 v3, v10, v3, v1
	s_cbranch_scc0 .LBB7_9
; %bb.8:                                ;   in Loop: Header=BB7_3 Depth=1
	v_pk_mov_b32 v[10:11], v[6:7], v[6:7] op_sel:[0,1]
	s_branch .LBB7_3
.LBB7_9:
	s_load_dword s0, s[4:5], 0x350
	s_load_dwordx2 s[10:11], s[4:5], 0xd0
	v_pk_mov_b32 v[8:9], 0, 0
	v_pk_mov_b32 v[14:15], v[4:5], v[4:5] op_sel:[0,1]
	s_waitcnt lgkmcnt(0)
	s_cmp_lt_i32 s0, 2
	s_cbranch_scc1 .LBB7_17
; %bb.10:
	s_add_i32 s20, s0, 1
	s_add_i32 s0, s0, -1
	s_mov_b32 s1, 0
	s_lshl_b64 s[0:1], s[0:1], 3
	s_add_u32 s0, s0, s4
	s_addc_u32 s1, s1, s5
	s_add_u32 s8, s0, 0x1c0
	s_addc_u32 s9, s1, 0
	v_pk_mov_b32 v[8:9], 0, 0
	v_mov_b32_e32 v10, 0
	v_pk_mov_b32 v[12:13], v[4:5], v[4:5] op_sel:[0,1]
.LBB7_11:                               ; =>This Inner Loop Header: Depth=1
	s_load_dwordx2 s[16:17], s[8:9], 0x0
                                        ; implicit-def: $vgpr14_vgpr15
	s_waitcnt lgkmcnt(0)
	v_or_b32_e32 v11, s17, v13
	v_cmp_ne_u64_e32 vcc, 0, v[10:11]
	s_and_saveexec_b64 s[0:1], vcc
	s_xor_b64 s[18:19], exec, s[0:1]
	s_cbranch_execz .LBB7_13
; %bb.12:                               ;   in Loop: Header=BB7_11 Depth=1
	v_cvt_f32_u32_e32 v1, s16
	v_cvt_f32_u32_e32 v11, s17
	s_sub_u32 s0, 0, s16
	s_subb_u32 s1, 0, s17
	v_mac_f32_e32 v1, 0x4f800000, v11
	v_rcp_f32_e32 v1, v1
	v_mul_f32_e32 v1, 0x5f7ffffc, v1
	v_mul_f32_e32 v11, 0x2f800000, v1
	v_trunc_f32_e32 v11, v11
	v_mac_f32_e32 v1, 0xcf800000, v11
	v_cvt_u32_f32_e32 v11, v11
	v_cvt_u32_f32_e32 v1, v1
	v_mul_lo_u32 v14, s0, v11
	v_mul_hi_u32 v17, s0, v1
	v_mul_lo_u32 v15, s1, v1
	v_add_u32_e32 v14, v17, v14
	v_mul_lo_u32 v18, s0, v1
	v_add_u32_e32 v14, v14, v15
	v_mul_hi_u32 v17, v1, v18
	v_mul_lo_u32 v19, v1, v14
	v_mul_hi_u32 v15, v1, v14
	v_add_co_u32_e32 v17, vcc, v17, v19
	v_addc_co_u32_e32 v15, vcc, 0, v15, vcc
	v_mul_hi_u32 v20, v11, v18
	v_mul_lo_u32 v18, v11, v18
	v_add_co_u32_e32 v17, vcc, v17, v18
	v_mul_hi_u32 v19, v11, v14
	v_addc_co_u32_e32 v15, vcc, v15, v20, vcc
	v_addc_co_u32_e32 v17, vcc, 0, v19, vcc
	v_mul_lo_u32 v14, v11, v14
	v_add_co_u32_e32 v14, vcc, v15, v14
	v_addc_co_u32_e32 v15, vcc, 0, v17, vcc
	v_add_co_u32_e32 v1, vcc, v1, v14
	v_addc_co_u32_e32 v11, vcc, v11, v15, vcc
	v_mul_lo_u32 v14, s0, v11
	v_mul_hi_u32 v15, s0, v1
	v_add_u32_e32 v14, v15, v14
	v_mul_lo_u32 v15, s1, v1
	v_add_u32_e32 v14, v14, v15
	v_mul_lo_u32 v17, s0, v1
	v_mul_hi_u32 v18, v11, v17
	v_mul_lo_u32 v19, v11, v17
	v_mul_lo_u32 v21, v1, v14
	v_mul_hi_u32 v17, v1, v17
	v_mul_hi_u32 v20, v1, v14
	v_add_co_u32_e32 v17, vcc, v17, v21
	v_addc_co_u32_e32 v20, vcc, 0, v20, vcc
	v_add_co_u32_e32 v17, vcc, v17, v19
	v_mul_hi_u32 v15, v11, v14
	v_addc_co_u32_e32 v17, vcc, v20, v18, vcc
	v_addc_co_u32_e32 v15, vcc, 0, v15, vcc
	v_mul_lo_u32 v14, v11, v14
	v_add_co_u32_e32 v14, vcc, v17, v14
	v_addc_co_u32_e32 v15, vcc, 0, v15, vcc
	v_add_co_u32_e32 v1, vcc, v1, v14
	v_addc_co_u32_e32 v11, vcc, v11, v15, vcc
	v_mad_u64_u32 v[14:15], s[0:1], v12, v11, 0
	v_mul_hi_u32 v17, v12, v1
	v_add_co_u32_e32 v17, vcc, v17, v14
	v_addc_co_u32_e32 v20, vcc, 0, v15, vcc
	v_mad_u64_u32 v[18:19], s[0:1], v13, v1, 0
	v_add_co_u32_e32 v1, vcc, v17, v18
	v_mad_u64_u32 v[14:15], s[0:1], v13, v11, 0
	v_addc_co_u32_e32 v1, vcc, v20, v19, vcc
	v_addc_co_u32_e32 v11, vcc, 0, v15, vcc
	v_add_co_u32_e32 v1, vcc, v1, v14
	v_addc_co_u32_e32 v11, vcc, 0, v11, vcc
	v_mul_lo_u32 v17, s17, v1
	v_mul_lo_u32 v18, s16, v11
	v_mad_u64_u32 v[14:15], s[0:1], s16, v1, 0
	v_add3_u32 v15, v15, v18, v17
	v_sub_u32_e32 v17, v13, v15
	v_mov_b32_e32 v18, s17
	v_sub_co_u32_e32 v14, vcc, v12, v14
	v_subb_co_u32_e64 v17, s[0:1], v17, v18, vcc
	v_subrev_co_u32_e64 v18, s[0:1], s16, v14
	v_subbrev_co_u32_e64 v17, s[0:1], 0, v17, s[0:1]
	v_cmp_le_u32_e64 s[0:1], s17, v17
	v_cndmask_b32_e64 v19, 0, -1, s[0:1]
	v_cmp_le_u32_e64 s[0:1], s16, v18
	v_cndmask_b32_e64 v18, 0, -1, s[0:1]
	v_cmp_eq_u32_e64 s[0:1], s17, v17
	v_cndmask_b32_e64 v17, v19, v18, s[0:1]
	v_add_co_u32_e64 v18, s[0:1], 2, v1
	v_addc_co_u32_e64 v19, s[0:1], 0, v11, s[0:1]
	v_add_co_u32_e64 v20, s[0:1], 1, v1
	v_addc_co_u32_e64 v21, s[0:1], 0, v11, s[0:1]
	v_subb_co_u32_e32 v15, vcc, v13, v15, vcc
	v_cmp_ne_u32_e64 s[0:1], 0, v17
	v_cmp_le_u32_e32 vcc, s17, v15
	v_cndmask_b32_e64 v17, v21, v19, s[0:1]
	v_cndmask_b32_e64 v19, 0, -1, vcc
	v_cmp_le_u32_e32 vcc, s16, v14
	v_cndmask_b32_e64 v14, 0, -1, vcc
	v_cmp_eq_u32_e32 vcc, s17, v15
	v_cndmask_b32_e32 v14, v19, v14, vcc
	v_cmp_ne_u32_e32 vcc, 0, v14
	v_cndmask_b32_e32 v15, v11, v17, vcc
	v_cndmask_b32_e64 v11, v20, v18, s[0:1]
	v_cndmask_b32_e32 v14, v1, v11, vcc
.LBB7_13:                               ;   in Loop: Header=BB7_11 Depth=1
	s_andn2_saveexec_b64 s[0:1], s[18:19]
	s_cbranch_execz .LBB7_15
; %bb.14:                               ;   in Loop: Header=BB7_11 Depth=1
	v_cvt_f32_u32_e32 v1, s16
	s_sub_i32 s18, 0, s16
	v_rcp_iflag_f32_e32 v1, v1
	v_mul_f32_e32 v1, 0x4f7ffffe, v1
	v_cvt_u32_f32_e32 v1, v1
	v_mul_lo_u32 v11, s18, v1
	v_mul_hi_u32 v11, v1, v11
	v_add_u32_e32 v1, v1, v11
	v_mul_hi_u32 v1, v12, v1
	v_mul_lo_u32 v11, v1, s16
	v_sub_u32_e32 v11, v12, v11
	v_add_u32_e32 v14, 1, v1
	v_subrev_u32_e32 v15, s16, v11
	v_cmp_le_u32_e32 vcc, s16, v11
	v_cndmask_b32_e32 v11, v11, v15, vcc
	v_cndmask_b32_e32 v1, v1, v14, vcc
	v_add_u32_e32 v14, 1, v1
	v_cmp_le_u32_e32 vcc, s16, v11
	v_cndmask_b32_e32 v14, v1, v14, vcc
	v_mov_b32_e32 v15, v10
.LBB7_15:                               ;   in Loop: Header=BB7_11 Depth=1
	s_or_b64 exec, exec, s[0:1]
	v_mad_u64_u32 v[18:19], s[0:1], v14, s16, 0
	s_load_dwordx2 s[0:1], s[8:9], 0xc8
	v_mul_lo_u32 v1, v15, s16
	v_mul_lo_u32 v11, v14, s17
	v_add3_u32 v1, v19, v11, v1
	v_sub_co_u32_e32 v11, vcc, v12, v18
	s_add_i32 s20, s20, -1
	v_subb_co_u32_e32 v1, vcc, v13, v1, vcc
	s_add_u32 s8, s8, -8
	s_waitcnt lgkmcnt(0)
	v_mul_lo_u32 v1, s0, v1
	v_mul_lo_u32 v12, s1, v11
	v_mad_u64_u32 v[8:9], s[0:1], s0, v11, v[8:9]
	s_addc_u32 s9, s9, -1
	s_cmp_gt_u32 s20, 2
	v_add3_u32 v9, v12, v9, v1
	s_cbranch_scc0 .LBB7_17
; %bb.16:                               ;   in Loop: Header=BB7_11 Depth=1
	v_pk_mov_b32 v[12:13], v[14:15], v[14:15] op_sel:[0,1]
	s_branch .LBB7_11
.LBB7_17:
	s_load_dwordx2 s[0:1], s[4:5], 0x288
	s_load_dwordx2 s[8:9], s[4:5], 0x358
	s_load_dwordx2 s[16:17], s[4:5], 0x0
	s_load_dwordx2 s[18:19], s[4:5], 0x1b8
	v_cmp_gt_u64_e32 vcc, s[12:13], v[4:5]
	s_load_dword s12, s[2:3], 0xc
	s_waitcnt lgkmcnt(0)
	v_mul_lo_u32 v1, s1, v14
	v_mul_lo_u32 v10, s0, v15
	v_mad_u64_u32 v[4:5], s[0:1], s0, v14, 0
	v_add3_u32 v5, v5, v10, v1
	v_pk_mov_b32 v[10:11], s[16:17], s[16:17] op_sel:[0,1]
	v_mad_u64_u32 v[10:11], s[0:1], s10, v6, v[10:11]
	v_mul_lo_u32 v1, s10, v7
	v_mul_lo_u32 v6, s11, v6
	v_add3_u32 v1, v6, v11, v1
	v_add_co_u32_e64 v2, s[0:1], v10, v2
	v_addc_co_u32_e64 v3, s[0:1], v1, v3, s[0:1]
	v_lshlrev_b64 v[4:5], 3, v[4:5]
	v_mov_b32_e32 v1, s19
	v_add_co_u32_e64 v6, s[0:1], s18, v4
	v_addc_co_u32_e64 v1, s[0:1], v1, v5, s[0:1]
	v_lshlrev_b64 v[4:5], 3, v[8:9]
	v_add_co_u32_e64 v10, s[0:1], v6, v4
	v_addc_co_u32_e64 v11, s[0:1], v1, v5, s[0:1]
	v_mov_b32_e32 v1, 0
	v_and_b32_e32 v4, 0x3ff, v0
	v_mov_b32_e32 v5, v1
	v_cmp_gt_u64_e64 s[0:1], s[14:15], v[4:5]
	v_pk_mov_b32 v[6:7], 0, 0
	s_and_b64 s[4:5], vcc, s[0:1]
	v_mov_b32_e32 v0, 0
	v_pk_mov_b32 v[8:9], v[6:7], v[6:7] op_sel:[0,1]
	s_and_saveexec_b64 s[10:11], s[4:5]
	s_cbranch_execz .LBB7_19
; %bb.18:
	v_mad_u64_u32 v[8:9], s[2:3], v4, s6, v[2:3]
	v_mov_b32_e32 v0, v9
	v_mad_u64_u32 v[12:13], s[2:3], v4, s7, v[0:1]
	v_mov_b32_e32 v9, v12
	global_load_ubyte v0, v[8:9], off
	v_mad_u64_u32 v[8:9], s[2:3], v4, s8, 0
	v_mov_b32_e32 v12, v9
	v_mad_u64_u32 v[12:13], s[2:3], v4, s9, v[12:13]
	v_mov_b32_e32 v9, v12
	v_lshlrev_b64 v[8:9], 3, v[8:9]
	v_add_co_u32_e64 v8, s[2:3], v10, v8
	v_addc_co_u32_e64 v9, s[2:3], v11, v9, s[2:3]
	global_load_dwordx2 v[8:9], v[8:9], off
.LBB7_19:
	s_or_b64 exec, exec, s[10:11]
	v_lshlrev_b32_e32 v5, 5, v16
	v_add_u32_e32 v18, 0x1000, v5
	v_add_u32_e32 v17, 0x1200, v5
	;; [unrolled: 1-line block ×3, first 2 shown]
	s_and_b32 s16, 0xffff, s12
	v_cndmask_b32_e64 v13, 0, 1, s[4:5]
	s_waitcnt vmcnt(1)
	ds_write_b8 v12, v0
	v_add_u32_e32 v0, v17, v4
	ds_write_b8 v0, v13
	v_add_u32_e32 v0, s16, v4
	v_lshlrev_b32_e32 v15, 8, v16
	v_cmp_gt_u64_e64 s[2:3], s[14:15], v[0:1]
	v_lshl_add_u32 v5, v4, 3, v15
	s_and_b64 s[10:11], vcc, s[2:3]
	s_waitcnt vmcnt(0)
	ds_write_b64 v5, v[8:9]
	s_and_saveexec_b64 s[12:13], s[10:11]
	s_cbranch_execz .LBB7_21
; %bb.20:
	v_mad_u64_u32 v[6:7], s[4:5], v0, s6, v[2:3]
	v_mov_b32_e32 v8, v7
	v_mad_u64_u32 v[8:9], s[4:5], v0, s7, v[8:9]
	v_mov_b32_e32 v7, v8
	global_load_ubyte v1, v[6:7], off
	v_mad_u64_u32 v[6:7], s[4:5], v0, s8, 0
	v_mov_b32_e32 v8, v7
	v_mad_u64_u32 v[8:9], s[4:5], v0, s9, v[8:9]
	v_mov_b32_e32 v7, v8
	v_lshlrev_b64 v[6:7], 3, v[6:7]
	v_add_co_u32_e64 v6, s[4:5], v10, v6
	v_addc_co_u32_e64 v7, s[4:5], v11, v7, s[4:5]
	global_load_dwordx2 v[6:7], v[6:7], off
.LBB7_21:
	s_or_b64 exec, exec, s[12:13]
	v_add_u32_e32 v8, v18, v0
	s_waitcnt vmcnt(1)
	ds_write_b8 v8, v1
	v_lshl_add_u32 v1, s16, 3, v5
	v_lshlrev_b32_e32 v19, 1, v4
	v_cndmask_b32_e64 v9, 0, 1, s[10:11]
	s_waitcnt vmcnt(0)
	ds_write_b64 v1, v[6:7]
	v_add_u32_e32 v6, v17, v0
	v_add_u32_e32 v7, v18, v19
	ds_write_b8 v6, v9
	s_waitcnt lgkmcnt(0)
	s_barrier
	ds_read_u16 v13, v7
	s_mov_b32 s14, 1
	v_add_u32_e32 v6, v17, v19
	s_waitcnt lgkmcnt(0)
	v_cmp_le_u16_sdwa s[10:11], v13, v13 src0_sel:BYTE_0 src1_sel:BYTE_1
	v_cmp_gt_u16_sdwa s[4:5], v13, v13 src0_sel:BYTE_0 src1_sel:BYTE_1
	s_and_saveexec_b64 s[12:13], s[4:5]
	s_xor_b64 s[12:13], exec, s[12:13]
	s_cbranch_execz .LBB7_23
; %bb.22:
	ds_read_u8 v9, v6
	s_andn2_b64 s[10:11], s[10:11], exec
	s_waitcnt lgkmcnt(0)
	v_and_b32_e32 v9, 1, v9
	v_cmp_eq_u32_e64 s[4:5], 1, v9
	s_xor_b64 s[4:5], s[4:5], -1
	s_and_b64 s[4:5], s[4:5], exec
	s_or_b64 s[10:11], s[10:11], s[4:5]
.LBB7_23:
	s_or_b64 exec, exec, s[12:13]
	v_mov_b32_e32 v16, s14
	s_and_saveexec_b64 s[4:5], s[10:11]
	s_cbranch_execz .LBB7_25
; %bb.24:
	ds_read_u8 v9, v6 offset:1
	s_waitcnt lgkmcnt(0)
	v_xor_b32_e32 v16, 1, v9
.LBB7_25:
	s_or_b64 exec, exec, s[4:5]
	v_and_b32_e32 v14, 1, v4
	v_lshlrev_b32_e32 v9, 3, v4
	v_cmp_eq_u32_e64 s[4:5], v16, v14
	s_and_saveexec_b64 s[10:11], s[4:5]
	s_cbranch_execz .LBB7_27
; %bb.26:
	v_add_u32_e32 v16, v5, v9
	ds_read_b128 v[20:23], v16
	ds_read_u16 v26, v6
	v_lshlrev_b16_e32 v24, 8, v13
	v_or_b32_sdwa v13, v13, v24 dst_sel:DWORD dst_unused:UNUSED_PAD src0_sel:BYTE_1 src1_sel:DWORD
	s_mov_b32 s4, 0xc0c0001
	ds_write_b16 v7, v13
	s_waitcnt lgkmcnt(2)
	v_mov_b32_e32 v24, v20
	v_mov_b32_e32 v25, v21
	s_waitcnt lgkmcnt(1)
	v_perm_b32 v13, 0, v26, s4
	ds_write_b128 v16, v[22:25]
	ds_write_b16 v6, v13
.LBB7_27:
	s_or_b64 exec, exec, s[10:11]
	v_sub_u32_e32 v16, v19, v14
	v_add_u32_e32 v13, v18, v16
	s_waitcnt lgkmcnt(0)
	s_barrier
	ds_read_u8 v21, v13
	ds_read_u8 v22, v13 offset:2
	s_mov_b64 s[10:11], -1
	v_add_u32_e32 v14, v17, v16
                                        ; implicit-def: $sgpr14
	s_waitcnt lgkmcnt(0)
	v_cmp_gt_u16_e64 s[4:5], v21, v22
	s_and_saveexec_b64 s[12:13], s[4:5]
	s_xor_b64 s[12:13], exec, s[12:13]
	s_cbranch_execz .LBB7_29
; %bb.28:
	ds_read_u8 v20, v14
	s_mov_b32 s14, 1
	s_waitcnt lgkmcnt(0)
	v_and_b32_e32 v20, 1, v20
	v_cmp_eq_u32_e64 s[4:5], 1, v20
	s_xor_b64 s[4:5], s[4:5], -1
	s_orn2_b64 s[10:11], s[4:5], exec
.LBB7_29:
	s_or_b64 exec, exec, s[12:13]
	v_mov_b32_e32 v23, s14
	s_and_saveexec_b64 s[4:5], s[10:11]
	s_cbranch_execz .LBB7_31
; %bb.30:
	ds_read_u8 v20, v14 offset:2
	s_waitcnt lgkmcnt(0)
	v_xor_b32_e32 v23, 1, v20
.LBB7_31:
	s_or_b64 exec, exec, s[4:5]
	v_bfe_u32 v20, v4, 1, 1
	v_lshl_add_u32 v16, v16, 3, v15
	v_cmp_eq_u32_e64 s[4:5], v23, v20
	s_and_saveexec_b64 s[10:11], s[4:5]
	s_cbranch_execz .LBB7_33
; %bb.32:
	ds_read2_b64 v[24:27], v16 offset1:2
	ds_read_u8 v23, v14 offset:2
	ds_read_u8 v28, v14
	ds_write_b8 v13, v22
	ds_write_b8 v13, v21 offset:2
	s_waitcnt lgkmcnt(4)
	ds_write2_b64 v16, v[26:27], v[24:25] offset1:2
	s_waitcnt lgkmcnt(4)
	ds_write_b8 v14, v23
	s_waitcnt lgkmcnt(4)
	ds_write_b8 v14, v28 offset:2
.LBB7_33:
	s_or_b64 exec, exec, s[10:11]
	s_waitcnt lgkmcnt(0)
	s_barrier
	ds_read_u16 v21, v7
                                        ; implicit-def: $sgpr14
	s_waitcnt lgkmcnt(0)
	v_cmp_le_u16_sdwa s[10:11], v21, v21 src0_sel:BYTE_0 src1_sel:BYTE_1
	v_cmp_gt_u16_sdwa s[4:5], v21, v21 src0_sel:BYTE_0 src1_sel:BYTE_1
	s_and_saveexec_b64 s[12:13], s[4:5]
	s_cbranch_execnz .LBB7_100
; %bb.34:
	s_or_b64 exec, exec, s[12:13]
	v_mov_b32_e32 v22, s14
	s_and_saveexec_b64 s[4:5], s[10:11]
	s_cbranch_execnz .LBB7_101
.LBB7_35:
	s_or_b64 exec, exec, s[4:5]
	v_cmp_eq_u32_e64 s[4:5], v22, v20
	s_and_saveexec_b64 s[10:11], s[4:5]
	s_cbranch_execz .LBB7_37
.LBB7_36:
	v_add_u32_e32 v26, v5, v9
	ds_read_b128 v[22:25], v26
	ds_read_u16 v27, v6
	v_lshlrev_b16_e32 v20, 8, v21
	v_or_b32_sdwa v20, v21, v20 dst_sel:DWORD dst_unused:UNUSED_PAD src0_sel:BYTE_1 src1_sel:DWORD
	ds_write_b16 v7, v20
	s_waitcnt lgkmcnt(2)
	v_mov_b32_e32 v20, v24
	v_mov_b32_e32 v21, v25
	s_mov_b32 s4, 0xc0c0001
	ds_write_b128 v26, v[20:23]
	s_waitcnt lgkmcnt(2)
	v_perm_b32 v20, 0, v27, s4
	ds_write_b16 v6, v20
.LBB7_37:
	s_or_b64 exec, exec, s[10:11]
	v_and_b32_e32 v20, 3, v4
	v_sub_u32_e32 v22, v19, v20
	v_add_u32_e32 v20, v18, v22
	s_waitcnt lgkmcnt(0)
	s_barrier
	ds_read_u8 v24, v20
	ds_read_u8 v25, v20 offset:4
	v_add_u32_e32 v21, v17, v22
                                        ; implicit-def: $sgpr14
	s_waitcnt lgkmcnt(0)
	v_cmp_le_u16_e64 s[10:11], v24, v25
	v_cmp_gt_u16_e64 s[4:5], v24, v25
	s_and_saveexec_b64 s[12:13], s[4:5]
	s_cbranch_execz .LBB7_39
; %bb.38:
	ds_read_u8 v23, v21
	s_andn2_b64 s[10:11], s[10:11], exec
	s_mov_b32 s14, 1
	s_waitcnt lgkmcnt(0)
	v_and_b32_e32 v23, 1, v23
	v_cmp_eq_u32_e64 s[4:5], 1, v23
	s_xor_b64 s[4:5], s[4:5], -1
	s_and_b64 s[4:5], s[4:5], exec
	s_or_b64 s[10:11], s[10:11], s[4:5]
.LBB7_39:
	s_or_b64 exec, exec, s[12:13]
	v_mov_b32_e32 v26, s14
	s_and_saveexec_b64 s[4:5], s[10:11]
	s_cbranch_execz .LBB7_41
; %bb.40:
	ds_read_u8 v23, v21 offset:4
	s_waitcnt lgkmcnt(0)
	v_xor_b32_e32 v26, 1, v23
.LBB7_41:
	s_or_b64 exec, exec, s[4:5]
	v_bfe_u32 v23, v4, 2, 1
	v_lshl_add_u32 v22, v22, 3, v15
	v_cmp_eq_u32_e64 s[4:5], v26, v23
	s_and_saveexec_b64 s[10:11], s[4:5]
	s_cbranch_execz .LBB7_43
; %bb.42:
	ds_read2_b64 v[26:29], v22 offset1:4
	ds_read_u8 v30, v21 offset:4
	ds_read_u8 v31, v21
	ds_write_b8 v20, v25
	ds_write_b8 v20, v24 offset:4
	s_waitcnt lgkmcnt(4)
	ds_write2_b64 v22, v[28:29], v[26:27] offset1:4
	s_waitcnt lgkmcnt(4)
	ds_write_b8 v21, v30
	s_waitcnt lgkmcnt(4)
	ds_write_b8 v21, v31 offset:4
.LBB7_43:
	s_or_b64 exec, exec, s[10:11]
	s_waitcnt lgkmcnt(0)
	s_barrier
	ds_read_u8 v24, v13
	ds_read_u8 v25, v13 offset:2
                                        ; implicit-def: $sgpr14
	s_waitcnt lgkmcnt(0)
	v_cmp_le_u16_e64 s[10:11], v24, v25
	v_cmp_gt_u16_e64 s[4:5], v24, v25
	s_and_saveexec_b64 s[12:13], s[4:5]
	s_cbranch_execnz .LBB7_102
; %bb.44:
	s_or_b64 exec, exec, s[12:13]
	v_mov_b32_e32 v26, s14
	s_and_saveexec_b64 s[4:5], s[10:11]
	s_cbranch_execnz .LBB7_103
.LBB7_45:
	s_or_b64 exec, exec, s[4:5]
	v_cmp_eq_u32_e64 s[4:5], v26, v23
	s_and_saveexec_b64 s[10:11], s[4:5]
	s_cbranch_execz .LBB7_47
.LBB7_46:
	ds_read2_b64 v[26:29], v16 offset1:2
	ds_read_u8 v30, v14 offset:2
	ds_read_u8 v31, v14
	ds_write_b8 v13, v25
	ds_write_b8 v13, v24 offset:2
	s_waitcnt lgkmcnt(4)
	ds_write2_b64 v16, v[28:29], v[26:27] offset1:2
	s_waitcnt lgkmcnt(4)
	ds_write_b8 v14, v30
	s_waitcnt lgkmcnt(4)
	ds_write_b8 v14, v31 offset:2
.LBB7_47:
	s_or_b64 exec, exec, s[10:11]
	s_waitcnt lgkmcnt(0)
	s_barrier
	ds_read_u16 v24, v7
                                        ; implicit-def: $sgpr14
	s_waitcnt lgkmcnt(0)
	v_cmp_le_u16_sdwa s[10:11], v24, v24 src0_sel:BYTE_0 src1_sel:BYTE_1
	v_cmp_gt_u16_sdwa s[4:5], v24, v24 src0_sel:BYTE_0 src1_sel:BYTE_1
	s_and_saveexec_b64 s[12:13], s[4:5]
	s_cbranch_execnz .LBB7_104
; %bb.48:
	s_or_b64 exec, exec, s[12:13]
	v_mov_b32_e32 v25, s14
	s_and_saveexec_b64 s[4:5], s[10:11]
	s_cbranch_execnz .LBB7_105
.LBB7_49:
	s_or_b64 exec, exec, s[4:5]
	v_cmp_eq_u32_e64 s[4:5], v25, v23
	s_and_saveexec_b64 s[10:11], s[4:5]
	s_cbranch_execz .LBB7_51
.LBB7_50:
	v_add_u32_e32 v23, v5, v9
	ds_read_b128 v[26:29], v23
	ds_read_u16 v30, v6
	v_lshlrev_b16_e32 v25, 8, v24
	v_or_b32_sdwa v24, v24, v25 dst_sel:DWORD dst_unused:UNUSED_PAD src0_sel:BYTE_1 src1_sel:DWORD
	ds_write_b16 v7, v24
	s_waitcnt lgkmcnt(2)
	v_mov_b32_e32 v24, v28
	v_mov_b32_e32 v25, v29
	s_mov_b32 s4, 0xc0c0001
	ds_write_b128 v23, v[24:27]
	s_waitcnt lgkmcnt(2)
	v_perm_b32 v23, 0, v30, s4
	ds_write_b16 v6, v23
.LBB7_51:
	s_or_b64 exec, exec, s[10:11]
	v_and_b32_e32 v23, 7, v4
	v_sub_u32_e32 v25, v19, v23
	v_add_u32_e32 v23, v18, v25
	s_waitcnt lgkmcnt(0)
	s_barrier
	ds_read_u8 v27, v23
	ds_read_u8 v28, v23 offset:8
	v_add_u32_e32 v24, v17, v25
                                        ; implicit-def: $sgpr14
	s_waitcnt lgkmcnt(0)
	v_cmp_le_u16_e64 s[10:11], v27, v28
	v_cmp_gt_u16_e64 s[4:5], v27, v28
	s_and_saveexec_b64 s[12:13], s[4:5]
	s_cbranch_execz .LBB7_53
; %bb.52:
	ds_read_u8 v26, v24
	s_andn2_b64 s[10:11], s[10:11], exec
	s_mov_b32 s14, 1
	s_waitcnt lgkmcnt(0)
	v_and_b32_e32 v26, 1, v26
	v_cmp_eq_u32_e64 s[4:5], 1, v26
	s_xor_b64 s[4:5], s[4:5], -1
	s_and_b64 s[4:5], s[4:5], exec
	s_or_b64 s[10:11], s[10:11], s[4:5]
.LBB7_53:
	s_or_b64 exec, exec, s[12:13]
	v_mov_b32_e32 v29, s14
	s_and_saveexec_b64 s[4:5], s[10:11]
	s_cbranch_execz .LBB7_55
; %bb.54:
	ds_read_u8 v26, v24 offset:8
	s_waitcnt lgkmcnt(0)
	v_xor_b32_e32 v29, 1, v26
.LBB7_55:
	s_or_b64 exec, exec, s[4:5]
	v_bfe_u32 v26, v4, 3, 1
	v_lshl_add_u32 v25, v25, 3, v15
	v_cmp_eq_u32_e64 s[4:5], v29, v26
	s_and_saveexec_b64 s[10:11], s[4:5]
	s_cbranch_execz .LBB7_57
; %bb.56:
	ds_read2_b64 v[30:33], v25 offset1:8
	ds_read_u8 v29, v24 offset:8
	ds_read_u8 v34, v24
	ds_write_b8 v23, v28
	ds_write_b8 v23, v27 offset:8
	s_waitcnt lgkmcnt(4)
	ds_write2_b64 v25, v[32:33], v[30:31] offset1:8
	s_waitcnt lgkmcnt(4)
	ds_write_b8 v24, v29
	s_waitcnt lgkmcnt(4)
	ds_write_b8 v24, v34 offset:8
.LBB7_57:
	s_or_b64 exec, exec, s[10:11]
	s_waitcnt lgkmcnt(0)
	s_barrier
	ds_read_u8 v27, v20
	ds_read_u8 v28, v20 offset:4
                                        ; implicit-def: $sgpr14
	s_waitcnt lgkmcnt(0)
	v_cmp_le_u16_e64 s[10:11], v27, v28
	v_cmp_gt_u16_e64 s[4:5], v27, v28
	s_and_saveexec_b64 s[12:13], s[4:5]
	s_cbranch_execnz .LBB7_106
; %bb.58:
	s_or_b64 exec, exec, s[12:13]
	v_mov_b32_e32 v29, s14
	s_and_saveexec_b64 s[4:5], s[10:11]
	s_cbranch_execnz .LBB7_107
.LBB7_59:
	s_or_b64 exec, exec, s[4:5]
	v_cmp_eq_u32_e64 s[4:5], v29, v26
	s_and_saveexec_b64 s[10:11], s[4:5]
	s_cbranch_execz .LBB7_61
.LBB7_60:
	ds_read2_b64 v[30:33], v22 offset1:4
	ds_read_u8 v29, v21 offset:4
	ds_read_u8 v34, v21
	ds_write_b8 v20, v28
	ds_write_b8 v20, v27 offset:4
	s_waitcnt lgkmcnt(4)
	ds_write2_b64 v22, v[32:33], v[30:31] offset1:4
	s_waitcnt lgkmcnt(4)
	ds_write_b8 v21, v29
	s_waitcnt lgkmcnt(4)
	ds_write_b8 v21, v34 offset:4
.LBB7_61:
	s_or_b64 exec, exec, s[10:11]
	s_waitcnt lgkmcnt(0)
	s_barrier
	ds_read_u8 v27, v13
	ds_read_u8 v28, v13 offset:2
                                        ; implicit-def: $sgpr14
	s_waitcnt lgkmcnt(0)
	v_cmp_le_u16_e64 s[10:11], v27, v28
	v_cmp_gt_u16_e64 s[4:5], v27, v28
	s_and_saveexec_b64 s[12:13], s[4:5]
	s_cbranch_execnz .LBB7_108
; %bb.62:
	s_or_b64 exec, exec, s[12:13]
	v_mov_b32_e32 v29, s14
	s_and_saveexec_b64 s[4:5], s[10:11]
	s_cbranch_execnz .LBB7_109
.LBB7_63:
	s_or_b64 exec, exec, s[4:5]
	v_cmp_eq_u32_e64 s[4:5], v29, v26
	s_and_saveexec_b64 s[10:11], s[4:5]
	s_cbranch_execz .LBB7_65
.LBB7_64:
	ds_read2_b64 v[30:33], v16 offset1:2
	ds_read_u8 v29, v14 offset:2
	ds_read_u8 v34, v14
	ds_write_b8 v13, v28
	ds_write_b8 v13, v27 offset:2
	s_waitcnt lgkmcnt(4)
	ds_write2_b64 v16, v[32:33], v[30:31] offset1:2
	s_waitcnt lgkmcnt(4)
	ds_write_b8 v14, v29
	s_waitcnt lgkmcnt(4)
	ds_write_b8 v14, v34 offset:2
.LBB7_65:
	s_or_b64 exec, exec, s[10:11]
	s_waitcnt lgkmcnt(0)
	s_barrier
	ds_read_u16 v27, v7
                                        ; implicit-def: $sgpr14
	s_waitcnt lgkmcnt(0)
	v_cmp_le_u16_sdwa s[10:11], v27, v27 src0_sel:BYTE_0 src1_sel:BYTE_1
	v_cmp_gt_u16_sdwa s[4:5], v27, v27 src0_sel:BYTE_0 src1_sel:BYTE_1
	s_and_saveexec_b64 s[12:13], s[4:5]
	s_cbranch_execnz .LBB7_110
; %bb.66:
	s_or_b64 exec, exec, s[12:13]
	v_mov_b32_e32 v28, s14
	s_and_saveexec_b64 s[4:5], s[10:11]
	s_cbranch_execnz .LBB7_111
.LBB7_67:
	s_or_b64 exec, exec, s[4:5]
	v_cmp_eq_u32_e64 s[4:5], v28, v26
	s_and_saveexec_b64 s[10:11], s[4:5]
	s_cbranch_execz .LBB7_69
.LBB7_68:
	v_add_u32_e32 v32, v5, v9
	ds_read_b128 v[28:31], v32
	ds_read_u16 v33, v6
	v_lshlrev_b16_e32 v26, 8, v27
	v_or_b32_sdwa v26, v27, v26 dst_sel:DWORD dst_unused:UNUSED_PAD src0_sel:BYTE_1 src1_sel:DWORD
	ds_write_b16 v7, v26
	s_waitcnt lgkmcnt(2)
	v_mov_b32_e32 v26, v30
	v_mov_b32_e32 v27, v31
	s_mov_b32 s4, 0xc0c0001
	ds_write_b128 v32, v[26:29]
	s_waitcnt lgkmcnt(2)
	v_perm_b32 v26, 0, v33, s4
	ds_write_b16 v6, v26
.LBB7_69:
	s_or_b64 exec, exec, s[10:11]
	v_and_b32_e32 v26, 15, v4
	v_sub_u32_e32 v27, v19, v26
	v_add_u32_e32 v18, v18, v27
	s_waitcnt lgkmcnt(0)
	s_barrier
	ds_read_u8 v19, v18
	ds_read_u8 v26, v18 offset:16
	v_add_u32_e32 v17, v17, v27
	s_waitcnt lgkmcnt(0)
	v_cmp_le_u16_e64 s[12:13], v19, v26
	v_cmp_gt_u16_e64 s[4:5], v19, v26
	s_and_saveexec_b64 s[10:11], s[4:5]
	s_cbranch_execz .LBB7_71
; %bb.70:
	ds_read_u8 v28, v17
	s_andn2_b64 s[12:13], s[12:13], exec
	s_waitcnt lgkmcnt(0)
	v_and_b32_e32 v28, 1, v28
	v_cmp_eq_u32_e64 s[4:5], 1, v28
	s_xor_b64 s[4:5], s[4:5], -1
	s_and_b64 s[4:5], s[4:5], exec
	s_or_b64 s[12:13], s[12:13], s[4:5]
.LBB7_71:
	s_or_b64 exec, exec, s[10:11]
	s_and_saveexec_b64 s[10:11], s[12:13]
	s_cbranch_execz .LBB7_74
; %bb.72:
	ds_read_u8 v28, v17 offset:16
	s_waitcnt lgkmcnt(0)
	v_cmp_ne_u16_e64 s[4:5], 0, v28
	s_and_b64 exec, exec, s[4:5]
	s_cbranch_execz .LBB7_74
; %bb.73:
	v_lshl_add_u32 v15, v27, 3, v15
	ds_read2_b64 v[30:33], v15 offset1:16
	ds_read_u8 v27, v17
	ds_write_b8 v18, v26
	ds_write_b8 v18, v19 offset:16
	ds_write_b8 v17, v28
	s_waitcnt lgkmcnt(4)
	ds_write2_b64 v15, v[32:33], v[30:31] offset1:16
	s_waitcnt lgkmcnt(4)
	ds_write_b8 v17, v27 offset:16
.LBB7_74:
	s_or_b64 exec, exec, s[10:11]
	s_waitcnt lgkmcnt(0)
	s_barrier
	ds_read_u8 v15, v23
	ds_read_u8 v17, v23 offset:8
	s_waitcnt lgkmcnt(0)
	v_cmp_le_u16_e64 s[12:13], v15, v17
	v_cmp_gt_u16_e64 s[4:5], v15, v17
	s_and_saveexec_b64 s[10:11], s[4:5]
	s_cbranch_execz .LBB7_76
; %bb.75:
	ds_read_u8 v18, v24
	s_andn2_b64 s[12:13], s[12:13], exec
	s_waitcnt lgkmcnt(0)
	v_and_b32_e32 v18, 1, v18
	v_cmp_eq_u32_e64 s[4:5], 1, v18
	s_xor_b64 s[4:5], s[4:5], -1
	s_and_b64 s[4:5], s[4:5], exec
	s_or_b64 s[12:13], s[12:13], s[4:5]
.LBB7_76:
	s_or_b64 exec, exec, s[10:11]
	s_and_saveexec_b64 s[10:11], s[12:13]
	s_cbranch_execz .LBB7_79
; %bb.77:
	ds_read_u8 v18, v24 offset:8
	s_waitcnt lgkmcnt(0)
	v_cmp_ne_u16_e64 s[4:5], 0, v18
	s_and_b64 exec, exec, s[4:5]
	s_cbranch_execz .LBB7_79
; %bb.78:
	ds_read2_b64 v[26:29], v25 offset1:8
	ds_read_u8 v19, v24
	ds_write_b8 v23, v17
	ds_write_b8 v23, v15 offset:8
	ds_write_b8 v24, v18
	s_waitcnt lgkmcnt(4)
	ds_write2_b64 v25, v[28:29], v[26:27] offset1:8
	s_waitcnt lgkmcnt(4)
	ds_write_b8 v24, v19 offset:8
.LBB7_79:
	s_or_b64 exec, exec, s[10:11]
	s_waitcnt lgkmcnt(0)
	s_barrier
	ds_read_u8 v15, v20
	ds_read_u8 v17, v20 offset:4
	s_waitcnt lgkmcnt(0)
	v_cmp_le_u16_e64 s[12:13], v15, v17
	v_cmp_gt_u16_e64 s[4:5], v15, v17
	s_and_saveexec_b64 s[10:11], s[4:5]
	s_cbranch_execz .LBB7_81
; %bb.80:
	ds_read_u8 v18, v21
	s_andn2_b64 s[12:13], s[12:13], exec
	s_waitcnt lgkmcnt(0)
	v_and_b32_e32 v18, 1, v18
	v_cmp_eq_u32_e64 s[4:5], 1, v18
	s_xor_b64 s[4:5], s[4:5], -1
	s_and_b64 s[4:5], s[4:5], exec
	s_or_b64 s[12:13], s[12:13], s[4:5]
.LBB7_81:
	s_or_b64 exec, exec, s[10:11]
	s_and_saveexec_b64 s[10:11], s[12:13]
	s_cbranch_execz .LBB7_84
; %bb.82:
	ds_read_u8 v18, v21 offset:4
	s_waitcnt lgkmcnt(0)
	v_cmp_ne_u16_e64 s[4:5], 0, v18
	s_and_b64 exec, exec, s[4:5]
	s_cbranch_execz .LBB7_84
; %bb.83:
	ds_read2_b64 v[24:27], v22 offset1:4
	ds_read_u8 v19, v21
	ds_write_b8 v20, v17
	ds_write_b8 v20, v15 offset:4
	ds_write_b8 v21, v18
	s_waitcnt lgkmcnt(4)
	ds_write2_b64 v22, v[26:27], v[24:25] offset1:4
	s_waitcnt lgkmcnt(4)
	ds_write_b8 v21, v19 offset:4
.LBB7_84:
	s_or_b64 exec, exec, s[10:11]
	s_waitcnt lgkmcnt(0)
	s_barrier
	ds_read_u8 v15, v13
	ds_read_u8 v17, v13 offset:2
	s_waitcnt lgkmcnt(0)
	v_cmp_le_u16_e64 s[12:13], v15, v17
	v_cmp_gt_u16_e64 s[4:5], v15, v17
	s_and_saveexec_b64 s[10:11], s[4:5]
	s_cbranch_execz .LBB7_86
; %bb.85:
	ds_read_u8 v18, v14
	s_andn2_b64 s[12:13], s[12:13], exec
	s_waitcnt lgkmcnt(0)
	v_and_b32_e32 v18, 1, v18
	v_cmp_eq_u32_e64 s[4:5], 1, v18
	s_xor_b64 s[4:5], s[4:5], -1
	s_and_b64 s[4:5], s[4:5], exec
	s_or_b64 s[12:13], s[12:13], s[4:5]
.LBB7_86:
	s_or_b64 exec, exec, s[10:11]
	s_and_saveexec_b64 s[10:11], s[12:13]
	s_cbranch_execz .LBB7_89
; %bb.87:
	ds_read_u8 v18, v14 offset:2
	s_waitcnt lgkmcnt(0)
	v_cmp_ne_u16_e64 s[4:5], 0, v18
	s_and_b64 exec, exec, s[4:5]
	s_cbranch_execz .LBB7_89
; %bb.88:
	ds_read2_b64 v[20:23], v16 offset1:2
	ds_read_u8 v19, v14
	ds_write_b8 v13, v17
	ds_write_b8 v13, v15 offset:2
	ds_write_b8 v14, v18
	s_waitcnt lgkmcnt(4)
	ds_write2_b64 v16, v[22:23], v[20:21] offset1:2
	s_waitcnt lgkmcnt(4)
	ds_write_b8 v14, v19 offset:2
.LBB7_89:
	s_or_b64 exec, exec, s[10:11]
	s_waitcnt lgkmcnt(0)
	s_barrier
	ds_read_u16 v13, v7
	s_waitcnt lgkmcnt(0)
	v_cmp_le_u16_sdwa s[12:13], v13, v13 src0_sel:BYTE_0 src1_sel:BYTE_1
	v_cmp_gt_u16_sdwa s[4:5], v13, v13 src0_sel:BYTE_0 src1_sel:BYTE_1
	s_and_saveexec_b64 s[10:11], s[4:5]
	s_cbranch_execz .LBB7_91
; %bb.90:
	ds_read_u8 v14, v6
	s_andn2_b64 s[12:13], s[12:13], exec
	s_waitcnt lgkmcnt(0)
	v_and_b32_e32 v14, 1, v14
	v_cmp_eq_u32_e64 s[4:5], 1, v14
	s_xor_b64 s[4:5], s[4:5], -1
	s_and_b64 s[4:5], s[4:5], exec
	s_or_b64 s[12:13], s[12:13], s[4:5]
.LBB7_91:
	s_or_b64 exec, exec, s[10:11]
	s_and_saveexec_b64 s[10:11], s[12:13]
	s_cbranch_execz .LBB7_94
; %bb.92:
	ds_read_u8 v14, v6 offset:1
	s_waitcnt lgkmcnt(0)
	v_cmp_ne_u16_e64 s[4:5], 0, v14
	s_and_b64 exec, exec, s[4:5]
	s_cbranch_execz .LBB7_94
; %bb.93:
	v_add_u32_e32 v9, v5, v9
	v_lshlrev_b16_e32 v15, 8, v13
	ds_read_b128 v[16:19], v9
	v_or_b32_sdwa v13, v13, v15 dst_sel:DWORD dst_unused:UNUSED_PAD src0_sel:BYTE_1 src1_sel:DWORD
	ds_read_u8 v15, v6
	ds_write_b16 v7, v13
	s_waitcnt lgkmcnt(2)
	v_mov_b32_e32 v20, v16
	v_mov_b32_e32 v21, v17
	s_waitcnt lgkmcnt(1)
	v_lshlrev_b16_e32 v7, 8, v15
	v_or_b32_e32 v7, v14, v7
	ds_write_b128 v9, v[18:21]
	ds_write_b16 v6, v7
.LBB7_94:
	s_or_b64 exec, exec, s[10:11]
	s_waitcnt lgkmcnt(0)
	s_barrier
	s_and_saveexec_b64 s[4:5], vcc
	s_cbranch_execz .LBB7_99
; %bb.95:
	s_and_saveexec_b64 s[4:5], s[0:1]
	s_cbranch_execz .LBB7_97
; %bb.96:
	ds_read_u8 v9, v12
	v_mad_u64_u32 v[6:7], s[0:1], v4, s6, v[2:3]
	v_mov_b32_e32 v14, v7
	v_mad_u64_u32 v[12:13], s[0:1], v4, s7, v[14:15]
	v_mov_b32_e32 v7, v12
	s_waitcnt lgkmcnt(0)
	global_store_byte v[6:7], v9, off
	v_mad_u64_u32 v[6:7], s[0:1], v4, s8, 0
	v_mov_b32_e32 v14, v7
	ds_read_b64 v[12:13], v5
	v_mad_u64_u32 v[4:5], s[0:1], v4, s9, v[14:15]
	v_mov_b32_e32 v7, v4
	v_lshlrev_b64 v[4:5], 3, v[6:7]
	v_add_co_u32_e32 v4, vcc, v10, v4
	v_addc_co_u32_e32 v5, vcc, v11, v5, vcc
	s_waitcnt lgkmcnt(0)
	global_store_dwordx2 v[4:5], v[12:13], off
.LBB7_97:
	s_or_b64 exec, exec, s[4:5]
	s_and_b64 exec, exec, s[2:3]
	s_cbranch_execz .LBB7_99
; %bb.98:
	ds_read_u8 v6, v8
	v_mad_u64_u32 v[2:3], s[0:1], v0, s6, v[2:3]
	v_mov_b32_e32 v4, v3
	v_mad_u64_u32 v[4:5], s[0:1], v0, s7, v[4:5]
	v_mov_b32_e32 v3, v4
	ds_read_b64 v[4:5], v1
	s_waitcnt lgkmcnt(1)
	global_store_byte v[2:3], v6, off
	v_mad_u64_u32 v[2:3], s[0:1], v0, s8, 0
	v_mov_b32_e32 v6, v3
	v_mad_u64_u32 v[0:1], s[0:1], v0, s9, v[6:7]
	v_mov_b32_e32 v3, v0
	v_lshlrev_b64 v[0:1], 3, v[2:3]
	v_add_co_u32_e32 v0, vcc, v10, v0
	v_addc_co_u32_e32 v1, vcc, v11, v1, vcc
	s_waitcnt lgkmcnt(0)
	global_store_dwordx2 v[0:1], v[4:5], off
.LBB7_99:
	s_endpgm
.LBB7_100:
	ds_read_u8 v22, v6
	s_andn2_b64 s[10:11], s[10:11], exec
	s_mov_b32 s14, 1
	s_waitcnt lgkmcnt(0)
	v_and_b32_e32 v22, 1, v22
	v_cmp_eq_u32_e64 s[4:5], 1, v22
	s_xor_b64 s[4:5], s[4:5], -1
	s_and_b64 s[4:5], s[4:5], exec
	s_or_b64 s[10:11], s[10:11], s[4:5]
	s_or_b64 exec, exec, s[12:13]
	v_mov_b32_e32 v22, s14
	s_and_saveexec_b64 s[4:5], s[10:11]
	s_cbranch_execz .LBB7_35
.LBB7_101:
	ds_read_u8 v22, v6 offset:1
	s_waitcnt lgkmcnt(0)
	v_xor_b32_e32 v22, 1, v22
	s_or_b64 exec, exec, s[4:5]
	v_cmp_eq_u32_e64 s[4:5], v22, v20
	s_and_saveexec_b64 s[10:11], s[4:5]
	s_cbranch_execnz .LBB7_36
	s_branch .LBB7_37
.LBB7_102:
	ds_read_u8 v26, v14
	s_andn2_b64 s[10:11], s[10:11], exec
	s_mov_b32 s14, 1
	s_waitcnt lgkmcnt(0)
	v_and_b32_e32 v26, 1, v26
	v_cmp_eq_u32_e64 s[4:5], 1, v26
	s_xor_b64 s[4:5], s[4:5], -1
	s_and_b64 s[4:5], s[4:5], exec
	s_or_b64 s[10:11], s[10:11], s[4:5]
	s_or_b64 exec, exec, s[12:13]
	v_mov_b32_e32 v26, s14
	s_and_saveexec_b64 s[4:5], s[10:11]
	s_cbranch_execz .LBB7_45
.LBB7_103:
	ds_read_u8 v26, v14 offset:2
	s_waitcnt lgkmcnt(0)
	v_xor_b32_e32 v26, 1, v26
	s_or_b64 exec, exec, s[4:5]
	v_cmp_eq_u32_e64 s[4:5], v26, v23
	s_and_saveexec_b64 s[10:11], s[4:5]
	s_cbranch_execnz .LBB7_46
	s_branch .LBB7_47
.LBB7_104:
	ds_read_u8 v25, v6
	s_andn2_b64 s[10:11], s[10:11], exec
	s_mov_b32 s14, 1
	s_waitcnt lgkmcnt(0)
	v_and_b32_e32 v25, 1, v25
	v_cmp_eq_u32_e64 s[4:5], 1, v25
	s_xor_b64 s[4:5], s[4:5], -1
	s_and_b64 s[4:5], s[4:5], exec
	s_or_b64 s[10:11], s[10:11], s[4:5]
	s_or_b64 exec, exec, s[12:13]
	v_mov_b32_e32 v25, s14
	s_and_saveexec_b64 s[4:5], s[10:11]
	s_cbranch_execz .LBB7_49
.LBB7_105:
	ds_read_u8 v25, v6 offset:1
	s_waitcnt lgkmcnt(0)
	v_xor_b32_e32 v25, 1, v25
	s_or_b64 exec, exec, s[4:5]
	v_cmp_eq_u32_e64 s[4:5], v25, v23
	s_and_saveexec_b64 s[10:11], s[4:5]
	s_cbranch_execnz .LBB7_50
	s_branch .LBB7_51
.LBB7_106:
	ds_read_u8 v29, v21
	s_andn2_b64 s[10:11], s[10:11], exec
	s_mov_b32 s14, 1
	s_waitcnt lgkmcnt(0)
	v_and_b32_e32 v29, 1, v29
	v_cmp_eq_u32_e64 s[4:5], 1, v29
	s_xor_b64 s[4:5], s[4:5], -1
	s_and_b64 s[4:5], s[4:5], exec
	s_or_b64 s[10:11], s[10:11], s[4:5]
	s_or_b64 exec, exec, s[12:13]
	v_mov_b32_e32 v29, s14
	s_and_saveexec_b64 s[4:5], s[10:11]
	s_cbranch_execz .LBB7_59
.LBB7_107:
	ds_read_u8 v29, v21 offset:4
	s_waitcnt lgkmcnt(0)
	v_xor_b32_e32 v29, 1, v29
	s_or_b64 exec, exec, s[4:5]
	v_cmp_eq_u32_e64 s[4:5], v29, v26
	s_and_saveexec_b64 s[10:11], s[4:5]
	s_cbranch_execnz .LBB7_60
	s_branch .LBB7_61
.LBB7_108:
	ds_read_u8 v29, v14
	s_andn2_b64 s[10:11], s[10:11], exec
	s_mov_b32 s14, 1
	s_waitcnt lgkmcnt(0)
	v_and_b32_e32 v29, 1, v29
	v_cmp_eq_u32_e64 s[4:5], 1, v29
	s_xor_b64 s[4:5], s[4:5], -1
	s_and_b64 s[4:5], s[4:5], exec
	s_or_b64 s[10:11], s[10:11], s[4:5]
	s_or_b64 exec, exec, s[12:13]
	v_mov_b32_e32 v29, s14
	s_and_saveexec_b64 s[4:5], s[10:11]
	s_cbranch_execz .LBB7_63
.LBB7_109:
	ds_read_u8 v29, v14 offset:2
	s_waitcnt lgkmcnt(0)
	v_xor_b32_e32 v29, 1, v29
	s_or_b64 exec, exec, s[4:5]
	v_cmp_eq_u32_e64 s[4:5], v29, v26
	s_and_saveexec_b64 s[10:11], s[4:5]
	s_cbranch_execnz .LBB7_64
	s_branch .LBB7_65
.LBB7_110:
	ds_read_u8 v28, v6
	s_andn2_b64 s[10:11], s[10:11], exec
	s_mov_b32 s14, 1
	s_waitcnt lgkmcnt(0)
	v_and_b32_e32 v28, 1, v28
	v_cmp_eq_u32_e64 s[4:5], 1, v28
	s_xor_b64 s[4:5], s[4:5], -1
	s_and_b64 s[4:5], s[4:5], exec
	s_or_b64 s[10:11], s[10:11], s[4:5]
	s_or_b64 exec, exec, s[12:13]
	v_mov_b32_e32 v28, s14
	s_and_saveexec_b64 s[4:5], s[10:11]
	s_cbranch_execz .LBB7_67
.LBB7_111:
	ds_read_u8 v28, v6 offset:1
	s_waitcnt lgkmcnt(0)
	v_xor_b32_e32 v28, 1, v28
	s_or_b64 exec, exec, s[4:5]
	v_cmp_eq_u32_e64 s[4:5], v28, v26
	s_and_saveexec_b64 s[10:11], s[4:5]
	s_cbranch_execnz .LBB7_68
	s_branch .LBB7_69
	.section	.rodata,"a",@progbits
	.p2align	6, 0x0
	.amdhsa_kernel _ZN2at6native20bitonicSortKVInPlaceILin1ELin1ELi16ELi16EhlNS0_4GTOpIhLb1EEEmEEvNS_4cuda6detail10TensorInfoIT3_T6_EES8_S8_S8_NS6_IT4_S8_EES8_T5_
		.amdhsa_group_segment_fixed_size 5120
		.amdhsa_private_segment_fixed_size 0
		.amdhsa_kernarg_size 1128
		.amdhsa_user_sgpr_count 6
		.amdhsa_user_sgpr_private_segment_buffer 1
		.amdhsa_user_sgpr_dispatch_ptr 0
		.amdhsa_user_sgpr_queue_ptr 0
		.amdhsa_user_sgpr_kernarg_segment_ptr 1
		.amdhsa_user_sgpr_dispatch_id 0
		.amdhsa_user_sgpr_flat_scratch_init 0
		.amdhsa_user_sgpr_kernarg_preload_length 0
		.amdhsa_user_sgpr_kernarg_preload_offset 0
		.amdhsa_user_sgpr_private_segment_size 0
		.amdhsa_uses_dynamic_stack 0
		.amdhsa_system_sgpr_private_segment_wavefront_offset 0
		.amdhsa_system_sgpr_workgroup_id_x 1
		.amdhsa_system_sgpr_workgroup_id_y 1
		.amdhsa_system_sgpr_workgroup_id_z 1
		.amdhsa_system_sgpr_workgroup_info 0
		.amdhsa_system_vgpr_workitem_id 1
		.amdhsa_next_free_vgpr 35
		.amdhsa_next_free_sgpr 21
		.amdhsa_accum_offset 36
		.amdhsa_reserve_vcc 1
		.amdhsa_reserve_flat_scratch 0
		.amdhsa_float_round_mode_32 0
		.amdhsa_float_round_mode_16_64 0
		.amdhsa_float_denorm_mode_32 3
		.amdhsa_float_denorm_mode_16_64 3
		.amdhsa_dx10_clamp 1
		.amdhsa_ieee_mode 1
		.amdhsa_fp16_overflow 0
		.amdhsa_tg_split 0
		.amdhsa_exception_fp_ieee_invalid_op 0
		.amdhsa_exception_fp_denorm_src 0
		.amdhsa_exception_fp_ieee_div_zero 0
		.amdhsa_exception_fp_ieee_overflow 0
		.amdhsa_exception_fp_ieee_underflow 0
		.amdhsa_exception_fp_ieee_inexact 0
		.amdhsa_exception_int_div_zero 0
	.end_amdhsa_kernel
	.section	.text._ZN2at6native20bitonicSortKVInPlaceILin1ELin1ELi16ELi16EhlNS0_4GTOpIhLb1EEEmEEvNS_4cuda6detail10TensorInfoIT3_T6_EES8_S8_S8_NS6_IT4_S8_EES8_T5_,"axG",@progbits,_ZN2at6native20bitonicSortKVInPlaceILin1ELin1ELi16ELi16EhlNS0_4GTOpIhLb1EEEmEEvNS_4cuda6detail10TensorInfoIT3_T6_EES8_S8_S8_NS6_IT4_S8_EES8_T5_,comdat
.Lfunc_end7:
	.size	_ZN2at6native20bitonicSortKVInPlaceILin1ELin1ELi16ELi16EhlNS0_4GTOpIhLb1EEEmEEvNS_4cuda6detail10TensorInfoIT3_T6_EES8_S8_S8_NS6_IT4_S8_EES8_T5_, .Lfunc_end7-_ZN2at6native20bitonicSortKVInPlaceILin1ELin1ELi16ELi16EhlNS0_4GTOpIhLb1EEEmEEvNS_4cuda6detail10TensorInfoIT3_T6_EES8_S8_S8_NS6_IT4_S8_EES8_T5_
                                        ; -- End function
	.section	.AMDGPU.csdata,"",@progbits
; Kernel info:
; codeLenInByte = 6556
; NumSgprs: 25
; NumVgprs: 35
; NumAgprs: 0
; TotalNumVgprs: 35
; ScratchSize: 0
; MemoryBound: 0
; FloatMode: 240
; IeeeMode: 1
; LDSByteSize: 5120 bytes/workgroup (compile time only)
; SGPRBlocks: 3
; VGPRBlocks: 4
; NumSGPRsForWavesPerEU: 25
; NumVGPRsForWavesPerEU: 35
; AccumOffset: 36
; Occupancy: 8
; WaveLimiterHint : 1
; COMPUTE_PGM_RSRC2:SCRATCH_EN: 0
; COMPUTE_PGM_RSRC2:USER_SGPR: 6
; COMPUTE_PGM_RSRC2:TRAP_HANDLER: 0
; COMPUTE_PGM_RSRC2:TGID_X_EN: 1
; COMPUTE_PGM_RSRC2:TGID_Y_EN: 1
; COMPUTE_PGM_RSRC2:TGID_Z_EN: 1
; COMPUTE_PGM_RSRC2:TIDIG_COMP_CNT: 1
; COMPUTE_PGM_RSRC3_GFX90A:ACCUM_OFFSET: 8
; COMPUTE_PGM_RSRC3_GFX90A:TG_SPLIT: 0
	.section	.text._ZN2at6native20bitonicSortKVInPlaceILin2ELin1ELi16ELi16EalNS0_4LTOpIaLb1EEEjEEvNS_4cuda6detail10TensorInfoIT3_T6_EES8_S8_S8_NS6_IT4_S8_EES8_T5_,"axG",@progbits,_ZN2at6native20bitonicSortKVInPlaceILin2ELin1ELi16ELi16EalNS0_4LTOpIaLb1EEEjEEvNS_4cuda6detail10TensorInfoIT3_T6_EES8_S8_S8_NS6_IT4_S8_EES8_T5_,comdat
	.protected	_ZN2at6native20bitonicSortKVInPlaceILin2ELin1ELi16ELi16EalNS0_4LTOpIaLb1EEEjEEvNS_4cuda6detail10TensorInfoIT3_T6_EES8_S8_S8_NS6_IT4_S8_EES8_T5_ ; -- Begin function _ZN2at6native20bitonicSortKVInPlaceILin2ELin1ELi16ELi16EalNS0_4LTOpIaLb1EEEjEEvNS_4cuda6detail10TensorInfoIT3_T6_EES8_S8_S8_NS6_IT4_S8_EES8_T5_
	.globl	_ZN2at6native20bitonicSortKVInPlaceILin2ELin1ELi16ELi16EalNS0_4LTOpIaLb1EEEjEEvNS_4cuda6detail10TensorInfoIT3_T6_EES8_S8_S8_NS6_IT4_S8_EES8_T5_
	.p2align	8
	.type	_ZN2at6native20bitonicSortKVInPlaceILin2ELin1ELi16ELi16EalNS0_4LTOpIaLb1EEEjEEvNS_4cuda6detail10TensorInfoIT3_T6_EES8_S8_S8_NS6_IT4_S8_EES8_T5_,@function
_ZN2at6native20bitonicSortKVInPlaceILin2ELin1ELi16ELi16EalNS0_4LTOpIaLb1EEEjEEvNS_4cuda6detail10TensorInfoIT3_T6_EES8_S8_S8_NS6_IT4_S8_EES8_T5_: ; @_ZN2at6native20bitonicSortKVInPlaceILin2ELin1ELi16ELi16EalNS0_4LTOpIaLb1EEEjEEvNS_4cuda6detail10TensorInfoIT3_T6_EES8_S8_S8_NS6_IT4_S8_EES8_T5_
; %bb.0:
	s_load_dwordx2 s[2:3], s[4:5], 0x1c8
	s_load_dwordx4 s[12:15], s[4:5], 0xd8
	s_load_dword s9, s[4:5], 0x1d4
	s_add_u32 s0, s4, 0x1c8
	s_addc_u32 s1, s5, 0
	s_waitcnt lgkmcnt(0)
	s_mul_i32 s3, s3, s8
	s_add_i32 s3, s3, s7
	s_mul_i32 s2, s3, s2
	s_add_i32 s8, s2, s6
	s_lshr_b32 s2, s9, 16
	s_mul_i32 s8, s8, s2
	s_cmp_ge_u32 s8, s12
	s_cbranch_scc1 .LBB8_86
; %bb.1:
	s_load_dwordx2 s[6:7], s[4:5], 0x0
	s_load_dword s9, s[4:5], 0x1b8
	s_add_u32 s2, s4, 0xe8
	v_bfe_u32 v8, v0, 10, 10
	s_addc_u32 s3, s5, 0
	v_add_u32_e32 v1, s8, v8
	s_waitcnt lgkmcnt(0)
	s_cmp_lt_i32 s9, 2
	v_mov_b32_e32 v4, 0
	v_mov_b32_e32 v3, v1
	s_cbranch_scc1 .LBB8_4
; %bb.2:
	s_add_i32 s10, s9, 1
	s_add_i32 s8, s9, -1
	s_mov_b32 s9, 0
	s_lshl_b64 s[8:9], s[8:9], 2
	s_add_u32 s8, s8, s2
	s_addc_u32 s9, s9, s3
	s_add_u32 s8, s8, 8
	s_addc_u32 s9, s9, 0
	v_mov_b32_e32 v4, 0
	v_mov_b32_e32 v3, v1
.LBB8_3:                                ; =>This Inner Loop Header: Depth=1
	s_load_dword s11, s[8:9], 0x0
	s_load_dword s15, s[8:9], 0x64
	v_mov_b32_e32 v2, v3
	s_add_i32 s10, s10, -1
	s_waitcnt lgkmcnt(0)
	v_cvt_f32_u32_e32 v3, s11
	s_sub_i32 s16, 0, s11
	s_add_u32 s8, s8, -4
	s_addc_u32 s9, s9, -1
	v_rcp_iflag_f32_e32 v3, v3
	s_cmp_gt_u32 s10, 2
	v_mul_f32_e32 v3, 0x4f7ffffe, v3
	v_cvt_u32_f32_e32 v3, v3
	v_mul_lo_u32 v5, s16, v3
	v_mul_hi_u32 v5, v3, v5
	v_add_u32_e32 v3, v3, v5
	v_mul_hi_u32 v3, v2, v3
	v_mul_lo_u32 v5, v3, s11
	v_sub_u32_e32 v5, v2, v5
	v_add_u32_e32 v6, 1, v3
	v_cmp_le_u32_e32 vcc, s11, v5
	v_cndmask_b32_e32 v3, v3, v6, vcc
	v_subrev_u32_e32 v6, s11, v5
	v_cndmask_b32_e32 v5, v5, v6, vcc
	v_add_u32_e32 v6, 1, v3
	v_cmp_le_u32_e32 vcc, s11, v5
	v_cndmask_b32_e32 v3, v3, v6, vcc
	v_mul_lo_u32 v5, v3, s11
	v_sub_u32_e32 v2, v2, v5
	v_mad_u64_u32 v[4:5], s[16:17], s15, v2, v[4:5]
	s_cbranch_scc1 .LBB8_3
.LBB8_4:
	s_load_dword s8, s[4:5], 0x6c
	s_load_dword s15, s[4:5], 0x1c0
	;; [unrolled: 1-line block ×3, first 2 shown]
	v_cmp_gt_u32_e32 vcc, s12, v1
	s_load_dword s12, s[0:1], 0xc
	s_waitcnt lgkmcnt(0)
	v_mul_lo_u32 v2, s8, v1
	s_load_dwordx2 s[8:9], s[2:3], 0x0
	v_mad_u64_u32 v[4:5], s[2:3], s10, v3, v[4:5]
	v_and_b32_e32 v3, 0x3ff, v0
	v_cmp_gt_u32_e64 s[0:1], s13, v3
	v_pk_mov_b32 v[0:1], 0, 0
	s_and_b64 s[4:5], vcc, s[0:1]
	v_mov_b32_e32 v10, 0
	v_mov_b32_e32 v5, 0
	v_pk_mov_b32 v[6:7], v[0:1], v[0:1] op_sel:[0,1]
	s_and_saveexec_b64 s[10:11], s[4:5]
	s_cbranch_execz .LBB8_6
; %bb.5:
	v_mad_u64_u32 v[6:7], s[2:3], v3, s14, v[2:3]
	global_load_ubyte v5, v6, s[6:7]
	s_waitcnt lgkmcnt(0)
	v_mov_b32_e32 v9, s9
	s_waitcnt vmcnt(0)
	v_mad_u64_u32 v[6:7], s[2:3], v3, s15, v[4:5]
	v_mov_b32_e32 v7, 0
	v_lshlrev_b64 v[6:7], 3, v[6:7]
	v_add_co_u32_e64 v6, s[2:3], s8, v6
	v_addc_co_u32_e64 v7, s[2:3], v9, v7, s[2:3]
	global_load_dwordx2 v[6:7], v[6:7], off
.LBB8_6:
	s_or_b64 exec, exec, s[10:11]
	v_lshlrev_b32_e32 v9, 5, v8
	v_add_u32_e32 v16, 0x1000, v9
	v_add_u32_e32 v15, 0x1200, v9
	;; [unrolled: 1-line block ×3, first 2 shown]
	s_and_b32 s16, 0xffff, s12
	v_cndmask_b32_e64 v11, 0, 1, s[4:5]
	ds_write_b8 v9, v5
	v_add_u32_e32 v5, v15, v3
	ds_write_b8 v5, v11
	v_add_u32_e32 v5, s16, v3
	v_lshlrev_b32_e32 v13, 8, v8
	v_cmp_gt_u32_e64 s[2:3], s13, v5
	v_lshl_add_u32 v8, v3, 3, v13
	s_and_b64 s[10:11], vcc, s[2:3]
	s_waitcnt vmcnt(0)
	ds_write_b64 v8, v[6:7]
	s_and_saveexec_b64 s[12:13], s[10:11]
	s_cbranch_execz .LBB8_8
; %bb.7:
	v_mad_u64_u32 v[0:1], s[4:5], v5, s14, v[2:3]
	global_load_ubyte v10, v0, s[6:7]
	v_mad_u64_u32 v[0:1], s[4:5], v5, s15, v[4:5]
	v_mov_b32_e32 v1, 0
	v_lshlrev_b64 v[0:1], 3, v[0:1]
	s_waitcnt lgkmcnt(0)
	v_mov_b32_e32 v6, s9
	v_add_co_u32_e64 v0, s[4:5], s8, v0
	v_addc_co_u32_e64 v1, s[4:5], v6, v1, s[4:5]
	global_load_dwordx2 v[0:1], v[0:1], off
.LBB8_8:
	s_or_b64 exec, exec, s[12:13]
	v_lshl_add_u32 v6, s16, 3, v8
	v_lshlrev_b32_e32 v17, 1, v3
	v_cndmask_b32_e64 v11, 0, 1, s[10:11]
	v_add_u32_e32 v7, v16, v5
	s_waitcnt vmcnt(0)
	ds_write_b64 v6, v[0:1]
	v_add_u32_e32 v0, v15, v5
	v_add_u32_e32 v1, v16, v17
	ds_write_b8 v7, v10
	ds_write_b8 v0, v11
	s_waitcnt lgkmcnt(0)
	s_barrier
	ds_read_u16 v11, v1
	s_mov_b32 s16, 1
	v_add_u32_e32 v0, v15, v17
	s_waitcnt lgkmcnt(0)
	v_ashrrev_i16_e32 v12, 8, v11
	v_cmp_ge_i16_sdwa s[10:11], sext(v11), v12 src0_sel:BYTE_0 src1_sel:DWORD
	v_cmp_lt_i16_sdwa s[4:5], sext(v11), v12 src0_sel:BYTE_0 src1_sel:DWORD
	s_and_saveexec_b64 s[12:13], s[4:5]
	s_xor_b64 s[12:13], exec, s[12:13]
	s_cbranch_execz .LBB8_10
; %bb.9:
	ds_read_u8 v10, v0
	s_andn2_b64 s[10:11], s[10:11], exec
	s_waitcnt lgkmcnt(0)
	v_and_b32_e32 v10, 1, v10
	v_cmp_eq_u32_e64 s[4:5], 1, v10
	s_xor_b64 s[4:5], s[4:5], -1
	s_and_b64 s[4:5], s[4:5], exec
	s_or_b64 s[10:11], s[10:11], s[4:5]
.LBB8_10:
	s_or_b64 exec, exec, s[12:13]
	v_mov_b32_e32 v18, s16
	s_and_saveexec_b64 s[4:5], s[10:11]
	s_cbranch_execz .LBB8_12
; %bb.11:
	ds_read_u8 v10, v0 offset:1
	s_waitcnt lgkmcnt(0)
	v_xor_b32_e32 v18, 1, v10
.LBB8_12:
	s_or_b64 exec, exec, s[4:5]
	v_and_b32_e32 v14, 1, v3
	v_lshlrev_b32_e32 v10, 3, v3
	v_cmp_eq_u32_e64 s[4:5], v18, v14
	s_and_saveexec_b64 s[10:11], s[4:5]
	s_cbranch_execz .LBB8_14
; %bb.13:
	v_mov_b32_e32 v22, 8
	v_lshlrev_b16_sdwa v11, v22, sext(v11) dst_sel:DWORD dst_unused:UNUSED_PAD src0_sel:DWORD src1_sel:BYTE_0
	v_add_u32_e32 v24, v8, v10
	v_or_b32_sdwa v11, v12, v11 dst_sel:DWORD dst_unused:UNUSED_PAD src0_sel:BYTE_0 src1_sel:DWORD
	ds_read_b128 v[18:21], v24
	ds_write_b16 v1, v11
	ds_read_u16 v11, v0
	s_mov_b32 s4, 0xc0c0001
	s_waitcnt lgkmcnt(2)
	v_mov_b32_e32 v22, v18
	v_mov_b32_e32 v23, v19
	s_waitcnt lgkmcnt(0)
	v_perm_b32 v11, 0, v11, s4
	ds_write_b128 v24, v[20:23]
	ds_write_b16 v0, v11
.LBB8_14:
	s_or_b64 exec, exec, s[10:11]
	v_sub_u32_e32 v14, v17, v14
	v_add_u32_e32 v11, v16, v14
	s_waitcnt lgkmcnt(0)
	s_barrier
	ds_read_i8 v19, v11
	ds_read_i8 v20, v11 offset:2
	s_mov_b64 s[10:11], -1
	v_add_u32_e32 v12, v15, v14
                                        ; implicit-def: $sgpr16
	s_waitcnt lgkmcnt(0)
	v_cmp_lt_i16_e64 s[4:5], v19, v20
	s_and_saveexec_b64 s[12:13], s[4:5]
	s_xor_b64 s[12:13], exec, s[12:13]
	s_cbranch_execz .LBB8_16
; %bb.15:
	ds_read_u8 v18, v12
	s_mov_b32 s16, 1
	s_waitcnt lgkmcnt(0)
	v_and_b32_e32 v18, 1, v18
	v_cmp_eq_u32_e64 s[4:5], 1, v18
	s_xor_b64 s[4:5], s[4:5], -1
	s_orn2_b64 s[10:11], s[4:5], exec
.LBB8_16:
	s_or_b64 exec, exec, s[12:13]
	v_mov_b32_e32 v21, s16
	s_and_saveexec_b64 s[4:5], s[10:11]
	s_cbranch_execz .LBB8_18
; %bb.17:
	ds_read_u8 v18, v12 offset:2
	s_waitcnt lgkmcnt(0)
	v_xor_b32_e32 v21, 1, v18
.LBB8_18:
	s_or_b64 exec, exec, s[4:5]
	v_bfe_u32 v18, v3, 1, 1
	v_lshl_add_u32 v14, v14, 3, v13
	v_cmp_eq_u32_e64 s[4:5], v21, v18
	s_and_saveexec_b64 s[10:11], s[4:5]
	s_cbranch_execz .LBB8_20
; %bb.19:
	ds_read2_b64 v[22:25], v14 offset1:2
	ds_read_u8 v21, v12 offset:2
	ds_read_u8 v26, v12
	ds_write_b8 v11, v20
	ds_write_b8 v11, v19 offset:2
	s_waitcnt lgkmcnt(4)
	ds_write2_b64 v14, v[24:25], v[22:23] offset1:2
	s_waitcnt lgkmcnt(4)
	ds_write_b8 v12, v21
	s_waitcnt lgkmcnt(4)
	ds_write_b8 v12, v26 offset:2
.LBB8_20:
	s_or_b64 exec, exec, s[10:11]
	s_waitcnt lgkmcnt(0)
	s_barrier
	ds_read_u16 v19, v1
                                        ; implicit-def: $sgpr16
	s_waitcnt lgkmcnt(0)
	v_cmp_ge_i16_sdwa s[10:11], sext(v19), sext(v19) src0_sel:BYTE_0 src1_sel:BYTE_1
	v_cmp_lt_i16_sdwa s[4:5], sext(v19), sext(v19) src0_sel:BYTE_0 src1_sel:BYTE_1
	s_and_saveexec_b64 s[12:13], s[4:5]
	s_cbranch_execnz .LBB8_87
; %bb.21:
	s_or_b64 exec, exec, s[12:13]
	v_mov_b32_e32 v20, s16
	s_and_saveexec_b64 s[4:5], s[10:11]
	s_cbranch_execnz .LBB8_88
.LBB8_22:
	s_or_b64 exec, exec, s[4:5]
	v_cmp_eq_u32_e64 s[4:5], v20, v18
	s_and_saveexec_b64 s[10:11], s[4:5]
	s_cbranch_execz .LBB8_24
.LBB8_23:
	v_add_u32_e32 v24, v8, v10
	ds_read_b128 v[20:23], v24
	ds_read_u16 v25, v0
	v_mov_b32_e32 v18, 8
	s_movk_i32 s4, 0xff
	v_lshlrev_b16_sdwa v18, v18, sext(v19) dst_sel:DWORD dst_unused:UNUSED_PAD src0_sel:DWORD src1_sel:BYTE_0
	v_and_b32_sdwa v19, sext(v19), s4 dst_sel:DWORD dst_unused:UNUSED_PAD src0_sel:BYTE_1 src1_sel:DWORD
	v_or_b32_e32 v18, v19, v18
	ds_write_b16 v1, v18
	s_waitcnt lgkmcnt(2)
	v_mov_b32_e32 v18, v22
	v_mov_b32_e32 v19, v23
	s_mov_b32 s4, 0xc0c0001
	ds_write_b128 v24, v[18:21]
	s_waitcnt lgkmcnt(2)
	v_perm_b32 v18, 0, v25, s4
	ds_write_b16 v0, v18
.LBB8_24:
	s_or_b64 exec, exec, s[10:11]
	v_and_b32_e32 v18, 3, v3
	v_sub_u32_e32 v20, v17, v18
	v_add_u32_e32 v18, v16, v20
	s_waitcnt lgkmcnt(0)
	s_barrier
	ds_read_i8 v22, v18
	ds_read_i8 v23, v18 offset:4
	v_add_u32_e32 v19, v15, v20
                                        ; implicit-def: $sgpr16
	s_waitcnt lgkmcnt(0)
	v_cmp_ge_i16_e64 s[10:11], v22, v23
	v_cmp_lt_i16_e64 s[4:5], v22, v23
	s_and_saveexec_b64 s[12:13], s[4:5]
	s_cbranch_execz .LBB8_26
; %bb.25:
	ds_read_u8 v21, v19
	s_andn2_b64 s[10:11], s[10:11], exec
	s_mov_b32 s16, 1
	s_waitcnt lgkmcnt(0)
	v_and_b32_e32 v21, 1, v21
	v_cmp_eq_u32_e64 s[4:5], 1, v21
	s_xor_b64 s[4:5], s[4:5], -1
	s_and_b64 s[4:5], s[4:5], exec
	s_or_b64 s[10:11], s[10:11], s[4:5]
.LBB8_26:
	s_or_b64 exec, exec, s[12:13]
	v_mov_b32_e32 v24, s16
	s_and_saveexec_b64 s[4:5], s[10:11]
	s_cbranch_execz .LBB8_28
; %bb.27:
	ds_read_u8 v21, v19 offset:4
	s_waitcnt lgkmcnt(0)
	v_xor_b32_e32 v24, 1, v21
.LBB8_28:
	s_or_b64 exec, exec, s[4:5]
	v_bfe_u32 v21, v3, 2, 1
	v_lshl_add_u32 v20, v20, 3, v13
	v_cmp_eq_u32_e64 s[4:5], v24, v21
	s_and_saveexec_b64 s[10:11], s[4:5]
	s_cbranch_execz .LBB8_30
; %bb.29:
	ds_read2_b64 v[24:27], v20 offset1:4
	ds_read_u8 v28, v19 offset:4
	ds_read_u8 v29, v19
	ds_write_b8 v18, v23
	ds_write_b8 v18, v22 offset:4
	s_waitcnt lgkmcnt(4)
	ds_write2_b64 v20, v[26:27], v[24:25] offset1:4
	s_waitcnt lgkmcnt(4)
	ds_write_b8 v19, v28
	s_waitcnt lgkmcnt(4)
	ds_write_b8 v19, v29 offset:4
.LBB8_30:
	s_or_b64 exec, exec, s[10:11]
	s_waitcnt lgkmcnt(0)
	s_barrier
	ds_read_i8 v22, v11
	ds_read_i8 v23, v11 offset:2
                                        ; implicit-def: $sgpr16
	s_waitcnt lgkmcnt(0)
	v_cmp_ge_i16_e64 s[10:11], v22, v23
	v_cmp_lt_i16_e64 s[4:5], v22, v23
	s_and_saveexec_b64 s[12:13], s[4:5]
	s_cbranch_execnz .LBB8_89
; %bb.31:
	s_or_b64 exec, exec, s[12:13]
	v_mov_b32_e32 v24, s16
	s_and_saveexec_b64 s[4:5], s[10:11]
	s_cbranch_execnz .LBB8_90
.LBB8_32:
	s_or_b64 exec, exec, s[4:5]
	v_cmp_eq_u32_e64 s[4:5], v24, v21
	s_and_saveexec_b64 s[10:11], s[4:5]
	s_cbranch_execz .LBB8_34
.LBB8_33:
	ds_read2_b64 v[24:27], v14 offset1:2
	ds_read_u8 v28, v12 offset:2
	ds_read_u8 v29, v12
	ds_write_b8 v11, v23
	ds_write_b8 v11, v22 offset:2
	s_waitcnt lgkmcnt(4)
	ds_write2_b64 v14, v[26:27], v[24:25] offset1:2
	s_waitcnt lgkmcnt(4)
	ds_write_b8 v12, v28
	s_waitcnt lgkmcnt(4)
	ds_write_b8 v12, v29 offset:2
.LBB8_34:
	s_or_b64 exec, exec, s[10:11]
	s_waitcnt lgkmcnt(0)
	s_barrier
	ds_read_u16 v22, v1
                                        ; implicit-def: $sgpr16
	s_waitcnt lgkmcnt(0)
	v_cmp_ge_i16_sdwa s[10:11], sext(v22), sext(v22) src0_sel:BYTE_0 src1_sel:BYTE_1
	v_cmp_lt_i16_sdwa s[4:5], sext(v22), sext(v22) src0_sel:BYTE_0 src1_sel:BYTE_1
	s_and_saveexec_b64 s[12:13], s[4:5]
	s_cbranch_execnz .LBB8_91
; %bb.35:
	s_or_b64 exec, exec, s[12:13]
	v_mov_b32_e32 v23, s16
	s_and_saveexec_b64 s[4:5], s[10:11]
	s_cbranch_execnz .LBB8_92
.LBB8_36:
	s_or_b64 exec, exec, s[4:5]
	v_cmp_eq_u32_e64 s[4:5], v23, v21
	s_and_saveexec_b64 s[10:11], s[4:5]
	s_cbranch_execz .LBB8_38
.LBB8_37:
	v_mov_b32_e32 v21, 8
	s_movk_i32 s4, 0xff
	v_lshlrev_b16_sdwa v21, v21, sext(v22) dst_sel:DWORD dst_unused:UNUSED_PAD src0_sel:DWORD src1_sel:BYTE_0
	v_and_b32_sdwa v22, sext(v22), s4 dst_sel:DWORD dst_unused:UNUSED_PAD src0_sel:BYTE_1 src1_sel:DWORD
	v_add_u32_e32 v28, v8, v10
	v_or_b32_e32 v21, v22, v21
	ds_read_b128 v[24:27], v28
	ds_write_b16 v1, v21
	ds_read_u16 v21, v0
	s_mov_b32 s4, 0xc0c0001
	s_waitcnt lgkmcnt(2)
	v_mov_b32_e32 v22, v26
	v_mov_b32_e32 v23, v27
	s_waitcnt lgkmcnt(0)
	v_perm_b32 v21, 0, v21, s4
	ds_write_b128 v28, v[22:25]
	ds_write_b16 v0, v21
.LBB8_38:
	s_or_b64 exec, exec, s[10:11]
	v_and_b32_e32 v21, 7, v3
	v_sub_u32_e32 v23, v17, v21
	v_add_u32_e32 v21, v16, v23
	s_waitcnt lgkmcnt(0)
	s_barrier
	ds_read_i8 v25, v21
	ds_read_i8 v26, v21 offset:8
	v_add_u32_e32 v22, v15, v23
                                        ; implicit-def: $sgpr16
	s_waitcnt lgkmcnt(0)
	v_cmp_ge_i16_e64 s[10:11], v25, v26
	v_cmp_lt_i16_e64 s[4:5], v25, v26
	s_and_saveexec_b64 s[12:13], s[4:5]
	s_cbranch_execz .LBB8_40
; %bb.39:
	ds_read_u8 v24, v22
	s_andn2_b64 s[10:11], s[10:11], exec
	s_mov_b32 s16, 1
	s_waitcnt lgkmcnt(0)
	v_and_b32_e32 v24, 1, v24
	v_cmp_eq_u32_e64 s[4:5], 1, v24
	s_xor_b64 s[4:5], s[4:5], -1
	s_and_b64 s[4:5], s[4:5], exec
	s_or_b64 s[10:11], s[10:11], s[4:5]
.LBB8_40:
	s_or_b64 exec, exec, s[12:13]
	v_mov_b32_e32 v27, s16
	s_and_saveexec_b64 s[4:5], s[10:11]
	s_cbranch_execz .LBB8_42
; %bb.41:
	ds_read_u8 v24, v22 offset:8
	s_waitcnt lgkmcnt(0)
	v_xor_b32_e32 v27, 1, v24
.LBB8_42:
	s_or_b64 exec, exec, s[4:5]
	v_bfe_u32 v24, v3, 3, 1
	v_lshl_add_u32 v23, v23, 3, v13
	v_cmp_eq_u32_e64 s[4:5], v27, v24
	s_and_saveexec_b64 s[10:11], s[4:5]
	s_cbranch_execz .LBB8_44
; %bb.43:
	ds_read2_b64 v[28:31], v23 offset1:8
	ds_read_u8 v27, v22 offset:8
	ds_read_u8 v32, v22
	ds_write_b8 v21, v26
	ds_write_b8 v21, v25 offset:8
	s_waitcnt lgkmcnt(4)
	ds_write2_b64 v23, v[30:31], v[28:29] offset1:8
	s_waitcnt lgkmcnt(4)
	ds_write_b8 v22, v27
	s_waitcnt lgkmcnt(4)
	ds_write_b8 v22, v32 offset:8
.LBB8_44:
	s_or_b64 exec, exec, s[10:11]
	s_waitcnt lgkmcnt(0)
	s_barrier
	ds_read_i8 v25, v18
	ds_read_i8 v26, v18 offset:4
                                        ; implicit-def: $sgpr16
	s_waitcnt lgkmcnt(0)
	v_cmp_ge_i16_e64 s[10:11], v25, v26
	v_cmp_lt_i16_e64 s[4:5], v25, v26
	s_and_saveexec_b64 s[12:13], s[4:5]
	s_cbranch_execnz .LBB8_93
; %bb.45:
	s_or_b64 exec, exec, s[12:13]
	v_mov_b32_e32 v27, s16
	s_and_saveexec_b64 s[4:5], s[10:11]
	s_cbranch_execnz .LBB8_94
.LBB8_46:
	s_or_b64 exec, exec, s[4:5]
	v_cmp_eq_u32_e64 s[4:5], v27, v24
	s_and_saveexec_b64 s[10:11], s[4:5]
	s_cbranch_execz .LBB8_48
.LBB8_47:
	ds_read2_b64 v[28:31], v20 offset1:4
	ds_read_u8 v27, v19 offset:4
	ds_read_u8 v32, v19
	ds_write_b8 v18, v26
	ds_write_b8 v18, v25 offset:4
	s_waitcnt lgkmcnt(4)
	ds_write2_b64 v20, v[30:31], v[28:29] offset1:4
	s_waitcnt lgkmcnt(4)
	ds_write_b8 v19, v27
	s_waitcnt lgkmcnt(4)
	ds_write_b8 v19, v32 offset:4
.LBB8_48:
	s_or_b64 exec, exec, s[10:11]
	s_waitcnt lgkmcnt(0)
	s_barrier
	ds_read_i8 v25, v11
	ds_read_i8 v26, v11 offset:2
                                        ; implicit-def: $sgpr16
	s_waitcnt lgkmcnt(0)
	v_cmp_ge_i16_e64 s[10:11], v25, v26
	v_cmp_lt_i16_e64 s[4:5], v25, v26
	s_and_saveexec_b64 s[12:13], s[4:5]
	s_cbranch_execnz .LBB8_95
; %bb.49:
	s_or_b64 exec, exec, s[12:13]
	v_mov_b32_e32 v27, s16
	s_and_saveexec_b64 s[4:5], s[10:11]
	s_cbranch_execnz .LBB8_96
.LBB8_50:
	s_or_b64 exec, exec, s[4:5]
	v_cmp_eq_u32_e64 s[4:5], v27, v24
	s_and_saveexec_b64 s[10:11], s[4:5]
	s_cbranch_execz .LBB8_52
.LBB8_51:
	ds_read2_b64 v[28:31], v14 offset1:2
	ds_read_u8 v27, v12 offset:2
	ds_read_u8 v32, v12
	ds_write_b8 v11, v26
	ds_write_b8 v11, v25 offset:2
	s_waitcnt lgkmcnt(4)
	ds_write2_b64 v14, v[30:31], v[28:29] offset1:2
	s_waitcnt lgkmcnt(4)
	ds_write_b8 v12, v27
	s_waitcnt lgkmcnt(4)
	ds_write_b8 v12, v32 offset:2
.LBB8_52:
	s_or_b64 exec, exec, s[10:11]
	s_waitcnt lgkmcnt(0)
	s_barrier
	ds_read_u16 v25, v1
                                        ; implicit-def: $sgpr16
	s_waitcnt lgkmcnt(0)
	v_cmp_ge_i16_sdwa s[10:11], sext(v25), sext(v25) src0_sel:BYTE_0 src1_sel:BYTE_1
	v_cmp_lt_i16_sdwa s[4:5], sext(v25), sext(v25) src0_sel:BYTE_0 src1_sel:BYTE_1
	s_and_saveexec_b64 s[12:13], s[4:5]
	s_cbranch_execnz .LBB8_97
; %bb.53:
	s_or_b64 exec, exec, s[12:13]
	v_mov_b32_e32 v26, s16
	s_and_saveexec_b64 s[4:5], s[10:11]
	s_cbranch_execnz .LBB8_98
.LBB8_54:
	s_or_b64 exec, exec, s[4:5]
	v_cmp_eq_u32_e64 s[4:5], v26, v24
	s_and_saveexec_b64 s[10:11], s[4:5]
	s_cbranch_execz .LBB8_56
.LBB8_55:
	v_add_u32_e32 v30, v8, v10
	ds_read_b128 v[26:29], v30
	ds_read_u16 v31, v0
	v_mov_b32_e32 v24, 8
	s_movk_i32 s4, 0xff
	v_lshlrev_b16_sdwa v24, v24, sext(v25) dst_sel:DWORD dst_unused:UNUSED_PAD src0_sel:DWORD src1_sel:BYTE_0
	v_and_b32_sdwa v25, sext(v25), s4 dst_sel:DWORD dst_unused:UNUSED_PAD src0_sel:BYTE_1 src1_sel:DWORD
	v_or_b32_e32 v24, v25, v24
	ds_write_b16 v1, v24
	s_waitcnt lgkmcnt(2)
	v_mov_b32_e32 v24, v28
	v_mov_b32_e32 v25, v29
	s_mov_b32 s4, 0xc0c0001
	ds_write_b128 v30, v[24:27]
	s_waitcnt lgkmcnt(2)
	v_perm_b32 v24, 0, v31, s4
	ds_write_b16 v0, v24
.LBB8_56:
	s_or_b64 exec, exec, s[10:11]
	v_and_b32_e32 v24, 15, v3
	v_sub_u32_e32 v25, v17, v24
	v_add_u32_e32 v16, v16, v25
	s_waitcnt lgkmcnt(0)
	s_barrier
	ds_read_i8 v17, v16
	ds_read_i8 v24, v16 offset:16
	v_add_u32_e32 v15, v15, v25
	s_waitcnt lgkmcnt(0)
	v_cmp_ge_i16_e64 s[12:13], v17, v24
	v_cmp_lt_i16_e64 s[4:5], v17, v24
	s_and_saveexec_b64 s[10:11], s[4:5]
	s_cbranch_execz .LBB8_58
; %bb.57:
	ds_read_u8 v26, v15
	s_andn2_b64 s[12:13], s[12:13], exec
	s_waitcnt lgkmcnt(0)
	v_and_b32_e32 v26, 1, v26
	v_cmp_eq_u32_e64 s[4:5], 1, v26
	s_xor_b64 s[4:5], s[4:5], -1
	s_and_b64 s[4:5], s[4:5], exec
	s_or_b64 s[12:13], s[12:13], s[4:5]
.LBB8_58:
	s_or_b64 exec, exec, s[10:11]
	s_and_saveexec_b64 s[10:11], s[12:13]
	s_cbranch_execz .LBB8_61
; %bb.59:
	ds_read_u8 v26, v15 offset:16
	s_waitcnt lgkmcnt(0)
	v_cmp_ne_u16_e64 s[4:5], 0, v26
	s_and_b64 exec, exec, s[4:5]
	s_cbranch_execz .LBB8_61
; %bb.60:
	v_lshl_add_u32 v13, v25, 3, v13
	ds_read2_b64 v[28:31], v13 offset1:16
	ds_read_u8 v25, v15
	ds_write_b8 v16, v24
	ds_write_b8 v16, v17 offset:16
	ds_write_b8 v15, v26
	s_waitcnt lgkmcnt(4)
	ds_write2_b64 v13, v[30:31], v[28:29] offset1:16
	s_waitcnt lgkmcnt(4)
	ds_write_b8 v15, v25 offset:16
.LBB8_61:
	s_or_b64 exec, exec, s[10:11]
	s_waitcnt lgkmcnt(0)
	s_barrier
	ds_read_i8 v13, v21
	ds_read_i8 v15, v21 offset:8
	s_waitcnt lgkmcnt(0)
	v_cmp_ge_i16_e64 s[12:13], v13, v15
	v_cmp_lt_i16_e64 s[4:5], v13, v15
	s_and_saveexec_b64 s[10:11], s[4:5]
	s_cbranch_execz .LBB8_63
; %bb.62:
	ds_read_u8 v16, v22
	s_andn2_b64 s[12:13], s[12:13], exec
	s_waitcnt lgkmcnt(0)
	v_and_b32_e32 v16, 1, v16
	v_cmp_eq_u32_e64 s[4:5], 1, v16
	s_xor_b64 s[4:5], s[4:5], -1
	s_and_b64 s[4:5], s[4:5], exec
	s_or_b64 s[12:13], s[12:13], s[4:5]
.LBB8_63:
	s_or_b64 exec, exec, s[10:11]
	s_and_saveexec_b64 s[10:11], s[12:13]
	s_cbranch_execz .LBB8_66
; %bb.64:
	ds_read_u8 v16, v22 offset:8
	s_waitcnt lgkmcnt(0)
	v_cmp_ne_u16_e64 s[4:5], 0, v16
	s_and_b64 exec, exec, s[4:5]
	s_cbranch_execz .LBB8_66
; %bb.65:
	ds_read2_b64 v[24:27], v23 offset1:8
	ds_read_u8 v17, v22
	ds_write_b8 v21, v15
	ds_write_b8 v21, v13 offset:8
	ds_write_b8 v22, v16
	s_waitcnt lgkmcnt(4)
	ds_write2_b64 v23, v[26:27], v[24:25] offset1:8
	s_waitcnt lgkmcnt(4)
	ds_write_b8 v22, v17 offset:8
.LBB8_66:
	s_or_b64 exec, exec, s[10:11]
	s_waitcnt lgkmcnt(0)
	s_barrier
	ds_read_i8 v13, v18
	ds_read_i8 v15, v18 offset:4
	s_waitcnt lgkmcnt(0)
	v_cmp_ge_i16_e64 s[12:13], v13, v15
	v_cmp_lt_i16_e64 s[4:5], v13, v15
	s_and_saveexec_b64 s[10:11], s[4:5]
	s_cbranch_execz .LBB8_68
; %bb.67:
	ds_read_u8 v16, v19
	s_andn2_b64 s[12:13], s[12:13], exec
	s_waitcnt lgkmcnt(0)
	v_and_b32_e32 v16, 1, v16
	v_cmp_eq_u32_e64 s[4:5], 1, v16
	s_xor_b64 s[4:5], s[4:5], -1
	s_and_b64 s[4:5], s[4:5], exec
	s_or_b64 s[12:13], s[12:13], s[4:5]
.LBB8_68:
	s_or_b64 exec, exec, s[10:11]
	s_and_saveexec_b64 s[10:11], s[12:13]
	s_cbranch_execz .LBB8_71
; %bb.69:
	ds_read_u8 v16, v19 offset:4
	s_waitcnt lgkmcnt(0)
	v_cmp_ne_u16_e64 s[4:5], 0, v16
	s_and_b64 exec, exec, s[4:5]
	s_cbranch_execz .LBB8_71
; %bb.70:
	ds_read2_b64 v[22:25], v20 offset1:4
	ds_read_u8 v17, v19
	ds_write_b8 v18, v15
	ds_write_b8 v18, v13 offset:4
	ds_write_b8 v19, v16
	s_waitcnt lgkmcnt(4)
	ds_write2_b64 v20, v[24:25], v[22:23] offset1:4
	s_waitcnt lgkmcnt(4)
	ds_write_b8 v19, v17 offset:4
.LBB8_71:
	;; [unrolled: 40-line block ×3, first 2 shown]
	s_or_b64 exec, exec, s[10:11]
	s_waitcnt lgkmcnt(0)
	s_barrier
	ds_read_u16 v11, v1
	s_waitcnt lgkmcnt(0)
	v_cmp_ge_i16_sdwa s[12:13], sext(v11), sext(v11) src0_sel:BYTE_0 src1_sel:BYTE_1
	v_cmp_lt_i16_sdwa s[4:5], sext(v11), sext(v11) src0_sel:BYTE_0 src1_sel:BYTE_1
	s_and_saveexec_b64 s[10:11], s[4:5]
	s_cbranch_execz .LBB8_78
; %bb.77:
	ds_read_u8 v12, v0
	s_andn2_b64 s[12:13], s[12:13], exec
	s_waitcnt lgkmcnt(0)
	v_and_b32_e32 v12, 1, v12
	v_cmp_eq_u32_e64 s[4:5], 1, v12
	s_xor_b64 s[4:5], s[4:5], -1
	s_and_b64 s[4:5], s[4:5], exec
	s_or_b64 s[12:13], s[12:13], s[4:5]
.LBB8_78:
	s_or_b64 exec, exec, s[10:11]
	s_and_saveexec_b64 s[10:11], s[12:13]
	s_cbranch_execz .LBB8_81
; %bb.79:
	ds_read_u8 v12, v0 offset:1
	s_waitcnt lgkmcnt(0)
	v_cmp_ne_u16_e64 s[4:5], 0, v12
	s_and_b64 exec, exec, s[4:5]
	s_cbranch_execz .LBB8_81
; %bb.80:
	v_mov_b32_e32 v13, 8
	s_movk_i32 s4, 0xff
	v_lshlrev_b16_sdwa v13, v13, sext(v11) dst_sel:DWORD dst_unused:UNUSED_PAD src0_sel:DWORD src1_sel:BYTE_0
	v_and_b32_sdwa v11, sext(v11), s4 dst_sel:DWORD dst_unused:UNUSED_PAD src0_sel:BYTE_1 src1_sel:DWORD
	v_add_u32_e32 v10, v8, v10
	v_or_b32_e32 v11, v11, v13
	ds_read_b128 v[14:17], v10
	ds_write_b16 v1, v11
	ds_read_u8 v1, v0
	s_waitcnt lgkmcnt(2)
	v_mov_b32_e32 v18, v14
	v_mov_b32_e32 v19, v15
	s_waitcnt lgkmcnt(0)
	v_lshlrev_b16_e32 v1, 8, v1
	v_or_b32_e32 v1, v12, v1
	ds_write_b128 v10, v[16:19]
	ds_write_b16 v0, v1
.LBB8_81:
	s_or_b64 exec, exec, s[10:11]
	s_waitcnt lgkmcnt(0)
	s_barrier
	s_and_saveexec_b64 s[4:5], vcc
	s_cbranch_execz .LBB8_86
; %bb.82:
	s_and_saveexec_b64 s[4:5], s[0:1]
	s_cbranch_execz .LBB8_84
; %bb.83:
	ds_read_u8 v10, v9
	v_mad_u64_u32 v[0:1], s[0:1], v3, s14, v[2:3]
	ds_read_b64 v[8:9], v8
	s_waitcnt lgkmcnt(1)
	global_store_byte v0, v10, s[6:7]
	v_mad_u64_u32 v[0:1], s[0:1], v3, s15, v[4:5]
	v_mov_b32_e32 v1, 0
	v_lshlrev_b64 v[0:1], 3, v[0:1]
	v_mov_b32_e32 v3, s9
	v_add_co_u32_e32 v0, vcc, s8, v0
	v_addc_co_u32_e32 v1, vcc, v3, v1, vcc
	s_waitcnt lgkmcnt(0)
	global_store_dwordx2 v[0:1], v[8:9], off
.LBB8_84:
	s_or_b64 exec, exec, s[4:5]
	s_and_b64 exec, exec, s[2:3]
	s_cbranch_execz .LBB8_86
; %bb.85:
	ds_read_u8 v7, v7
	v_mad_u64_u32 v[0:1], s[0:1], v5, s14, v[2:3]
	ds_read_b64 v[2:3], v6
	s_waitcnt lgkmcnt(1)
	global_store_byte v0, v7, s[6:7]
	v_mad_u64_u32 v[0:1], s[0:1], v5, s15, v[4:5]
	v_mov_b32_e32 v1, 0
	v_lshlrev_b64 v[0:1], 3, v[0:1]
	v_mov_b32_e32 v4, s9
	v_add_co_u32_e32 v0, vcc, s8, v0
	v_addc_co_u32_e32 v1, vcc, v4, v1, vcc
	s_waitcnt lgkmcnt(0)
	global_store_dwordx2 v[0:1], v[2:3], off
.LBB8_86:
	s_endpgm
.LBB8_87:
	ds_read_u8 v20, v0
	s_andn2_b64 s[10:11], s[10:11], exec
	s_mov_b32 s16, 1
	s_waitcnt lgkmcnt(0)
	v_and_b32_e32 v20, 1, v20
	v_cmp_eq_u32_e64 s[4:5], 1, v20
	s_xor_b64 s[4:5], s[4:5], -1
	s_and_b64 s[4:5], s[4:5], exec
	s_or_b64 s[10:11], s[10:11], s[4:5]
	s_or_b64 exec, exec, s[12:13]
	v_mov_b32_e32 v20, s16
	s_and_saveexec_b64 s[4:5], s[10:11]
	s_cbranch_execz .LBB8_22
.LBB8_88:
	ds_read_u8 v20, v0 offset:1
	s_waitcnt lgkmcnt(0)
	v_xor_b32_e32 v20, 1, v20
	s_or_b64 exec, exec, s[4:5]
	v_cmp_eq_u32_e64 s[4:5], v20, v18
	s_and_saveexec_b64 s[10:11], s[4:5]
	s_cbranch_execnz .LBB8_23
	s_branch .LBB8_24
.LBB8_89:
	ds_read_u8 v24, v12
	s_andn2_b64 s[10:11], s[10:11], exec
	s_mov_b32 s16, 1
	s_waitcnt lgkmcnt(0)
	v_and_b32_e32 v24, 1, v24
	v_cmp_eq_u32_e64 s[4:5], 1, v24
	s_xor_b64 s[4:5], s[4:5], -1
	s_and_b64 s[4:5], s[4:5], exec
	s_or_b64 s[10:11], s[10:11], s[4:5]
	s_or_b64 exec, exec, s[12:13]
	v_mov_b32_e32 v24, s16
	s_and_saveexec_b64 s[4:5], s[10:11]
	s_cbranch_execz .LBB8_32
.LBB8_90:
	ds_read_u8 v24, v12 offset:2
	s_waitcnt lgkmcnt(0)
	v_xor_b32_e32 v24, 1, v24
	s_or_b64 exec, exec, s[4:5]
	v_cmp_eq_u32_e64 s[4:5], v24, v21
	s_and_saveexec_b64 s[10:11], s[4:5]
	s_cbranch_execnz .LBB8_33
	s_branch .LBB8_34
.LBB8_91:
	ds_read_u8 v23, v0
	s_andn2_b64 s[10:11], s[10:11], exec
	s_mov_b32 s16, 1
	s_waitcnt lgkmcnt(0)
	v_and_b32_e32 v23, 1, v23
	v_cmp_eq_u32_e64 s[4:5], 1, v23
	s_xor_b64 s[4:5], s[4:5], -1
	s_and_b64 s[4:5], s[4:5], exec
	s_or_b64 s[10:11], s[10:11], s[4:5]
	s_or_b64 exec, exec, s[12:13]
	v_mov_b32_e32 v23, s16
	s_and_saveexec_b64 s[4:5], s[10:11]
	s_cbranch_execz .LBB8_36
.LBB8_92:
	ds_read_u8 v23, v0 offset:1
	s_waitcnt lgkmcnt(0)
	v_xor_b32_e32 v23, 1, v23
	s_or_b64 exec, exec, s[4:5]
	v_cmp_eq_u32_e64 s[4:5], v23, v21
	s_and_saveexec_b64 s[10:11], s[4:5]
	s_cbranch_execnz .LBB8_37
	s_branch .LBB8_38
.LBB8_93:
	ds_read_u8 v27, v19
	s_andn2_b64 s[10:11], s[10:11], exec
	s_mov_b32 s16, 1
	s_waitcnt lgkmcnt(0)
	v_and_b32_e32 v27, 1, v27
	v_cmp_eq_u32_e64 s[4:5], 1, v27
	s_xor_b64 s[4:5], s[4:5], -1
	s_and_b64 s[4:5], s[4:5], exec
	s_or_b64 s[10:11], s[10:11], s[4:5]
	s_or_b64 exec, exec, s[12:13]
	v_mov_b32_e32 v27, s16
	s_and_saveexec_b64 s[4:5], s[10:11]
	s_cbranch_execz .LBB8_46
.LBB8_94:
	ds_read_u8 v27, v19 offset:4
	s_waitcnt lgkmcnt(0)
	v_xor_b32_e32 v27, 1, v27
	s_or_b64 exec, exec, s[4:5]
	v_cmp_eq_u32_e64 s[4:5], v27, v24
	s_and_saveexec_b64 s[10:11], s[4:5]
	s_cbranch_execnz .LBB8_47
	s_branch .LBB8_48
.LBB8_95:
	ds_read_u8 v27, v12
	s_andn2_b64 s[10:11], s[10:11], exec
	s_mov_b32 s16, 1
	s_waitcnt lgkmcnt(0)
	v_and_b32_e32 v27, 1, v27
	v_cmp_eq_u32_e64 s[4:5], 1, v27
	s_xor_b64 s[4:5], s[4:5], -1
	s_and_b64 s[4:5], s[4:5], exec
	s_or_b64 s[10:11], s[10:11], s[4:5]
	s_or_b64 exec, exec, s[12:13]
	v_mov_b32_e32 v27, s16
	s_and_saveexec_b64 s[4:5], s[10:11]
	s_cbranch_execz .LBB8_50
.LBB8_96:
	ds_read_u8 v27, v12 offset:2
	s_waitcnt lgkmcnt(0)
	v_xor_b32_e32 v27, 1, v27
	s_or_b64 exec, exec, s[4:5]
	v_cmp_eq_u32_e64 s[4:5], v27, v24
	s_and_saveexec_b64 s[10:11], s[4:5]
	s_cbranch_execnz .LBB8_51
	s_branch .LBB8_52
.LBB8_97:
	ds_read_u8 v26, v0
	s_andn2_b64 s[10:11], s[10:11], exec
	s_mov_b32 s16, 1
	s_waitcnt lgkmcnt(0)
	v_and_b32_e32 v26, 1, v26
	v_cmp_eq_u32_e64 s[4:5], 1, v26
	s_xor_b64 s[4:5], s[4:5], -1
	s_and_b64 s[4:5], s[4:5], exec
	s_or_b64 s[10:11], s[10:11], s[4:5]
	s_or_b64 exec, exec, s[12:13]
	v_mov_b32_e32 v26, s16
	s_and_saveexec_b64 s[4:5], s[10:11]
	s_cbranch_execz .LBB8_54
.LBB8_98:
	ds_read_u8 v26, v0 offset:1
	s_waitcnt lgkmcnt(0)
	v_xor_b32_e32 v26, 1, v26
	s_or_b64 exec, exec, s[4:5]
	v_cmp_eq_u32_e64 s[4:5], v26, v24
	s_and_saveexec_b64 s[10:11], s[4:5]
	s_cbranch_execnz .LBB8_55
	s_branch .LBB8_56
	.section	.rodata,"a",@progbits
	.p2align	6, 0x0
	.amdhsa_kernel _ZN2at6native20bitonicSortKVInPlaceILin2ELin1ELi16ELi16EalNS0_4LTOpIaLb1EEEjEEvNS_4cuda6detail10TensorInfoIT3_T6_EES8_S8_S8_NS6_IT4_S8_EES8_T5_
		.amdhsa_group_segment_fixed_size 5120
		.amdhsa_private_segment_fixed_size 0
		.amdhsa_kernarg_size 712
		.amdhsa_user_sgpr_count 6
		.amdhsa_user_sgpr_private_segment_buffer 1
		.amdhsa_user_sgpr_dispatch_ptr 0
		.amdhsa_user_sgpr_queue_ptr 0
		.amdhsa_user_sgpr_kernarg_segment_ptr 1
		.amdhsa_user_sgpr_dispatch_id 0
		.amdhsa_user_sgpr_flat_scratch_init 0
		.amdhsa_user_sgpr_kernarg_preload_length 0
		.amdhsa_user_sgpr_kernarg_preload_offset 0
		.amdhsa_user_sgpr_private_segment_size 0
		.amdhsa_uses_dynamic_stack 0
		.amdhsa_system_sgpr_private_segment_wavefront_offset 0
		.amdhsa_system_sgpr_workgroup_id_x 1
		.amdhsa_system_sgpr_workgroup_id_y 1
		.amdhsa_system_sgpr_workgroup_id_z 1
		.amdhsa_system_sgpr_workgroup_info 0
		.amdhsa_system_vgpr_workitem_id 1
		.amdhsa_next_free_vgpr 33
		.amdhsa_next_free_sgpr 18
		.amdhsa_accum_offset 36
		.amdhsa_reserve_vcc 1
		.amdhsa_reserve_flat_scratch 0
		.amdhsa_float_round_mode_32 0
		.amdhsa_float_round_mode_16_64 0
		.amdhsa_float_denorm_mode_32 3
		.amdhsa_float_denorm_mode_16_64 3
		.amdhsa_dx10_clamp 1
		.amdhsa_ieee_mode 1
		.amdhsa_fp16_overflow 0
		.amdhsa_tg_split 0
		.amdhsa_exception_fp_ieee_invalid_op 0
		.amdhsa_exception_fp_denorm_src 0
		.amdhsa_exception_fp_ieee_div_zero 0
		.amdhsa_exception_fp_ieee_overflow 0
		.amdhsa_exception_fp_ieee_underflow 0
		.amdhsa_exception_fp_ieee_inexact 0
		.amdhsa_exception_int_div_zero 0
	.end_amdhsa_kernel
	.section	.text._ZN2at6native20bitonicSortKVInPlaceILin2ELin1ELi16ELi16EalNS0_4LTOpIaLb1EEEjEEvNS_4cuda6detail10TensorInfoIT3_T6_EES8_S8_S8_NS6_IT4_S8_EES8_T5_,"axG",@progbits,_ZN2at6native20bitonicSortKVInPlaceILin2ELin1ELi16ELi16EalNS0_4LTOpIaLb1EEEjEEvNS_4cuda6detail10TensorInfoIT3_T6_EES8_S8_S8_NS6_IT4_S8_EES8_T5_,comdat
.Lfunc_end8:
	.size	_ZN2at6native20bitonicSortKVInPlaceILin2ELin1ELi16ELi16EalNS0_4LTOpIaLb1EEEjEEvNS_4cuda6detail10TensorInfoIT3_T6_EES8_S8_S8_NS6_IT4_S8_EES8_T5_, .Lfunc_end8-_ZN2at6native20bitonicSortKVInPlaceILin2ELin1ELi16ELi16EalNS0_4LTOpIaLb1EEEjEEvNS_4cuda6detail10TensorInfoIT3_T6_EES8_S8_S8_NS6_IT4_S8_EES8_T5_
                                        ; -- End function
	.section	.AMDGPU.csdata,"",@progbits
; Kernel info:
; codeLenInByte = 4708
; NumSgprs: 22
; NumVgprs: 33
; NumAgprs: 0
; TotalNumVgprs: 33
; ScratchSize: 0
; MemoryBound: 0
; FloatMode: 240
; IeeeMode: 1
; LDSByteSize: 5120 bytes/workgroup (compile time only)
; SGPRBlocks: 2
; VGPRBlocks: 4
; NumSGPRsForWavesPerEU: 22
; NumVGPRsForWavesPerEU: 33
; AccumOffset: 36
; Occupancy: 8
; WaveLimiterHint : 1
; COMPUTE_PGM_RSRC2:SCRATCH_EN: 0
; COMPUTE_PGM_RSRC2:USER_SGPR: 6
; COMPUTE_PGM_RSRC2:TRAP_HANDLER: 0
; COMPUTE_PGM_RSRC2:TGID_X_EN: 1
; COMPUTE_PGM_RSRC2:TGID_Y_EN: 1
; COMPUTE_PGM_RSRC2:TGID_Z_EN: 1
; COMPUTE_PGM_RSRC2:TIDIG_COMP_CNT: 1
; COMPUTE_PGM_RSRC3_GFX90A:ACCUM_OFFSET: 8
; COMPUTE_PGM_RSRC3_GFX90A:TG_SPLIT: 0
	.section	.text._ZN2at6native20bitonicSortKVInPlaceILin2ELin1ELi16ELi16EalNS0_4GTOpIaLb1EEEjEEvNS_4cuda6detail10TensorInfoIT3_T6_EES8_S8_S8_NS6_IT4_S8_EES8_T5_,"axG",@progbits,_ZN2at6native20bitonicSortKVInPlaceILin2ELin1ELi16ELi16EalNS0_4GTOpIaLb1EEEjEEvNS_4cuda6detail10TensorInfoIT3_T6_EES8_S8_S8_NS6_IT4_S8_EES8_T5_,comdat
	.protected	_ZN2at6native20bitonicSortKVInPlaceILin2ELin1ELi16ELi16EalNS0_4GTOpIaLb1EEEjEEvNS_4cuda6detail10TensorInfoIT3_T6_EES8_S8_S8_NS6_IT4_S8_EES8_T5_ ; -- Begin function _ZN2at6native20bitonicSortKVInPlaceILin2ELin1ELi16ELi16EalNS0_4GTOpIaLb1EEEjEEvNS_4cuda6detail10TensorInfoIT3_T6_EES8_S8_S8_NS6_IT4_S8_EES8_T5_
	.globl	_ZN2at6native20bitonicSortKVInPlaceILin2ELin1ELi16ELi16EalNS0_4GTOpIaLb1EEEjEEvNS_4cuda6detail10TensorInfoIT3_T6_EES8_S8_S8_NS6_IT4_S8_EES8_T5_
	.p2align	8
	.type	_ZN2at6native20bitonicSortKVInPlaceILin2ELin1ELi16ELi16EalNS0_4GTOpIaLb1EEEjEEvNS_4cuda6detail10TensorInfoIT3_T6_EES8_S8_S8_NS6_IT4_S8_EES8_T5_,@function
_ZN2at6native20bitonicSortKVInPlaceILin2ELin1ELi16ELi16EalNS0_4GTOpIaLb1EEEjEEvNS_4cuda6detail10TensorInfoIT3_T6_EES8_S8_S8_NS6_IT4_S8_EES8_T5_: ; @_ZN2at6native20bitonicSortKVInPlaceILin2ELin1ELi16ELi16EalNS0_4GTOpIaLb1EEEjEEvNS_4cuda6detail10TensorInfoIT3_T6_EES8_S8_S8_NS6_IT4_S8_EES8_T5_
; %bb.0:
	s_load_dwordx2 s[2:3], s[4:5], 0x1c8
	s_load_dwordx4 s[12:15], s[4:5], 0xd8
	s_load_dword s9, s[4:5], 0x1d4
	s_add_u32 s0, s4, 0x1c8
	s_addc_u32 s1, s5, 0
	s_waitcnt lgkmcnt(0)
	s_mul_i32 s3, s3, s8
	s_add_i32 s3, s3, s7
	s_mul_i32 s2, s3, s2
	s_add_i32 s8, s2, s6
	s_lshr_b32 s2, s9, 16
	s_mul_i32 s8, s8, s2
	s_cmp_ge_u32 s8, s12
	s_cbranch_scc1 .LBB9_86
; %bb.1:
	s_load_dwordx2 s[6:7], s[4:5], 0x0
	s_load_dword s9, s[4:5], 0x1b8
	s_add_u32 s2, s4, 0xe8
	v_bfe_u32 v8, v0, 10, 10
	s_addc_u32 s3, s5, 0
	v_add_u32_e32 v1, s8, v8
	s_waitcnt lgkmcnt(0)
	s_cmp_lt_i32 s9, 2
	v_mov_b32_e32 v4, 0
	v_mov_b32_e32 v3, v1
	s_cbranch_scc1 .LBB9_4
; %bb.2:
	s_add_i32 s10, s9, 1
	s_add_i32 s8, s9, -1
	s_mov_b32 s9, 0
	s_lshl_b64 s[8:9], s[8:9], 2
	s_add_u32 s8, s8, s2
	s_addc_u32 s9, s9, s3
	s_add_u32 s8, s8, 8
	s_addc_u32 s9, s9, 0
	v_mov_b32_e32 v4, 0
	v_mov_b32_e32 v3, v1
.LBB9_3:                                ; =>This Inner Loop Header: Depth=1
	s_load_dword s11, s[8:9], 0x0
	s_load_dword s15, s[8:9], 0x64
	v_mov_b32_e32 v2, v3
	s_add_i32 s10, s10, -1
	s_waitcnt lgkmcnt(0)
	v_cvt_f32_u32_e32 v3, s11
	s_sub_i32 s16, 0, s11
	s_add_u32 s8, s8, -4
	s_addc_u32 s9, s9, -1
	v_rcp_iflag_f32_e32 v3, v3
	s_cmp_gt_u32 s10, 2
	v_mul_f32_e32 v3, 0x4f7ffffe, v3
	v_cvt_u32_f32_e32 v3, v3
	v_mul_lo_u32 v5, s16, v3
	v_mul_hi_u32 v5, v3, v5
	v_add_u32_e32 v3, v3, v5
	v_mul_hi_u32 v3, v2, v3
	v_mul_lo_u32 v5, v3, s11
	v_sub_u32_e32 v5, v2, v5
	v_add_u32_e32 v6, 1, v3
	v_cmp_le_u32_e32 vcc, s11, v5
	v_cndmask_b32_e32 v3, v3, v6, vcc
	v_subrev_u32_e32 v6, s11, v5
	v_cndmask_b32_e32 v5, v5, v6, vcc
	v_add_u32_e32 v6, 1, v3
	v_cmp_le_u32_e32 vcc, s11, v5
	v_cndmask_b32_e32 v3, v3, v6, vcc
	v_mul_lo_u32 v5, v3, s11
	v_sub_u32_e32 v2, v2, v5
	v_mad_u64_u32 v[4:5], s[16:17], s15, v2, v[4:5]
	s_cbranch_scc1 .LBB9_3
.LBB9_4:
	s_load_dword s8, s[4:5], 0x6c
	s_load_dword s15, s[4:5], 0x1c0
	;; [unrolled: 1-line block ×3, first 2 shown]
	v_cmp_gt_u32_e32 vcc, s12, v1
	s_load_dword s12, s[0:1], 0xc
	s_waitcnt lgkmcnt(0)
	v_mul_lo_u32 v2, s8, v1
	s_load_dwordx2 s[8:9], s[2:3], 0x0
	v_mad_u64_u32 v[4:5], s[2:3], s10, v3, v[4:5]
	v_and_b32_e32 v3, 0x3ff, v0
	v_cmp_gt_u32_e64 s[0:1], s13, v3
	v_pk_mov_b32 v[0:1], 0, 0
	s_and_b64 s[4:5], vcc, s[0:1]
	v_mov_b32_e32 v10, 0
	v_mov_b32_e32 v5, 0
	v_pk_mov_b32 v[6:7], v[0:1], v[0:1] op_sel:[0,1]
	s_and_saveexec_b64 s[10:11], s[4:5]
	s_cbranch_execz .LBB9_6
; %bb.5:
	v_mad_u64_u32 v[6:7], s[2:3], v3, s14, v[2:3]
	global_load_ubyte v5, v6, s[6:7]
	s_waitcnt lgkmcnt(0)
	v_mov_b32_e32 v9, s9
	s_waitcnt vmcnt(0)
	v_mad_u64_u32 v[6:7], s[2:3], v3, s15, v[4:5]
	v_mov_b32_e32 v7, 0
	v_lshlrev_b64 v[6:7], 3, v[6:7]
	v_add_co_u32_e64 v6, s[2:3], s8, v6
	v_addc_co_u32_e64 v7, s[2:3], v9, v7, s[2:3]
	global_load_dwordx2 v[6:7], v[6:7], off
.LBB9_6:
	s_or_b64 exec, exec, s[10:11]
	v_lshlrev_b32_e32 v9, 5, v8
	v_add_u32_e32 v16, 0x1000, v9
	v_add_u32_e32 v15, 0x1200, v9
	;; [unrolled: 1-line block ×3, first 2 shown]
	s_and_b32 s16, 0xffff, s12
	v_cndmask_b32_e64 v11, 0, 1, s[4:5]
	ds_write_b8 v9, v5
	v_add_u32_e32 v5, v15, v3
	ds_write_b8 v5, v11
	v_add_u32_e32 v5, s16, v3
	v_lshlrev_b32_e32 v13, 8, v8
	v_cmp_gt_u32_e64 s[2:3], s13, v5
	v_lshl_add_u32 v8, v3, 3, v13
	s_and_b64 s[10:11], vcc, s[2:3]
	s_waitcnt vmcnt(0)
	ds_write_b64 v8, v[6:7]
	s_and_saveexec_b64 s[12:13], s[10:11]
	s_cbranch_execz .LBB9_8
; %bb.7:
	v_mad_u64_u32 v[0:1], s[4:5], v5, s14, v[2:3]
	global_load_ubyte v10, v0, s[6:7]
	v_mad_u64_u32 v[0:1], s[4:5], v5, s15, v[4:5]
	v_mov_b32_e32 v1, 0
	v_lshlrev_b64 v[0:1], 3, v[0:1]
	s_waitcnt lgkmcnt(0)
	v_mov_b32_e32 v6, s9
	v_add_co_u32_e64 v0, s[4:5], s8, v0
	v_addc_co_u32_e64 v1, s[4:5], v6, v1, s[4:5]
	global_load_dwordx2 v[0:1], v[0:1], off
.LBB9_8:
	s_or_b64 exec, exec, s[12:13]
	v_lshl_add_u32 v6, s16, 3, v8
	v_lshlrev_b32_e32 v17, 1, v3
	v_cndmask_b32_e64 v11, 0, 1, s[10:11]
	v_add_u32_e32 v7, v16, v5
	s_waitcnt vmcnt(0)
	ds_write_b64 v6, v[0:1]
	v_add_u32_e32 v0, v15, v5
	v_add_u32_e32 v1, v16, v17
	ds_write_b8 v7, v10
	ds_write_b8 v0, v11
	s_waitcnt lgkmcnt(0)
	s_barrier
	ds_read_u16 v11, v1
	s_mov_b32 s16, 1
	v_add_u32_e32 v0, v15, v17
	s_waitcnt lgkmcnt(0)
	v_ashrrev_i16_e32 v12, 8, v11
	v_cmp_le_i16_sdwa s[10:11], sext(v11), v12 src0_sel:BYTE_0 src1_sel:DWORD
	v_cmp_gt_i16_sdwa s[4:5], sext(v11), v12 src0_sel:BYTE_0 src1_sel:DWORD
	s_and_saveexec_b64 s[12:13], s[4:5]
	s_xor_b64 s[12:13], exec, s[12:13]
	s_cbranch_execz .LBB9_10
; %bb.9:
	ds_read_u8 v10, v0
	s_andn2_b64 s[10:11], s[10:11], exec
	s_waitcnt lgkmcnt(0)
	v_and_b32_e32 v10, 1, v10
	v_cmp_eq_u32_e64 s[4:5], 1, v10
	s_xor_b64 s[4:5], s[4:5], -1
	s_and_b64 s[4:5], s[4:5], exec
	s_or_b64 s[10:11], s[10:11], s[4:5]
.LBB9_10:
	s_or_b64 exec, exec, s[12:13]
	v_mov_b32_e32 v18, s16
	s_and_saveexec_b64 s[4:5], s[10:11]
	s_cbranch_execz .LBB9_12
; %bb.11:
	ds_read_u8 v10, v0 offset:1
	s_waitcnt lgkmcnt(0)
	v_xor_b32_e32 v18, 1, v10
.LBB9_12:
	s_or_b64 exec, exec, s[4:5]
	v_and_b32_e32 v14, 1, v3
	v_lshlrev_b32_e32 v10, 3, v3
	v_cmp_eq_u32_e64 s[4:5], v18, v14
	s_and_saveexec_b64 s[10:11], s[4:5]
	s_cbranch_execz .LBB9_14
; %bb.13:
	v_mov_b32_e32 v22, 8
	v_lshlrev_b16_sdwa v11, v22, sext(v11) dst_sel:DWORD dst_unused:UNUSED_PAD src0_sel:DWORD src1_sel:BYTE_0
	v_add_u32_e32 v24, v8, v10
	v_or_b32_sdwa v11, v12, v11 dst_sel:DWORD dst_unused:UNUSED_PAD src0_sel:BYTE_0 src1_sel:DWORD
	ds_read_b128 v[18:21], v24
	ds_write_b16 v1, v11
	ds_read_u16 v11, v0
	s_mov_b32 s4, 0xc0c0001
	s_waitcnt lgkmcnt(2)
	v_mov_b32_e32 v22, v18
	v_mov_b32_e32 v23, v19
	s_waitcnt lgkmcnt(0)
	v_perm_b32 v11, 0, v11, s4
	ds_write_b128 v24, v[20:23]
	ds_write_b16 v0, v11
.LBB9_14:
	s_or_b64 exec, exec, s[10:11]
	v_sub_u32_e32 v14, v17, v14
	v_add_u32_e32 v11, v16, v14
	s_waitcnt lgkmcnt(0)
	s_barrier
	ds_read_i8 v19, v11
	ds_read_i8 v20, v11 offset:2
	s_mov_b64 s[10:11], -1
	v_add_u32_e32 v12, v15, v14
                                        ; implicit-def: $sgpr16
	s_waitcnt lgkmcnt(0)
	v_cmp_gt_i16_e64 s[4:5], v19, v20
	s_and_saveexec_b64 s[12:13], s[4:5]
	s_xor_b64 s[12:13], exec, s[12:13]
	s_cbranch_execz .LBB9_16
; %bb.15:
	ds_read_u8 v18, v12
	s_mov_b32 s16, 1
	s_waitcnt lgkmcnt(0)
	v_and_b32_e32 v18, 1, v18
	v_cmp_eq_u32_e64 s[4:5], 1, v18
	s_xor_b64 s[4:5], s[4:5], -1
	s_orn2_b64 s[10:11], s[4:5], exec
.LBB9_16:
	s_or_b64 exec, exec, s[12:13]
	v_mov_b32_e32 v21, s16
	s_and_saveexec_b64 s[4:5], s[10:11]
	s_cbranch_execz .LBB9_18
; %bb.17:
	ds_read_u8 v18, v12 offset:2
	s_waitcnt lgkmcnt(0)
	v_xor_b32_e32 v21, 1, v18
.LBB9_18:
	s_or_b64 exec, exec, s[4:5]
	v_bfe_u32 v18, v3, 1, 1
	v_lshl_add_u32 v14, v14, 3, v13
	v_cmp_eq_u32_e64 s[4:5], v21, v18
	s_and_saveexec_b64 s[10:11], s[4:5]
	s_cbranch_execz .LBB9_20
; %bb.19:
	ds_read2_b64 v[22:25], v14 offset1:2
	ds_read_u8 v21, v12 offset:2
	ds_read_u8 v26, v12
	ds_write_b8 v11, v20
	ds_write_b8 v11, v19 offset:2
	s_waitcnt lgkmcnt(4)
	ds_write2_b64 v14, v[24:25], v[22:23] offset1:2
	s_waitcnt lgkmcnt(4)
	ds_write_b8 v12, v21
	s_waitcnt lgkmcnt(4)
	ds_write_b8 v12, v26 offset:2
.LBB9_20:
	s_or_b64 exec, exec, s[10:11]
	s_waitcnt lgkmcnt(0)
	s_barrier
	ds_read_u16 v19, v1
                                        ; implicit-def: $sgpr16
	s_waitcnt lgkmcnt(0)
	v_cmp_le_i16_sdwa s[10:11], sext(v19), sext(v19) src0_sel:BYTE_0 src1_sel:BYTE_1
	v_cmp_gt_i16_sdwa s[4:5], sext(v19), sext(v19) src0_sel:BYTE_0 src1_sel:BYTE_1
	s_and_saveexec_b64 s[12:13], s[4:5]
	s_cbranch_execnz .LBB9_87
; %bb.21:
	s_or_b64 exec, exec, s[12:13]
	v_mov_b32_e32 v20, s16
	s_and_saveexec_b64 s[4:5], s[10:11]
	s_cbranch_execnz .LBB9_88
.LBB9_22:
	s_or_b64 exec, exec, s[4:5]
	v_cmp_eq_u32_e64 s[4:5], v20, v18
	s_and_saveexec_b64 s[10:11], s[4:5]
	s_cbranch_execz .LBB9_24
.LBB9_23:
	v_add_u32_e32 v24, v8, v10
	ds_read_b128 v[20:23], v24
	ds_read_u16 v25, v0
	v_mov_b32_e32 v18, 8
	s_movk_i32 s4, 0xff
	v_lshlrev_b16_sdwa v18, v18, sext(v19) dst_sel:DWORD dst_unused:UNUSED_PAD src0_sel:DWORD src1_sel:BYTE_0
	v_and_b32_sdwa v19, sext(v19), s4 dst_sel:DWORD dst_unused:UNUSED_PAD src0_sel:BYTE_1 src1_sel:DWORD
	v_or_b32_e32 v18, v19, v18
	ds_write_b16 v1, v18
	s_waitcnt lgkmcnt(2)
	v_mov_b32_e32 v18, v22
	v_mov_b32_e32 v19, v23
	s_mov_b32 s4, 0xc0c0001
	ds_write_b128 v24, v[18:21]
	s_waitcnt lgkmcnt(2)
	v_perm_b32 v18, 0, v25, s4
	ds_write_b16 v0, v18
.LBB9_24:
	s_or_b64 exec, exec, s[10:11]
	v_and_b32_e32 v18, 3, v3
	v_sub_u32_e32 v20, v17, v18
	v_add_u32_e32 v18, v16, v20
	s_waitcnt lgkmcnt(0)
	s_barrier
	ds_read_i8 v22, v18
	ds_read_i8 v23, v18 offset:4
	v_add_u32_e32 v19, v15, v20
                                        ; implicit-def: $sgpr16
	s_waitcnt lgkmcnt(0)
	v_cmp_le_i16_e64 s[10:11], v22, v23
	v_cmp_gt_i16_e64 s[4:5], v22, v23
	s_and_saveexec_b64 s[12:13], s[4:5]
	s_cbranch_execz .LBB9_26
; %bb.25:
	ds_read_u8 v21, v19
	s_andn2_b64 s[10:11], s[10:11], exec
	s_mov_b32 s16, 1
	s_waitcnt lgkmcnt(0)
	v_and_b32_e32 v21, 1, v21
	v_cmp_eq_u32_e64 s[4:5], 1, v21
	s_xor_b64 s[4:5], s[4:5], -1
	s_and_b64 s[4:5], s[4:5], exec
	s_or_b64 s[10:11], s[10:11], s[4:5]
.LBB9_26:
	s_or_b64 exec, exec, s[12:13]
	v_mov_b32_e32 v24, s16
	s_and_saveexec_b64 s[4:5], s[10:11]
	s_cbranch_execz .LBB9_28
; %bb.27:
	ds_read_u8 v21, v19 offset:4
	s_waitcnt lgkmcnt(0)
	v_xor_b32_e32 v24, 1, v21
.LBB9_28:
	s_or_b64 exec, exec, s[4:5]
	v_bfe_u32 v21, v3, 2, 1
	v_lshl_add_u32 v20, v20, 3, v13
	v_cmp_eq_u32_e64 s[4:5], v24, v21
	s_and_saveexec_b64 s[10:11], s[4:5]
	s_cbranch_execz .LBB9_30
; %bb.29:
	ds_read2_b64 v[24:27], v20 offset1:4
	ds_read_u8 v28, v19 offset:4
	ds_read_u8 v29, v19
	ds_write_b8 v18, v23
	ds_write_b8 v18, v22 offset:4
	s_waitcnt lgkmcnt(4)
	ds_write2_b64 v20, v[26:27], v[24:25] offset1:4
	s_waitcnt lgkmcnt(4)
	ds_write_b8 v19, v28
	s_waitcnt lgkmcnt(4)
	ds_write_b8 v19, v29 offset:4
.LBB9_30:
	s_or_b64 exec, exec, s[10:11]
	s_waitcnt lgkmcnt(0)
	s_barrier
	ds_read_i8 v22, v11
	ds_read_i8 v23, v11 offset:2
                                        ; implicit-def: $sgpr16
	s_waitcnt lgkmcnt(0)
	v_cmp_le_i16_e64 s[10:11], v22, v23
	v_cmp_gt_i16_e64 s[4:5], v22, v23
	s_and_saveexec_b64 s[12:13], s[4:5]
	s_cbranch_execnz .LBB9_89
; %bb.31:
	s_or_b64 exec, exec, s[12:13]
	v_mov_b32_e32 v24, s16
	s_and_saveexec_b64 s[4:5], s[10:11]
	s_cbranch_execnz .LBB9_90
.LBB9_32:
	s_or_b64 exec, exec, s[4:5]
	v_cmp_eq_u32_e64 s[4:5], v24, v21
	s_and_saveexec_b64 s[10:11], s[4:5]
	s_cbranch_execz .LBB9_34
.LBB9_33:
	ds_read2_b64 v[24:27], v14 offset1:2
	ds_read_u8 v28, v12 offset:2
	ds_read_u8 v29, v12
	ds_write_b8 v11, v23
	ds_write_b8 v11, v22 offset:2
	s_waitcnt lgkmcnt(4)
	ds_write2_b64 v14, v[26:27], v[24:25] offset1:2
	s_waitcnt lgkmcnt(4)
	ds_write_b8 v12, v28
	s_waitcnt lgkmcnt(4)
	ds_write_b8 v12, v29 offset:2
.LBB9_34:
	s_or_b64 exec, exec, s[10:11]
	s_waitcnt lgkmcnt(0)
	s_barrier
	ds_read_u16 v22, v1
                                        ; implicit-def: $sgpr16
	s_waitcnt lgkmcnt(0)
	v_cmp_le_i16_sdwa s[10:11], sext(v22), sext(v22) src0_sel:BYTE_0 src1_sel:BYTE_1
	v_cmp_gt_i16_sdwa s[4:5], sext(v22), sext(v22) src0_sel:BYTE_0 src1_sel:BYTE_1
	s_and_saveexec_b64 s[12:13], s[4:5]
	s_cbranch_execnz .LBB9_91
; %bb.35:
	s_or_b64 exec, exec, s[12:13]
	v_mov_b32_e32 v23, s16
	s_and_saveexec_b64 s[4:5], s[10:11]
	s_cbranch_execnz .LBB9_92
.LBB9_36:
	s_or_b64 exec, exec, s[4:5]
	v_cmp_eq_u32_e64 s[4:5], v23, v21
	s_and_saveexec_b64 s[10:11], s[4:5]
	s_cbranch_execz .LBB9_38
.LBB9_37:
	v_mov_b32_e32 v21, 8
	s_movk_i32 s4, 0xff
	v_lshlrev_b16_sdwa v21, v21, sext(v22) dst_sel:DWORD dst_unused:UNUSED_PAD src0_sel:DWORD src1_sel:BYTE_0
	v_and_b32_sdwa v22, sext(v22), s4 dst_sel:DWORD dst_unused:UNUSED_PAD src0_sel:BYTE_1 src1_sel:DWORD
	v_add_u32_e32 v28, v8, v10
	v_or_b32_e32 v21, v22, v21
	ds_read_b128 v[24:27], v28
	ds_write_b16 v1, v21
	ds_read_u16 v21, v0
	s_mov_b32 s4, 0xc0c0001
	s_waitcnt lgkmcnt(2)
	v_mov_b32_e32 v22, v26
	v_mov_b32_e32 v23, v27
	s_waitcnt lgkmcnt(0)
	v_perm_b32 v21, 0, v21, s4
	ds_write_b128 v28, v[22:25]
	ds_write_b16 v0, v21
.LBB9_38:
	s_or_b64 exec, exec, s[10:11]
	v_and_b32_e32 v21, 7, v3
	v_sub_u32_e32 v23, v17, v21
	v_add_u32_e32 v21, v16, v23
	s_waitcnt lgkmcnt(0)
	s_barrier
	ds_read_i8 v25, v21
	ds_read_i8 v26, v21 offset:8
	v_add_u32_e32 v22, v15, v23
                                        ; implicit-def: $sgpr16
	s_waitcnt lgkmcnt(0)
	v_cmp_le_i16_e64 s[10:11], v25, v26
	v_cmp_gt_i16_e64 s[4:5], v25, v26
	s_and_saveexec_b64 s[12:13], s[4:5]
	s_cbranch_execz .LBB9_40
; %bb.39:
	ds_read_u8 v24, v22
	s_andn2_b64 s[10:11], s[10:11], exec
	s_mov_b32 s16, 1
	s_waitcnt lgkmcnt(0)
	v_and_b32_e32 v24, 1, v24
	v_cmp_eq_u32_e64 s[4:5], 1, v24
	s_xor_b64 s[4:5], s[4:5], -1
	s_and_b64 s[4:5], s[4:5], exec
	s_or_b64 s[10:11], s[10:11], s[4:5]
.LBB9_40:
	s_or_b64 exec, exec, s[12:13]
	v_mov_b32_e32 v27, s16
	s_and_saveexec_b64 s[4:5], s[10:11]
	s_cbranch_execz .LBB9_42
; %bb.41:
	ds_read_u8 v24, v22 offset:8
	s_waitcnt lgkmcnt(0)
	v_xor_b32_e32 v27, 1, v24
.LBB9_42:
	s_or_b64 exec, exec, s[4:5]
	v_bfe_u32 v24, v3, 3, 1
	v_lshl_add_u32 v23, v23, 3, v13
	v_cmp_eq_u32_e64 s[4:5], v27, v24
	s_and_saveexec_b64 s[10:11], s[4:5]
	s_cbranch_execz .LBB9_44
; %bb.43:
	ds_read2_b64 v[28:31], v23 offset1:8
	ds_read_u8 v27, v22 offset:8
	ds_read_u8 v32, v22
	ds_write_b8 v21, v26
	ds_write_b8 v21, v25 offset:8
	s_waitcnt lgkmcnt(4)
	ds_write2_b64 v23, v[30:31], v[28:29] offset1:8
	s_waitcnt lgkmcnt(4)
	ds_write_b8 v22, v27
	s_waitcnt lgkmcnt(4)
	ds_write_b8 v22, v32 offset:8
.LBB9_44:
	s_or_b64 exec, exec, s[10:11]
	s_waitcnt lgkmcnt(0)
	s_barrier
	ds_read_i8 v25, v18
	ds_read_i8 v26, v18 offset:4
                                        ; implicit-def: $sgpr16
	s_waitcnt lgkmcnt(0)
	v_cmp_le_i16_e64 s[10:11], v25, v26
	v_cmp_gt_i16_e64 s[4:5], v25, v26
	s_and_saveexec_b64 s[12:13], s[4:5]
	s_cbranch_execnz .LBB9_93
; %bb.45:
	s_or_b64 exec, exec, s[12:13]
	v_mov_b32_e32 v27, s16
	s_and_saveexec_b64 s[4:5], s[10:11]
	s_cbranch_execnz .LBB9_94
.LBB9_46:
	s_or_b64 exec, exec, s[4:5]
	v_cmp_eq_u32_e64 s[4:5], v27, v24
	s_and_saveexec_b64 s[10:11], s[4:5]
	s_cbranch_execz .LBB9_48
.LBB9_47:
	ds_read2_b64 v[28:31], v20 offset1:4
	ds_read_u8 v27, v19 offset:4
	ds_read_u8 v32, v19
	ds_write_b8 v18, v26
	ds_write_b8 v18, v25 offset:4
	s_waitcnt lgkmcnt(4)
	ds_write2_b64 v20, v[30:31], v[28:29] offset1:4
	s_waitcnt lgkmcnt(4)
	ds_write_b8 v19, v27
	s_waitcnt lgkmcnt(4)
	ds_write_b8 v19, v32 offset:4
.LBB9_48:
	s_or_b64 exec, exec, s[10:11]
	s_waitcnt lgkmcnt(0)
	s_barrier
	ds_read_i8 v25, v11
	ds_read_i8 v26, v11 offset:2
                                        ; implicit-def: $sgpr16
	s_waitcnt lgkmcnt(0)
	v_cmp_le_i16_e64 s[10:11], v25, v26
	v_cmp_gt_i16_e64 s[4:5], v25, v26
	s_and_saveexec_b64 s[12:13], s[4:5]
	s_cbranch_execnz .LBB9_95
; %bb.49:
	s_or_b64 exec, exec, s[12:13]
	v_mov_b32_e32 v27, s16
	s_and_saveexec_b64 s[4:5], s[10:11]
	s_cbranch_execnz .LBB9_96
.LBB9_50:
	s_or_b64 exec, exec, s[4:5]
	v_cmp_eq_u32_e64 s[4:5], v27, v24
	s_and_saveexec_b64 s[10:11], s[4:5]
	s_cbranch_execz .LBB9_52
.LBB9_51:
	ds_read2_b64 v[28:31], v14 offset1:2
	ds_read_u8 v27, v12 offset:2
	ds_read_u8 v32, v12
	ds_write_b8 v11, v26
	ds_write_b8 v11, v25 offset:2
	s_waitcnt lgkmcnt(4)
	ds_write2_b64 v14, v[30:31], v[28:29] offset1:2
	s_waitcnt lgkmcnt(4)
	ds_write_b8 v12, v27
	s_waitcnt lgkmcnt(4)
	ds_write_b8 v12, v32 offset:2
.LBB9_52:
	s_or_b64 exec, exec, s[10:11]
	s_waitcnt lgkmcnt(0)
	s_barrier
	ds_read_u16 v25, v1
                                        ; implicit-def: $sgpr16
	s_waitcnt lgkmcnt(0)
	v_cmp_le_i16_sdwa s[10:11], sext(v25), sext(v25) src0_sel:BYTE_0 src1_sel:BYTE_1
	v_cmp_gt_i16_sdwa s[4:5], sext(v25), sext(v25) src0_sel:BYTE_0 src1_sel:BYTE_1
	s_and_saveexec_b64 s[12:13], s[4:5]
	s_cbranch_execnz .LBB9_97
; %bb.53:
	s_or_b64 exec, exec, s[12:13]
	v_mov_b32_e32 v26, s16
	s_and_saveexec_b64 s[4:5], s[10:11]
	s_cbranch_execnz .LBB9_98
.LBB9_54:
	s_or_b64 exec, exec, s[4:5]
	v_cmp_eq_u32_e64 s[4:5], v26, v24
	s_and_saveexec_b64 s[10:11], s[4:5]
	s_cbranch_execz .LBB9_56
.LBB9_55:
	v_add_u32_e32 v30, v8, v10
	ds_read_b128 v[26:29], v30
	ds_read_u16 v31, v0
	v_mov_b32_e32 v24, 8
	s_movk_i32 s4, 0xff
	v_lshlrev_b16_sdwa v24, v24, sext(v25) dst_sel:DWORD dst_unused:UNUSED_PAD src0_sel:DWORD src1_sel:BYTE_0
	v_and_b32_sdwa v25, sext(v25), s4 dst_sel:DWORD dst_unused:UNUSED_PAD src0_sel:BYTE_1 src1_sel:DWORD
	v_or_b32_e32 v24, v25, v24
	ds_write_b16 v1, v24
	s_waitcnt lgkmcnt(2)
	v_mov_b32_e32 v24, v28
	v_mov_b32_e32 v25, v29
	s_mov_b32 s4, 0xc0c0001
	ds_write_b128 v30, v[24:27]
	s_waitcnt lgkmcnt(2)
	v_perm_b32 v24, 0, v31, s4
	ds_write_b16 v0, v24
.LBB9_56:
	s_or_b64 exec, exec, s[10:11]
	v_and_b32_e32 v24, 15, v3
	v_sub_u32_e32 v25, v17, v24
	v_add_u32_e32 v16, v16, v25
	s_waitcnt lgkmcnt(0)
	s_barrier
	ds_read_i8 v17, v16
	ds_read_i8 v24, v16 offset:16
	v_add_u32_e32 v15, v15, v25
	s_waitcnt lgkmcnt(0)
	v_cmp_le_i16_e64 s[12:13], v17, v24
	v_cmp_gt_i16_e64 s[4:5], v17, v24
	s_and_saveexec_b64 s[10:11], s[4:5]
	s_cbranch_execz .LBB9_58
; %bb.57:
	ds_read_u8 v26, v15
	s_andn2_b64 s[12:13], s[12:13], exec
	s_waitcnt lgkmcnt(0)
	v_and_b32_e32 v26, 1, v26
	v_cmp_eq_u32_e64 s[4:5], 1, v26
	s_xor_b64 s[4:5], s[4:5], -1
	s_and_b64 s[4:5], s[4:5], exec
	s_or_b64 s[12:13], s[12:13], s[4:5]
.LBB9_58:
	s_or_b64 exec, exec, s[10:11]
	s_and_saveexec_b64 s[10:11], s[12:13]
	s_cbranch_execz .LBB9_61
; %bb.59:
	ds_read_u8 v26, v15 offset:16
	s_waitcnt lgkmcnt(0)
	v_cmp_ne_u16_e64 s[4:5], 0, v26
	s_and_b64 exec, exec, s[4:5]
	s_cbranch_execz .LBB9_61
; %bb.60:
	v_lshl_add_u32 v13, v25, 3, v13
	ds_read2_b64 v[28:31], v13 offset1:16
	ds_read_u8 v25, v15
	ds_write_b8 v16, v24
	ds_write_b8 v16, v17 offset:16
	ds_write_b8 v15, v26
	s_waitcnt lgkmcnt(4)
	ds_write2_b64 v13, v[30:31], v[28:29] offset1:16
	s_waitcnt lgkmcnt(4)
	ds_write_b8 v15, v25 offset:16
.LBB9_61:
	s_or_b64 exec, exec, s[10:11]
	s_waitcnt lgkmcnt(0)
	s_barrier
	ds_read_i8 v13, v21
	ds_read_i8 v15, v21 offset:8
	s_waitcnt lgkmcnt(0)
	v_cmp_le_i16_e64 s[12:13], v13, v15
	v_cmp_gt_i16_e64 s[4:5], v13, v15
	s_and_saveexec_b64 s[10:11], s[4:5]
	s_cbranch_execz .LBB9_63
; %bb.62:
	ds_read_u8 v16, v22
	s_andn2_b64 s[12:13], s[12:13], exec
	s_waitcnt lgkmcnt(0)
	v_and_b32_e32 v16, 1, v16
	v_cmp_eq_u32_e64 s[4:5], 1, v16
	s_xor_b64 s[4:5], s[4:5], -1
	s_and_b64 s[4:5], s[4:5], exec
	s_or_b64 s[12:13], s[12:13], s[4:5]
.LBB9_63:
	s_or_b64 exec, exec, s[10:11]
	s_and_saveexec_b64 s[10:11], s[12:13]
	s_cbranch_execz .LBB9_66
; %bb.64:
	ds_read_u8 v16, v22 offset:8
	s_waitcnt lgkmcnt(0)
	v_cmp_ne_u16_e64 s[4:5], 0, v16
	s_and_b64 exec, exec, s[4:5]
	s_cbranch_execz .LBB9_66
; %bb.65:
	ds_read2_b64 v[24:27], v23 offset1:8
	ds_read_u8 v17, v22
	ds_write_b8 v21, v15
	ds_write_b8 v21, v13 offset:8
	ds_write_b8 v22, v16
	s_waitcnt lgkmcnt(4)
	ds_write2_b64 v23, v[26:27], v[24:25] offset1:8
	s_waitcnt lgkmcnt(4)
	ds_write_b8 v22, v17 offset:8
.LBB9_66:
	s_or_b64 exec, exec, s[10:11]
	s_waitcnt lgkmcnt(0)
	s_barrier
	ds_read_i8 v13, v18
	ds_read_i8 v15, v18 offset:4
	s_waitcnt lgkmcnt(0)
	v_cmp_le_i16_e64 s[12:13], v13, v15
	v_cmp_gt_i16_e64 s[4:5], v13, v15
	s_and_saveexec_b64 s[10:11], s[4:5]
	s_cbranch_execz .LBB9_68
; %bb.67:
	ds_read_u8 v16, v19
	s_andn2_b64 s[12:13], s[12:13], exec
	s_waitcnt lgkmcnt(0)
	v_and_b32_e32 v16, 1, v16
	v_cmp_eq_u32_e64 s[4:5], 1, v16
	s_xor_b64 s[4:5], s[4:5], -1
	s_and_b64 s[4:5], s[4:5], exec
	s_or_b64 s[12:13], s[12:13], s[4:5]
.LBB9_68:
	s_or_b64 exec, exec, s[10:11]
	s_and_saveexec_b64 s[10:11], s[12:13]
	s_cbranch_execz .LBB9_71
; %bb.69:
	ds_read_u8 v16, v19 offset:4
	s_waitcnt lgkmcnt(0)
	v_cmp_ne_u16_e64 s[4:5], 0, v16
	s_and_b64 exec, exec, s[4:5]
	s_cbranch_execz .LBB9_71
; %bb.70:
	ds_read2_b64 v[22:25], v20 offset1:4
	ds_read_u8 v17, v19
	ds_write_b8 v18, v15
	ds_write_b8 v18, v13 offset:4
	ds_write_b8 v19, v16
	s_waitcnt lgkmcnt(4)
	ds_write2_b64 v20, v[24:25], v[22:23] offset1:4
	s_waitcnt lgkmcnt(4)
	ds_write_b8 v19, v17 offset:4
.LBB9_71:
	s_or_b64 exec, exec, s[10:11]
	s_waitcnt lgkmcnt(0)
	s_barrier
	ds_read_i8 v13, v11
	ds_read_i8 v15, v11 offset:2
	s_waitcnt lgkmcnt(0)
	v_cmp_le_i16_e64 s[12:13], v13, v15
	v_cmp_gt_i16_e64 s[4:5], v13, v15
	s_and_saveexec_b64 s[10:11], s[4:5]
	s_cbranch_execz .LBB9_73
; %bb.72:
	ds_read_u8 v16, v12
	s_andn2_b64 s[12:13], s[12:13], exec
	s_waitcnt lgkmcnt(0)
	v_and_b32_e32 v16, 1, v16
	v_cmp_eq_u32_e64 s[4:5], 1, v16
	s_xor_b64 s[4:5], s[4:5], -1
	s_and_b64 s[4:5], s[4:5], exec
	s_or_b64 s[12:13], s[12:13], s[4:5]
.LBB9_73:
	s_or_b64 exec, exec, s[10:11]
	s_and_saveexec_b64 s[10:11], s[12:13]
	s_cbranch_execz .LBB9_76
; %bb.74:
	ds_read_u8 v16, v12 offset:2
	s_waitcnt lgkmcnt(0)
	v_cmp_ne_u16_e64 s[4:5], 0, v16
	s_and_b64 exec, exec, s[4:5]
	s_cbranch_execz .LBB9_76
; %bb.75:
	ds_read2_b64 v[18:21], v14 offset1:2
	ds_read_u8 v17, v12
	ds_write_b8 v11, v15
	ds_write_b8 v11, v13 offset:2
	ds_write_b8 v12, v16
	s_waitcnt lgkmcnt(4)
	ds_write2_b64 v14, v[20:21], v[18:19] offset1:2
	s_waitcnt lgkmcnt(4)
	ds_write_b8 v12, v17 offset:2
.LBB9_76:
	s_or_b64 exec, exec, s[10:11]
	s_waitcnt lgkmcnt(0)
	s_barrier
	ds_read_u16 v11, v1
	s_waitcnt lgkmcnt(0)
	v_cmp_le_i16_sdwa s[12:13], sext(v11), sext(v11) src0_sel:BYTE_0 src1_sel:BYTE_1
	v_cmp_gt_i16_sdwa s[4:5], sext(v11), sext(v11) src0_sel:BYTE_0 src1_sel:BYTE_1
	s_and_saveexec_b64 s[10:11], s[4:5]
	s_cbranch_execz .LBB9_78
; %bb.77:
	ds_read_u8 v12, v0
	s_andn2_b64 s[12:13], s[12:13], exec
	s_waitcnt lgkmcnt(0)
	v_and_b32_e32 v12, 1, v12
	v_cmp_eq_u32_e64 s[4:5], 1, v12
	s_xor_b64 s[4:5], s[4:5], -1
	s_and_b64 s[4:5], s[4:5], exec
	s_or_b64 s[12:13], s[12:13], s[4:5]
.LBB9_78:
	s_or_b64 exec, exec, s[10:11]
	s_and_saveexec_b64 s[10:11], s[12:13]
	s_cbranch_execz .LBB9_81
; %bb.79:
	ds_read_u8 v12, v0 offset:1
	s_waitcnt lgkmcnt(0)
	v_cmp_ne_u16_e64 s[4:5], 0, v12
	s_and_b64 exec, exec, s[4:5]
	s_cbranch_execz .LBB9_81
; %bb.80:
	v_mov_b32_e32 v13, 8
	s_movk_i32 s4, 0xff
	v_lshlrev_b16_sdwa v13, v13, sext(v11) dst_sel:DWORD dst_unused:UNUSED_PAD src0_sel:DWORD src1_sel:BYTE_0
	v_and_b32_sdwa v11, sext(v11), s4 dst_sel:DWORD dst_unused:UNUSED_PAD src0_sel:BYTE_1 src1_sel:DWORD
	v_add_u32_e32 v10, v8, v10
	v_or_b32_e32 v11, v11, v13
	ds_read_b128 v[14:17], v10
	ds_write_b16 v1, v11
	ds_read_u8 v1, v0
	s_waitcnt lgkmcnt(2)
	v_mov_b32_e32 v18, v14
	v_mov_b32_e32 v19, v15
	s_waitcnt lgkmcnt(0)
	v_lshlrev_b16_e32 v1, 8, v1
	v_or_b32_e32 v1, v12, v1
	ds_write_b128 v10, v[16:19]
	ds_write_b16 v0, v1
.LBB9_81:
	s_or_b64 exec, exec, s[10:11]
	s_waitcnt lgkmcnt(0)
	s_barrier
	s_and_saveexec_b64 s[4:5], vcc
	s_cbranch_execz .LBB9_86
; %bb.82:
	s_and_saveexec_b64 s[4:5], s[0:1]
	s_cbranch_execz .LBB9_84
; %bb.83:
	ds_read_u8 v10, v9
	v_mad_u64_u32 v[0:1], s[0:1], v3, s14, v[2:3]
	ds_read_b64 v[8:9], v8
	s_waitcnt lgkmcnt(1)
	global_store_byte v0, v10, s[6:7]
	v_mad_u64_u32 v[0:1], s[0:1], v3, s15, v[4:5]
	v_mov_b32_e32 v1, 0
	v_lshlrev_b64 v[0:1], 3, v[0:1]
	v_mov_b32_e32 v3, s9
	v_add_co_u32_e32 v0, vcc, s8, v0
	v_addc_co_u32_e32 v1, vcc, v3, v1, vcc
	s_waitcnt lgkmcnt(0)
	global_store_dwordx2 v[0:1], v[8:9], off
.LBB9_84:
	s_or_b64 exec, exec, s[4:5]
	s_and_b64 exec, exec, s[2:3]
	s_cbranch_execz .LBB9_86
; %bb.85:
	ds_read_u8 v7, v7
	v_mad_u64_u32 v[0:1], s[0:1], v5, s14, v[2:3]
	ds_read_b64 v[2:3], v6
	s_waitcnt lgkmcnt(1)
	global_store_byte v0, v7, s[6:7]
	v_mad_u64_u32 v[0:1], s[0:1], v5, s15, v[4:5]
	v_mov_b32_e32 v1, 0
	v_lshlrev_b64 v[0:1], 3, v[0:1]
	v_mov_b32_e32 v4, s9
	v_add_co_u32_e32 v0, vcc, s8, v0
	v_addc_co_u32_e32 v1, vcc, v4, v1, vcc
	s_waitcnt lgkmcnt(0)
	global_store_dwordx2 v[0:1], v[2:3], off
.LBB9_86:
	s_endpgm
.LBB9_87:
	ds_read_u8 v20, v0
	s_andn2_b64 s[10:11], s[10:11], exec
	s_mov_b32 s16, 1
	s_waitcnt lgkmcnt(0)
	v_and_b32_e32 v20, 1, v20
	v_cmp_eq_u32_e64 s[4:5], 1, v20
	s_xor_b64 s[4:5], s[4:5], -1
	s_and_b64 s[4:5], s[4:5], exec
	s_or_b64 s[10:11], s[10:11], s[4:5]
	s_or_b64 exec, exec, s[12:13]
	v_mov_b32_e32 v20, s16
	s_and_saveexec_b64 s[4:5], s[10:11]
	s_cbranch_execz .LBB9_22
.LBB9_88:
	ds_read_u8 v20, v0 offset:1
	s_waitcnt lgkmcnt(0)
	v_xor_b32_e32 v20, 1, v20
	s_or_b64 exec, exec, s[4:5]
	v_cmp_eq_u32_e64 s[4:5], v20, v18
	s_and_saveexec_b64 s[10:11], s[4:5]
	s_cbranch_execnz .LBB9_23
	s_branch .LBB9_24
.LBB9_89:
	ds_read_u8 v24, v12
	s_andn2_b64 s[10:11], s[10:11], exec
	s_mov_b32 s16, 1
	s_waitcnt lgkmcnt(0)
	v_and_b32_e32 v24, 1, v24
	v_cmp_eq_u32_e64 s[4:5], 1, v24
	s_xor_b64 s[4:5], s[4:5], -1
	s_and_b64 s[4:5], s[4:5], exec
	s_or_b64 s[10:11], s[10:11], s[4:5]
	s_or_b64 exec, exec, s[12:13]
	v_mov_b32_e32 v24, s16
	s_and_saveexec_b64 s[4:5], s[10:11]
	s_cbranch_execz .LBB9_32
.LBB9_90:
	ds_read_u8 v24, v12 offset:2
	s_waitcnt lgkmcnt(0)
	v_xor_b32_e32 v24, 1, v24
	s_or_b64 exec, exec, s[4:5]
	v_cmp_eq_u32_e64 s[4:5], v24, v21
	s_and_saveexec_b64 s[10:11], s[4:5]
	s_cbranch_execnz .LBB9_33
	s_branch .LBB9_34
.LBB9_91:
	ds_read_u8 v23, v0
	s_andn2_b64 s[10:11], s[10:11], exec
	s_mov_b32 s16, 1
	s_waitcnt lgkmcnt(0)
	v_and_b32_e32 v23, 1, v23
	v_cmp_eq_u32_e64 s[4:5], 1, v23
	s_xor_b64 s[4:5], s[4:5], -1
	s_and_b64 s[4:5], s[4:5], exec
	s_or_b64 s[10:11], s[10:11], s[4:5]
	s_or_b64 exec, exec, s[12:13]
	v_mov_b32_e32 v23, s16
	s_and_saveexec_b64 s[4:5], s[10:11]
	s_cbranch_execz .LBB9_36
.LBB9_92:
	ds_read_u8 v23, v0 offset:1
	s_waitcnt lgkmcnt(0)
	v_xor_b32_e32 v23, 1, v23
	s_or_b64 exec, exec, s[4:5]
	v_cmp_eq_u32_e64 s[4:5], v23, v21
	s_and_saveexec_b64 s[10:11], s[4:5]
	s_cbranch_execnz .LBB9_37
	s_branch .LBB9_38
.LBB9_93:
	ds_read_u8 v27, v19
	s_andn2_b64 s[10:11], s[10:11], exec
	s_mov_b32 s16, 1
	s_waitcnt lgkmcnt(0)
	v_and_b32_e32 v27, 1, v27
	v_cmp_eq_u32_e64 s[4:5], 1, v27
	s_xor_b64 s[4:5], s[4:5], -1
	s_and_b64 s[4:5], s[4:5], exec
	s_or_b64 s[10:11], s[10:11], s[4:5]
	s_or_b64 exec, exec, s[12:13]
	v_mov_b32_e32 v27, s16
	s_and_saveexec_b64 s[4:5], s[10:11]
	s_cbranch_execz .LBB9_46
.LBB9_94:
	ds_read_u8 v27, v19 offset:4
	s_waitcnt lgkmcnt(0)
	v_xor_b32_e32 v27, 1, v27
	s_or_b64 exec, exec, s[4:5]
	v_cmp_eq_u32_e64 s[4:5], v27, v24
	s_and_saveexec_b64 s[10:11], s[4:5]
	s_cbranch_execnz .LBB9_47
	s_branch .LBB9_48
.LBB9_95:
	ds_read_u8 v27, v12
	s_andn2_b64 s[10:11], s[10:11], exec
	s_mov_b32 s16, 1
	s_waitcnt lgkmcnt(0)
	v_and_b32_e32 v27, 1, v27
	v_cmp_eq_u32_e64 s[4:5], 1, v27
	s_xor_b64 s[4:5], s[4:5], -1
	s_and_b64 s[4:5], s[4:5], exec
	s_or_b64 s[10:11], s[10:11], s[4:5]
	s_or_b64 exec, exec, s[12:13]
	v_mov_b32_e32 v27, s16
	s_and_saveexec_b64 s[4:5], s[10:11]
	s_cbranch_execz .LBB9_50
.LBB9_96:
	ds_read_u8 v27, v12 offset:2
	s_waitcnt lgkmcnt(0)
	v_xor_b32_e32 v27, 1, v27
	s_or_b64 exec, exec, s[4:5]
	v_cmp_eq_u32_e64 s[4:5], v27, v24
	s_and_saveexec_b64 s[10:11], s[4:5]
	s_cbranch_execnz .LBB9_51
	s_branch .LBB9_52
.LBB9_97:
	ds_read_u8 v26, v0
	s_andn2_b64 s[10:11], s[10:11], exec
	s_mov_b32 s16, 1
	s_waitcnt lgkmcnt(0)
	v_and_b32_e32 v26, 1, v26
	v_cmp_eq_u32_e64 s[4:5], 1, v26
	s_xor_b64 s[4:5], s[4:5], -1
	s_and_b64 s[4:5], s[4:5], exec
	s_or_b64 s[10:11], s[10:11], s[4:5]
	s_or_b64 exec, exec, s[12:13]
	v_mov_b32_e32 v26, s16
	s_and_saveexec_b64 s[4:5], s[10:11]
	s_cbranch_execz .LBB9_54
.LBB9_98:
	ds_read_u8 v26, v0 offset:1
	s_waitcnt lgkmcnt(0)
	v_xor_b32_e32 v26, 1, v26
	s_or_b64 exec, exec, s[4:5]
	v_cmp_eq_u32_e64 s[4:5], v26, v24
	s_and_saveexec_b64 s[10:11], s[4:5]
	s_cbranch_execnz .LBB9_55
	s_branch .LBB9_56
	.section	.rodata,"a",@progbits
	.p2align	6, 0x0
	.amdhsa_kernel _ZN2at6native20bitonicSortKVInPlaceILin2ELin1ELi16ELi16EalNS0_4GTOpIaLb1EEEjEEvNS_4cuda6detail10TensorInfoIT3_T6_EES8_S8_S8_NS6_IT4_S8_EES8_T5_
		.amdhsa_group_segment_fixed_size 5120
		.amdhsa_private_segment_fixed_size 0
		.amdhsa_kernarg_size 712
		.amdhsa_user_sgpr_count 6
		.amdhsa_user_sgpr_private_segment_buffer 1
		.amdhsa_user_sgpr_dispatch_ptr 0
		.amdhsa_user_sgpr_queue_ptr 0
		.amdhsa_user_sgpr_kernarg_segment_ptr 1
		.amdhsa_user_sgpr_dispatch_id 0
		.amdhsa_user_sgpr_flat_scratch_init 0
		.amdhsa_user_sgpr_kernarg_preload_length 0
		.amdhsa_user_sgpr_kernarg_preload_offset 0
		.amdhsa_user_sgpr_private_segment_size 0
		.amdhsa_uses_dynamic_stack 0
		.amdhsa_system_sgpr_private_segment_wavefront_offset 0
		.amdhsa_system_sgpr_workgroup_id_x 1
		.amdhsa_system_sgpr_workgroup_id_y 1
		.amdhsa_system_sgpr_workgroup_id_z 1
		.amdhsa_system_sgpr_workgroup_info 0
		.amdhsa_system_vgpr_workitem_id 1
		.amdhsa_next_free_vgpr 33
		.amdhsa_next_free_sgpr 18
		.amdhsa_accum_offset 36
		.amdhsa_reserve_vcc 1
		.amdhsa_reserve_flat_scratch 0
		.amdhsa_float_round_mode_32 0
		.amdhsa_float_round_mode_16_64 0
		.amdhsa_float_denorm_mode_32 3
		.amdhsa_float_denorm_mode_16_64 3
		.amdhsa_dx10_clamp 1
		.amdhsa_ieee_mode 1
		.amdhsa_fp16_overflow 0
		.amdhsa_tg_split 0
		.amdhsa_exception_fp_ieee_invalid_op 0
		.amdhsa_exception_fp_denorm_src 0
		.amdhsa_exception_fp_ieee_div_zero 0
		.amdhsa_exception_fp_ieee_overflow 0
		.amdhsa_exception_fp_ieee_underflow 0
		.amdhsa_exception_fp_ieee_inexact 0
		.amdhsa_exception_int_div_zero 0
	.end_amdhsa_kernel
	.section	.text._ZN2at6native20bitonicSortKVInPlaceILin2ELin1ELi16ELi16EalNS0_4GTOpIaLb1EEEjEEvNS_4cuda6detail10TensorInfoIT3_T6_EES8_S8_S8_NS6_IT4_S8_EES8_T5_,"axG",@progbits,_ZN2at6native20bitonicSortKVInPlaceILin2ELin1ELi16ELi16EalNS0_4GTOpIaLb1EEEjEEvNS_4cuda6detail10TensorInfoIT3_T6_EES8_S8_S8_NS6_IT4_S8_EES8_T5_,comdat
.Lfunc_end9:
	.size	_ZN2at6native20bitonicSortKVInPlaceILin2ELin1ELi16ELi16EalNS0_4GTOpIaLb1EEEjEEvNS_4cuda6detail10TensorInfoIT3_T6_EES8_S8_S8_NS6_IT4_S8_EES8_T5_, .Lfunc_end9-_ZN2at6native20bitonicSortKVInPlaceILin2ELin1ELi16ELi16EalNS0_4GTOpIaLb1EEEjEEvNS_4cuda6detail10TensorInfoIT3_T6_EES8_S8_S8_NS6_IT4_S8_EES8_T5_
                                        ; -- End function
	.section	.AMDGPU.csdata,"",@progbits
; Kernel info:
; codeLenInByte = 4708
; NumSgprs: 22
; NumVgprs: 33
; NumAgprs: 0
; TotalNumVgprs: 33
; ScratchSize: 0
; MemoryBound: 0
; FloatMode: 240
; IeeeMode: 1
; LDSByteSize: 5120 bytes/workgroup (compile time only)
; SGPRBlocks: 2
; VGPRBlocks: 4
; NumSGPRsForWavesPerEU: 22
; NumVGPRsForWavesPerEU: 33
; AccumOffset: 36
; Occupancy: 8
; WaveLimiterHint : 1
; COMPUTE_PGM_RSRC2:SCRATCH_EN: 0
; COMPUTE_PGM_RSRC2:USER_SGPR: 6
; COMPUTE_PGM_RSRC2:TRAP_HANDLER: 0
; COMPUTE_PGM_RSRC2:TGID_X_EN: 1
; COMPUTE_PGM_RSRC2:TGID_Y_EN: 1
; COMPUTE_PGM_RSRC2:TGID_Z_EN: 1
; COMPUTE_PGM_RSRC2:TIDIG_COMP_CNT: 1
; COMPUTE_PGM_RSRC3_GFX90A:ACCUM_OFFSET: 8
; COMPUTE_PGM_RSRC3_GFX90A:TG_SPLIT: 0
	.section	.text._ZN2at6native20bitonicSortKVInPlaceILi2ELin1ELi16ELi16EalNS0_4LTOpIaLb1EEEjEEvNS_4cuda6detail10TensorInfoIT3_T6_EES8_S8_S8_NS6_IT4_S8_EES8_T5_,"axG",@progbits,_ZN2at6native20bitonicSortKVInPlaceILi2ELin1ELi16ELi16EalNS0_4LTOpIaLb1EEEjEEvNS_4cuda6detail10TensorInfoIT3_T6_EES8_S8_S8_NS6_IT4_S8_EES8_T5_,comdat
	.protected	_ZN2at6native20bitonicSortKVInPlaceILi2ELin1ELi16ELi16EalNS0_4LTOpIaLb1EEEjEEvNS_4cuda6detail10TensorInfoIT3_T6_EES8_S8_S8_NS6_IT4_S8_EES8_T5_ ; -- Begin function _ZN2at6native20bitonicSortKVInPlaceILi2ELin1ELi16ELi16EalNS0_4LTOpIaLb1EEEjEEvNS_4cuda6detail10TensorInfoIT3_T6_EES8_S8_S8_NS6_IT4_S8_EES8_T5_
	.globl	_ZN2at6native20bitonicSortKVInPlaceILi2ELin1ELi16ELi16EalNS0_4LTOpIaLb1EEEjEEvNS_4cuda6detail10TensorInfoIT3_T6_EES8_S8_S8_NS6_IT4_S8_EES8_T5_
	.p2align	8
	.type	_ZN2at6native20bitonicSortKVInPlaceILi2ELin1ELi16ELi16EalNS0_4LTOpIaLb1EEEjEEvNS_4cuda6detail10TensorInfoIT3_T6_EES8_S8_S8_NS6_IT4_S8_EES8_T5_,@function
_ZN2at6native20bitonicSortKVInPlaceILi2ELin1ELi16ELi16EalNS0_4LTOpIaLb1EEEjEEvNS_4cuda6detail10TensorInfoIT3_T6_EES8_S8_S8_NS6_IT4_S8_EES8_T5_: ; @_ZN2at6native20bitonicSortKVInPlaceILi2ELin1ELi16ELi16EalNS0_4LTOpIaLb1EEEjEEvNS_4cuda6detail10TensorInfoIT3_T6_EES8_S8_S8_NS6_IT4_S8_EES8_T5_
; %bb.0:
	s_load_dwordx2 s[0:1], s[4:5], 0x1c8
	s_load_dwordx4 s[12:15], s[4:5], 0xd8
	s_load_dword s9, s[4:5], 0x1d4
	s_add_u32 s2, s4, 0x1c8
	s_addc_u32 s3, s5, 0
	s_waitcnt lgkmcnt(0)
	s_mul_i32 s1, s1, s8
	s_add_i32 s1, s1, s7
	s_mul_i32 s0, s1, s0
	s_add_i32 s0, s0, s6
	s_lshr_b32 s1, s9, 16
	s_mul_i32 s0, s0, s1
	s_cmp_ge_u32 s0, s12
	s_cbranch_scc1 .LBB10_86
; %bb.1:
	s_load_dword s15, s[4:5], 0xc
	s_load_dwordx2 s[8:9], s[4:5], 0x6c
	s_load_dword s17, s[4:5], 0x1b8
	s_add_u32 s10, s4, 0xe8
	v_bfe_u32 v8, v0, 10, 10
	s_waitcnt lgkmcnt(0)
	v_cvt_f32_u32_e32 v1, s15
	s_load_dwordx2 s[6:7], s[4:5], 0x0
	s_addc_u32 s11, s5, 0
	s_mov_b32 s1, 0
	v_rcp_iflag_f32_e32 v1, v1
	v_mov_b32_e32 v4, 0
	v_mul_f32_e32 v1, 0x4f7ffffe, v1
	v_cvt_u32_f32_e32 v2, v1
	v_add_u32_e32 v1, s0, v8
	s_sub_i32 s0, 0, s15
	s_cmp_lt_i32 s17, 2
	v_mul_lo_u32 v3, s0, v2
	v_mul_hi_u32 v3, v2, v3
	v_add_u32_e32 v2, v2, v3
	v_mad_u64_u32 v[2:3], s[18:19], v1, v2, 0
	v_mov_b32_e32 v6, v1
	s_cbranch_scc1 .LBB10_4
; %bb.2:
	s_add_i32 s0, s17, -1
	s_add_i32 s16, s17, 1
	s_lshl_b64 s[0:1], s[0:1], 2
	s_add_u32 s0, s0, s10
	s_addc_u32 s1, s1, s11
	s_add_u32 s0, s0, 8
	s_addc_u32 s1, s1, 0
	v_mov_b32_e32 v4, 0
	v_mov_b32_e32 v6, v1
.LBB10_3:                               ; =>This Inner Loop Header: Depth=1
	s_load_dword s17, s[0:1], 0x0
	s_load_dword s18, s[0:1], 0x64
	v_mov_b32_e32 v2, v6
	s_add_i32 s16, s16, -1
	s_waitcnt lgkmcnt(0)
	v_cvt_f32_u32_e32 v5, s17
	s_sub_i32 s19, 0, s17
	s_add_u32 s0, s0, -4
	s_addc_u32 s1, s1, -1
	v_rcp_iflag_f32_e32 v5, v5
	s_cmp_gt_u32 s16, 2
	v_mul_f32_e32 v5, 0x4f7ffffe, v5
	v_cvt_u32_f32_e32 v5, v5
	v_mul_lo_u32 v6, s19, v5
	v_mul_hi_u32 v6, v5, v6
	v_add_u32_e32 v5, v5, v6
	v_mul_hi_u32 v5, v2, v5
	v_mul_lo_u32 v6, v5, s17
	v_sub_u32_e32 v6, v2, v6
	v_add_u32_e32 v7, 1, v5
	v_cmp_le_u32_e32 vcc, s17, v6
	v_cndmask_b32_e32 v5, v5, v7, vcc
	v_subrev_u32_e32 v7, s17, v6
	v_cndmask_b32_e32 v6, v6, v7, vcc
	v_add_u32_e32 v7, 1, v5
	v_cmp_le_u32_e32 vcc, s17, v6
	v_cndmask_b32_e32 v6, v5, v7, vcc
	v_mul_lo_u32 v5, v6, s17
	v_sub_u32_e32 v2, v2, v5
	v_mad_u64_u32 v[4:5], s[18:19], s18, v2, v[4:5]
	s_cbranch_scc1 .LBB10_3
.LBB10_4:
	v_mul_lo_u32 v2, v3, s15
	v_sub_u32_e32 v2, v1, v2
	v_add_u32_e32 v5, 1, v3
	v_cmp_le_u32_e64 s[0:1], s15, v2
	v_cndmask_b32_e64 v3, v3, v5, s[0:1]
	v_subrev_u32_e32 v5, s15, v2
	v_cndmask_b32_e64 v2, v2, v5, s[0:1]
	v_add_u32_e32 v5, 1, v3
	v_cmp_le_u32_e64 s[0:1], s15, v2
	v_cndmask_b32_e64 v3, v3, v5, s[0:1]
	v_cmp_gt_u32_e32 vcc, s12, v1
	v_mul_lo_u32 v2, v3, s15
	s_load_dword s15, s[4:5], 0x1c0
	s_load_dword s12, s[10:11], 0x6c
	v_sub_u32_e32 v1, v1, v2
	v_mul_lo_u32 v2, v1, s9
	v_mad_u64_u32 v[2:3], s[0:1], v3, s8, v[2:3]
	s_load_dwordx2 s[8:9], s[10:11], 0x0
	s_waitcnt lgkmcnt(0)
	v_mad_u64_u32 v[4:5], s[0:1], s12, v6, v[4:5]
	s_load_dword s12, s[2:3], 0xc
	v_and_b32_e32 v3, 0x3ff, v0
	v_cmp_gt_u32_e64 s[0:1], s13, v3
	v_pk_mov_b32 v[0:1], 0, 0
	s_and_b64 s[4:5], vcc, s[0:1]
	v_mov_b32_e32 v10, 0
	v_mov_b32_e32 v5, 0
	v_pk_mov_b32 v[6:7], v[0:1], v[0:1] op_sel:[0,1]
	s_and_saveexec_b64 s[10:11], s[4:5]
	s_cbranch_execz .LBB10_6
; %bb.5:
	v_mad_u64_u32 v[6:7], s[2:3], v3, s14, v[2:3]
	global_load_ubyte v5, v6, s[6:7]
	v_mov_b32_e32 v9, s9
	s_waitcnt vmcnt(0)
	v_mad_u64_u32 v[6:7], s[2:3], v3, s15, v[4:5]
	v_mov_b32_e32 v7, 0
	v_lshlrev_b64 v[6:7], 3, v[6:7]
	v_add_co_u32_e64 v6, s[2:3], s8, v6
	v_addc_co_u32_e64 v7, s[2:3], v9, v7, s[2:3]
	global_load_dwordx2 v[6:7], v[6:7], off
.LBB10_6:
	s_or_b64 exec, exec, s[10:11]
	v_lshlrev_b32_e32 v9, 5, v8
	v_add_u32_e32 v16, 0x1000, v9
	v_add_u32_e32 v15, 0x1200, v9
	;; [unrolled: 1-line block ×3, first 2 shown]
	s_waitcnt lgkmcnt(0)
	s_and_b32 s16, 0xffff, s12
	v_cndmask_b32_e64 v11, 0, 1, s[4:5]
	ds_write_b8 v9, v5
	v_add_u32_e32 v5, v15, v3
	ds_write_b8 v5, v11
	v_add_u32_e32 v5, s16, v3
	v_lshlrev_b32_e32 v13, 8, v8
	v_cmp_gt_u32_e64 s[2:3], s13, v5
	v_lshl_add_u32 v8, v3, 3, v13
	s_and_b64 s[10:11], vcc, s[2:3]
	s_waitcnt vmcnt(0)
	ds_write_b64 v8, v[6:7]
	s_and_saveexec_b64 s[12:13], s[10:11]
	s_cbranch_execz .LBB10_8
; %bb.7:
	v_mad_u64_u32 v[0:1], s[4:5], v5, s14, v[2:3]
	global_load_ubyte v10, v0, s[6:7]
	v_mad_u64_u32 v[0:1], s[4:5], v5, s15, v[4:5]
	v_mov_b32_e32 v1, 0
	v_lshlrev_b64 v[0:1], 3, v[0:1]
	v_mov_b32_e32 v6, s9
	v_add_co_u32_e64 v0, s[4:5], s8, v0
	v_addc_co_u32_e64 v1, s[4:5], v6, v1, s[4:5]
	global_load_dwordx2 v[0:1], v[0:1], off
.LBB10_8:
	s_or_b64 exec, exec, s[12:13]
	v_lshl_add_u32 v6, s16, 3, v8
	v_lshlrev_b32_e32 v17, 1, v3
	v_cndmask_b32_e64 v11, 0, 1, s[10:11]
	v_add_u32_e32 v7, v16, v5
	s_waitcnt vmcnt(0)
	ds_write_b64 v6, v[0:1]
	v_add_u32_e32 v0, v15, v5
	v_add_u32_e32 v1, v16, v17
	ds_write_b8 v7, v10
	ds_write_b8 v0, v11
	s_waitcnt lgkmcnt(0)
	s_barrier
	ds_read_u16 v11, v1
	s_mov_b32 s16, 1
	v_add_u32_e32 v0, v15, v17
	s_waitcnt lgkmcnt(0)
	v_ashrrev_i16_e32 v12, 8, v11
	v_cmp_ge_i16_sdwa s[10:11], sext(v11), v12 src0_sel:BYTE_0 src1_sel:DWORD
	v_cmp_lt_i16_sdwa s[4:5], sext(v11), v12 src0_sel:BYTE_0 src1_sel:DWORD
	s_and_saveexec_b64 s[12:13], s[4:5]
	s_xor_b64 s[12:13], exec, s[12:13]
	s_cbranch_execz .LBB10_10
; %bb.9:
	ds_read_u8 v10, v0
	s_andn2_b64 s[10:11], s[10:11], exec
	s_waitcnt lgkmcnt(0)
	v_and_b32_e32 v10, 1, v10
	v_cmp_eq_u32_e64 s[4:5], 1, v10
	s_xor_b64 s[4:5], s[4:5], -1
	s_and_b64 s[4:5], s[4:5], exec
	s_or_b64 s[10:11], s[10:11], s[4:5]
.LBB10_10:
	s_or_b64 exec, exec, s[12:13]
	v_mov_b32_e32 v18, s16
	s_and_saveexec_b64 s[4:5], s[10:11]
	s_cbranch_execz .LBB10_12
; %bb.11:
	ds_read_u8 v10, v0 offset:1
	s_waitcnt lgkmcnt(0)
	v_xor_b32_e32 v18, 1, v10
.LBB10_12:
	s_or_b64 exec, exec, s[4:5]
	v_and_b32_e32 v14, 1, v3
	v_lshlrev_b32_e32 v10, 3, v3
	v_cmp_eq_u32_e64 s[4:5], v18, v14
	s_and_saveexec_b64 s[10:11], s[4:5]
	s_cbranch_execz .LBB10_14
; %bb.13:
	v_mov_b32_e32 v22, 8
	v_lshlrev_b16_sdwa v11, v22, sext(v11) dst_sel:DWORD dst_unused:UNUSED_PAD src0_sel:DWORD src1_sel:BYTE_0
	v_add_u32_e32 v24, v8, v10
	v_or_b32_sdwa v11, v12, v11 dst_sel:DWORD dst_unused:UNUSED_PAD src0_sel:BYTE_0 src1_sel:DWORD
	ds_read_b128 v[18:21], v24
	ds_write_b16 v1, v11
	ds_read_u16 v11, v0
	s_mov_b32 s4, 0xc0c0001
	s_waitcnt lgkmcnt(2)
	v_mov_b32_e32 v22, v18
	v_mov_b32_e32 v23, v19
	s_waitcnt lgkmcnt(0)
	v_perm_b32 v11, 0, v11, s4
	ds_write_b128 v24, v[20:23]
	ds_write_b16 v0, v11
.LBB10_14:
	s_or_b64 exec, exec, s[10:11]
	v_sub_u32_e32 v14, v17, v14
	v_add_u32_e32 v11, v16, v14
	s_waitcnt lgkmcnt(0)
	s_barrier
	ds_read_i8 v19, v11
	ds_read_i8 v20, v11 offset:2
	s_mov_b64 s[10:11], -1
	v_add_u32_e32 v12, v15, v14
                                        ; implicit-def: $sgpr16
	s_waitcnt lgkmcnt(0)
	v_cmp_lt_i16_e64 s[4:5], v19, v20
	s_and_saveexec_b64 s[12:13], s[4:5]
	s_xor_b64 s[12:13], exec, s[12:13]
	s_cbranch_execz .LBB10_16
; %bb.15:
	ds_read_u8 v18, v12
	s_mov_b32 s16, 1
	s_waitcnt lgkmcnt(0)
	v_and_b32_e32 v18, 1, v18
	v_cmp_eq_u32_e64 s[4:5], 1, v18
	s_xor_b64 s[4:5], s[4:5], -1
	s_orn2_b64 s[10:11], s[4:5], exec
.LBB10_16:
	s_or_b64 exec, exec, s[12:13]
	v_mov_b32_e32 v21, s16
	s_and_saveexec_b64 s[4:5], s[10:11]
	s_cbranch_execz .LBB10_18
; %bb.17:
	ds_read_u8 v18, v12 offset:2
	s_waitcnt lgkmcnt(0)
	v_xor_b32_e32 v21, 1, v18
.LBB10_18:
	s_or_b64 exec, exec, s[4:5]
	v_bfe_u32 v18, v3, 1, 1
	v_lshl_add_u32 v14, v14, 3, v13
	v_cmp_eq_u32_e64 s[4:5], v21, v18
	s_and_saveexec_b64 s[10:11], s[4:5]
	s_cbranch_execz .LBB10_20
; %bb.19:
	ds_read2_b64 v[22:25], v14 offset1:2
	ds_read_u8 v21, v12 offset:2
	ds_read_u8 v26, v12
	ds_write_b8 v11, v20
	ds_write_b8 v11, v19 offset:2
	s_waitcnt lgkmcnt(4)
	ds_write2_b64 v14, v[24:25], v[22:23] offset1:2
	s_waitcnt lgkmcnt(4)
	ds_write_b8 v12, v21
	s_waitcnt lgkmcnt(4)
	ds_write_b8 v12, v26 offset:2
.LBB10_20:
	s_or_b64 exec, exec, s[10:11]
	s_waitcnt lgkmcnt(0)
	s_barrier
	ds_read_u16 v19, v1
                                        ; implicit-def: $sgpr16
	s_waitcnt lgkmcnt(0)
	v_cmp_ge_i16_sdwa s[10:11], sext(v19), sext(v19) src0_sel:BYTE_0 src1_sel:BYTE_1
	v_cmp_lt_i16_sdwa s[4:5], sext(v19), sext(v19) src0_sel:BYTE_0 src1_sel:BYTE_1
	s_and_saveexec_b64 s[12:13], s[4:5]
	s_cbranch_execnz .LBB10_87
; %bb.21:
	s_or_b64 exec, exec, s[12:13]
	v_mov_b32_e32 v20, s16
	s_and_saveexec_b64 s[4:5], s[10:11]
	s_cbranch_execnz .LBB10_88
.LBB10_22:
	s_or_b64 exec, exec, s[4:5]
	v_cmp_eq_u32_e64 s[4:5], v20, v18
	s_and_saveexec_b64 s[10:11], s[4:5]
	s_cbranch_execz .LBB10_24
.LBB10_23:
	v_add_u32_e32 v24, v8, v10
	ds_read_b128 v[20:23], v24
	ds_read_u16 v25, v0
	v_mov_b32_e32 v18, 8
	s_movk_i32 s4, 0xff
	v_lshlrev_b16_sdwa v18, v18, sext(v19) dst_sel:DWORD dst_unused:UNUSED_PAD src0_sel:DWORD src1_sel:BYTE_0
	v_and_b32_sdwa v19, sext(v19), s4 dst_sel:DWORD dst_unused:UNUSED_PAD src0_sel:BYTE_1 src1_sel:DWORD
	v_or_b32_e32 v18, v19, v18
	ds_write_b16 v1, v18
	s_waitcnt lgkmcnt(2)
	v_mov_b32_e32 v18, v22
	v_mov_b32_e32 v19, v23
	s_mov_b32 s4, 0xc0c0001
	ds_write_b128 v24, v[18:21]
	s_waitcnt lgkmcnt(2)
	v_perm_b32 v18, 0, v25, s4
	ds_write_b16 v0, v18
.LBB10_24:
	s_or_b64 exec, exec, s[10:11]
	v_and_b32_e32 v18, 3, v3
	v_sub_u32_e32 v20, v17, v18
	v_add_u32_e32 v18, v16, v20
	s_waitcnt lgkmcnt(0)
	s_barrier
	ds_read_i8 v22, v18
	ds_read_i8 v23, v18 offset:4
	v_add_u32_e32 v19, v15, v20
                                        ; implicit-def: $sgpr16
	s_waitcnt lgkmcnt(0)
	v_cmp_ge_i16_e64 s[10:11], v22, v23
	v_cmp_lt_i16_e64 s[4:5], v22, v23
	s_and_saveexec_b64 s[12:13], s[4:5]
	s_cbranch_execz .LBB10_26
; %bb.25:
	ds_read_u8 v21, v19
	s_andn2_b64 s[10:11], s[10:11], exec
	s_mov_b32 s16, 1
	s_waitcnt lgkmcnt(0)
	v_and_b32_e32 v21, 1, v21
	v_cmp_eq_u32_e64 s[4:5], 1, v21
	s_xor_b64 s[4:5], s[4:5], -1
	s_and_b64 s[4:5], s[4:5], exec
	s_or_b64 s[10:11], s[10:11], s[4:5]
.LBB10_26:
	s_or_b64 exec, exec, s[12:13]
	v_mov_b32_e32 v24, s16
	s_and_saveexec_b64 s[4:5], s[10:11]
	s_cbranch_execz .LBB10_28
; %bb.27:
	ds_read_u8 v21, v19 offset:4
	s_waitcnt lgkmcnt(0)
	v_xor_b32_e32 v24, 1, v21
.LBB10_28:
	s_or_b64 exec, exec, s[4:5]
	v_bfe_u32 v21, v3, 2, 1
	v_lshl_add_u32 v20, v20, 3, v13
	v_cmp_eq_u32_e64 s[4:5], v24, v21
	s_and_saveexec_b64 s[10:11], s[4:5]
	s_cbranch_execz .LBB10_30
; %bb.29:
	ds_read2_b64 v[24:27], v20 offset1:4
	ds_read_u8 v28, v19 offset:4
	ds_read_u8 v29, v19
	ds_write_b8 v18, v23
	ds_write_b8 v18, v22 offset:4
	s_waitcnt lgkmcnt(4)
	ds_write2_b64 v20, v[26:27], v[24:25] offset1:4
	s_waitcnt lgkmcnt(4)
	ds_write_b8 v19, v28
	s_waitcnt lgkmcnt(4)
	ds_write_b8 v19, v29 offset:4
.LBB10_30:
	s_or_b64 exec, exec, s[10:11]
	s_waitcnt lgkmcnt(0)
	s_barrier
	ds_read_i8 v22, v11
	ds_read_i8 v23, v11 offset:2
                                        ; implicit-def: $sgpr16
	s_waitcnt lgkmcnt(0)
	v_cmp_ge_i16_e64 s[10:11], v22, v23
	v_cmp_lt_i16_e64 s[4:5], v22, v23
	s_and_saveexec_b64 s[12:13], s[4:5]
	s_cbranch_execnz .LBB10_89
; %bb.31:
	s_or_b64 exec, exec, s[12:13]
	v_mov_b32_e32 v24, s16
	s_and_saveexec_b64 s[4:5], s[10:11]
	s_cbranch_execnz .LBB10_90
.LBB10_32:
	s_or_b64 exec, exec, s[4:5]
	v_cmp_eq_u32_e64 s[4:5], v24, v21
	s_and_saveexec_b64 s[10:11], s[4:5]
	s_cbranch_execz .LBB10_34
.LBB10_33:
	ds_read2_b64 v[24:27], v14 offset1:2
	ds_read_u8 v28, v12 offset:2
	ds_read_u8 v29, v12
	ds_write_b8 v11, v23
	ds_write_b8 v11, v22 offset:2
	s_waitcnt lgkmcnt(4)
	ds_write2_b64 v14, v[26:27], v[24:25] offset1:2
	s_waitcnt lgkmcnt(4)
	ds_write_b8 v12, v28
	s_waitcnt lgkmcnt(4)
	ds_write_b8 v12, v29 offset:2
.LBB10_34:
	s_or_b64 exec, exec, s[10:11]
	s_waitcnt lgkmcnt(0)
	s_barrier
	ds_read_u16 v22, v1
                                        ; implicit-def: $sgpr16
	s_waitcnt lgkmcnt(0)
	v_cmp_ge_i16_sdwa s[10:11], sext(v22), sext(v22) src0_sel:BYTE_0 src1_sel:BYTE_1
	v_cmp_lt_i16_sdwa s[4:5], sext(v22), sext(v22) src0_sel:BYTE_0 src1_sel:BYTE_1
	s_and_saveexec_b64 s[12:13], s[4:5]
	s_cbranch_execnz .LBB10_91
; %bb.35:
	s_or_b64 exec, exec, s[12:13]
	v_mov_b32_e32 v23, s16
	s_and_saveexec_b64 s[4:5], s[10:11]
	s_cbranch_execnz .LBB10_92
.LBB10_36:
	s_or_b64 exec, exec, s[4:5]
	v_cmp_eq_u32_e64 s[4:5], v23, v21
	s_and_saveexec_b64 s[10:11], s[4:5]
	s_cbranch_execz .LBB10_38
.LBB10_37:
	v_mov_b32_e32 v21, 8
	s_movk_i32 s4, 0xff
	v_lshlrev_b16_sdwa v21, v21, sext(v22) dst_sel:DWORD dst_unused:UNUSED_PAD src0_sel:DWORD src1_sel:BYTE_0
	v_and_b32_sdwa v22, sext(v22), s4 dst_sel:DWORD dst_unused:UNUSED_PAD src0_sel:BYTE_1 src1_sel:DWORD
	v_add_u32_e32 v28, v8, v10
	v_or_b32_e32 v21, v22, v21
	ds_read_b128 v[24:27], v28
	ds_write_b16 v1, v21
	ds_read_u16 v21, v0
	s_mov_b32 s4, 0xc0c0001
	s_waitcnt lgkmcnt(2)
	v_mov_b32_e32 v22, v26
	v_mov_b32_e32 v23, v27
	s_waitcnt lgkmcnt(0)
	v_perm_b32 v21, 0, v21, s4
	ds_write_b128 v28, v[22:25]
	ds_write_b16 v0, v21
.LBB10_38:
	s_or_b64 exec, exec, s[10:11]
	v_and_b32_e32 v21, 7, v3
	v_sub_u32_e32 v23, v17, v21
	v_add_u32_e32 v21, v16, v23
	s_waitcnt lgkmcnt(0)
	s_barrier
	ds_read_i8 v25, v21
	ds_read_i8 v26, v21 offset:8
	v_add_u32_e32 v22, v15, v23
                                        ; implicit-def: $sgpr16
	s_waitcnt lgkmcnt(0)
	v_cmp_ge_i16_e64 s[10:11], v25, v26
	v_cmp_lt_i16_e64 s[4:5], v25, v26
	s_and_saveexec_b64 s[12:13], s[4:5]
	s_cbranch_execz .LBB10_40
; %bb.39:
	ds_read_u8 v24, v22
	s_andn2_b64 s[10:11], s[10:11], exec
	s_mov_b32 s16, 1
	s_waitcnt lgkmcnt(0)
	v_and_b32_e32 v24, 1, v24
	v_cmp_eq_u32_e64 s[4:5], 1, v24
	s_xor_b64 s[4:5], s[4:5], -1
	s_and_b64 s[4:5], s[4:5], exec
	s_or_b64 s[10:11], s[10:11], s[4:5]
.LBB10_40:
	s_or_b64 exec, exec, s[12:13]
	v_mov_b32_e32 v27, s16
	s_and_saveexec_b64 s[4:5], s[10:11]
	s_cbranch_execz .LBB10_42
; %bb.41:
	ds_read_u8 v24, v22 offset:8
	s_waitcnt lgkmcnt(0)
	v_xor_b32_e32 v27, 1, v24
.LBB10_42:
	s_or_b64 exec, exec, s[4:5]
	v_bfe_u32 v24, v3, 3, 1
	v_lshl_add_u32 v23, v23, 3, v13
	v_cmp_eq_u32_e64 s[4:5], v27, v24
	s_and_saveexec_b64 s[10:11], s[4:5]
	s_cbranch_execz .LBB10_44
; %bb.43:
	ds_read2_b64 v[28:31], v23 offset1:8
	ds_read_u8 v27, v22 offset:8
	ds_read_u8 v32, v22
	ds_write_b8 v21, v26
	ds_write_b8 v21, v25 offset:8
	s_waitcnt lgkmcnt(4)
	ds_write2_b64 v23, v[30:31], v[28:29] offset1:8
	s_waitcnt lgkmcnt(4)
	ds_write_b8 v22, v27
	s_waitcnt lgkmcnt(4)
	ds_write_b8 v22, v32 offset:8
.LBB10_44:
	s_or_b64 exec, exec, s[10:11]
	s_waitcnt lgkmcnt(0)
	s_barrier
	ds_read_i8 v25, v18
	ds_read_i8 v26, v18 offset:4
                                        ; implicit-def: $sgpr16
	s_waitcnt lgkmcnt(0)
	v_cmp_ge_i16_e64 s[10:11], v25, v26
	v_cmp_lt_i16_e64 s[4:5], v25, v26
	s_and_saveexec_b64 s[12:13], s[4:5]
	s_cbranch_execnz .LBB10_93
; %bb.45:
	s_or_b64 exec, exec, s[12:13]
	v_mov_b32_e32 v27, s16
	s_and_saveexec_b64 s[4:5], s[10:11]
	s_cbranch_execnz .LBB10_94
.LBB10_46:
	s_or_b64 exec, exec, s[4:5]
	v_cmp_eq_u32_e64 s[4:5], v27, v24
	s_and_saveexec_b64 s[10:11], s[4:5]
	s_cbranch_execz .LBB10_48
.LBB10_47:
	ds_read2_b64 v[28:31], v20 offset1:4
	ds_read_u8 v27, v19 offset:4
	ds_read_u8 v32, v19
	ds_write_b8 v18, v26
	ds_write_b8 v18, v25 offset:4
	s_waitcnt lgkmcnt(4)
	ds_write2_b64 v20, v[30:31], v[28:29] offset1:4
	s_waitcnt lgkmcnt(4)
	ds_write_b8 v19, v27
	s_waitcnt lgkmcnt(4)
	ds_write_b8 v19, v32 offset:4
.LBB10_48:
	s_or_b64 exec, exec, s[10:11]
	s_waitcnt lgkmcnt(0)
	s_barrier
	ds_read_i8 v25, v11
	ds_read_i8 v26, v11 offset:2
                                        ; implicit-def: $sgpr16
	s_waitcnt lgkmcnt(0)
	v_cmp_ge_i16_e64 s[10:11], v25, v26
	v_cmp_lt_i16_e64 s[4:5], v25, v26
	s_and_saveexec_b64 s[12:13], s[4:5]
	s_cbranch_execnz .LBB10_95
; %bb.49:
	s_or_b64 exec, exec, s[12:13]
	v_mov_b32_e32 v27, s16
	s_and_saveexec_b64 s[4:5], s[10:11]
	s_cbranch_execnz .LBB10_96
.LBB10_50:
	s_or_b64 exec, exec, s[4:5]
	v_cmp_eq_u32_e64 s[4:5], v27, v24
	s_and_saveexec_b64 s[10:11], s[4:5]
	s_cbranch_execz .LBB10_52
.LBB10_51:
	ds_read2_b64 v[28:31], v14 offset1:2
	ds_read_u8 v27, v12 offset:2
	ds_read_u8 v32, v12
	ds_write_b8 v11, v26
	ds_write_b8 v11, v25 offset:2
	s_waitcnt lgkmcnt(4)
	ds_write2_b64 v14, v[30:31], v[28:29] offset1:2
	s_waitcnt lgkmcnt(4)
	ds_write_b8 v12, v27
	s_waitcnt lgkmcnt(4)
	ds_write_b8 v12, v32 offset:2
.LBB10_52:
	s_or_b64 exec, exec, s[10:11]
	s_waitcnt lgkmcnt(0)
	s_barrier
	ds_read_u16 v25, v1
                                        ; implicit-def: $sgpr16
	s_waitcnt lgkmcnt(0)
	v_cmp_ge_i16_sdwa s[10:11], sext(v25), sext(v25) src0_sel:BYTE_0 src1_sel:BYTE_1
	v_cmp_lt_i16_sdwa s[4:5], sext(v25), sext(v25) src0_sel:BYTE_0 src1_sel:BYTE_1
	s_and_saveexec_b64 s[12:13], s[4:5]
	s_cbranch_execnz .LBB10_97
; %bb.53:
	s_or_b64 exec, exec, s[12:13]
	v_mov_b32_e32 v26, s16
	s_and_saveexec_b64 s[4:5], s[10:11]
	s_cbranch_execnz .LBB10_98
.LBB10_54:
	s_or_b64 exec, exec, s[4:5]
	v_cmp_eq_u32_e64 s[4:5], v26, v24
	s_and_saveexec_b64 s[10:11], s[4:5]
	s_cbranch_execz .LBB10_56
.LBB10_55:
	v_add_u32_e32 v30, v8, v10
	ds_read_b128 v[26:29], v30
	ds_read_u16 v31, v0
	v_mov_b32_e32 v24, 8
	s_movk_i32 s4, 0xff
	v_lshlrev_b16_sdwa v24, v24, sext(v25) dst_sel:DWORD dst_unused:UNUSED_PAD src0_sel:DWORD src1_sel:BYTE_0
	v_and_b32_sdwa v25, sext(v25), s4 dst_sel:DWORD dst_unused:UNUSED_PAD src0_sel:BYTE_1 src1_sel:DWORD
	v_or_b32_e32 v24, v25, v24
	ds_write_b16 v1, v24
	s_waitcnt lgkmcnt(2)
	v_mov_b32_e32 v24, v28
	v_mov_b32_e32 v25, v29
	s_mov_b32 s4, 0xc0c0001
	ds_write_b128 v30, v[24:27]
	s_waitcnt lgkmcnt(2)
	v_perm_b32 v24, 0, v31, s4
	ds_write_b16 v0, v24
.LBB10_56:
	s_or_b64 exec, exec, s[10:11]
	v_and_b32_e32 v24, 15, v3
	v_sub_u32_e32 v25, v17, v24
	v_add_u32_e32 v16, v16, v25
	s_waitcnt lgkmcnt(0)
	s_barrier
	ds_read_i8 v17, v16
	ds_read_i8 v24, v16 offset:16
	v_add_u32_e32 v15, v15, v25
	s_waitcnt lgkmcnt(0)
	v_cmp_ge_i16_e64 s[12:13], v17, v24
	v_cmp_lt_i16_e64 s[4:5], v17, v24
	s_and_saveexec_b64 s[10:11], s[4:5]
	s_cbranch_execz .LBB10_58
; %bb.57:
	ds_read_u8 v26, v15
	s_andn2_b64 s[12:13], s[12:13], exec
	s_waitcnt lgkmcnt(0)
	v_and_b32_e32 v26, 1, v26
	v_cmp_eq_u32_e64 s[4:5], 1, v26
	s_xor_b64 s[4:5], s[4:5], -1
	s_and_b64 s[4:5], s[4:5], exec
	s_or_b64 s[12:13], s[12:13], s[4:5]
.LBB10_58:
	s_or_b64 exec, exec, s[10:11]
	s_and_saveexec_b64 s[10:11], s[12:13]
	s_cbranch_execz .LBB10_61
; %bb.59:
	ds_read_u8 v26, v15 offset:16
	s_waitcnt lgkmcnt(0)
	v_cmp_ne_u16_e64 s[4:5], 0, v26
	s_and_b64 exec, exec, s[4:5]
	s_cbranch_execz .LBB10_61
; %bb.60:
	v_lshl_add_u32 v13, v25, 3, v13
	ds_read2_b64 v[28:31], v13 offset1:16
	ds_read_u8 v25, v15
	ds_write_b8 v16, v24
	ds_write_b8 v16, v17 offset:16
	ds_write_b8 v15, v26
	s_waitcnt lgkmcnt(4)
	ds_write2_b64 v13, v[30:31], v[28:29] offset1:16
	s_waitcnt lgkmcnt(4)
	ds_write_b8 v15, v25 offset:16
.LBB10_61:
	s_or_b64 exec, exec, s[10:11]
	s_waitcnt lgkmcnt(0)
	s_barrier
	ds_read_i8 v13, v21
	ds_read_i8 v15, v21 offset:8
	s_waitcnt lgkmcnt(0)
	v_cmp_ge_i16_e64 s[12:13], v13, v15
	v_cmp_lt_i16_e64 s[4:5], v13, v15
	s_and_saveexec_b64 s[10:11], s[4:5]
	s_cbranch_execz .LBB10_63
; %bb.62:
	ds_read_u8 v16, v22
	s_andn2_b64 s[12:13], s[12:13], exec
	s_waitcnt lgkmcnt(0)
	v_and_b32_e32 v16, 1, v16
	v_cmp_eq_u32_e64 s[4:5], 1, v16
	s_xor_b64 s[4:5], s[4:5], -1
	s_and_b64 s[4:5], s[4:5], exec
	s_or_b64 s[12:13], s[12:13], s[4:5]
.LBB10_63:
	s_or_b64 exec, exec, s[10:11]
	s_and_saveexec_b64 s[10:11], s[12:13]
	s_cbranch_execz .LBB10_66
; %bb.64:
	ds_read_u8 v16, v22 offset:8
	s_waitcnt lgkmcnt(0)
	v_cmp_ne_u16_e64 s[4:5], 0, v16
	s_and_b64 exec, exec, s[4:5]
	s_cbranch_execz .LBB10_66
; %bb.65:
	ds_read2_b64 v[24:27], v23 offset1:8
	ds_read_u8 v17, v22
	ds_write_b8 v21, v15
	ds_write_b8 v21, v13 offset:8
	ds_write_b8 v22, v16
	s_waitcnt lgkmcnt(4)
	ds_write2_b64 v23, v[26:27], v[24:25] offset1:8
	s_waitcnt lgkmcnt(4)
	ds_write_b8 v22, v17 offset:8
.LBB10_66:
	s_or_b64 exec, exec, s[10:11]
	s_waitcnt lgkmcnt(0)
	s_barrier
	ds_read_i8 v13, v18
	ds_read_i8 v15, v18 offset:4
	s_waitcnt lgkmcnt(0)
	v_cmp_ge_i16_e64 s[12:13], v13, v15
	v_cmp_lt_i16_e64 s[4:5], v13, v15
	s_and_saveexec_b64 s[10:11], s[4:5]
	s_cbranch_execz .LBB10_68
; %bb.67:
	ds_read_u8 v16, v19
	s_andn2_b64 s[12:13], s[12:13], exec
	s_waitcnt lgkmcnt(0)
	v_and_b32_e32 v16, 1, v16
	v_cmp_eq_u32_e64 s[4:5], 1, v16
	s_xor_b64 s[4:5], s[4:5], -1
	s_and_b64 s[4:5], s[4:5], exec
	s_or_b64 s[12:13], s[12:13], s[4:5]
.LBB10_68:
	s_or_b64 exec, exec, s[10:11]
	s_and_saveexec_b64 s[10:11], s[12:13]
	s_cbranch_execz .LBB10_71
; %bb.69:
	ds_read_u8 v16, v19 offset:4
	s_waitcnt lgkmcnt(0)
	v_cmp_ne_u16_e64 s[4:5], 0, v16
	s_and_b64 exec, exec, s[4:5]
	s_cbranch_execz .LBB10_71
; %bb.70:
	ds_read2_b64 v[22:25], v20 offset1:4
	ds_read_u8 v17, v19
	ds_write_b8 v18, v15
	ds_write_b8 v18, v13 offset:4
	ds_write_b8 v19, v16
	s_waitcnt lgkmcnt(4)
	ds_write2_b64 v20, v[24:25], v[22:23] offset1:4
	s_waitcnt lgkmcnt(4)
	ds_write_b8 v19, v17 offset:4
.LBB10_71:
	;; [unrolled: 40-line block ×3, first 2 shown]
	s_or_b64 exec, exec, s[10:11]
	s_waitcnt lgkmcnt(0)
	s_barrier
	ds_read_u16 v11, v1
	s_waitcnt lgkmcnt(0)
	v_cmp_ge_i16_sdwa s[12:13], sext(v11), sext(v11) src0_sel:BYTE_0 src1_sel:BYTE_1
	v_cmp_lt_i16_sdwa s[4:5], sext(v11), sext(v11) src0_sel:BYTE_0 src1_sel:BYTE_1
	s_and_saveexec_b64 s[10:11], s[4:5]
	s_cbranch_execz .LBB10_78
; %bb.77:
	ds_read_u8 v12, v0
	s_andn2_b64 s[12:13], s[12:13], exec
	s_waitcnt lgkmcnt(0)
	v_and_b32_e32 v12, 1, v12
	v_cmp_eq_u32_e64 s[4:5], 1, v12
	s_xor_b64 s[4:5], s[4:5], -1
	s_and_b64 s[4:5], s[4:5], exec
	s_or_b64 s[12:13], s[12:13], s[4:5]
.LBB10_78:
	s_or_b64 exec, exec, s[10:11]
	s_and_saveexec_b64 s[10:11], s[12:13]
	s_cbranch_execz .LBB10_81
; %bb.79:
	ds_read_u8 v12, v0 offset:1
	s_waitcnt lgkmcnt(0)
	v_cmp_ne_u16_e64 s[4:5], 0, v12
	s_and_b64 exec, exec, s[4:5]
	s_cbranch_execz .LBB10_81
; %bb.80:
	v_mov_b32_e32 v13, 8
	s_movk_i32 s4, 0xff
	v_lshlrev_b16_sdwa v13, v13, sext(v11) dst_sel:DWORD dst_unused:UNUSED_PAD src0_sel:DWORD src1_sel:BYTE_0
	v_and_b32_sdwa v11, sext(v11), s4 dst_sel:DWORD dst_unused:UNUSED_PAD src0_sel:BYTE_1 src1_sel:DWORD
	v_add_u32_e32 v10, v8, v10
	v_or_b32_e32 v11, v11, v13
	ds_read_b128 v[14:17], v10
	ds_write_b16 v1, v11
	ds_read_u8 v1, v0
	s_waitcnt lgkmcnt(2)
	v_mov_b32_e32 v18, v14
	v_mov_b32_e32 v19, v15
	s_waitcnt lgkmcnt(0)
	v_lshlrev_b16_e32 v1, 8, v1
	v_or_b32_e32 v1, v12, v1
	ds_write_b128 v10, v[16:19]
	ds_write_b16 v0, v1
.LBB10_81:
	s_or_b64 exec, exec, s[10:11]
	s_waitcnt lgkmcnt(0)
	s_barrier
	s_and_saveexec_b64 s[4:5], vcc
	s_cbranch_execz .LBB10_86
; %bb.82:
	s_and_saveexec_b64 s[4:5], s[0:1]
	s_cbranch_execz .LBB10_84
; %bb.83:
	ds_read_u8 v10, v9
	v_mad_u64_u32 v[0:1], s[0:1], v3, s14, v[2:3]
	ds_read_b64 v[8:9], v8
	s_waitcnt lgkmcnt(1)
	global_store_byte v0, v10, s[6:7]
	v_mad_u64_u32 v[0:1], s[0:1], v3, s15, v[4:5]
	v_mov_b32_e32 v1, 0
	v_lshlrev_b64 v[0:1], 3, v[0:1]
	v_mov_b32_e32 v3, s9
	v_add_co_u32_e32 v0, vcc, s8, v0
	v_addc_co_u32_e32 v1, vcc, v3, v1, vcc
	s_waitcnt lgkmcnt(0)
	global_store_dwordx2 v[0:1], v[8:9], off
.LBB10_84:
	s_or_b64 exec, exec, s[4:5]
	s_and_b64 exec, exec, s[2:3]
	s_cbranch_execz .LBB10_86
; %bb.85:
	ds_read_u8 v7, v7
	v_mad_u64_u32 v[0:1], s[0:1], v5, s14, v[2:3]
	ds_read_b64 v[2:3], v6
	s_waitcnt lgkmcnt(1)
	global_store_byte v0, v7, s[6:7]
	v_mad_u64_u32 v[0:1], s[0:1], v5, s15, v[4:5]
	v_mov_b32_e32 v1, 0
	v_lshlrev_b64 v[0:1], 3, v[0:1]
	v_mov_b32_e32 v4, s9
	v_add_co_u32_e32 v0, vcc, s8, v0
	v_addc_co_u32_e32 v1, vcc, v4, v1, vcc
	s_waitcnt lgkmcnt(0)
	global_store_dwordx2 v[0:1], v[2:3], off
.LBB10_86:
	s_endpgm
.LBB10_87:
	ds_read_u8 v20, v0
	s_andn2_b64 s[10:11], s[10:11], exec
	s_mov_b32 s16, 1
	s_waitcnt lgkmcnt(0)
	v_and_b32_e32 v20, 1, v20
	v_cmp_eq_u32_e64 s[4:5], 1, v20
	s_xor_b64 s[4:5], s[4:5], -1
	s_and_b64 s[4:5], s[4:5], exec
	s_or_b64 s[10:11], s[10:11], s[4:5]
	s_or_b64 exec, exec, s[12:13]
	v_mov_b32_e32 v20, s16
	s_and_saveexec_b64 s[4:5], s[10:11]
	s_cbranch_execz .LBB10_22
.LBB10_88:
	ds_read_u8 v20, v0 offset:1
	s_waitcnt lgkmcnt(0)
	v_xor_b32_e32 v20, 1, v20
	s_or_b64 exec, exec, s[4:5]
	v_cmp_eq_u32_e64 s[4:5], v20, v18
	s_and_saveexec_b64 s[10:11], s[4:5]
	s_cbranch_execnz .LBB10_23
	s_branch .LBB10_24
.LBB10_89:
	ds_read_u8 v24, v12
	s_andn2_b64 s[10:11], s[10:11], exec
	s_mov_b32 s16, 1
	s_waitcnt lgkmcnt(0)
	v_and_b32_e32 v24, 1, v24
	v_cmp_eq_u32_e64 s[4:5], 1, v24
	s_xor_b64 s[4:5], s[4:5], -1
	s_and_b64 s[4:5], s[4:5], exec
	s_or_b64 s[10:11], s[10:11], s[4:5]
	s_or_b64 exec, exec, s[12:13]
	v_mov_b32_e32 v24, s16
	s_and_saveexec_b64 s[4:5], s[10:11]
	s_cbranch_execz .LBB10_32
.LBB10_90:
	ds_read_u8 v24, v12 offset:2
	s_waitcnt lgkmcnt(0)
	v_xor_b32_e32 v24, 1, v24
	s_or_b64 exec, exec, s[4:5]
	v_cmp_eq_u32_e64 s[4:5], v24, v21
	s_and_saveexec_b64 s[10:11], s[4:5]
	s_cbranch_execnz .LBB10_33
	s_branch .LBB10_34
.LBB10_91:
	ds_read_u8 v23, v0
	s_andn2_b64 s[10:11], s[10:11], exec
	s_mov_b32 s16, 1
	s_waitcnt lgkmcnt(0)
	v_and_b32_e32 v23, 1, v23
	v_cmp_eq_u32_e64 s[4:5], 1, v23
	s_xor_b64 s[4:5], s[4:5], -1
	s_and_b64 s[4:5], s[4:5], exec
	s_or_b64 s[10:11], s[10:11], s[4:5]
	s_or_b64 exec, exec, s[12:13]
	v_mov_b32_e32 v23, s16
	s_and_saveexec_b64 s[4:5], s[10:11]
	s_cbranch_execz .LBB10_36
.LBB10_92:
	ds_read_u8 v23, v0 offset:1
	s_waitcnt lgkmcnt(0)
	v_xor_b32_e32 v23, 1, v23
	s_or_b64 exec, exec, s[4:5]
	v_cmp_eq_u32_e64 s[4:5], v23, v21
	s_and_saveexec_b64 s[10:11], s[4:5]
	s_cbranch_execnz .LBB10_37
	s_branch .LBB10_38
.LBB10_93:
	ds_read_u8 v27, v19
	s_andn2_b64 s[10:11], s[10:11], exec
	s_mov_b32 s16, 1
	s_waitcnt lgkmcnt(0)
	v_and_b32_e32 v27, 1, v27
	v_cmp_eq_u32_e64 s[4:5], 1, v27
	s_xor_b64 s[4:5], s[4:5], -1
	s_and_b64 s[4:5], s[4:5], exec
	s_or_b64 s[10:11], s[10:11], s[4:5]
	s_or_b64 exec, exec, s[12:13]
	v_mov_b32_e32 v27, s16
	s_and_saveexec_b64 s[4:5], s[10:11]
	s_cbranch_execz .LBB10_46
.LBB10_94:
	ds_read_u8 v27, v19 offset:4
	s_waitcnt lgkmcnt(0)
	v_xor_b32_e32 v27, 1, v27
	s_or_b64 exec, exec, s[4:5]
	v_cmp_eq_u32_e64 s[4:5], v27, v24
	s_and_saveexec_b64 s[10:11], s[4:5]
	s_cbranch_execnz .LBB10_47
	s_branch .LBB10_48
.LBB10_95:
	ds_read_u8 v27, v12
	s_andn2_b64 s[10:11], s[10:11], exec
	s_mov_b32 s16, 1
	s_waitcnt lgkmcnt(0)
	v_and_b32_e32 v27, 1, v27
	v_cmp_eq_u32_e64 s[4:5], 1, v27
	s_xor_b64 s[4:5], s[4:5], -1
	s_and_b64 s[4:5], s[4:5], exec
	s_or_b64 s[10:11], s[10:11], s[4:5]
	s_or_b64 exec, exec, s[12:13]
	v_mov_b32_e32 v27, s16
	s_and_saveexec_b64 s[4:5], s[10:11]
	s_cbranch_execz .LBB10_50
.LBB10_96:
	ds_read_u8 v27, v12 offset:2
	s_waitcnt lgkmcnt(0)
	v_xor_b32_e32 v27, 1, v27
	s_or_b64 exec, exec, s[4:5]
	v_cmp_eq_u32_e64 s[4:5], v27, v24
	s_and_saveexec_b64 s[10:11], s[4:5]
	s_cbranch_execnz .LBB10_51
	s_branch .LBB10_52
.LBB10_97:
	ds_read_u8 v26, v0
	s_andn2_b64 s[10:11], s[10:11], exec
	s_mov_b32 s16, 1
	s_waitcnt lgkmcnt(0)
	v_and_b32_e32 v26, 1, v26
	v_cmp_eq_u32_e64 s[4:5], 1, v26
	s_xor_b64 s[4:5], s[4:5], -1
	s_and_b64 s[4:5], s[4:5], exec
	s_or_b64 s[10:11], s[10:11], s[4:5]
	s_or_b64 exec, exec, s[12:13]
	v_mov_b32_e32 v26, s16
	s_and_saveexec_b64 s[4:5], s[10:11]
	s_cbranch_execz .LBB10_54
.LBB10_98:
	ds_read_u8 v26, v0 offset:1
	s_waitcnt lgkmcnt(0)
	v_xor_b32_e32 v26, 1, v26
	s_or_b64 exec, exec, s[4:5]
	v_cmp_eq_u32_e64 s[4:5], v26, v24
	s_and_saveexec_b64 s[10:11], s[4:5]
	s_cbranch_execnz .LBB10_55
	s_branch .LBB10_56
	.section	.rodata,"a",@progbits
	.p2align	6, 0x0
	.amdhsa_kernel _ZN2at6native20bitonicSortKVInPlaceILi2ELin1ELi16ELi16EalNS0_4LTOpIaLb1EEEjEEvNS_4cuda6detail10TensorInfoIT3_T6_EES8_S8_S8_NS6_IT4_S8_EES8_T5_
		.amdhsa_group_segment_fixed_size 5120
		.amdhsa_private_segment_fixed_size 0
		.amdhsa_kernarg_size 712
		.amdhsa_user_sgpr_count 6
		.amdhsa_user_sgpr_private_segment_buffer 1
		.amdhsa_user_sgpr_dispatch_ptr 0
		.amdhsa_user_sgpr_queue_ptr 0
		.amdhsa_user_sgpr_kernarg_segment_ptr 1
		.amdhsa_user_sgpr_dispatch_id 0
		.amdhsa_user_sgpr_flat_scratch_init 0
		.amdhsa_user_sgpr_kernarg_preload_length 0
		.amdhsa_user_sgpr_kernarg_preload_offset 0
		.amdhsa_user_sgpr_private_segment_size 0
		.amdhsa_uses_dynamic_stack 0
		.amdhsa_system_sgpr_private_segment_wavefront_offset 0
		.amdhsa_system_sgpr_workgroup_id_x 1
		.amdhsa_system_sgpr_workgroup_id_y 1
		.amdhsa_system_sgpr_workgroup_id_z 1
		.amdhsa_system_sgpr_workgroup_info 0
		.amdhsa_system_vgpr_workitem_id 1
		.amdhsa_next_free_vgpr 33
		.amdhsa_next_free_sgpr 20
		.amdhsa_accum_offset 36
		.amdhsa_reserve_vcc 1
		.amdhsa_reserve_flat_scratch 0
		.amdhsa_float_round_mode_32 0
		.amdhsa_float_round_mode_16_64 0
		.amdhsa_float_denorm_mode_32 3
		.amdhsa_float_denorm_mode_16_64 3
		.amdhsa_dx10_clamp 1
		.amdhsa_ieee_mode 1
		.amdhsa_fp16_overflow 0
		.amdhsa_tg_split 0
		.amdhsa_exception_fp_ieee_invalid_op 0
		.amdhsa_exception_fp_denorm_src 0
		.amdhsa_exception_fp_ieee_div_zero 0
		.amdhsa_exception_fp_ieee_overflow 0
		.amdhsa_exception_fp_ieee_underflow 0
		.amdhsa_exception_fp_ieee_inexact 0
		.amdhsa_exception_int_div_zero 0
	.end_amdhsa_kernel
	.section	.text._ZN2at6native20bitonicSortKVInPlaceILi2ELin1ELi16ELi16EalNS0_4LTOpIaLb1EEEjEEvNS_4cuda6detail10TensorInfoIT3_T6_EES8_S8_S8_NS6_IT4_S8_EES8_T5_,"axG",@progbits,_ZN2at6native20bitonicSortKVInPlaceILi2ELin1ELi16ELi16EalNS0_4LTOpIaLb1EEEjEEvNS_4cuda6detail10TensorInfoIT3_T6_EES8_S8_S8_NS6_IT4_S8_EES8_T5_,comdat
.Lfunc_end10:
	.size	_ZN2at6native20bitonicSortKVInPlaceILi2ELin1ELi16ELi16EalNS0_4LTOpIaLb1EEEjEEvNS_4cuda6detail10TensorInfoIT3_T6_EES8_S8_S8_NS6_IT4_S8_EES8_T5_, .Lfunc_end10-_ZN2at6native20bitonicSortKVInPlaceILi2ELin1ELi16ELi16EalNS0_4LTOpIaLb1EEEjEEvNS_4cuda6detail10TensorInfoIT3_T6_EES8_S8_S8_NS6_IT4_S8_EES8_T5_
                                        ; -- End function
	.section	.AMDGPU.csdata,"",@progbits
; Kernel info:
; codeLenInByte = 4848
; NumSgprs: 24
; NumVgprs: 33
; NumAgprs: 0
; TotalNumVgprs: 33
; ScratchSize: 0
; MemoryBound: 0
; FloatMode: 240
; IeeeMode: 1
; LDSByteSize: 5120 bytes/workgroup (compile time only)
; SGPRBlocks: 2
; VGPRBlocks: 4
; NumSGPRsForWavesPerEU: 24
; NumVGPRsForWavesPerEU: 33
; AccumOffset: 36
; Occupancy: 8
; WaveLimiterHint : 1
; COMPUTE_PGM_RSRC2:SCRATCH_EN: 0
; COMPUTE_PGM_RSRC2:USER_SGPR: 6
; COMPUTE_PGM_RSRC2:TRAP_HANDLER: 0
; COMPUTE_PGM_RSRC2:TGID_X_EN: 1
; COMPUTE_PGM_RSRC2:TGID_Y_EN: 1
; COMPUTE_PGM_RSRC2:TGID_Z_EN: 1
; COMPUTE_PGM_RSRC2:TIDIG_COMP_CNT: 1
; COMPUTE_PGM_RSRC3_GFX90A:ACCUM_OFFSET: 8
; COMPUTE_PGM_RSRC3_GFX90A:TG_SPLIT: 0
	.section	.text._ZN2at6native20bitonicSortKVInPlaceILi2ELin1ELi16ELi16EalNS0_4GTOpIaLb1EEEjEEvNS_4cuda6detail10TensorInfoIT3_T6_EES8_S8_S8_NS6_IT4_S8_EES8_T5_,"axG",@progbits,_ZN2at6native20bitonicSortKVInPlaceILi2ELin1ELi16ELi16EalNS0_4GTOpIaLb1EEEjEEvNS_4cuda6detail10TensorInfoIT3_T6_EES8_S8_S8_NS6_IT4_S8_EES8_T5_,comdat
	.protected	_ZN2at6native20bitonicSortKVInPlaceILi2ELin1ELi16ELi16EalNS0_4GTOpIaLb1EEEjEEvNS_4cuda6detail10TensorInfoIT3_T6_EES8_S8_S8_NS6_IT4_S8_EES8_T5_ ; -- Begin function _ZN2at6native20bitonicSortKVInPlaceILi2ELin1ELi16ELi16EalNS0_4GTOpIaLb1EEEjEEvNS_4cuda6detail10TensorInfoIT3_T6_EES8_S8_S8_NS6_IT4_S8_EES8_T5_
	.globl	_ZN2at6native20bitonicSortKVInPlaceILi2ELin1ELi16ELi16EalNS0_4GTOpIaLb1EEEjEEvNS_4cuda6detail10TensorInfoIT3_T6_EES8_S8_S8_NS6_IT4_S8_EES8_T5_
	.p2align	8
	.type	_ZN2at6native20bitonicSortKVInPlaceILi2ELin1ELi16ELi16EalNS0_4GTOpIaLb1EEEjEEvNS_4cuda6detail10TensorInfoIT3_T6_EES8_S8_S8_NS6_IT4_S8_EES8_T5_,@function
_ZN2at6native20bitonicSortKVInPlaceILi2ELin1ELi16ELi16EalNS0_4GTOpIaLb1EEEjEEvNS_4cuda6detail10TensorInfoIT3_T6_EES8_S8_S8_NS6_IT4_S8_EES8_T5_: ; @_ZN2at6native20bitonicSortKVInPlaceILi2ELin1ELi16ELi16EalNS0_4GTOpIaLb1EEEjEEvNS_4cuda6detail10TensorInfoIT3_T6_EES8_S8_S8_NS6_IT4_S8_EES8_T5_
; %bb.0:
	s_load_dwordx2 s[0:1], s[4:5], 0x1c8
	s_load_dwordx4 s[12:15], s[4:5], 0xd8
	s_load_dword s9, s[4:5], 0x1d4
	s_add_u32 s2, s4, 0x1c8
	s_addc_u32 s3, s5, 0
	s_waitcnt lgkmcnt(0)
	s_mul_i32 s1, s1, s8
	s_add_i32 s1, s1, s7
	s_mul_i32 s0, s1, s0
	s_add_i32 s0, s0, s6
	s_lshr_b32 s1, s9, 16
	s_mul_i32 s0, s0, s1
	s_cmp_ge_u32 s0, s12
	s_cbranch_scc1 .LBB11_86
; %bb.1:
	s_load_dword s15, s[4:5], 0xc
	s_load_dwordx2 s[8:9], s[4:5], 0x6c
	s_load_dword s17, s[4:5], 0x1b8
	s_add_u32 s10, s4, 0xe8
	v_bfe_u32 v8, v0, 10, 10
	s_waitcnt lgkmcnt(0)
	v_cvt_f32_u32_e32 v1, s15
	s_load_dwordx2 s[6:7], s[4:5], 0x0
	s_addc_u32 s11, s5, 0
	s_mov_b32 s1, 0
	v_rcp_iflag_f32_e32 v1, v1
	v_mov_b32_e32 v4, 0
	v_mul_f32_e32 v1, 0x4f7ffffe, v1
	v_cvt_u32_f32_e32 v2, v1
	v_add_u32_e32 v1, s0, v8
	s_sub_i32 s0, 0, s15
	s_cmp_lt_i32 s17, 2
	v_mul_lo_u32 v3, s0, v2
	v_mul_hi_u32 v3, v2, v3
	v_add_u32_e32 v2, v2, v3
	v_mad_u64_u32 v[2:3], s[18:19], v1, v2, 0
	v_mov_b32_e32 v6, v1
	s_cbranch_scc1 .LBB11_4
; %bb.2:
	s_add_i32 s0, s17, -1
	s_add_i32 s16, s17, 1
	s_lshl_b64 s[0:1], s[0:1], 2
	s_add_u32 s0, s0, s10
	s_addc_u32 s1, s1, s11
	s_add_u32 s0, s0, 8
	s_addc_u32 s1, s1, 0
	v_mov_b32_e32 v4, 0
	v_mov_b32_e32 v6, v1
.LBB11_3:                               ; =>This Inner Loop Header: Depth=1
	s_load_dword s17, s[0:1], 0x0
	s_load_dword s18, s[0:1], 0x64
	v_mov_b32_e32 v2, v6
	s_add_i32 s16, s16, -1
	s_waitcnt lgkmcnt(0)
	v_cvt_f32_u32_e32 v5, s17
	s_sub_i32 s19, 0, s17
	s_add_u32 s0, s0, -4
	s_addc_u32 s1, s1, -1
	v_rcp_iflag_f32_e32 v5, v5
	s_cmp_gt_u32 s16, 2
	v_mul_f32_e32 v5, 0x4f7ffffe, v5
	v_cvt_u32_f32_e32 v5, v5
	v_mul_lo_u32 v6, s19, v5
	v_mul_hi_u32 v6, v5, v6
	v_add_u32_e32 v5, v5, v6
	v_mul_hi_u32 v5, v2, v5
	v_mul_lo_u32 v6, v5, s17
	v_sub_u32_e32 v6, v2, v6
	v_add_u32_e32 v7, 1, v5
	v_cmp_le_u32_e32 vcc, s17, v6
	v_cndmask_b32_e32 v5, v5, v7, vcc
	v_subrev_u32_e32 v7, s17, v6
	v_cndmask_b32_e32 v6, v6, v7, vcc
	v_add_u32_e32 v7, 1, v5
	v_cmp_le_u32_e32 vcc, s17, v6
	v_cndmask_b32_e32 v6, v5, v7, vcc
	v_mul_lo_u32 v5, v6, s17
	v_sub_u32_e32 v2, v2, v5
	v_mad_u64_u32 v[4:5], s[18:19], s18, v2, v[4:5]
	s_cbranch_scc1 .LBB11_3
.LBB11_4:
	v_mul_lo_u32 v2, v3, s15
	v_sub_u32_e32 v2, v1, v2
	v_add_u32_e32 v5, 1, v3
	v_cmp_le_u32_e64 s[0:1], s15, v2
	v_cndmask_b32_e64 v3, v3, v5, s[0:1]
	v_subrev_u32_e32 v5, s15, v2
	v_cndmask_b32_e64 v2, v2, v5, s[0:1]
	v_add_u32_e32 v5, 1, v3
	v_cmp_le_u32_e64 s[0:1], s15, v2
	v_cndmask_b32_e64 v3, v3, v5, s[0:1]
	v_cmp_gt_u32_e32 vcc, s12, v1
	v_mul_lo_u32 v2, v3, s15
	s_load_dword s15, s[4:5], 0x1c0
	s_load_dword s12, s[10:11], 0x6c
	v_sub_u32_e32 v1, v1, v2
	v_mul_lo_u32 v2, v1, s9
	v_mad_u64_u32 v[2:3], s[0:1], v3, s8, v[2:3]
	s_load_dwordx2 s[8:9], s[10:11], 0x0
	s_waitcnt lgkmcnt(0)
	v_mad_u64_u32 v[4:5], s[0:1], s12, v6, v[4:5]
	s_load_dword s12, s[2:3], 0xc
	v_and_b32_e32 v3, 0x3ff, v0
	v_cmp_gt_u32_e64 s[0:1], s13, v3
	v_pk_mov_b32 v[0:1], 0, 0
	s_and_b64 s[4:5], vcc, s[0:1]
	v_mov_b32_e32 v10, 0
	v_mov_b32_e32 v5, 0
	v_pk_mov_b32 v[6:7], v[0:1], v[0:1] op_sel:[0,1]
	s_and_saveexec_b64 s[10:11], s[4:5]
	s_cbranch_execz .LBB11_6
; %bb.5:
	v_mad_u64_u32 v[6:7], s[2:3], v3, s14, v[2:3]
	global_load_ubyte v5, v6, s[6:7]
	v_mov_b32_e32 v9, s9
	s_waitcnt vmcnt(0)
	v_mad_u64_u32 v[6:7], s[2:3], v3, s15, v[4:5]
	v_mov_b32_e32 v7, 0
	v_lshlrev_b64 v[6:7], 3, v[6:7]
	v_add_co_u32_e64 v6, s[2:3], s8, v6
	v_addc_co_u32_e64 v7, s[2:3], v9, v7, s[2:3]
	global_load_dwordx2 v[6:7], v[6:7], off
.LBB11_6:
	s_or_b64 exec, exec, s[10:11]
	v_lshlrev_b32_e32 v9, 5, v8
	v_add_u32_e32 v16, 0x1000, v9
	v_add_u32_e32 v15, 0x1200, v9
	;; [unrolled: 1-line block ×3, first 2 shown]
	s_waitcnt lgkmcnt(0)
	s_and_b32 s16, 0xffff, s12
	v_cndmask_b32_e64 v11, 0, 1, s[4:5]
	ds_write_b8 v9, v5
	v_add_u32_e32 v5, v15, v3
	ds_write_b8 v5, v11
	v_add_u32_e32 v5, s16, v3
	v_lshlrev_b32_e32 v13, 8, v8
	v_cmp_gt_u32_e64 s[2:3], s13, v5
	v_lshl_add_u32 v8, v3, 3, v13
	s_and_b64 s[10:11], vcc, s[2:3]
	s_waitcnt vmcnt(0)
	ds_write_b64 v8, v[6:7]
	s_and_saveexec_b64 s[12:13], s[10:11]
	s_cbranch_execz .LBB11_8
; %bb.7:
	v_mad_u64_u32 v[0:1], s[4:5], v5, s14, v[2:3]
	global_load_ubyte v10, v0, s[6:7]
	v_mad_u64_u32 v[0:1], s[4:5], v5, s15, v[4:5]
	v_mov_b32_e32 v1, 0
	v_lshlrev_b64 v[0:1], 3, v[0:1]
	v_mov_b32_e32 v6, s9
	v_add_co_u32_e64 v0, s[4:5], s8, v0
	v_addc_co_u32_e64 v1, s[4:5], v6, v1, s[4:5]
	global_load_dwordx2 v[0:1], v[0:1], off
.LBB11_8:
	s_or_b64 exec, exec, s[12:13]
	v_lshl_add_u32 v6, s16, 3, v8
	v_lshlrev_b32_e32 v17, 1, v3
	v_cndmask_b32_e64 v11, 0, 1, s[10:11]
	v_add_u32_e32 v7, v16, v5
	s_waitcnt vmcnt(0)
	ds_write_b64 v6, v[0:1]
	v_add_u32_e32 v0, v15, v5
	v_add_u32_e32 v1, v16, v17
	ds_write_b8 v7, v10
	ds_write_b8 v0, v11
	s_waitcnt lgkmcnt(0)
	s_barrier
	ds_read_u16 v11, v1
	s_mov_b32 s16, 1
	v_add_u32_e32 v0, v15, v17
	s_waitcnt lgkmcnt(0)
	v_ashrrev_i16_e32 v12, 8, v11
	v_cmp_le_i16_sdwa s[10:11], sext(v11), v12 src0_sel:BYTE_0 src1_sel:DWORD
	v_cmp_gt_i16_sdwa s[4:5], sext(v11), v12 src0_sel:BYTE_0 src1_sel:DWORD
	s_and_saveexec_b64 s[12:13], s[4:5]
	s_xor_b64 s[12:13], exec, s[12:13]
	s_cbranch_execz .LBB11_10
; %bb.9:
	ds_read_u8 v10, v0
	s_andn2_b64 s[10:11], s[10:11], exec
	s_waitcnt lgkmcnt(0)
	v_and_b32_e32 v10, 1, v10
	v_cmp_eq_u32_e64 s[4:5], 1, v10
	s_xor_b64 s[4:5], s[4:5], -1
	s_and_b64 s[4:5], s[4:5], exec
	s_or_b64 s[10:11], s[10:11], s[4:5]
.LBB11_10:
	s_or_b64 exec, exec, s[12:13]
	v_mov_b32_e32 v18, s16
	s_and_saveexec_b64 s[4:5], s[10:11]
	s_cbranch_execz .LBB11_12
; %bb.11:
	ds_read_u8 v10, v0 offset:1
	s_waitcnt lgkmcnt(0)
	v_xor_b32_e32 v18, 1, v10
.LBB11_12:
	s_or_b64 exec, exec, s[4:5]
	v_and_b32_e32 v14, 1, v3
	v_lshlrev_b32_e32 v10, 3, v3
	v_cmp_eq_u32_e64 s[4:5], v18, v14
	s_and_saveexec_b64 s[10:11], s[4:5]
	s_cbranch_execz .LBB11_14
; %bb.13:
	v_mov_b32_e32 v22, 8
	v_lshlrev_b16_sdwa v11, v22, sext(v11) dst_sel:DWORD dst_unused:UNUSED_PAD src0_sel:DWORD src1_sel:BYTE_0
	v_add_u32_e32 v24, v8, v10
	v_or_b32_sdwa v11, v12, v11 dst_sel:DWORD dst_unused:UNUSED_PAD src0_sel:BYTE_0 src1_sel:DWORD
	ds_read_b128 v[18:21], v24
	ds_write_b16 v1, v11
	ds_read_u16 v11, v0
	s_mov_b32 s4, 0xc0c0001
	s_waitcnt lgkmcnt(2)
	v_mov_b32_e32 v22, v18
	v_mov_b32_e32 v23, v19
	s_waitcnt lgkmcnt(0)
	v_perm_b32 v11, 0, v11, s4
	ds_write_b128 v24, v[20:23]
	ds_write_b16 v0, v11
.LBB11_14:
	s_or_b64 exec, exec, s[10:11]
	v_sub_u32_e32 v14, v17, v14
	v_add_u32_e32 v11, v16, v14
	s_waitcnt lgkmcnt(0)
	s_barrier
	ds_read_i8 v19, v11
	ds_read_i8 v20, v11 offset:2
	s_mov_b64 s[10:11], -1
	v_add_u32_e32 v12, v15, v14
                                        ; implicit-def: $sgpr16
	s_waitcnt lgkmcnt(0)
	v_cmp_gt_i16_e64 s[4:5], v19, v20
	s_and_saveexec_b64 s[12:13], s[4:5]
	s_xor_b64 s[12:13], exec, s[12:13]
	s_cbranch_execz .LBB11_16
; %bb.15:
	ds_read_u8 v18, v12
	s_mov_b32 s16, 1
	s_waitcnt lgkmcnt(0)
	v_and_b32_e32 v18, 1, v18
	v_cmp_eq_u32_e64 s[4:5], 1, v18
	s_xor_b64 s[4:5], s[4:5], -1
	s_orn2_b64 s[10:11], s[4:5], exec
.LBB11_16:
	s_or_b64 exec, exec, s[12:13]
	v_mov_b32_e32 v21, s16
	s_and_saveexec_b64 s[4:5], s[10:11]
	s_cbranch_execz .LBB11_18
; %bb.17:
	ds_read_u8 v18, v12 offset:2
	s_waitcnt lgkmcnt(0)
	v_xor_b32_e32 v21, 1, v18
.LBB11_18:
	s_or_b64 exec, exec, s[4:5]
	v_bfe_u32 v18, v3, 1, 1
	v_lshl_add_u32 v14, v14, 3, v13
	v_cmp_eq_u32_e64 s[4:5], v21, v18
	s_and_saveexec_b64 s[10:11], s[4:5]
	s_cbranch_execz .LBB11_20
; %bb.19:
	ds_read2_b64 v[22:25], v14 offset1:2
	ds_read_u8 v21, v12 offset:2
	ds_read_u8 v26, v12
	ds_write_b8 v11, v20
	ds_write_b8 v11, v19 offset:2
	s_waitcnt lgkmcnt(4)
	ds_write2_b64 v14, v[24:25], v[22:23] offset1:2
	s_waitcnt lgkmcnt(4)
	ds_write_b8 v12, v21
	s_waitcnt lgkmcnt(4)
	ds_write_b8 v12, v26 offset:2
.LBB11_20:
	s_or_b64 exec, exec, s[10:11]
	s_waitcnt lgkmcnt(0)
	s_barrier
	ds_read_u16 v19, v1
                                        ; implicit-def: $sgpr16
	s_waitcnt lgkmcnt(0)
	v_cmp_le_i16_sdwa s[10:11], sext(v19), sext(v19) src0_sel:BYTE_0 src1_sel:BYTE_1
	v_cmp_gt_i16_sdwa s[4:5], sext(v19), sext(v19) src0_sel:BYTE_0 src1_sel:BYTE_1
	s_and_saveexec_b64 s[12:13], s[4:5]
	s_cbranch_execnz .LBB11_87
; %bb.21:
	s_or_b64 exec, exec, s[12:13]
	v_mov_b32_e32 v20, s16
	s_and_saveexec_b64 s[4:5], s[10:11]
	s_cbranch_execnz .LBB11_88
.LBB11_22:
	s_or_b64 exec, exec, s[4:5]
	v_cmp_eq_u32_e64 s[4:5], v20, v18
	s_and_saveexec_b64 s[10:11], s[4:5]
	s_cbranch_execz .LBB11_24
.LBB11_23:
	v_add_u32_e32 v24, v8, v10
	ds_read_b128 v[20:23], v24
	ds_read_u16 v25, v0
	v_mov_b32_e32 v18, 8
	s_movk_i32 s4, 0xff
	v_lshlrev_b16_sdwa v18, v18, sext(v19) dst_sel:DWORD dst_unused:UNUSED_PAD src0_sel:DWORD src1_sel:BYTE_0
	v_and_b32_sdwa v19, sext(v19), s4 dst_sel:DWORD dst_unused:UNUSED_PAD src0_sel:BYTE_1 src1_sel:DWORD
	v_or_b32_e32 v18, v19, v18
	ds_write_b16 v1, v18
	s_waitcnt lgkmcnt(2)
	v_mov_b32_e32 v18, v22
	v_mov_b32_e32 v19, v23
	s_mov_b32 s4, 0xc0c0001
	ds_write_b128 v24, v[18:21]
	s_waitcnt lgkmcnt(2)
	v_perm_b32 v18, 0, v25, s4
	ds_write_b16 v0, v18
.LBB11_24:
	s_or_b64 exec, exec, s[10:11]
	v_and_b32_e32 v18, 3, v3
	v_sub_u32_e32 v20, v17, v18
	v_add_u32_e32 v18, v16, v20
	s_waitcnt lgkmcnt(0)
	s_barrier
	ds_read_i8 v22, v18
	ds_read_i8 v23, v18 offset:4
	v_add_u32_e32 v19, v15, v20
                                        ; implicit-def: $sgpr16
	s_waitcnt lgkmcnt(0)
	v_cmp_le_i16_e64 s[10:11], v22, v23
	v_cmp_gt_i16_e64 s[4:5], v22, v23
	s_and_saveexec_b64 s[12:13], s[4:5]
	s_cbranch_execz .LBB11_26
; %bb.25:
	ds_read_u8 v21, v19
	s_andn2_b64 s[10:11], s[10:11], exec
	s_mov_b32 s16, 1
	s_waitcnt lgkmcnt(0)
	v_and_b32_e32 v21, 1, v21
	v_cmp_eq_u32_e64 s[4:5], 1, v21
	s_xor_b64 s[4:5], s[4:5], -1
	s_and_b64 s[4:5], s[4:5], exec
	s_or_b64 s[10:11], s[10:11], s[4:5]
.LBB11_26:
	s_or_b64 exec, exec, s[12:13]
	v_mov_b32_e32 v24, s16
	s_and_saveexec_b64 s[4:5], s[10:11]
	s_cbranch_execz .LBB11_28
; %bb.27:
	ds_read_u8 v21, v19 offset:4
	s_waitcnt lgkmcnt(0)
	v_xor_b32_e32 v24, 1, v21
.LBB11_28:
	s_or_b64 exec, exec, s[4:5]
	v_bfe_u32 v21, v3, 2, 1
	v_lshl_add_u32 v20, v20, 3, v13
	v_cmp_eq_u32_e64 s[4:5], v24, v21
	s_and_saveexec_b64 s[10:11], s[4:5]
	s_cbranch_execz .LBB11_30
; %bb.29:
	ds_read2_b64 v[24:27], v20 offset1:4
	ds_read_u8 v28, v19 offset:4
	ds_read_u8 v29, v19
	ds_write_b8 v18, v23
	ds_write_b8 v18, v22 offset:4
	s_waitcnt lgkmcnt(4)
	ds_write2_b64 v20, v[26:27], v[24:25] offset1:4
	s_waitcnt lgkmcnt(4)
	ds_write_b8 v19, v28
	s_waitcnt lgkmcnt(4)
	ds_write_b8 v19, v29 offset:4
.LBB11_30:
	s_or_b64 exec, exec, s[10:11]
	s_waitcnt lgkmcnt(0)
	s_barrier
	ds_read_i8 v22, v11
	ds_read_i8 v23, v11 offset:2
                                        ; implicit-def: $sgpr16
	s_waitcnt lgkmcnt(0)
	v_cmp_le_i16_e64 s[10:11], v22, v23
	v_cmp_gt_i16_e64 s[4:5], v22, v23
	s_and_saveexec_b64 s[12:13], s[4:5]
	s_cbranch_execnz .LBB11_89
; %bb.31:
	s_or_b64 exec, exec, s[12:13]
	v_mov_b32_e32 v24, s16
	s_and_saveexec_b64 s[4:5], s[10:11]
	s_cbranch_execnz .LBB11_90
.LBB11_32:
	s_or_b64 exec, exec, s[4:5]
	v_cmp_eq_u32_e64 s[4:5], v24, v21
	s_and_saveexec_b64 s[10:11], s[4:5]
	s_cbranch_execz .LBB11_34
.LBB11_33:
	ds_read2_b64 v[24:27], v14 offset1:2
	ds_read_u8 v28, v12 offset:2
	ds_read_u8 v29, v12
	ds_write_b8 v11, v23
	ds_write_b8 v11, v22 offset:2
	s_waitcnt lgkmcnt(4)
	ds_write2_b64 v14, v[26:27], v[24:25] offset1:2
	s_waitcnt lgkmcnt(4)
	ds_write_b8 v12, v28
	s_waitcnt lgkmcnt(4)
	ds_write_b8 v12, v29 offset:2
.LBB11_34:
	s_or_b64 exec, exec, s[10:11]
	s_waitcnt lgkmcnt(0)
	s_barrier
	ds_read_u16 v22, v1
                                        ; implicit-def: $sgpr16
	s_waitcnt lgkmcnt(0)
	v_cmp_le_i16_sdwa s[10:11], sext(v22), sext(v22) src0_sel:BYTE_0 src1_sel:BYTE_1
	v_cmp_gt_i16_sdwa s[4:5], sext(v22), sext(v22) src0_sel:BYTE_0 src1_sel:BYTE_1
	s_and_saveexec_b64 s[12:13], s[4:5]
	s_cbranch_execnz .LBB11_91
; %bb.35:
	s_or_b64 exec, exec, s[12:13]
	v_mov_b32_e32 v23, s16
	s_and_saveexec_b64 s[4:5], s[10:11]
	s_cbranch_execnz .LBB11_92
.LBB11_36:
	s_or_b64 exec, exec, s[4:5]
	v_cmp_eq_u32_e64 s[4:5], v23, v21
	s_and_saveexec_b64 s[10:11], s[4:5]
	s_cbranch_execz .LBB11_38
.LBB11_37:
	v_mov_b32_e32 v21, 8
	s_movk_i32 s4, 0xff
	v_lshlrev_b16_sdwa v21, v21, sext(v22) dst_sel:DWORD dst_unused:UNUSED_PAD src0_sel:DWORD src1_sel:BYTE_0
	v_and_b32_sdwa v22, sext(v22), s4 dst_sel:DWORD dst_unused:UNUSED_PAD src0_sel:BYTE_1 src1_sel:DWORD
	v_add_u32_e32 v28, v8, v10
	v_or_b32_e32 v21, v22, v21
	ds_read_b128 v[24:27], v28
	ds_write_b16 v1, v21
	ds_read_u16 v21, v0
	s_mov_b32 s4, 0xc0c0001
	s_waitcnt lgkmcnt(2)
	v_mov_b32_e32 v22, v26
	v_mov_b32_e32 v23, v27
	s_waitcnt lgkmcnt(0)
	v_perm_b32 v21, 0, v21, s4
	ds_write_b128 v28, v[22:25]
	ds_write_b16 v0, v21
.LBB11_38:
	s_or_b64 exec, exec, s[10:11]
	v_and_b32_e32 v21, 7, v3
	v_sub_u32_e32 v23, v17, v21
	v_add_u32_e32 v21, v16, v23
	s_waitcnt lgkmcnt(0)
	s_barrier
	ds_read_i8 v25, v21
	ds_read_i8 v26, v21 offset:8
	v_add_u32_e32 v22, v15, v23
                                        ; implicit-def: $sgpr16
	s_waitcnt lgkmcnt(0)
	v_cmp_le_i16_e64 s[10:11], v25, v26
	v_cmp_gt_i16_e64 s[4:5], v25, v26
	s_and_saveexec_b64 s[12:13], s[4:5]
	s_cbranch_execz .LBB11_40
; %bb.39:
	ds_read_u8 v24, v22
	s_andn2_b64 s[10:11], s[10:11], exec
	s_mov_b32 s16, 1
	s_waitcnt lgkmcnt(0)
	v_and_b32_e32 v24, 1, v24
	v_cmp_eq_u32_e64 s[4:5], 1, v24
	s_xor_b64 s[4:5], s[4:5], -1
	s_and_b64 s[4:5], s[4:5], exec
	s_or_b64 s[10:11], s[10:11], s[4:5]
.LBB11_40:
	s_or_b64 exec, exec, s[12:13]
	v_mov_b32_e32 v27, s16
	s_and_saveexec_b64 s[4:5], s[10:11]
	s_cbranch_execz .LBB11_42
; %bb.41:
	ds_read_u8 v24, v22 offset:8
	s_waitcnt lgkmcnt(0)
	v_xor_b32_e32 v27, 1, v24
.LBB11_42:
	s_or_b64 exec, exec, s[4:5]
	v_bfe_u32 v24, v3, 3, 1
	v_lshl_add_u32 v23, v23, 3, v13
	v_cmp_eq_u32_e64 s[4:5], v27, v24
	s_and_saveexec_b64 s[10:11], s[4:5]
	s_cbranch_execz .LBB11_44
; %bb.43:
	ds_read2_b64 v[28:31], v23 offset1:8
	ds_read_u8 v27, v22 offset:8
	ds_read_u8 v32, v22
	ds_write_b8 v21, v26
	ds_write_b8 v21, v25 offset:8
	s_waitcnt lgkmcnt(4)
	ds_write2_b64 v23, v[30:31], v[28:29] offset1:8
	s_waitcnt lgkmcnt(4)
	ds_write_b8 v22, v27
	s_waitcnt lgkmcnt(4)
	ds_write_b8 v22, v32 offset:8
.LBB11_44:
	s_or_b64 exec, exec, s[10:11]
	s_waitcnt lgkmcnt(0)
	s_barrier
	ds_read_i8 v25, v18
	ds_read_i8 v26, v18 offset:4
                                        ; implicit-def: $sgpr16
	s_waitcnt lgkmcnt(0)
	v_cmp_le_i16_e64 s[10:11], v25, v26
	v_cmp_gt_i16_e64 s[4:5], v25, v26
	s_and_saveexec_b64 s[12:13], s[4:5]
	s_cbranch_execnz .LBB11_93
; %bb.45:
	s_or_b64 exec, exec, s[12:13]
	v_mov_b32_e32 v27, s16
	s_and_saveexec_b64 s[4:5], s[10:11]
	s_cbranch_execnz .LBB11_94
.LBB11_46:
	s_or_b64 exec, exec, s[4:5]
	v_cmp_eq_u32_e64 s[4:5], v27, v24
	s_and_saveexec_b64 s[10:11], s[4:5]
	s_cbranch_execz .LBB11_48
.LBB11_47:
	ds_read2_b64 v[28:31], v20 offset1:4
	ds_read_u8 v27, v19 offset:4
	ds_read_u8 v32, v19
	ds_write_b8 v18, v26
	ds_write_b8 v18, v25 offset:4
	s_waitcnt lgkmcnt(4)
	ds_write2_b64 v20, v[30:31], v[28:29] offset1:4
	s_waitcnt lgkmcnt(4)
	ds_write_b8 v19, v27
	s_waitcnt lgkmcnt(4)
	ds_write_b8 v19, v32 offset:4
.LBB11_48:
	s_or_b64 exec, exec, s[10:11]
	s_waitcnt lgkmcnt(0)
	s_barrier
	ds_read_i8 v25, v11
	ds_read_i8 v26, v11 offset:2
                                        ; implicit-def: $sgpr16
	s_waitcnt lgkmcnt(0)
	v_cmp_le_i16_e64 s[10:11], v25, v26
	v_cmp_gt_i16_e64 s[4:5], v25, v26
	s_and_saveexec_b64 s[12:13], s[4:5]
	s_cbranch_execnz .LBB11_95
; %bb.49:
	s_or_b64 exec, exec, s[12:13]
	v_mov_b32_e32 v27, s16
	s_and_saveexec_b64 s[4:5], s[10:11]
	s_cbranch_execnz .LBB11_96
.LBB11_50:
	s_or_b64 exec, exec, s[4:5]
	v_cmp_eq_u32_e64 s[4:5], v27, v24
	s_and_saveexec_b64 s[10:11], s[4:5]
	s_cbranch_execz .LBB11_52
.LBB11_51:
	ds_read2_b64 v[28:31], v14 offset1:2
	ds_read_u8 v27, v12 offset:2
	ds_read_u8 v32, v12
	ds_write_b8 v11, v26
	ds_write_b8 v11, v25 offset:2
	s_waitcnt lgkmcnt(4)
	ds_write2_b64 v14, v[30:31], v[28:29] offset1:2
	s_waitcnt lgkmcnt(4)
	ds_write_b8 v12, v27
	s_waitcnt lgkmcnt(4)
	ds_write_b8 v12, v32 offset:2
.LBB11_52:
	s_or_b64 exec, exec, s[10:11]
	s_waitcnt lgkmcnt(0)
	s_barrier
	ds_read_u16 v25, v1
                                        ; implicit-def: $sgpr16
	s_waitcnt lgkmcnt(0)
	v_cmp_le_i16_sdwa s[10:11], sext(v25), sext(v25) src0_sel:BYTE_0 src1_sel:BYTE_1
	v_cmp_gt_i16_sdwa s[4:5], sext(v25), sext(v25) src0_sel:BYTE_0 src1_sel:BYTE_1
	s_and_saveexec_b64 s[12:13], s[4:5]
	s_cbranch_execnz .LBB11_97
; %bb.53:
	s_or_b64 exec, exec, s[12:13]
	v_mov_b32_e32 v26, s16
	s_and_saveexec_b64 s[4:5], s[10:11]
	s_cbranch_execnz .LBB11_98
.LBB11_54:
	s_or_b64 exec, exec, s[4:5]
	v_cmp_eq_u32_e64 s[4:5], v26, v24
	s_and_saveexec_b64 s[10:11], s[4:5]
	s_cbranch_execz .LBB11_56
.LBB11_55:
	v_add_u32_e32 v30, v8, v10
	ds_read_b128 v[26:29], v30
	ds_read_u16 v31, v0
	v_mov_b32_e32 v24, 8
	s_movk_i32 s4, 0xff
	v_lshlrev_b16_sdwa v24, v24, sext(v25) dst_sel:DWORD dst_unused:UNUSED_PAD src0_sel:DWORD src1_sel:BYTE_0
	v_and_b32_sdwa v25, sext(v25), s4 dst_sel:DWORD dst_unused:UNUSED_PAD src0_sel:BYTE_1 src1_sel:DWORD
	v_or_b32_e32 v24, v25, v24
	ds_write_b16 v1, v24
	s_waitcnt lgkmcnt(2)
	v_mov_b32_e32 v24, v28
	v_mov_b32_e32 v25, v29
	s_mov_b32 s4, 0xc0c0001
	ds_write_b128 v30, v[24:27]
	s_waitcnt lgkmcnt(2)
	v_perm_b32 v24, 0, v31, s4
	ds_write_b16 v0, v24
.LBB11_56:
	s_or_b64 exec, exec, s[10:11]
	v_and_b32_e32 v24, 15, v3
	v_sub_u32_e32 v25, v17, v24
	v_add_u32_e32 v16, v16, v25
	s_waitcnt lgkmcnt(0)
	s_barrier
	ds_read_i8 v17, v16
	ds_read_i8 v24, v16 offset:16
	v_add_u32_e32 v15, v15, v25
	s_waitcnt lgkmcnt(0)
	v_cmp_le_i16_e64 s[12:13], v17, v24
	v_cmp_gt_i16_e64 s[4:5], v17, v24
	s_and_saveexec_b64 s[10:11], s[4:5]
	s_cbranch_execz .LBB11_58
; %bb.57:
	ds_read_u8 v26, v15
	s_andn2_b64 s[12:13], s[12:13], exec
	s_waitcnt lgkmcnt(0)
	v_and_b32_e32 v26, 1, v26
	v_cmp_eq_u32_e64 s[4:5], 1, v26
	s_xor_b64 s[4:5], s[4:5], -1
	s_and_b64 s[4:5], s[4:5], exec
	s_or_b64 s[12:13], s[12:13], s[4:5]
.LBB11_58:
	s_or_b64 exec, exec, s[10:11]
	s_and_saveexec_b64 s[10:11], s[12:13]
	s_cbranch_execz .LBB11_61
; %bb.59:
	ds_read_u8 v26, v15 offset:16
	s_waitcnt lgkmcnt(0)
	v_cmp_ne_u16_e64 s[4:5], 0, v26
	s_and_b64 exec, exec, s[4:5]
	s_cbranch_execz .LBB11_61
; %bb.60:
	v_lshl_add_u32 v13, v25, 3, v13
	ds_read2_b64 v[28:31], v13 offset1:16
	ds_read_u8 v25, v15
	ds_write_b8 v16, v24
	ds_write_b8 v16, v17 offset:16
	ds_write_b8 v15, v26
	s_waitcnt lgkmcnt(4)
	ds_write2_b64 v13, v[30:31], v[28:29] offset1:16
	s_waitcnt lgkmcnt(4)
	ds_write_b8 v15, v25 offset:16
.LBB11_61:
	s_or_b64 exec, exec, s[10:11]
	s_waitcnt lgkmcnt(0)
	s_barrier
	ds_read_i8 v13, v21
	ds_read_i8 v15, v21 offset:8
	s_waitcnt lgkmcnt(0)
	v_cmp_le_i16_e64 s[12:13], v13, v15
	v_cmp_gt_i16_e64 s[4:5], v13, v15
	s_and_saveexec_b64 s[10:11], s[4:5]
	s_cbranch_execz .LBB11_63
; %bb.62:
	ds_read_u8 v16, v22
	s_andn2_b64 s[12:13], s[12:13], exec
	s_waitcnt lgkmcnt(0)
	v_and_b32_e32 v16, 1, v16
	v_cmp_eq_u32_e64 s[4:5], 1, v16
	s_xor_b64 s[4:5], s[4:5], -1
	s_and_b64 s[4:5], s[4:5], exec
	s_or_b64 s[12:13], s[12:13], s[4:5]
.LBB11_63:
	s_or_b64 exec, exec, s[10:11]
	s_and_saveexec_b64 s[10:11], s[12:13]
	s_cbranch_execz .LBB11_66
; %bb.64:
	ds_read_u8 v16, v22 offset:8
	s_waitcnt lgkmcnt(0)
	v_cmp_ne_u16_e64 s[4:5], 0, v16
	s_and_b64 exec, exec, s[4:5]
	s_cbranch_execz .LBB11_66
; %bb.65:
	ds_read2_b64 v[24:27], v23 offset1:8
	ds_read_u8 v17, v22
	ds_write_b8 v21, v15
	ds_write_b8 v21, v13 offset:8
	ds_write_b8 v22, v16
	s_waitcnt lgkmcnt(4)
	ds_write2_b64 v23, v[26:27], v[24:25] offset1:8
	s_waitcnt lgkmcnt(4)
	ds_write_b8 v22, v17 offset:8
.LBB11_66:
	s_or_b64 exec, exec, s[10:11]
	s_waitcnt lgkmcnt(0)
	s_barrier
	ds_read_i8 v13, v18
	ds_read_i8 v15, v18 offset:4
	s_waitcnt lgkmcnt(0)
	v_cmp_le_i16_e64 s[12:13], v13, v15
	v_cmp_gt_i16_e64 s[4:5], v13, v15
	s_and_saveexec_b64 s[10:11], s[4:5]
	s_cbranch_execz .LBB11_68
; %bb.67:
	ds_read_u8 v16, v19
	s_andn2_b64 s[12:13], s[12:13], exec
	s_waitcnt lgkmcnt(0)
	v_and_b32_e32 v16, 1, v16
	v_cmp_eq_u32_e64 s[4:5], 1, v16
	s_xor_b64 s[4:5], s[4:5], -1
	s_and_b64 s[4:5], s[4:5], exec
	s_or_b64 s[12:13], s[12:13], s[4:5]
.LBB11_68:
	s_or_b64 exec, exec, s[10:11]
	s_and_saveexec_b64 s[10:11], s[12:13]
	s_cbranch_execz .LBB11_71
; %bb.69:
	ds_read_u8 v16, v19 offset:4
	s_waitcnt lgkmcnt(0)
	v_cmp_ne_u16_e64 s[4:5], 0, v16
	s_and_b64 exec, exec, s[4:5]
	s_cbranch_execz .LBB11_71
; %bb.70:
	ds_read2_b64 v[22:25], v20 offset1:4
	ds_read_u8 v17, v19
	ds_write_b8 v18, v15
	ds_write_b8 v18, v13 offset:4
	ds_write_b8 v19, v16
	s_waitcnt lgkmcnt(4)
	ds_write2_b64 v20, v[24:25], v[22:23] offset1:4
	s_waitcnt lgkmcnt(4)
	ds_write_b8 v19, v17 offset:4
.LBB11_71:
	;; [unrolled: 40-line block ×3, first 2 shown]
	s_or_b64 exec, exec, s[10:11]
	s_waitcnt lgkmcnt(0)
	s_barrier
	ds_read_u16 v11, v1
	s_waitcnt lgkmcnt(0)
	v_cmp_le_i16_sdwa s[12:13], sext(v11), sext(v11) src0_sel:BYTE_0 src1_sel:BYTE_1
	v_cmp_gt_i16_sdwa s[4:5], sext(v11), sext(v11) src0_sel:BYTE_0 src1_sel:BYTE_1
	s_and_saveexec_b64 s[10:11], s[4:5]
	s_cbranch_execz .LBB11_78
; %bb.77:
	ds_read_u8 v12, v0
	s_andn2_b64 s[12:13], s[12:13], exec
	s_waitcnt lgkmcnt(0)
	v_and_b32_e32 v12, 1, v12
	v_cmp_eq_u32_e64 s[4:5], 1, v12
	s_xor_b64 s[4:5], s[4:5], -1
	s_and_b64 s[4:5], s[4:5], exec
	s_or_b64 s[12:13], s[12:13], s[4:5]
.LBB11_78:
	s_or_b64 exec, exec, s[10:11]
	s_and_saveexec_b64 s[10:11], s[12:13]
	s_cbranch_execz .LBB11_81
; %bb.79:
	ds_read_u8 v12, v0 offset:1
	s_waitcnt lgkmcnt(0)
	v_cmp_ne_u16_e64 s[4:5], 0, v12
	s_and_b64 exec, exec, s[4:5]
	s_cbranch_execz .LBB11_81
; %bb.80:
	v_mov_b32_e32 v13, 8
	s_movk_i32 s4, 0xff
	v_lshlrev_b16_sdwa v13, v13, sext(v11) dst_sel:DWORD dst_unused:UNUSED_PAD src0_sel:DWORD src1_sel:BYTE_0
	v_and_b32_sdwa v11, sext(v11), s4 dst_sel:DWORD dst_unused:UNUSED_PAD src0_sel:BYTE_1 src1_sel:DWORD
	v_add_u32_e32 v10, v8, v10
	v_or_b32_e32 v11, v11, v13
	ds_read_b128 v[14:17], v10
	ds_write_b16 v1, v11
	ds_read_u8 v1, v0
	s_waitcnt lgkmcnt(2)
	v_mov_b32_e32 v18, v14
	v_mov_b32_e32 v19, v15
	s_waitcnt lgkmcnt(0)
	v_lshlrev_b16_e32 v1, 8, v1
	v_or_b32_e32 v1, v12, v1
	ds_write_b128 v10, v[16:19]
	ds_write_b16 v0, v1
.LBB11_81:
	s_or_b64 exec, exec, s[10:11]
	s_waitcnt lgkmcnt(0)
	s_barrier
	s_and_saveexec_b64 s[4:5], vcc
	s_cbranch_execz .LBB11_86
; %bb.82:
	s_and_saveexec_b64 s[4:5], s[0:1]
	s_cbranch_execz .LBB11_84
; %bb.83:
	ds_read_u8 v10, v9
	v_mad_u64_u32 v[0:1], s[0:1], v3, s14, v[2:3]
	ds_read_b64 v[8:9], v8
	s_waitcnt lgkmcnt(1)
	global_store_byte v0, v10, s[6:7]
	v_mad_u64_u32 v[0:1], s[0:1], v3, s15, v[4:5]
	v_mov_b32_e32 v1, 0
	v_lshlrev_b64 v[0:1], 3, v[0:1]
	v_mov_b32_e32 v3, s9
	v_add_co_u32_e32 v0, vcc, s8, v0
	v_addc_co_u32_e32 v1, vcc, v3, v1, vcc
	s_waitcnt lgkmcnt(0)
	global_store_dwordx2 v[0:1], v[8:9], off
.LBB11_84:
	s_or_b64 exec, exec, s[4:5]
	s_and_b64 exec, exec, s[2:3]
	s_cbranch_execz .LBB11_86
; %bb.85:
	ds_read_u8 v7, v7
	v_mad_u64_u32 v[0:1], s[0:1], v5, s14, v[2:3]
	ds_read_b64 v[2:3], v6
	s_waitcnt lgkmcnt(1)
	global_store_byte v0, v7, s[6:7]
	v_mad_u64_u32 v[0:1], s[0:1], v5, s15, v[4:5]
	v_mov_b32_e32 v1, 0
	v_lshlrev_b64 v[0:1], 3, v[0:1]
	v_mov_b32_e32 v4, s9
	v_add_co_u32_e32 v0, vcc, s8, v0
	v_addc_co_u32_e32 v1, vcc, v4, v1, vcc
	s_waitcnt lgkmcnt(0)
	global_store_dwordx2 v[0:1], v[2:3], off
.LBB11_86:
	s_endpgm
.LBB11_87:
	ds_read_u8 v20, v0
	s_andn2_b64 s[10:11], s[10:11], exec
	s_mov_b32 s16, 1
	s_waitcnt lgkmcnt(0)
	v_and_b32_e32 v20, 1, v20
	v_cmp_eq_u32_e64 s[4:5], 1, v20
	s_xor_b64 s[4:5], s[4:5], -1
	s_and_b64 s[4:5], s[4:5], exec
	s_or_b64 s[10:11], s[10:11], s[4:5]
	s_or_b64 exec, exec, s[12:13]
	v_mov_b32_e32 v20, s16
	s_and_saveexec_b64 s[4:5], s[10:11]
	s_cbranch_execz .LBB11_22
.LBB11_88:
	ds_read_u8 v20, v0 offset:1
	s_waitcnt lgkmcnt(0)
	v_xor_b32_e32 v20, 1, v20
	s_or_b64 exec, exec, s[4:5]
	v_cmp_eq_u32_e64 s[4:5], v20, v18
	s_and_saveexec_b64 s[10:11], s[4:5]
	s_cbranch_execnz .LBB11_23
	s_branch .LBB11_24
.LBB11_89:
	ds_read_u8 v24, v12
	s_andn2_b64 s[10:11], s[10:11], exec
	s_mov_b32 s16, 1
	s_waitcnt lgkmcnt(0)
	v_and_b32_e32 v24, 1, v24
	v_cmp_eq_u32_e64 s[4:5], 1, v24
	s_xor_b64 s[4:5], s[4:5], -1
	s_and_b64 s[4:5], s[4:5], exec
	s_or_b64 s[10:11], s[10:11], s[4:5]
	s_or_b64 exec, exec, s[12:13]
	v_mov_b32_e32 v24, s16
	s_and_saveexec_b64 s[4:5], s[10:11]
	s_cbranch_execz .LBB11_32
.LBB11_90:
	ds_read_u8 v24, v12 offset:2
	s_waitcnt lgkmcnt(0)
	v_xor_b32_e32 v24, 1, v24
	s_or_b64 exec, exec, s[4:5]
	v_cmp_eq_u32_e64 s[4:5], v24, v21
	s_and_saveexec_b64 s[10:11], s[4:5]
	s_cbranch_execnz .LBB11_33
	s_branch .LBB11_34
.LBB11_91:
	ds_read_u8 v23, v0
	s_andn2_b64 s[10:11], s[10:11], exec
	s_mov_b32 s16, 1
	s_waitcnt lgkmcnt(0)
	v_and_b32_e32 v23, 1, v23
	v_cmp_eq_u32_e64 s[4:5], 1, v23
	s_xor_b64 s[4:5], s[4:5], -1
	s_and_b64 s[4:5], s[4:5], exec
	s_or_b64 s[10:11], s[10:11], s[4:5]
	s_or_b64 exec, exec, s[12:13]
	v_mov_b32_e32 v23, s16
	s_and_saveexec_b64 s[4:5], s[10:11]
	s_cbranch_execz .LBB11_36
.LBB11_92:
	ds_read_u8 v23, v0 offset:1
	s_waitcnt lgkmcnt(0)
	v_xor_b32_e32 v23, 1, v23
	s_or_b64 exec, exec, s[4:5]
	v_cmp_eq_u32_e64 s[4:5], v23, v21
	s_and_saveexec_b64 s[10:11], s[4:5]
	s_cbranch_execnz .LBB11_37
	s_branch .LBB11_38
.LBB11_93:
	ds_read_u8 v27, v19
	s_andn2_b64 s[10:11], s[10:11], exec
	s_mov_b32 s16, 1
	s_waitcnt lgkmcnt(0)
	v_and_b32_e32 v27, 1, v27
	v_cmp_eq_u32_e64 s[4:5], 1, v27
	s_xor_b64 s[4:5], s[4:5], -1
	s_and_b64 s[4:5], s[4:5], exec
	s_or_b64 s[10:11], s[10:11], s[4:5]
	s_or_b64 exec, exec, s[12:13]
	v_mov_b32_e32 v27, s16
	s_and_saveexec_b64 s[4:5], s[10:11]
	s_cbranch_execz .LBB11_46
.LBB11_94:
	ds_read_u8 v27, v19 offset:4
	s_waitcnt lgkmcnt(0)
	v_xor_b32_e32 v27, 1, v27
	s_or_b64 exec, exec, s[4:5]
	v_cmp_eq_u32_e64 s[4:5], v27, v24
	s_and_saveexec_b64 s[10:11], s[4:5]
	s_cbranch_execnz .LBB11_47
	s_branch .LBB11_48
.LBB11_95:
	ds_read_u8 v27, v12
	s_andn2_b64 s[10:11], s[10:11], exec
	s_mov_b32 s16, 1
	s_waitcnt lgkmcnt(0)
	v_and_b32_e32 v27, 1, v27
	v_cmp_eq_u32_e64 s[4:5], 1, v27
	s_xor_b64 s[4:5], s[4:5], -1
	s_and_b64 s[4:5], s[4:5], exec
	s_or_b64 s[10:11], s[10:11], s[4:5]
	s_or_b64 exec, exec, s[12:13]
	v_mov_b32_e32 v27, s16
	s_and_saveexec_b64 s[4:5], s[10:11]
	s_cbranch_execz .LBB11_50
.LBB11_96:
	ds_read_u8 v27, v12 offset:2
	s_waitcnt lgkmcnt(0)
	v_xor_b32_e32 v27, 1, v27
	s_or_b64 exec, exec, s[4:5]
	v_cmp_eq_u32_e64 s[4:5], v27, v24
	s_and_saveexec_b64 s[10:11], s[4:5]
	s_cbranch_execnz .LBB11_51
	s_branch .LBB11_52
.LBB11_97:
	ds_read_u8 v26, v0
	s_andn2_b64 s[10:11], s[10:11], exec
	s_mov_b32 s16, 1
	s_waitcnt lgkmcnt(0)
	v_and_b32_e32 v26, 1, v26
	v_cmp_eq_u32_e64 s[4:5], 1, v26
	s_xor_b64 s[4:5], s[4:5], -1
	s_and_b64 s[4:5], s[4:5], exec
	s_or_b64 s[10:11], s[10:11], s[4:5]
	s_or_b64 exec, exec, s[12:13]
	v_mov_b32_e32 v26, s16
	s_and_saveexec_b64 s[4:5], s[10:11]
	s_cbranch_execz .LBB11_54
.LBB11_98:
	ds_read_u8 v26, v0 offset:1
	s_waitcnt lgkmcnt(0)
	v_xor_b32_e32 v26, 1, v26
	s_or_b64 exec, exec, s[4:5]
	v_cmp_eq_u32_e64 s[4:5], v26, v24
	s_and_saveexec_b64 s[10:11], s[4:5]
	s_cbranch_execnz .LBB11_55
	s_branch .LBB11_56
	.section	.rodata,"a",@progbits
	.p2align	6, 0x0
	.amdhsa_kernel _ZN2at6native20bitonicSortKVInPlaceILi2ELin1ELi16ELi16EalNS0_4GTOpIaLb1EEEjEEvNS_4cuda6detail10TensorInfoIT3_T6_EES8_S8_S8_NS6_IT4_S8_EES8_T5_
		.amdhsa_group_segment_fixed_size 5120
		.amdhsa_private_segment_fixed_size 0
		.amdhsa_kernarg_size 712
		.amdhsa_user_sgpr_count 6
		.amdhsa_user_sgpr_private_segment_buffer 1
		.amdhsa_user_sgpr_dispatch_ptr 0
		.amdhsa_user_sgpr_queue_ptr 0
		.amdhsa_user_sgpr_kernarg_segment_ptr 1
		.amdhsa_user_sgpr_dispatch_id 0
		.amdhsa_user_sgpr_flat_scratch_init 0
		.amdhsa_user_sgpr_kernarg_preload_length 0
		.amdhsa_user_sgpr_kernarg_preload_offset 0
		.amdhsa_user_sgpr_private_segment_size 0
		.amdhsa_uses_dynamic_stack 0
		.amdhsa_system_sgpr_private_segment_wavefront_offset 0
		.amdhsa_system_sgpr_workgroup_id_x 1
		.amdhsa_system_sgpr_workgroup_id_y 1
		.amdhsa_system_sgpr_workgroup_id_z 1
		.amdhsa_system_sgpr_workgroup_info 0
		.amdhsa_system_vgpr_workitem_id 1
		.amdhsa_next_free_vgpr 33
		.amdhsa_next_free_sgpr 20
		.amdhsa_accum_offset 36
		.amdhsa_reserve_vcc 1
		.amdhsa_reserve_flat_scratch 0
		.amdhsa_float_round_mode_32 0
		.amdhsa_float_round_mode_16_64 0
		.amdhsa_float_denorm_mode_32 3
		.amdhsa_float_denorm_mode_16_64 3
		.amdhsa_dx10_clamp 1
		.amdhsa_ieee_mode 1
		.amdhsa_fp16_overflow 0
		.amdhsa_tg_split 0
		.amdhsa_exception_fp_ieee_invalid_op 0
		.amdhsa_exception_fp_denorm_src 0
		.amdhsa_exception_fp_ieee_div_zero 0
		.amdhsa_exception_fp_ieee_overflow 0
		.amdhsa_exception_fp_ieee_underflow 0
		.amdhsa_exception_fp_ieee_inexact 0
		.amdhsa_exception_int_div_zero 0
	.end_amdhsa_kernel
	.section	.text._ZN2at6native20bitonicSortKVInPlaceILi2ELin1ELi16ELi16EalNS0_4GTOpIaLb1EEEjEEvNS_4cuda6detail10TensorInfoIT3_T6_EES8_S8_S8_NS6_IT4_S8_EES8_T5_,"axG",@progbits,_ZN2at6native20bitonicSortKVInPlaceILi2ELin1ELi16ELi16EalNS0_4GTOpIaLb1EEEjEEvNS_4cuda6detail10TensorInfoIT3_T6_EES8_S8_S8_NS6_IT4_S8_EES8_T5_,comdat
.Lfunc_end11:
	.size	_ZN2at6native20bitonicSortKVInPlaceILi2ELin1ELi16ELi16EalNS0_4GTOpIaLb1EEEjEEvNS_4cuda6detail10TensorInfoIT3_T6_EES8_S8_S8_NS6_IT4_S8_EES8_T5_, .Lfunc_end11-_ZN2at6native20bitonicSortKVInPlaceILi2ELin1ELi16ELi16EalNS0_4GTOpIaLb1EEEjEEvNS_4cuda6detail10TensorInfoIT3_T6_EES8_S8_S8_NS6_IT4_S8_EES8_T5_
                                        ; -- End function
	.section	.AMDGPU.csdata,"",@progbits
; Kernel info:
; codeLenInByte = 4848
; NumSgprs: 24
; NumVgprs: 33
; NumAgprs: 0
; TotalNumVgprs: 33
; ScratchSize: 0
; MemoryBound: 0
; FloatMode: 240
; IeeeMode: 1
; LDSByteSize: 5120 bytes/workgroup (compile time only)
; SGPRBlocks: 2
; VGPRBlocks: 4
; NumSGPRsForWavesPerEU: 24
; NumVGPRsForWavesPerEU: 33
; AccumOffset: 36
; Occupancy: 8
; WaveLimiterHint : 1
; COMPUTE_PGM_RSRC2:SCRATCH_EN: 0
; COMPUTE_PGM_RSRC2:USER_SGPR: 6
; COMPUTE_PGM_RSRC2:TRAP_HANDLER: 0
; COMPUTE_PGM_RSRC2:TGID_X_EN: 1
; COMPUTE_PGM_RSRC2:TGID_Y_EN: 1
; COMPUTE_PGM_RSRC2:TGID_Z_EN: 1
; COMPUTE_PGM_RSRC2:TIDIG_COMP_CNT: 1
; COMPUTE_PGM_RSRC3_GFX90A:ACCUM_OFFSET: 8
; COMPUTE_PGM_RSRC3_GFX90A:TG_SPLIT: 0
	.section	.text._ZN2at6native20bitonicSortKVInPlaceILin1ELin1ELi16ELi16EalNS0_4LTOpIaLb1EEEjEEvNS_4cuda6detail10TensorInfoIT3_T6_EES8_S8_S8_NS6_IT4_S8_EES8_T5_,"axG",@progbits,_ZN2at6native20bitonicSortKVInPlaceILin1ELin1ELi16ELi16EalNS0_4LTOpIaLb1EEEjEEvNS_4cuda6detail10TensorInfoIT3_T6_EES8_S8_S8_NS6_IT4_S8_EES8_T5_,comdat
	.protected	_ZN2at6native20bitonicSortKVInPlaceILin1ELin1ELi16ELi16EalNS0_4LTOpIaLb1EEEjEEvNS_4cuda6detail10TensorInfoIT3_T6_EES8_S8_S8_NS6_IT4_S8_EES8_T5_ ; -- Begin function _ZN2at6native20bitonicSortKVInPlaceILin1ELin1ELi16ELi16EalNS0_4LTOpIaLb1EEEjEEvNS_4cuda6detail10TensorInfoIT3_T6_EES8_S8_S8_NS6_IT4_S8_EES8_T5_
	.globl	_ZN2at6native20bitonicSortKVInPlaceILin1ELin1ELi16ELi16EalNS0_4LTOpIaLb1EEEjEEvNS_4cuda6detail10TensorInfoIT3_T6_EES8_S8_S8_NS6_IT4_S8_EES8_T5_
	.p2align	8
	.type	_ZN2at6native20bitonicSortKVInPlaceILin1ELin1ELi16ELi16EalNS0_4LTOpIaLb1EEEjEEvNS_4cuda6detail10TensorInfoIT3_T6_EES8_S8_S8_NS6_IT4_S8_EES8_T5_,@function
_ZN2at6native20bitonicSortKVInPlaceILin1ELin1ELi16ELi16EalNS0_4LTOpIaLb1EEEjEEvNS_4cuda6detail10TensorInfoIT3_T6_EES8_S8_S8_NS6_IT4_S8_EES8_T5_: ; @_ZN2at6native20bitonicSortKVInPlaceILin1ELin1ELi16ELi16EalNS0_4LTOpIaLb1EEEjEEvNS_4cuda6detail10TensorInfoIT3_T6_EES8_S8_S8_NS6_IT4_S8_EES8_T5_
; %bb.0:
	s_load_dwordx2 s[2:3], s[4:5], 0x1c8
	s_load_dwordx4 s[12:15], s[4:5], 0xd8
	s_load_dword s9, s[4:5], 0x1d4
	s_add_u32 s0, s4, 0x1c8
	s_addc_u32 s1, s5, 0
	s_waitcnt lgkmcnt(0)
	s_mul_i32 s3, s3, s8
	s_add_i32 s3, s3, s7
	s_mul_i32 s2, s3, s2
	s_add_i32 s3, s2, s6
	s_lshr_b32 s2, s9, 16
	s_mul_i32 s3, s3, s2
	s_cmp_ge_u32 s3, s12
	s_cbranch_scc1 .LBB12_89
; %bb.1:
	s_load_dword s2, s[4:5], 0xd0
	v_bfe_u32 v8, v0, 10, 10
	v_add_u32_e32 v1, s3, v8
	v_mov_b32_e32 v2, 0
	v_mov_b32_e32 v6, v1
	s_waitcnt lgkmcnt(0)
	s_cmp_lt_i32 s2, 2
	s_cbranch_scc1 .LBB12_4
; %bb.2:
	s_add_i32 s6, s2, 1
	s_add_i32 s2, s2, -1
	s_mov_b32 s3, 0
	s_lshl_b64 s[2:3], s[2:3], 2
	s_add_u32 s2, s2, s4
	s_addc_u32 s3, s3, s5
	s_add_u32 s2, s2, 8
	s_addc_u32 s3, s3, 0
	v_mov_b32_e32 v2, 0
	v_mov_b32_e32 v6, v1
.LBB12_3:                               ; =>This Inner Loop Header: Depth=1
	s_load_dword s7, s[2:3], 0x0
	s_load_dword s8, s[2:3], 0x64
	v_mov_b32_e32 v3, v6
	s_add_i32 s6, s6, -1
	s_waitcnt lgkmcnt(0)
	v_cvt_f32_u32_e32 v4, s7
	s_sub_i32 s9, 0, s7
	s_add_u32 s2, s2, -4
	s_addc_u32 s3, s3, -1
	v_rcp_iflag_f32_e32 v4, v4
	s_cmp_gt_u32 s6, 2
	v_mul_f32_e32 v4, 0x4f7ffffe, v4
	v_cvt_u32_f32_e32 v4, v4
	v_mul_lo_u32 v5, s9, v4
	v_mul_hi_u32 v5, v4, v5
	v_add_u32_e32 v4, v4, v5
	v_mul_hi_u32 v4, v3, v4
	v_mul_lo_u32 v5, v4, s7
	v_sub_u32_e32 v5, v3, v5
	v_add_u32_e32 v6, 1, v4
	v_cmp_le_u32_e32 vcc, s7, v5
	v_cndmask_b32_e32 v4, v4, v6, vcc
	v_subrev_u32_e32 v6, s7, v5
	v_cndmask_b32_e32 v5, v5, v6, vcc
	v_add_u32_e32 v6, 1, v4
	v_cmp_le_u32_e32 vcc, s7, v5
	v_cndmask_b32_e32 v6, v4, v6, vcc
	v_mul_lo_u32 v4, v6, s7
	v_sub_u32_e32 v3, v3, v4
	v_mad_u64_u32 v[2:3], s[8:9], s8, v3, v[2:3]
	s_cbranch_scc1 .LBB12_3
.LBB12_4:
	s_load_dword s2, s[4:5], 0x1b8
	v_mov_b32_e32 v4, 0
	v_mov_b32_e32 v7, v1
	s_waitcnt lgkmcnt(0)
	s_cmp_lt_i32 s2, 2
	s_cbranch_scc1 .LBB12_7
; %bb.5:
	s_add_i32 s6, s2, 1
	s_add_i32 s2, s2, -1
	s_mov_b32 s3, 0
	s_lshl_b64 s[2:3], s[2:3], 2
	s_add_u32 s2, s2, s4
	s_addc_u32 s3, s3, s5
	s_add_u32 s2, s2, 0xf0
	s_addc_u32 s3, s3, 0
	v_mov_b32_e32 v4, 0
	v_mov_b32_e32 v7, v1
.LBB12_6:                               ; =>This Inner Loop Header: Depth=1
	s_load_dword s7, s[2:3], 0x0
	s_load_dword s8, s[2:3], 0x64
	v_mov_b32_e32 v3, v7
	s_add_i32 s6, s6, -1
	s_waitcnt lgkmcnt(0)
	v_cvt_f32_u32_e32 v5, s7
	s_sub_i32 s9, 0, s7
	s_add_u32 s2, s2, -4
	s_addc_u32 s3, s3, -1
	v_rcp_iflag_f32_e32 v5, v5
	s_cmp_gt_u32 s6, 2
	v_mul_f32_e32 v5, 0x4f7ffffe, v5
	v_cvt_u32_f32_e32 v5, v5
	v_mul_lo_u32 v7, s9, v5
	v_mul_hi_u32 v7, v5, v7
	v_add_u32_e32 v5, v5, v7
	v_mul_hi_u32 v5, v3, v5
	v_mul_lo_u32 v7, v5, s7
	v_sub_u32_e32 v7, v3, v7
	v_add_u32_e32 v9, 1, v5
	v_cmp_le_u32_e32 vcc, s7, v7
	v_cndmask_b32_e32 v5, v5, v9, vcc
	v_subrev_u32_e32 v9, s7, v7
	v_cndmask_b32_e32 v7, v7, v9, vcc
	v_add_u32_e32 v9, 1, v5
	v_cmp_le_u32_e32 vcc, s7, v7
	v_cndmask_b32_e32 v7, v5, v9, vcc
	v_mul_lo_u32 v5, v7, s7
	v_sub_u32_e32 v3, v3, v5
	v_mad_u64_u32 v[4:5], s[8:9], s8, v3, v[4:5]
	s_cbranch_scc1 .LBB12_6
.LBB12_7:
	s_load_dword s2, s[4:5], 0x6c
	v_cmp_gt_u32_e32 vcc, s12, v1
	v_mov_b32_e32 v10, 0
	s_waitcnt lgkmcnt(0)
	v_mad_u64_u32 v[2:3], s[2:3], s2, v6, v[2:3]
	s_load_dword s15, s[4:5], 0x1c0
	s_load_dword s2, s[4:5], 0x154
	s_load_dwordx2 s[8:9], s[4:5], 0x0
	s_load_dwordx2 s[6:7], s[4:5], 0xe8
	s_load_dword s12, s[0:1], 0xc
	v_and_b32_e32 v3, 0x3ff, v0
	v_cmp_gt_u32_e64 s[0:1], s13, v3
	s_waitcnt lgkmcnt(0)
	v_mad_u64_u32 v[4:5], s[2:3], s2, v7, v[4:5]
	v_pk_mov_b32 v[0:1], 0, 0
	s_and_b64 s[4:5], vcc, s[0:1]
	v_mov_b32_e32 v5, 0
	v_pk_mov_b32 v[6:7], v[0:1], v[0:1] op_sel:[0,1]
	s_and_saveexec_b64 s[10:11], s[4:5]
	s_cbranch_execz .LBB12_9
; %bb.8:
	v_mad_u64_u32 v[6:7], s[2:3], v3, s14, v[2:3]
	global_load_ubyte v5, v6, s[8:9]
	v_mov_b32_e32 v9, s7
	s_waitcnt vmcnt(0)
	v_mad_u64_u32 v[6:7], s[2:3], v3, s15, v[4:5]
	v_mov_b32_e32 v7, 0
	v_lshlrev_b64 v[6:7], 3, v[6:7]
	v_add_co_u32_e64 v6, s[2:3], s6, v6
	v_addc_co_u32_e64 v7, s[2:3], v9, v7, s[2:3]
	global_load_dwordx2 v[6:7], v[6:7], off
.LBB12_9:
	s_or_b64 exec, exec, s[10:11]
	v_lshlrev_b32_e32 v9, 5, v8
	v_add_u32_e32 v16, 0x1000, v9
	v_add_u32_e32 v15, 0x1200, v9
	;; [unrolled: 1-line block ×3, first 2 shown]
	s_and_b32 s16, 0xffff, s12
	v_cndmask_b32_e64 v11, 0, 1, s[4:5]
	ds_write_b8 v9, v5
	v_add_u32_e32 v5, v15, v3
	ds_write_b8 v5, v11
	v_add_u32_e32 v5, s16, v3
	v_lshlrev_b32_e32 v13, 8, v8
	v_cmp_gt_u32_e64 s[2:3], s13, v5
	v_lshl_add_u32 v8, v3, 3, v13
	s_and_b64 s[10:11], vcc, s[2:3]
	s_waitcnt vmcnt(0)
	ds_write_b64 v8, v[6:7]
	s_and_saveexec_b64 s[12:13], s[10:11]
	s_cbranch_execz .LBB12_11
; %bb.10:
	v_mad_u64_u32 v[0:1], s[4:5], v5, s14, v[2:3]
	global_load_ubyte v10, v0, s[8:9]
	v_mad_u64_u32 v[0:1], s[4:5], v5, s15, v[4:5]
	v_mov_b32_e32 v1, 0
	v_lshlrev_b64 v[0:1], 3, v[0:1]
	v_mov_b32_e32 v6, s7
	v_add_co_u32_e64 v0, s[4:5], s6, v0
	v_addc_co_u32_e64 v1, s[4:5], v6, v1, s[4:5]
	global_load_dwordx2 v[0:1], v[0:1], off
.LBB12_11:
	s_or_b64 exec, exec, s[12:13]
	v_lshl_add_u32 v6, s16, 3, v8
	v_lshlrev_b32_e32 v17, 1, v3
	v_cndmask_b32_e64 v11, 0, 1, s[10:11]
	v_add_u32_e32 v7, v16, v5
	s_waitcnt vmcnt(0)
	ds_write_b64 v6, v[0:1]
	v_add_u32_e32 v0, v15, v5
	v_add_u32_e32 v1, v16, v17
	ds_write_b8 v7, v10
	ds_write_b8 v0, v11
	s_waitcnt lgkmcnt(0)
	s_barrier
	ds_read_u16 v11, v1
	s_mov_b32 s16, 1
	v_add_u32_e32 v0, v15, v17
	s_waitcnt lgkmcnt(0)
	v_ashrrev_i16_e32 v12, 8, v11
	v_cmp_ge_i16_sdwa s[10:11], sext(v11), v12 src0_sel:BYTE_0 src1_sel:DWORD
	v_cmp_lt_i16_sdwa s[4:5], sext(v11), v12 src0_sel:BYTE_0 src1_sel:DWORD
	s_and_saveexec_b64 s[12:13], s[4:5]
	s_xor_b64 s[12:13], exec, s[12:13]
	s_cbranch_execz .LBB12_13
; %bb.12:
	ds_read_u8 v10, v0
	s_andn2_b64 s[10:11], s[10:11], exec
	s_waitcnt lgkmcnt(0)
	v_and_b32_e32 v10, 1, v10
	v_cmp_eq_u32_e64 s[4:5], 1, v10
	s_xor_b64 s[4:5], s[4:5], -1
	s_and_b64 s[4:5], s[4:5], exec
	s_or_b64 s[10:11], s[10:11], s[4:5]
.LBB12_13:
	s_or_b64 exec, exec, s[12:13]
	v_mov_b32_e32 v18, s16
	s_and_saveexec_b64 s[4:5], s[10:11]
	s_cbranch_execz .LBB12_15
; %bb.14:
	ds_read_u8 v10, v0 offset:1
	s_waitcnt lgkmcnt(0)
	v_xor_b32_e32 v18, 1, v10
.LBB12_15:
	s_or_b64 exec, exec, s[4:5]
	v_and_b32_e32 v14, 1, v3
	v_lshlrev_b32_e32 v10, 3, v3
	v_cmp_eq_u32_e64 s[4:5], v18, v14
	s_and_saveexec_b64 s[10:11], s[4:5]
	s_cbranch_execz .LBB12_17
; %bb.16:
	v_mov_b32_e32 v22, 8
	v_lshlrev_b16_sdwa v11, v22, sext(v11) dst_sel:DWORD dst_unused:UNUSED_PAD src0_sel:DWORD src1_sel:BYTE_0
	v_add_u32_e32 v24, v8, v10
	v_or_b32_sdwa v11, v12, v11 dst_sel:DWORD dst_unused:UNUSED_PAD src0_sel:BYTE_0 src1_sel:DWORD
	ds_read_b128 v[18:21], v24
	ds_write_b16 v1, v11
	ds_read_u16 v11, v0
	s_mov_b32 s4, 0xc0c0001
	s_waitcnt lgkmcnt(2)
	v_mov_b32_e32 v22, v18
	v_mov_b32_e32 v23, v19
	s_waitcnt lgkmcnt(0)
	v_perm_b32 v11, 0, v11, s4
	ds_write_b128 v24, v[20:23]
	ds_write_b16 v0, v11
.LBB12_17:
	s_or_b64 exec, exec, s[10:11]
	v_sub_u32_e32 v14, v17, v14
	v_add_u32_e32 v11, v16, v14
	s_waitcnt lgkmcnt(0)
	s_barrier
	ds_read_i8 v19, v11
	ds_read_i8 v20, v11 offset:2
	s_mov_b64 s[10:11], -1
	v_add_u32_e32 v12, v15, v14
                                        ; implicit-def: $sgpr16
	s_waitcnt lgkmcnt(0)
	v_cmp_lt_i16_e64 s[4:5], v19, v20
	s_and_saveexec_b64 s[12:13], s[4:5]
	s_xor_b64 s[12:13], exec, s[12:13]
	s_cbranch_execz .LBB12_19
; %bb.18:
	ds_read_u8 v18, v12
	s_mov_b32 s16, 1
	s_waitcnt lgkmcnt(0)
	v_and_b32_e32 v18, 1, v18
	v_cmp_eq_u32_e64 s[4:5], 1, v18
	s_xor_b64 s[4:5], s[4:5], -1
	s_orn2_b64 s[10:11], s[4:5], exec
.LBB12_19:
	s_or_b64 exec, exec, s[12:13]
	v_mov_b32_e32 v21, s16
	s_and_saveexec_b64 s[4:5], s[10:11]
	s_cbranch_execz .LBB12_21
; %bb.20:
	ds_read_u8 v18, v12 offset:2
	s_waitcnt lgkmcnt(0)
	v_xor_b32_e32 v21, 1, v18
.LBB12_21:
	s_or_b64 exec, exec, s[4:5]
	v_bfe_u32 v18, v3, 1, 1
	v_lshl_add_u32 v14, v14, 3, v13
	v_cmp_eq_u32_e64 s[4:5], v21, v18
	s_and_saveexec_b64 s[10:11], s[4:5]
	s_cbranch_execz .LBB12_23
; %bb.22:
	ds_read2_b64 v[22:25], v14 offset1:2
	ds_read_u8 v21, v12 offset:2
	ds_read_u8 v26, v12
	ds_write_b8 v11, v20
	ds_write_b8 v11, v19 offset:2
	s_waitcnt lgkmcnt(4)
	ds_write2_b64 v14, v[24:25], v[22:23] offset1:2
	s_waitcnt lgkmcnt(4)
	ds_write_b8 v12, v21
	s_waitcnt lgkmcnt(4)
	ds_write_b8 v12, v26 offset:2
.LBB12_23:
	s_or_b64 exec, exec, s[10:11]
	s_waitcnt lgkmcnt(0)
	s_barrier
	ds_read_u16 v19, v1
                                        ; implicit-def: $sgpr16
	s_waitcnt lgkmcnt(0)
	v_cmp_ge_i16_sdwa s[10:11], sext(v19), sext(v19) src0_sel:BYTE_0 src1_sel:BYTE_1
	v_cmp_lt_i16_sdwa s[4:5], sext(v19), sext(v19) src0_sel:BYTE_0 src1_sel:BYTE_1
	s_and_saveexec_b64 s[12:13], s[4:5]
	s_cbranch_execnz .LBB12_90
; %bb.24:
	s_or_b64 exec, exec, s[12:13]
	v_mov_b32_e32 v20, s16
	s_and_saveexec_b64 s[4:5], s[10:11]
	s_cbranch_execnz .LBB12_91
.LBB12_25:
	s_or_b64 exec, exec, s[4:5]
	v_cmp_eq_u32_e64 s[4:5], v20, v18
	s_and_saveexec_b64 s[10:11], s[4:5]
	s_cbranch_execz .LBB12_27
.LBB12_26:
	v_add_u32_e32 v24, v8, v10
	ds_read_b128 v[20:23], v24
	ds_read_u16 v25, v0
	v_mov_b32_e32 v18, 8
	s_movk_i32 s4, 0xff
	v_lshlrev_b16_sdwa v18, v18, sext(v19) dst_sel:DWORD dst_unused:UNUSED_PAD src0_sel:DWORD src1_sel:BYTE_0
	v_and_b32_sdwa v19, sext(v19), s4 dst_sel:DWORD dst_unused:UNUSED_PAD src0_sel:BYTE_1 src1_sel:DWORD
	v_or_b32_e32 v18, v19, v18
	ds_write_b16 v1, v18
	s_waitcnt lgkmcnt(2)
	v_mov_b32_e32 v18, v22
	v_mov_b32_e32 v19, v23
	s_mov_b32 s4, 0xc0c0001
	ds_write_b128 v24, v[18:21]
	s_waitcnt lgkmcnt(2)
	v_perm_b32 v18, 0, v25, s4
	ds_write_b16 v0, v18
.LBB12_27:
	s_or_b64 exec, exec, s[10:11]
	v_and_b32_e32 v18, 3, v3
	v_sub_u32_e32 v20, v17, v18
	v_add_u32_e32 v18, v16, v20
	s_waitcnt lgkmcnt(0)
	s_barrier
	ds_read_i8 v22, v18
	ds_read_i8 v23, v18 offset:4
	v_add_u32_e32 v19, v15, v20
                                        ; implicit-def: $sgpr16
	s_waitcnt lgkmcnt(0)
	v_cmp_ge_i16_e64 s[10:11], v22, v23
	v_cmp_lt_i16_e64 s[4:5], v22, v23
	s_and_saveexec_b64 s[12:13], s[4:5]
	s_cbranch_execz .LBB12_29
; %bb.28:
	ds_read_u8 v21, v19
	s_andn2_b64 s[10:11], s[10:11], exec
	s_mov_b32 s16, 1
	s_waitcnt lgkmcnt(0)
	v_and_b32_e32 v21, 1, v21
	v_cmp_eq_u32_e64 s[4:5], 1, v21
	s_xor_b64 s[4:5], s[4:5], -1
	s_and_b64 s[4:5], s[4:5], exec
	s_or_b64 s[10:11], s[10:11], s[4:5]
.LBB12_29:
	s_or_b64 exec, exec, s[12:13]
	v_mov_b32_e32 v24, s16
	s_and_saveexec_b64 s[4:5], s[10:11]
	s_cbranch_execz .LBB12_31
; %bb.30:
	ds_read_u8 v21, v19 offset:4
	s_waitcnt lgkmcnt(0)
	v_xor_b32_e32 v24, 1, v21
.LBB12_31:
	s_or_b64 exec, exec, s[4:5]
	v_bfe_u32 v21, v3, 2, 1
	v_lshl_add_u32 v20, v20, 3, v13
	v_cmp_eq_u32_e64 s[4:5], v24, v21
	s_and_saveexec_b64 s[10:11], s[4:5]
	s_cbranch_execz .LBB12_33
; %bb.32:
	ds_read2_b64 v[24:27], v20 offset1:4
	ds_read_u8 v28, v19 offset:4
	ds_read_u8 v29, v19
	ds_write_b8 v18, v23
	ds_write_b8 v18, v22 offset:4
	s_waitcnt lgkmcnt(4)
	ds_write2_b64 v20, v[26:27], v[24:25] offset1:4
	s_waitcnt lgkmcnt(4)
	ds_write_b8 v19, v28
	s_waitcnt lgkmcnt(4)
	ds_write_b8 v19, v29 offset:4
.LBB12_33:
	s_or_b64 exec, exec, s[10:11]
	s_waitcnt lgkmcnt(0)
	s_barrier
	ds_read_i8 v22, v11
	ds_read_i8 v23, v11 offset:2
                                        ; implicit-def: $sgpr16
	s_waitcnt lgkmcnt(0)
	v_cmp_ge_i16_e64 s[10:11], v22, v23
	v_cmp_lt_i16_e64 s[4:5], v22, v23
	s_and_saveexec_b64 s[12:13], s[4:5]
	s_cbranch_execnz .LBB12_92
; %bb.34:
	s_or_b64 exec, exec, s[12:13]
	v_mov_b32_e32 v24, s16
	s_and_saveexec_b64 s[4:5], s[10:11]
	s_cbranch_execnz .LBB12_93
.LBB12_35:
	s_or_b64 exec, exec, s[4:5]
	v_cmp_eq_u32_e64 s[4:5], v24, v21
	s_and_saveexec_b64 s[10:11], s[4:5]
	s_cbranch_execz .LBB12_37
.LBB12_36:
	ds_read2_b64 v[24:27], v14 offset1:2
	ds_read_u8 v28, v12 offset:2
	ds_read_u8 v29, v12
	ds_write_b8 v11, v23
	ds_write_b8 v11, v22 offset:2
	s_waitcnt lgkmcnt(4)
	ds_write2_b64 v14, v[26:27], v[24:25] offset1:2
	s_waitcnt lgkmcnt(4)
	ds_write_b8 v12, v28
	s_waitcnt lgkmcnt(4)
	ds_write_b8 v12, v29 offset:2
.LBB12_37:
	s_or_b64 exec, exec, s[10:11]
	s_waitcnt lgkmcnt(0)
	s_barrier
	ds_read_u16 v22, v1
                                        ; implicit-def: $sgpr16
	s_waitcnt lgkmcnt(0)
	v_cmp_ge_i16_sdwa s[10:11], sext(v22), sext(v22) src0_sel:BYTE_0 src1_sel:BYTE_1
	v_cmp_lt_i16_sdwa s[4:5], sext(v22), sext(v22) src0_sel:BYTE_0 src1_sel:BYTE_1
	s_and_saveexec_b64 s[12:13], s[4:5]
	s_cbranch_execnz .LBB12_94
; %bb.38:
	s_or_b64 exec, exec, s[12:13]
	v_mov_b32_e32 v23, s16
	s_and_saveexec_b64 s[4:5], s[10:11]
	s_cbranch_execnz .LBB12_95
.LBB12_39:
	s_or_b64 exec, exec, s[4:5]
	v_cmp_eq_u32_e64 s[4:5], v23, v21
	s_and_saveexec_b64 s[10:11], s[4:5]
	s_cbranch_execz .LBB12_41
.LBB12_40:
	v_mov_b32_e32 v21, 8
	s_movk_i32 s4, 0xff
	v_lshlrev_b16_sdwa v21, v21, sext(v22) dst_sel:DWORD dst_unused:UNUSED_PAD src0_sel:DWORD src1_sel:BYTE_0
	v_and_b32_sdwa v22, sext(v22), s4 dst_sel:DWORD dst_unused:UNUSED_PAD src0_sel:BYTE_1 src1_sel:DWORD
	v_add_u32_e32 v28, v8, v10
	v_or_b32_e32 v21, v22, v21
	ds_read_b128 v[24:27], v28
	ds_write_b16 v1, v21
	ds_read_u16 v21, v0
	s_mov_b32 s4, 0xc0c0001
	s_waitcnt lgkmcnt(2)
	v_mov_b32_e32 v22, v26
	v_mov_b32_e32 v23, v27
	s_waitcnt lgkmcnt(0)
	v_perm_b32 v21, 0, v21, s4
	ds_write_b128 v28, v[22:25]
	ds_write_b16 v0, v21
.LBB12_41:
	s_or_b64 exec, exec, s[10:11]
	v_and_b32_e32 v21, 7, v3
	v_sub_u32_e32 v23, v17, v21
	v_add_u32_e32 v21, v16, v23
	s_waitcnt lgkmcnt(0)
	s_barrier
	ds_read_i8 v25, v21
	ds_read_i8 v26, v21 offset:8
	v_add_u32_e32 v22, v15, v23
                                        ; implicit-def: $sgpr16
	s_waitcnt lgkmcnt(0)
	v_cmp_ge_i16_e64 s[10:11], v25, v26
	v_cmp_lt_i16_e64 s[4:5], v25, v26
	s_and_saveexec_b64 s[12:13], s[4:5]
	s_cbranch_execz .LBB12_43
; %bb.42:
	ds_read_u8 v24, v22
	s_andn2_b64 s[10:11], s[10:11], exec
	s_mov_b32 s16, 1
	s_waitcnt lgkmcnt(0)
	v_and_b32_e32 v24, 1, v24
	v_cmp_eq_u32_e64 s[4:5], 1, v24
	s_xor_b64 s[4:5], s[4:5], -1
	s_and_b64 s[4:5], s[4:5], exec
	s_or_b64 s[10:11], s[10:11], s[4:5]
.LBB12_43:
	s_or_b64 exec, exec, s[12:13]
	v_mov_b32_e32 v27, s16
	s_and_saveexec_b64 s[4:5], s[10:11]
	s_cbranch_execz .LBB12_45
; %bb.44:
	ds_read_u8 v24, v22 offset:8
	s_waitcnt lgkmcnt(0)
	v_xor_b32_e32 v27, 1, v24
.LBB12_45:
	s_or_b64 exec, exec, s[4:5]
	v_bfe_u32 v24, v3, 3, 1
	v_lshl_add_u32 v23, v23, 3, v13
	v_cmp_eq_u32_e64 s[4:5], v27, v24
	s_and_saveexec_b64 s[10:11], s[4:5]
	s_cbranch_execz .LBB12_47
; %bb.46:
	ds_read2_b64 v[28:31], v23 offset1:8
	ds_read_u8 v27, v22 offset:8
	ds_read_u8 v32, v22
	ds_write_b8 v21, v26
	ds_write_b8 v21, v25 offset:8
	s_waitcnt lgkmcnt(4)
	ds_write2_b64 v23, v[30:31], v[28:29] offset1:8
	s_waitcnt lgkmcnt(4)
	ds_write_b8 v22, v27
	s_waitcnt lgkmcnt(4)
	ds_write_b8 v22, v32 offset:8
.LBB12_47:
	s_or_b64 exec, exec, s[10:11]
	s_waitcnt lgkmcnt(0)
	s_barrier
	ds_read_i8 v25, v18
	ds_read_i8 v26, v18 offset:4
                                        ; implicit-def: $sgpr16
	s_waitcnt lgkmcnt(0)
	v_cmp_ge_i16_e64 s[10:11], v25, v26
	v_cmp_lt_i16_e64 s[4:5], v25, v26
	s_and_saveexec_b64 s[12:13], s[4:5]
	s_cbranch_execnz .LBB12_96
; %bb.48:
	s_or_b64 exec, exec, s[12:13]
	v_mov_b32_e32 v27, s16
	s_and_saveexec_b64 s[4:5], s[10:11]
	s_cbranch_execnz .LBB12_97
.LBB12_49:
	s_or_b64 exec, exec, s[4:5]
	v_cmp_eq_u32_e64 s[4:5], v27, v24
	s_and_saveexec_b64 s[10:11], s[4:5]
	s_cbranch_execz .LBB12_51
.LBB12_50:
	ds_read2_b64 v[28:31], v20 offset1:4
	ds_read_u8 v27, v19 offset:4
	ds_read_u8 v32, v19
	ds_write_b8 v18, v26
	ds_write_b8 v18, v25 offset:4
	s_waitcnt lgkmcnt(4)
	ds_write2_b64 v20, v[30:31], v[28:29] offset1:4
	s_waitcnt lgkmcnt(4)
	ds_write_b8 v19, v27
	s_waitcnt lgkmcnt(4)
	ds_write_b8 v19, v32 offset:4
.LBB12_51:
	s_or_b64 exec, exec, s[10:11]
	s_waitcnt lgkmcnt(0)
	s_barrier
	ds_read_i8 v25, v11
	ds_read_i8 v26, v11 offset:2
                                        ; implicit-def: $sgpr16
	s_waitcnt lgkmcnt(0)
	v_cmp_ge_i16_e64 s[10:11], v25, v26
	v_cmp_lt_i16_e64 s[4:5], v25, v26
	s_and_saveexec_b64 s[12:13], s[4:5]
	s_cbranch_execnz .LBB12_98
; %bb.52:
	s_or_b64 exec, exec, s[12:13]
	v_mov_b32_e32 v27, s16
	s_and_saveexec_b64 s[4:5], s[10:11]
	s_cbranch_execnz .LBB12_99
.LBB12_53:
	s_or_b64 exec, exec, s[4:5]
	v_cmp_eq_u32_e64 s[4:5], v27, v24
	s_and_saveexec_b64 s[10:11], s[4:5]
	s_cbranch_execz .LBB12_55
.LBB12_54:
	ds_read2_b64 v[28:31], v14 offset1:2
	ds_read_u8 v27, v12 offset:2
	ds_read_u8 v32, v12
	ds_write_b8 v11, v26
	ds_write_b8 v11, v25 offset:2
	s_waitcnt lgkmcnt(4)
	ds_write2_b64 v14, v[30:31], v[28:29] offset1:2
	s_waitcnt lgkmcnt(4)
	ds_write_b8 v12, v27
	s_waitcnt lgkmcnt(4)
	ds_write_b8 v12, v32 offset:2
.LBB12_55:
	s_or_b64 exec, exec, s[10:11]
	s_waitcnt lgkmcnt(0)
	s_barrier
	ds_read_u16 v25, v1
                                        ; implicit-def: $sgpr16
	s_waitcnt lgkmcnt(0)
	v_cmp_ge_i16_sdwa s[10:11], sext(v25), sext(v25) src0_sel:BYTE_0 src1_sel:BYTE_1
	v_cmp_lt_i16_sdwa s[4:5], sext(v25), sext(v25) src0_sel:BYTE_0 src1_sel:BYTE_1
	s_and_saveexec_b64 s[12:13], s[4:5]
	s_cbranch_execnz .LBB12_100
; %bb.56:
	s_or_b64 exec, exec, s[12:13]
	v_mov_b32_e32 v26, s16
	s_and_saveexec_b64 s[4:5], s[10:11]
	s_cbranch_execnz .LBB12_101
.LBB12_57:
	s_or_b64 exec, exec, s[4:5]
	v_cmp_eq_u32_e64 s[4:5], v26, v24
	s_and_saveexec_b64 s[10:11], s[4:5]
	s_cbranch_execz .LBB12_59
.LBB12_58:
	v_add_u32_e32 v30, v8, v10
	ds_read_b128 v[26:29], v30
	ds_read_u16 v31, v0
	v_mov_b32_e32 v24, 8
	s_movk_i32 s4, 0xff
	v_lshlrev_b16_sdwa v24, v24, sext(v25) dst_sel:DWORD dst_unused:UNUSED_PAD src0_sel:DWORD src1_sel:BYTE_0
	v_and_b32_sdwa v25, sext(v25), s4 dst_sel:DWORD dst_unused:UNUSED_PAD src0_sel:BYTE_1 src1_sel:DWORD
	v_or_b32_e32 v24, v25, v24
	ds_write_b16 v1, v24
	s_waitcnt lgkmcnt(2)
	v_mov_b32_e32 v24, v28
	v_mov_b32_e32 v25, v29
	s_mov_b32 s4, 0xc0c0001
	ds_write_b128 v30, v[24:27]
	s_waitcnt lgkmcnt(2)
	v_perm_b32 v24, 0, v31, s4
	ds_write_b16 v0, v24
.LBB12_59:
	s_or_b64 exec, exec, s[10:11]
	v_and_b32_e32 v24, 15, v3
	v_sub_u32_e32 v25, v17, v24
	v_add_u32_e32 v16, v16, v25
	s_waitcnt lgkmcnt(0)
	s_barrier
	ds_read_i8 v17, v16
	ds_read_i8 v24, v16 offset:16
	v_add_u32_e32 v15, v15, v25
	s_waitcnt lgkmcnt(0)
	v_cmp_ge_i16_e64 s[12:13], v17, v24
	v_cmp_lt_i16_e64 s[4:5], v17, v24
	s_and_saveexec_b64 s[10:11], s[4:5]
	s_cbranch_execz .LBB12_61
; %bb.60:
	ds_read_u8 v26, v15
	s_andn2_b64 s[12:13], s[12:13], exec
	s_waitcnt lgkmcnt(0)
	v_and_b32_e32 v26, 1, v26
	v_cmp_eq_u32_e64 s[4:5], 1, v26
	s_xor_b64 s[4:5], s[4:5], -1
	s_and_b64 s[4:5], s[4:5], exec
	s_or_b64 s[12:13], s[12:13], s[4:5]
.LBB12_61:
	s_or_b64 exec, exec, s[10:11]
	s_and_saveexec_b64 s[10:11], s[12:13]
	s_cbranch_execz .LBB12_64
; %bb.62:
	ds_read_u8 v26, v15 offset:16
	s_waitcnt lgkmcnt(0)
	v_cmp_ne_u16_e64 s[4:5], 0, v26
	s_and_b64 exec, exec, s[4:5]
	s_cbranch_execz .LBB12_64
; %bb.63:
	v_lshl_add_u32 v13, v25, 3, v13
	ds_read2_b64 v[28:31], v13 offset1:16
	ds_read_u8 v25, v15
	ds_write_b8 v16, v24
	ds_write_b8 v16, v17 offset:16
	ds_write_b8 v15, v26
	s_waitcnt lgkmcnt(4)
	ds_write2_b64 v13, v[30:31], v[28:29] offset1:16
	s_waitcnt lgkmcnt(4)
	ds_write_b8 v15, v25 offset:16
.LBB12_64:
	s_or_b64 exec, exec, s[10:11]
	s_waitcnt lgkmcnt(0)
	s_barrier
	ds_read_i8 v13, v21
	ds_read_i8 v15, v21 offset:8
	s_waitcnt lgkmcnt(0)
	v_cmp_ge_i16_e64 s[12:13], v13, v15
	v_cmp_lt_i16_e64 s[4:5], v13, v15
	s_and_saveexec_b64 s[10:11], s[4:5]
	s_cbranch_execz .LBB12_66
; %bb.65:
	ds_read_u8 v16, v22
	s_andn2_b64 s[12:13], s[12:13], exec
	s_waitcnt lgkmcnt(0)
	v_and_b32_e32 v16, 1, v16
	v_cmp_eq_u32_e64 s[4:5], 1, v16
	s_xor_b64 s[4:5], s[4:5], -1
	s_and_b64 s[4:5], s[4:5], exec
	s_or_b64 s[12:13], s[12:13], s[4:5]
.LBB12_66:
	s_or_b64 exec, exec, s[10:11]
	s_and_saveexec_b64 s[10:11], s[12:13]
	s_cbranch_execz .LBB12_69
; %bb.67:
	ds_read_u8 v16, v22 offset:8
	s_waitcnt lgkmcnt(0)
	v_cmp_ne_u16_e64 s[4:5], 0, v16
	s_and_b64 exec, exec, s[4:5]
	s_cbranch_execz .LBB12_69
; %bb.68:
	ds_read2_b64 v[24:27], v23 offset1:8
	ds_read_u8 v17, v22
	ds_write_b8 v21, v15
	ds_write_b8 v21, v13 offset:8
	ds_write_b8 v22, v16
	s_waitcnt lgkmcnt(4)
	ds_write2_b64 v23, v[26:27], v[24:25] offset1:8
	s_waitcnt lgkmcnt(4)
	ds_write_b8 v22, v17 offset:8
.LBB12_69:
	s_or_b64 exec, exec, s[10:11]
	s_waitcnt lgkmcnt(0)
	s_barrier
	ds_read_i8 v13, v18
	ds_read_i8 v15, v18 offset:4
	s_waitcnt lgkmcnt(0)
	v_cmp_ge_i16_e64 s[12:13], v13, v15
	v_cmp_lt_i16_e64 s[4:5], v13, v15
	s_and_saveexec_b64 s[10:11], s[4:5]
	s_cbranch_execz .LBB12_71
; %bb.70:
	ds_read_u8 v16, v19
	s_andn2_b64 s[12:13], s[12:13], exec
	s_waitcnt lgkmcnt(0)
	v_and_b32_e32 v16, 1, v16
	v_cmp_eq_u32_e64 s[4:5], 1, v16
	s_xor_b64 s[4:5], s[4:5], -1
	s_and_b64 s[4:5], s[4:5], exec
	s_or_b64 s[12:13], s[12:13], s[4:5]
.LBB12_71:
	s_or_b64 exec, exec, s[10:11]
	s_and_saveexec_b64 s[10:11], s[12:13]
	s_cbranch_execz .LBB12_74
; %bb.72:
	ds_read_u8 v16, v19 offset:4
	s_waitcnt lgkmcnt(0)
	v_cmp_ne_u16_e64 s[4:5], 0, v16
	s_and_b64 exec, exec, s[4:5]
	s_cbranch_execz .LBB12_74
; %bb.73:
	ds_read2_b64 v[22:25], v20 offset1:4
	ds_read_u8 v17, v19
	ds_write_b8 v18, v15
	ds_write_b8 v18, v13 offset:4
	ds_write_b8 v19, v16
	s_waitcnt lgkmcnt(4)
	ds_write2_b64 v20, v[24:25], v[22:23] offset1:4
	s_waitcnt lgkmcnt(4)
	ds_write_b8 v19, v17 offset:4
.LBB12_74:
	;; [unrolled: 40-line block ×3, first 2 shown]
	s_or_b64 exec, exec, s[10:11]
	s_waitcnt lgkmcnt(0)
	s_barrier
	ds_read_u16 v11, v1
	s_waitcnt lgkmcnt(0)
	v_cmp_ge_i16_sdwa s[12:13], sext(v11), sext(v11) src0_sel:BYTE_0 src1_sel:BYTE_1
	v_cmp_lt_i16_sdwa s[4:5], sext(v11), sext(v11) src0_sel:BYTE_0 src1_sel:BYTE_1
	s_and_saveexec_b64 s[10:11], s[4:5]
	s_cbranch_execz .LBB12_81
; %bb.80:
	ds_read_u8 v12, v0
	s_andn2_b64 s[12:13], s[12:13], exec
	s_waitcnt lgkmcnt(0)
	v_and_b32_e32 v12, 1, v12
	v_cmp_eq_u32_e64 s[4:5], 1, v12
	s_xor_b64 s[4:5], s[4:5], -1
	s_and_b64 s[4:5], s[4:5], exec
	s_or_b64 s[12:13], s[12:13], s[4:5]
.LBB12_81:
	s_or_b64 exec, exec, s[10:11]
	s_and_saveexec_b64 s[10:11], s[12:13]
	s_cbranch_execz .LBB12_84
; %bb.82:
	ds_read_u8 v12, v0 offset:1
	s_waitcnt lgkmcnt(0)
	v_cmp_ne_u16_e64 s[4:5], 0, v12
	s_and_b64 exec, exec, s[4:5]
	s_cbranch_execz .LBB12_84
; %bb.83:
	v_mov_b32_e32 v13, 8
	s_movk_i32 s4, 0xff
	v_lshlrev_b16_sdwa v13, v13, sext(v11) dst_sel:DWORD dst_unused:UNUSED_PAD src0_sel:DWORD src1_sel:BYTE_0
	v_and_b32_sdwa v11, sext(v11), s4 dst_sel:DWORD dst_unused:UNUSED_PAD src0_sel:BYTE_1 src1_sel:DWORD
	v_add_u32_e32 v10, v8, v10
	v_or_b32_e32 v11, v11, v13
	ds_read_b128 v[14:17], v10
	ds_write_b16 v1, v11
	ds_read_u8 v1, v0
	s_waitcnt lgkmcnt(2)
	v_mov_b32_e32 v18, v14
	v_mov_b32_e32 v19, v15
	s_waitcnt lgkmcnt(0)
	v_lshlrev_b16_e32 v1, 8, v1
	v_or_b32_e32 v1, v12, v1
	ds_write_b128 v10, v[16:19]
	ds_write_b16 v0, v1
.LBB12_84:
	s_or_b64 exec, exec, s[10:11]
	s_waitcnt lgkmcnt(0)
	s_barrier
	s_and_saveexec_b64 s[4:5], vcc
	s_cbranch_execz .LBB12_89
; %bb.85:
	s_and_saveexec_b64 s[4:5], s[0:1]
	s_cbranch_execz .LBB12_87
; %bb.86:
	ds_read_u8 v10, v9
	v_mad_u64_u32 v[0:1], s[0:1], v3, s14, v[2:3]
	ds_read_b64 v[8:9], v8
	s_waitcnt lgkmcnt(1)
	global_store_byte v0, v10, s[8:9]
	v_mad_u64_u32 v[0:1], s[0:1], v3, s15, v[4:5]
	v_mov_b32_e32 v1, 0
	v_lshlrev_b64 v[0:1], 3, v[0:1]
	v_mov_b32_e32 v3, s7
	v_add_co_u32_e32 v0, vcc, s6, v0
	v_addc_co_u32_e32 v1, vcc, v3, v1, vcc
	s_waitcnt lgkmcnt(0)
	global_store_dwordx2 v[0:1], v[8:9], off
.LBB12_87:
	s_or_b64 exec, exec, s[4:5]
	s_and_b64 exec, exec, s[2:3]
	s_cbranch_execz .LBB12_89
; %bb.88:
	ds_read_u8 v7, v7
	v_mad_u64_u32 v[0:1], s[0:1], v5, s14, v[2:3]
	ds_read_b64 v[2:3], v6
	s_waitcnt lgkmcnt(1)
	global_store_byte v0, v7, s[8:9]
	v_mad_u64_u32 v[0:1], s[0:1], v5, s15, v[4:5]
	v_mov_b32_e32 v1, 0
	v_lshlrev_b64 v[0:1], 3, v[0:1]
	v_mov_b32_e32 v4, s7
	v_add_co_u32_e32 v0, vcc, s6, v0
	v_addc_co_u32_e32 v1, vcc, v4, v1, vcc
	s_waitcnt lgkmcnt(0)
	global_store_dwordx2 v[0:1], v[2:3], off
.LBB12_89:
	s_endpgm
.LBB12_90:
	ds_read_u8 v20, v0
	s_andn2_b64 s[10:11], s[10:11], exec
	s_mov_b32 s16, 1
	s_waitcnt lgkmcnt(0)
	v_and_b32_e32 v20, 1, v20
	v_cmp_eq_u32_e64 s[4:5], 1, v20
	s_xor_b64 s[4:5], s[4:5], -1
	s_and_b64 s[4:5], s[4:5], exec
	s_or_b64 s[10:11], s[10:11], s[4:5]
	s_or_b64 exec, exec, s[12:13]
	v_mov_b32_e32 v20, s16
	s_and_saveexec_b64 s[4:5], s[10:11]
	s_cbranch_execz .LBB12_25
.LBB12_91:
	ds_read_u8 v20, v0 offset:1
	s_waitcnt lgkmcnt(0)
	v_xor_b32_e32 v20, 1, v20
	s_or_b64 exec, exec, s[4:5]
	v_cmp_eq_u32_e64 s[4:5], v20, v18
	s_and_saveexec_b64 s[10:11], s[4:5]
	s_cbranch_execnz .LBB12_26
	s_branch .LBB12_27
.LBB12_92:
	ds_read_u8 v24, v12
	s_andn2_b64 s[10:11], s[10:11], exec
	s_mov_b32 s16, 1
	s_waitcnt lgkmcnt(0)
	v_and_b32_e32 v24, 1, v24
	v_cmp_eq_u32_e64 s[4:5], 1, v24
	s_xor_b64 s[4:5], s[4:5], -1
	s_and_b64 s[4:5], s[4:5], exec
	s_or_b64 s[10:11], s[10:11], s[4:5]
	s_or_b64 exec, exec, s[12:13]
	v_mov_b32_e32 v24, s16
	s_and_saveexec_b64 s[4:5], s[10:11]
	s_cbranch_execz .LBB12_35
.LBB12_93:
	ds_read_u8 v24, v12 offset:2
	s_waitcnt lgkmcnt(0)
	v_xor_b32_e32 v24, 1, v24
	s_or_b64 exec, exec, s[4:5]
	v_cmp_eq_u32_e64 s[4:5], v24, v21
	s_and_saveexec_b64 s[10:11], s[4:5]
	s_cbranch_execnz .LBB12_36
	s_branch .LBB12_37
.LBB12_94:
	ds_read_u8 v23, v0
	s_andn2_b64 s[10:11], s[10:11], exec
	s_mov_b32 s16, 1
	s_waitcnt lgkmcnt(0)
	v_and_b32_e32 v23, 1, v23
	v_cmp_eq_u32_e64 s[4:5], 1, v23
	s_xor_b64 s[4:5], s[4:5], -1
	s_and_b64 s[4:5], s[4:5], exec
	s_or_b64 s[10:11], s[10:11], s[4:5]
	s_or_b64 exec, exec, s[12:13]
	v_mov_b32_e32 v23, s16
	s_and_saveexec_b64 s[4:5], s[10:11]
	s_cbranch_execz .LBB12_39
.LBB12_95:
	ds_read_u8 v23, v0 offset:1
	s_waitcnt lgkmcnt(0)
	v_xor_b32_e32 v23, 1, v23
	s_or_b64 exec, exec, s[4:5]
	v_cmp_eq_u32_e64 s[4:5], v23, v21
	s_and_saveexec_b64 s[10:11], s[4:5]
	s_cbranch_execnz .LBB12_40
	s_branch .LBB12_41
.LBB12_96:
	ds_read_u8 v27, v19
	s_andn2_b64 s[10:11], s[10:11], exec
	s_mov_b32 s16, 1
	s_waitcnt lgkmcnt(0)
	v_and_b32_e32 v27, 1, v27
	v_cmp_eq_u32_e64 s[4:5], 1, v27
	s_xor_b64 s[4:5], s[4:5], -1
	s_and_b64 s[4:5], s[4:5], exec
	s_or_b64 s[10:11], s[10:11], s[4:5]
	s_or_b64 exec, exec, s[12:13]
	v_mov_b32_e32 v27, s16
	s_and_saveexec_b64 s[4:5], s[10:11]
	s_cbranch_execz .LBB12_49
.LBB12_97:
	ds_read_u8 v27, v19 offset:4
	s_waitcnt lgkmcnt(0)
	v_xor_b32_e32 v27, 1, v27
	s_or_b64 exec, exec, s[4:5]
	v_cmp_eq_u32_e64 s[4:5], v27, v24
	s_and_saveexec_b64 s[10:11], s[4:5]
	s_cbranch_execnz .LBB12_50
	s_branch .LBB12_51
.LBB12_98:
	ds_read_u8 v27, v12
	s_andn2_b64 s[10:11], s[10:11], exec
	s_mov_b32 s16, 1
	s_waitcnt lgkmcnt(0)
	v_and_b32_e32 v27, 1, v27
	v_cmp_eq_u32_e64 s[4:5], 1, v27
	s_xor_b64 s[4:5], s[4:5], -1
	s_and_b64 s[4:5], s[4:5], exec
	s_or_b64 s[10:11], s[10:11], s[4:5]
	s_or_b64 exec, exec, s[12:13]
	v_mov_b32_e32 v27, s16
	s_and_saveexec_b64 s[4:5], s[10:11]
	s_cbranch_execz .LBB12_53
.LBB12_99:
	ds_read_u8 v27, v12 offset:2
	s_waitcnt lgkmcnt(0)
	v_xor_b32_e32 v27, 1, v27
	s_or_b64 exec, exec, s[4:5]
	v_cmp_eq_u32_e64 s[4:5], v27, v24
	s_and_saveexec_b64 s[10:11], s[4:5]
	s_cbranch_execnz .LBB12_54
	s_branch .LBB12_55
.LBB12_100:
	ds_read_u8 v26, v0
	s_andn2_b64 s[10:11], s[10:11], exec
	s_mov_b32 s16, 1
	s_waitcnt lgkmcnt(0)
	v_and_b32_e32 v26, 1, v26
	v_cmp_eq_u32_e64 s[4:5], 1, v26
	s_xor_b64 s[4:5], s[4:5], -1
	s_and_b64 s[4:5], s[4:5], exec
	s_or_b64 s[10:11], s[10:11], s[4:5]
	s_or_b64 exec, exec, s[12:13]
	v_mov_b32_e32 v26, s16
	s_and_saveexec_b64 s[4:5], s[10:11]
	s_cbranch_execz .LBB12_57
.LBB12_101:
	ds_read_u8 v26, v0 offset:1
	s_waitcnt lgkmcnt(0)
	v_xor_b32_e32 v26, 1, v26
	s_or_b64 exec, exec, s[4:5]
	v_cmp_eq_u32_e64 s[4:5], v26, v24
	s_and_saveexec_b64 s[10:11], s[4:5]
	s_cbranch_execnz .LBB12_58
	s_branch .LBB12_59
	.section	.rodata,"a",@progbits
	.p2align	6, 0x0
	.amdhsa_kernel _ZN2at6native20bitonicSortKVInPlaceILin1ELin1ELi16ELi16EalNS0_4LTOpIaLb1EEEjEEvNS_4cuda6detail10TensorInfoIT3_T6_EES8_S8_S8_NS6_IT4_S8_EES8_T5_
		.amdhsa_group_segment_fixed_size 5120
		.amdhsa_private_segment_fixed_size 0
		.amdhsa_kernarg_size 712
		.amdhsa_user_sgpr_count 6
		.amdhsa_user_sgpr_private_segment_buffer 1
		.amdhsa_user_sgpr_dispatch_ptr 0
		.amdhsa_user_sgpr_queue_ptr 0
		.amdhsa_user_sgpr_kernarg_segment_ptr 1
		.amdhsa_user_sgpr_dispatch_id 0
		.amdhsa_user_sgpr_flat_scratch_init 0
		.amdhsa_user_sgpr_kernarg_preload_length 0
		.amdhsa_user_sgpr_kernarg_preload_offset 0
		.amdhsa_user_sgpr_private_segment_size 0
		.amdhsa_uses_dynamic_stack 0
		.amdhsa_system_sgpr_private_segment_wavefront_offset 0
		.amdhsa_system_sgpr_workgroup_id_x 1
		.amdhsa_system_sgpr_workgroup_id_y 1
		.amdhsa_system_sgpr_workgroup_id_z 1
		.amdhsa_system_sgpr_workgroup_info 0
		.amdhsa_system_vgpr_workitem_id 1
		.amdhsa_next_free_vgpr 33
		.amdhsa_next_free_sgpr 17
		.amdhsa_accum_offset 36
		.amdhsa_reserve_vcc 1
		.amdhsa_reserve_flat_scratch 0
		.amdhsa_float_round_mode_32 0
		.amdhsa_float_round_mode_16_64 0
		.amdhsa_float_denorm_mode_32 3
		.amdhsa_float_denorm_mode_16_64 3
		.amdhsa_dx10_clamp 1
		.amdhsa_ieee_mode 1
		.amdhsa_fp16_overflow 0
		.amdhsa_tg_split 0
		.amdhsa_exception_fp_ieee_invalid_op 0
		.amdhsa_exception_fp_denorm_src 0
		.amdhsa_exception_fp_ieee_div_zero 0
		.amdhsa_exception_fp_ieee_overflow 0
		.amdhsa_exception_fp_ieee_underflow 0
		.amdhsa_exception_fp_ieee_inexact 0
		.amdhsa_exception_int_div_zero 0
	.end_amdhsa_kernel
	.section	.text._ZN2at6native20bitonicSortKVInPlaceILin1ELin1ELi16ELi16EalNS0_4LTOpIaLb1EEEjEEvNS_4cuda6detail10TensorInfoIT3_T6_EES8_S8_S8_NS6_IT4_S8_EES8_T5_,"axG",@progbits,_ZN2at6native20bitonicSortKVInPlaceILin1ELin1ELi16ELi16EalNS0_4LTOpIaLb1EEEjEEvNS_4cuda6detail10TensorInfoIT3_T6_EES8_S8_S8_NS6_IT4_S8_EES8_T5_,comdat
.Lfunc_end12:
	.size	_ZN2at6native20bitonicSortKVInPlaceILin1ELin1ELi16ELi16EalNS0_4LTOpIaLb1EEEjEEvNS_4cuda6detail10TensorInfoIT3_T6_EES8_S8_S8_NS6_IT4_S8_EES8_T5_, .Lfunc_end12-_ZN2at6native20bitonicSortKVInPlaceILin1ELin1ELi16ELi16EalNS0_4LTOpIaLb1EEEjEEvNS_4cuda6detail10TensorInfoIT3_T6_EES8_S8_S8_NS6_IT4_S8_EES8_T5_
                                        ; -- End function
	.section	.AMDGPU.csdata,"",@progbits
; Kernel info:
; codeLenInByte = 4924
; NumSgprs: 21
; NumVgprs: 33
; NumAgprs: 0
; TotalNumVgprs: 33
; ScratchSize: 0
; MemoryBound: 0
; FloatMode: 240
; IeeeMode: 1
; LDSByteSize: 5120 bytes/workgroup (compile time only)
; SGPRBlocks: 2
; VGPRBlocks: 4
; NumSGPRsForWavesPerEU: 21
; NumVGPRsForWavesPerEU: 33
; AccumOffset: 36
; Occupancy: 8
; WaveLimiterHint : 1
; COMPUTE_PGM_RSRC2:SCRATCH_EN: 0
; COMPUTE_PGM_RSRC2:USER_SGPR: 6
; COMPUTE_PGM_RSRC2:TRAP_HANDLER: 0
; COMPUTE_PGM_RSRC2:TGID_X_EN: 1
; COMPUTE_PGM_RSRC2:TGID_Y_EN: 1
; COMPUTE_PGM_RSRC2:TGID_Z_EN: 1
; COMPUTE_PGM_RSRC2:TIDIG_COMP_CNT: 1
; COMPUTE_PGM_RSRC3_GFX90A:ACCUM_OFFSET: 8
; COMPUTE_PGM_RSRC3_GFX90A:TG_SPLIT: 0
	.section	.text._ZN2at6native20bitonicSortKVInPlaceILin1ELin1ELi16ELi16EalNS0_4GTOpIaLb1EEEjEEvNS_4cuda6detail10TensorInfoIT3_T6_EES8_S8_S8_NS6_IT4_S8_EES8_T5_,"axG",@progbits,_ZN2at6native20bitonicSortKVInPlaceILin1ELin1ELi16ELi16EalNS0_4GTOpIaLb1EEEjEEvNS_4cuda6detail10TensorInfoIT3_T6_EES8_S8_S8_NS6_IT4_S8_EES8_T5_,comdat
	.protected	_ZN2at6native20bitonicSortKVInPlaceILin1ELin1ELi16ELi16EalNS0_4GTOpIaLb1EEEjEEvNS_4cuda6detail10TensorInfoIT3_T6_EES8_S8_S8_NS6_IT4_S8_EES8_T5_ ; -- Begin function _ZN2at6native20bitonicSortKVInPlaceILin1ELin1ELi16ELi16EalNS0_4GTOpIaLb1EEEjEEvNS_4cuda6detail10TensorInfoIT3_T6_EES8_S8_S8_NS6_IT4_S8_EES8_T5_
	.globl	_ZN2at6native20bitonicSortKVInPlaceILin1ELin1ELi16ELi16EalNS0_4GTOpIaLb1EEEjEEvNS_4cuda6detail10TensorInfoIT3_T6_EES8_S8_S8_NS6_IT4_S8_EES8_T5_
	.p2align	8
	.type	_ZN2at6native20bitonicSortKVInPlaceILin1ELin1ELi16ELi16EalNS0_4GTOpIaLb1EEEjEEvNS_4cuda6detail10TensorInfoIT3_T6_EES8_S8_S8_NS6_IT4_S8_EES8_T5_,@function
_ZN2at6native20bitonicSortKVInPlaceILin1ELin1ELi16ELi16EalNS0_4GTOpIaLb1EEEjEEvNS_4cuda6detail10TensorInfoIT3_T6_EES8_S8_S8_NS6_IT4_S8_EES8_T5_: ; @_ZN2at6native20bitonicSortKVInPlaceILin1ELin1ELi16ELi16EalNS0_4GTOpIaLb1EEEjEEvNS_4cuda6detail10TensorInfoIT3_T6_EES8_S8_S8_NS6_IT4_S8_EES8_T5_
; %bb.0:
	s_load_dwordx2 s[2:3], s[4:5], 0x1c8
	s_load_dwordx4 s[12:15], s[4:5], 0xd8
	s_load_dword s9, s[4:5], 0x1d4
	s_add_u32 s0, s4, 0x1c8
	s_addc_u32 s1, s5, 0
	s_waitcnt lgkmcnt(0)
	s_mul_i32 s3, s3, s8
	s_add_i32 s3, s3, s7
	s_mul_i32 s2, s3, s2
	s_add_i32 s3, s2, s6
	s_lshr_b32 s2, s9, 16
	s_mul_i32 s3, s3, s2
	s_cmp_ge_u32 s3, s12
	s_cbranch_scc1 .LBB13_89
; %bb.1:
	s_load_dword s2, s[4:5], 0xd0
	v_bfe_u32 v8, v0, 10, 10
	v_add_u32_e32 v1, s3, v8
	v_mov_b32_e32 v2, 0
	v_mov_b32_e32 v6, v1
	s_waitcnt lgkmcnt(0)
	s_cmp_lt_i32 s2, 2
	s_cbranch_scc1 .LBB13_4
; %bb.2:
	s_add_i32 s6, s2, 1
	s_add_i32 s2, s2, -1
	s_mov_b32 s3, 0
	s_lshl_b64 s[2:3], s[2:3], 2
	s_add_u32 s2, s2, s4
	s_addc_u32 s3, s3, s5
	s_add_u32 s2, s2, 8
	s_addc_u32 s3, s3, 0
	v_mov_b32_e32 v2, 0
	v_mov_b32_e32 v6, v1
.LBB13_3:                               ; =>This Inner Loop Header: Depth=1
	s_load_dword s7, s[2:3], 0x0
	s_load_dword s8, s[2:3], 0x64
	v_mov_b32_e32 v3, v6
	s_add_i32 s6, s6, -1
	s_waitcnt lgkmcnt(0)
	v_cvt_f32_u32_e32 v4, s7
	s_sub_i32 s9, 0, s7
	s_add_u32 s2, s2, -4
	s_addc_u32 s3, s3, -1
	v_rcp_iflag_f32_e32 v4, v4
	s_cmp_gt_u32 s6, 2
	v_mul_f32_e32 v4, 0x4f7ffffe, v4
	v_cvt_u32_f32_e32 v4, v4
	v_mul_lo_u32 v5, s9, v4
	v_mul_hi_u32 v5, v4, v5
	v_add_u32_e32 v4, v4, v5
	v_mul_hi_u32 v4, v3, v4
	v_mul_lo_u32 v5, v4, s7
	v_sub_u32_e32 v5, v3, v5
	v_add_u32_e32 v6, 1, v4
	v_cmp_le_u32_e32 vcc, s7, v5
	v_cndmask_b32_e32 v4, v4, v6, vcc
	v_subrev_u32_e32 v6, s7, v5
	v_cndmask_b32_e32 v5, v5, v6, vcc
	v_add_u32_e32 v6, 1, v4
	v_cmp_le_u32_e32 vcc, s7, v5
	v_cndmask_b32_e32 v6, v4, v6, vcc
	v_mul_lo_u32 v4, v6, s7
	v_sub_u32_e32 v3, v3, v4
	v_mad_u64_u32 v[2:3], s[8:9], s8, v3, v[2:3]
	s_cbranch_scc1 .LBB13_3
.LBB13_4:
	s_load_dword s2, s[4:5], 0x1b8
	v_mov_b32_e32 v4, 0
	v_mov_b32_e32 v7, v1
	s_waitcnt lgkmcnt(0)
	s_cmp_lt_i32 s2, 2
	s_cbranch_scc1 .LBB13_7
; %bb.5:
	s_add_i32 s6, s2, 1
	s_add_i32 s2, s2, -1
	s_mov_b32 s3, 0
	s_lshl_b64 s[2:3], s[2:3], 2
	s_add_u32 s2, s2, s4
	s_addc_u32 s3, s3, s5
	s_add_u32 s2, s2, 0xf0
	s_addc_u32 s3, s3, 0
	v_mov_b32_e32 v4, 0
	v_mov_b32_e32 v7, v1
.LBB13_6:                               ; =>This Inner Loop Header: Depth=1
	s_load_dword s7, s[2:3], 0x0
	s_load_dword s8, s[2:3], 0x64
	v_mov_b32_e32 v3, v7
	s_add_i32 s6, s6, -1
	s_waitcnt lgkmcnt(0)
	v_cvt_f32_u32_e32 v5, s7
	s_sub_i32 s9, 0, s7
	s_add_u32 s2, s2, -4
	s_addc_u32 s3, s3, -1
	v_rcp_iflag_f32_e32 v5, v5
	s_cmp_gt_u32 s6, 2
	v_mul_f32_e32 v5, 0x4f7ffffe, v5
	v_cvt_u32_f32_e32 v5, v5
	v_mul_lo_u32 v7, s9, v5
	v_mul_hi_u32 v7, v5, v7
	v_add_u32_e32 v5, v5, v7
	v_mul_hi_u32 v5, v3, v5
	v_mul_lo_u32 v7, v5, s7
	v_sub_u32_e32 v7, v3, v7
	v_add_u32_e32 v9, 1, v5
	v_cmp_le_u32_e32 vcc, s7, v7
	v_cndmask_b32_e32 v5, v5, v9, vcc
	v_subrev_u32_e32 v9, s7, v7
	v_cndmask_b32_e32 v7, v7, v9, vcc
	v_add_u32_e32 v9, 1, v5
	v_cmp_le_u32_e32 vcc, s7, v7
	v_cndmask_b32_e32 v7, v5, v9, vcc
	v_mul_lo_u32 v5, v7, s7
	v_sub_u32_e32 v3, v3, v5
	v_mad_u64_u32 v[4:5], s[8:9], s8, v3, v[4:5]
	s_cbranch_scc1 .LBB13_6
.LBB13_7:
	s_load_dword s2, s[4:5], 0x6c
	v_cmp_gt_u32_e32 vcc, s12, v1
	v_mov_b32_e32 v10, 0
	s_waitcnt lgkmcnt(0)
	v_mad_u64_u32 v[2:3], s[2:3], s2, v6, v[2:3]
	s_load_dword s15, s[4:5], 0x1c0
	s_load_dword s2, s[4:5], 0x154
	s_load_dwordx2 s[8:9], s[4:5], 0x0
	s_load_dwordx2 s[6:7], s[4:5], 0xe8
	s_load_dword s12, s[0:1], 0xc
	v_and_b32_e32 v3, 0x3ff, v0
	v_cmp_gt_u32_e64 s[0:1], s13, v3
	s_waitcnt lgkmcnt(0)
	v_mad_u64_u32 v[4:5], s[2:3], s2, v7, v[4:5]
	v_pk_mov_b32 v[0:1], 0, 0
	s_and_b64 s[4:5], vcc, s[0:1]
	v_mov_b32_e32 v5, 0
	v_pk_mov_b32 v[6:7], v[0:1], v[0:1] op_sel:[0,1]
	s_and_saveexec_b64 s[10:11], s[4:5]
	s_cbranch_execz .LBB13_9
; %bb.8:
	v_mad_u64_u32 v[6:7], s[2:3], v3, s14, v[2:3]
	global_load_ubyte v5, v6, s[8:9]
	v_mov_b32_e32 v9, s7
	s_waitcnt vmcnt(0)
	v_mad_u64_u32 v[6:7], s[2:3], v3, s15, v[4:5]
	v_mov_b32_e32 v7, 0
	v_lshlrev_b64 v[6:7], 3, v[6:7]
	v_add_co_u32_e64 v6, s[2:3], s6, v6
	v_addc_co_u32_e64 v7, s[2:3], v9, v7, s[2:3]
	global_load_dwordx2 v[6:7], v[6:7], off
.LBB13_9:
	s_or_b64 exec, exec, s[10:11]
	v_lshlrev_b32_e32 v9, 5, v8
	v_add_u32_e32 v16, 0x1000, v9
	v_add_u32_e32 v15, 0x1200, v9
	;; [unrolled: 1-line block ×3, first 2 shown]
	s_and_b32 s16, 0xffff, s12
	v_cndmask_b32_e64 v11, 0, 1, s[4:5]
	ds_write_b8 v9, v5
	v_add_u32_e32 v5, v15, v3
	ds_write_b8 v5, v11
	v_add_u32_e32 v5, s16, v3
	v_lshlrev_b32_e32 v13, 8, v8
	v_cmp_gt_u32_e64 s[2:3], s13, v5
	v_lshl_add_u32 v8, v3, 3, v13
	s_and_b64 s[10:11], vcc, s[2:3]
	s_waitcnt vmcnt(0)
	ds_write_b64 v8, v[6:7]
	s_and_saveexec_b64 s[12:13], s[10:11]
	s_cbranch_execz .LBB13_11
; %bb.10:
	v_mad_u64_u32 v[0:1], s[4:5], v5, s14, v[2:3]
	global_load_ubyte v10, v0, s[8:9]
	v_mad_u64_u32 v[0:1], s[4:5], v5, s15, v[4:5]
	v_mov_b32_e32 v1, 0
	v_lshlrev_b64 v[0:1], 3, v[0:1]
	v_mov_b32_e32 v6, s7
	v_add_co_u32_e64 v0, s[4:5], s6, v0
	v_addc_co_u32_e64 v1, s[4:5], v6, v1, s[4:5]
	global_load_dwordx2 v[0:1], v[0:1], off
.LBB13_11:
	s_or_b64 exec, exec, s[12:13]
	v_lshl_add_u32 v6, s16, 3, v8
	v_lshlrev_b32_e32 v17, 1, v3
	v_cndmask_b32_e64 v11, 0, 1, s[10:11]
	v_add_u32_e32 v7, v16, v5
	s_waitcnt vmcnt(0)
	ds_write_b64 v6, v[0:1]
	v_add_u32_e32 v0, v15, v5
	v_add_u32_e32 v1, v16, v17
	ds_write_b8 v7, v10
	ds_write_b8 v0, v11
	s_waitcnt lgkmcnt(0)
	s_barrier
	ds_read_u16 v11, v1
	s_mov_b32 s16, 1
	v_add_u32_e32 v0, v15, v17
	s_waitcnt lgkmcnt(0)
	v_ashrrev_i16_e32 v12, 8, v11
	v_cmp_le_i16_sdwa s[10:11], sext(v11), v12 src0_sel:BYTE_0 src1_sel:DWORD
	v_cmp_gt_i16_sdwa s[4:5], sext(v11), v12 src0_sel:BYTE_0 src1_sel:DWORD
	s_and_saveexec_b64 s[12:13], s[4:5]
	s_xor_b64 s[12:13], exec, s[12:13]
	s_cbranch_execz .LBB13_13
; %bb.12:
	ds_read_u8 v10, v0
	s_andn2_b64 s[10:11], s[10:11], exec
	s_waitcnt lgkmcnt(0)
	v_and_b32_e32 v10, 1, v10
	v_cmp_eq_u32_e64 s[4:5], 1, v10
	s_xor_b64 s[4:5], s[4:5], -1
	s_and_b64 s[4:5], s[4:5], exec
	s_or_b64 s[10:11], s[10:11], s[4:5]
.LBB13_13:
	s_or_b64 exec, exec, s[12:13]
	v_mov_b32_e32 v18, s16
	s_and_saveexec_b64 s[4:5], s[10:11]
	s_cbranch_execz .LBB13_15
; %bb.14:
	ds_read_u8 v10, v0 offset:1
	s_waitcnt lgkmcnt(0)
	v_xor_b32_e32 v18, 1, v10
.LBB13_15:
	s_or_b64 exec, exec, s[4:5]
	v_and_b32_e32 v14, 1, v3
	v_lshlrev_b32_e32 v10, 3, v3
	v_cmp_eq_u32_e64 s[4:5], v18, v14
	s_and_saveexec_b64 s[10:11], s[4:5]
	s_cbranch_execz .LBB13_17
; %bb.16:
	v_mov_b32_e32 v22, 8
	v_lshlrev_b16_sdwa v11, v22, sext(v11) dst_sel:DWORD dst_unused:UNUSED_PAD src0_sel:DWORD src1_sel:BYTE_0
	v_add_u32_e32 v24, v8, v10
	v_or_b32_sdwa v11, v12, v11 dst_sel:DWORD dst_unused:UNUSED_PAD src0_sel:BYTE_0 src1_sel:DWORD
	ds_read_b128 v[18:21], v24
	ds_write_b16 v1, v11
	ds_read_u16 v11, v0
	s_mov_b32 s4, 0xc0c0001
	s_waitcnt lgkmcnt(2)
	v_mov_b32_e32 v22, v18
	v_mov_b32_e32 v23, v19
	s_waitcnt lgkmcnt(0)
	v_perm_b32 v11, 0, v11, s4
	ds_write_b128 v24, v[20:23]
	ds_write_b16 v0, v11
.LBB13_17:
	s_or_b64 exec, exec, s[10:11]
	v_sub_u32_e32 v14, v17, v14
	v_add_u32_e32 v11, v16, v14
	s_waitcnt lgkmcnt(0)
	s_barrier
	ds_read_i8 v19, v11
	ds_read_i8 v20, v11 offset:2
	s_mov_b64 s[10:11], -1
	v_add_u32_e32 v12, v15, v14
                                        ; implicit-def: $sgpr16
	s_waitcnt lgkmcnt(0)
	v_cmp_gt_i16_e64 s[4:5], v19, v20
	s_and_saveexec_b64 s[12:13], s[4:5]
	s_xor_b64 s[12:13], exec, s[12:13]
	s_cbranch_execz .LBB13_19
; %bb.18:
	ds_read_u8 v18, v12
	s_mov_b32 s16, 1
	s_waitcnt lgkmcnt(0)
	v_and_b32_e32 v18, 1, v18
	v_cmp_eq_u32_e64 s[4:5], 1, v18
	s_xor_b64 s[4:5], s[4:5], -1
	s_orn2_b64 s[10:11], s[4:5], exec
.LBB13_19:
	s_or_b64 exec, exec, s[12:13]
	v_mov_b32_e32 v21, s16
	s_and_saveexec_b64 s[4:5], s[10:11]
	s_cbranch_execz .LBB13_21
; %bb.20:
	ds_read_u8 v18, v12 offset:2
	s_waitcnt lgkmcnt(0)
	v_xor_b32_e32 v21, 1, v18
.LBB13_21:
	s_or_b64 exec, exec, s[4:5]
	v_bfe_u32 v18, v3, 1, 1
	v_lshl_add_u32 v14, v14, 3, v13
	v_cmp_eq_u32_e64 s[4:5], v21, v18
	s_and_saveexec_b64 s[10:11], s[4:5]
	s_cbranch_execz .LBB13_23
; %bb.22:
	ds_read2_b64 v[22:25], v14 offset1:2
	ds_read_u8 v21, v12 offset:2
	ds_read_u8 v26, v12
	ds_write_b8 v11, v20
	ds_write_b8 v11, v19 offset:2
	s_waitcnt lgkmcnt(4)
	ds_write2_b64 v14, v[24:25], v[22:23] offset1:2
	s_waitcnt lgkmcnt(4)
	ds_write_b8 v12, v21
	s_waitcnt lgkmcnt(4)
	ds_write_b8 v12, v26 offset:2
.LBB13_23:
	s_or_b64 exec, exec, s[10:11]
	s_waitcnt lgkmcnt(0)
	s_barrier
	ds_read_u16 v19, v1
                                        ; implicit-def: $sgpr16
	s_waitcnt lgkmcnt(0)
	v_cmp_le_i16_sdwa s[10:11], sext(v19), sext(v19) src0_sel:BYTE_0 src1_sel:BYTE_1
	v_cmp_gt_i16_sdwa s[4:5], sext(v19), sext(v19) src0_sel:BYTE_0 src1_sel:BYTE_1
	s_and_saveexec_b64 s[12:13], s[4:5]
	s_cbranch_execnz .LBB13_90
; %bb.24:
	s_or_b64 exec, exec, s[12:13]
	v_mov_b32_e32 v20, s16
	s_and_saveexec_b64 s[4:5], s[10:11]
	s_cbranch_execnz .LBB13_91
.LBB13_25:
	s_or_b64 exec, exec, s[4:5]
	v_cmp_eq_u32_e64 s[4:5], v20, v18
	s_and_saveexec_b64 s[10:11], s[4:5]
	s_cbranch_execz .LBB13_27
.LBB13_26:
	v_add_u32_e32 v24, v8, v10
	ds_read_b128 v[20:23], v24
	ds_read_u16 v25, v0
	v_mov_b32_e32 v18, 8
	s_movk_i32 s4, 0xff
	v_lshlrev_b16_sdwa v18, v18, sext(v19) dst_sel:DWORD dst_unused:UNUSED_PAD src0_sel:DWORD src1_sel:BYTE_0
	v_and_b32_sdwa v19, sext(v19), s4 dst_sel:DWORD dst_unused:UNUSED_PAD src0_sel:BYTE_1 src1_sel:DWORD
	v_or_b32_e32 v18, v19, v18
	ds_write_b16 v1, v18
	s_waitcnt lgkmcnt(2)
	v_mov_b32_e32 v18, v22
	v_mov_b32_e32 v19, v23
	s_mov_b32 s4, 0xc0c0001
	ds_write_b128 v24, v[18:21]
	s_waitcnt lgkmcnt(2)
	v_perm_b32 v18, 0, v25, s4
	ds_write_b16 v0, v18
.LBB13_27:
	s_or_b64 exec, exec, s[10:11]
	v_and_b32_e32 v18, 3, v3
	v_sub_u32_e32 v20, v17, v18
	v_add_u32_e32 v18, v16, v20
	s_waitcnt lgkmcnt(0)
	s_barrier
	ds_read_i8 v22, v18
	ds_read_i8 v23, v18 offset:4
	v_add_u32_e32 v19, v15, v20
                                        ; implicit-def: $sgpr16
	s_waitcnt lgkmcnt(0)
	v_cmp_le_i16_e64 s[10:11], v22, v23
	v_cmp_gt_i16_e64 s[4:5], v22, v23
	s_and_saveexec_b64 s[12:13], s[4:5]
	s_cbranch_execz .LBB13_29
; %bb.28:
	ds_read_u8 v21, v19
	s_andn2_b64 s[10:11], s[10:11], exec
	s_mov_b32 s16, 1
	s_waitcnt lgkmcnt(0)
	v_and_b32_e32 v21, 1, v21
	v_cmp_eq_u32_e64 s[4:5], 1, v21
	s_xor_b64 s[4:5], s[4:5], -1
	s_and_b64 s[4:5], s[4:5], exec
	s_or_b64 s[10:11], s[10:11], s[4:5]
.LBB13_29:
	s_or_b64 exec, exec, s[12:13]
	v_mov_b32_e32 v24, s16
	s_and_saveexec_b64 s[4:5], s[10:11]
	s_cbranch_execz .LBB13_31
; %bb.30:
	ds_read_u8 v21, v19 offset:4
	s_waitcnt lgkmcnt(0)
	v_xor_b32_e32 v24, 1, v21
.LBB13_31:
	s_or_b64 exec, exec, s[4:5]
	v_bfe_u32 v21, v3, 2, 1
	v_lshl_add_u32 v20, v20, 3, v13
	v_cmp_eq_u32_e64 s[4:5], v24, v21
	s_and_saveexec_b64 s[10:11], s[4:5]
	s_cbranch_execz .LBB13_33
; %bb.32:
	ds_read2_b64 v[24:27], v20 offset1:4
	ds_read_u8 v28, v19 offset:4
	ds_read_u8 v29, v19
	ds_write_b8 v18, v23
	ds_write_b8 v18, v22 offset:4
	s_waitcnt lgkmcnt(4)
	ds_write2_b64 v20, v[26:27], v[24:25] offset1:4
	s_waitcnt lgkmcnt(4)
	ds_write_b8 v19, v28
	s_waitcnt lgkmcnt(4)
	ds_write_b8 v19, v29 offset:4
.LBB13_33:
	s_or_b64 exec, exec, s[10:11]
	s_waitcnt lgkmcnt(0)
	s_barrier
	ds_read_i8 v22, v11
	ds_read_i8 v23, v11 offset:2
                                        ; implicit-def: $sgpr16
	s_waitcnt lgkmcnt(0)
	v_cmp_le_i16_e64 s[10:11], v22, v23
	v_cmp_gt_i16_e64 s[4:5], v22, v23
	s_and_saveexec_b64 s[12:13], s[4:5]
	s_cbranch_execnz .LBB13_92
; %bb.34:
	s_or_b64 exec, exec, s[12:13]
	v_mov_b32_e32 v24, s16
	s_and_saveexec_b64 s[4:5], s[10:11]
	s_cbranch_execnz .LBB13_93
.LBB13_35:
	s_or_b64 exec, exec, s[4:5]
	v_cmp_eq_u32_e64 s[4:5], v24, v21
	s_and_saveexec_b64 s[10:11], s[4:5]
	s_cbranch_execz .LBB13_37
.LBB13_36:
	ds_read2_b64 v[24:27], v14 offset1:2
	ds_read_u8 v28, v12 offset:2
	ds_read_u8 v29, v12
	ds_write_b8 v11, v23
	ds_write_b8 v11, v22 offset:2
	s_waitcnt lgkmcnt(4)
	ds_write2_b64 v14, v[26:27], v[24:25] offset1:2
	s_waitcnt lgkmcnt(4)
	ds_write_b8 v12, v28
	s_waitcnt lgkmcnt(4)
	ds_write_b8 v12, v29 offset:2
.LBB13_37:
	s_or_b64 exec, exec, s[10:11]
	s_waitcnt lgkmcnt(0)
	s_barrier
	ds_read_u16 v22, v1
                                        ; implicit-def: $sgpr16
	s_waitcnt lgkmcnt(0)
	v_cmp_le_i16_sdwa s[10:11], sext(v22), sext(v22) src0_sel:BYTE_0 src1_sel:BYTE_1
	v_cmp_gt_i16_sdwa s[4:5], sext(v22), sext(v22) src0_sel:BYTE_0 src1_sel:BYTE_1
	s_and_saveexec_b64 s[12:13], s[4:5]
	s_cbranch_execnz .LBB13_94
; %bb.38:
	s_or_b64 exec, exec, s[12:13]
	v_mov_b32_e32 v23, s16
	s_and_saveexec_b64 s[4:5], s[10:11]
	s_cbranch_execnz .LBB13_95
.LBB13_39:
	s_or_b64 exec, exec, s[4:5]
	v_cmp_eq_u32_e64 s[4:5], v23, v21
	s_and_saveexec_b64 s[10:11], s[4:5]
	s_cbranch_execz .LBB13_41
.LBB13_40:
	v_mov_b32_e32 v21, 8
	s_movk_i32 s4, 0xff
	v_lshlrev_b16_sdwa v21, v21, sext(v22) dst_sel:DWORD dst_unused:UNUSED_PAD src0_sel:DWORD src1_sel:BYTE_0
	v_and_b32_sdwa v22, sext(v22), s4 dst_sel:DWORD dst_unused:UNUSED_PAD src0_sel:BYTE_1 src1_sel:DWORD
	v_add_u32_e32 v28, v8, v10
	v_or_b32_e32 v21, v22, v21
	ds_read_b128 v[24:27], v28
	ds_write_b16 v1, v21
	ds_read_u16 v21, v0
	s_mov_b32 s4, 0xc0c0001
	s_waitcnt lgkmcnt(2)
	v_mov_b32_e32 v22, v26
	v_mov_b32_e32 v23, v27
	s_waitcnt lgkmcnt(0)
	v_perm_b32 v21, 0, v21, s4
	ds_write_b128 v28, v[22:25]
	ds_write_b16 v0, v21
.LBB13_41:
	s_or_b64 exec, exec, s[10:11]
	v_and_b32_e32 v21, 7, v3
	v_sub_u32_e32 v23, v17, v21
	v_add_u32_e32 v21, v16, v23
	s_waitcnt lgkmcnt(0)
	s_barrier
	ds_read_i8 v25, v21
	ds_read_i8 v26, v21 offset:8
	v_add_u32_e32 v22, v15, v23
                                        ; implicit-def: $sgpr16
	s_waitcnt lgkmcnt(0)
	v_cmp_le_i16_e64 s[10:11], v25, v26
	v_cmp_gt_i16_e64 s[4:5], v25, v26
	s_and_saveexec_b64 s[12:13], s[4:5]
	s_cbranch_execz .LBB13_43
; %bb.42:
	ds_read_u8 v24, v22
	s_andn2_b64 s[10:11], s[10:11], exec
	s_mov_b32 s16, 1
	s_waitcnt lgkmcnt(0)
	v_and_b32_e32 v24, 1, v24
	v_cmp_eq_u32_e64 s[4:5], 1, v24
	s_xor_b64 s[4:5], s[4:5], -1
	s_and_b64 s[4:5], s[4:5], exec
	s_or_b64 s[10:11], s[10:11], s[4:5]
.LBB13_43:
	s_or_b64 exec, exec, s[12:13]
	v_mov_b32_e32 v27, s16
	s_and_saveexec_b64 s[4:5], s[10:11]
	s_cbranch_execz .LBB13_45
; %bb.44:
	ds_read_u8 v24, v22 offset:8
	s_waitcnt lgkmcnt(0)
	v_xor_b32_e32 v27, 1, v24
.LBB13_45:
	s_or_b64 exec, exec, s[4:5]
	v_bfe_u32 v24, v3, 3, 1
	v_lshl_add_u32 v23, v23, 3, v13
	v_cmp_eq_u32_e64 s[4:5], v27, v24
	s_and_saveexec_b64 s[10:11], s[4:5]
	s_cbranch_execz .LBB13_47
; %bb.46:
	ds_read2_b64 v[28:31], v23 offset1:8
	ds_read_u8 v27, v22 offset:8
	ds_read_u8 v32, v22
	ds_write_b8 v21, v26
	ds_write_b8 v21, v25 offset:8
	s_waitcnt lgkmcnt(4)
	ds_write2_b64 v23, v[30:31], v[28:29] offset1:8
	s_waitcnt lgkmcnt(4)
	ds_write_b8 v22, v27
	s_waitcnt lgkmcnt(4)
	ds_write_b8 v22, v32 offset:8
.LBB13_47:
	s_or_b64 exec, exec, s[10:11]
	s_waitcnt lgkmcnt(0)
	s_barrier
	ds_read_i8 v25, v18
	ds_read_i8 v26, v18 offset:4
                                        ; implicit-def: $sgpr16
	s_waitcnt lgkmcnt(0)
	v_cmp_le_i16_e64 s[10:11], v25, v26
	v_cmp_gt_i16_e64 s[4:5], v25, v26
	s_and_saveexec_b64 s[12:13], s[4:5]
	s_cbranch_execnz .LBB13_96
; %bb.48:
	s_or_b64 exec, exec, s[12:13]
	v_mov_b32_e32 v27, s16
	s_and_saveexec_b64 s[4:5], s[10:11]
	s_cbranch_execnz .LBB13_97
.LBB13_49:
	s_or_b64 exec, exec, s[4:5]
	v_cmp_eq_u32_e64 s[4:5], v27, v24
	s_and_saveexec_b64 s[10:11], s[4:5]
	s_cbranch_execz .LBB13_51
.LBB13_50:
	ds_read2_b64 v[28:31], v20 offset1:4
	ds_read_u8 v27, v19 offset:4
	ds_read_u8 v32, v19
	ds_write_b8 v18, v26
	ds_write_b8 v18, v25 offset:4
	s_waitcnt lgkmcnt(4)
	ds_write2_b64 v20, v[30:31], v[28:29] offset1:4
	s_waitcnt lgkmcnt(4)
	ds_write_b8 v19, v27
	s_waitcnt lgkmcnt(4)
	ds_write_b8 v19, v32 offset:4
.LBB13_51:
	s_or_b64 exec, exec, s[10:11]
	s_waitcnt lgkmcnt(0)
	s_barrier
	ds_read_i8 v25, v11
	ds_read_i8 v26, v11 offset:2
                                        ; implicit-def: $sgpr16
	s_waitcnt lgkmcnt(0)
	v_cmp_le_i16_e64 s[10:11], v25, v26
	v_cmp_gt_i16_e64 s[4:5], v25, v26
	s_and_saveexec_b64 s[12:13], s[4:5]
	s_cbranch_execnz .LBB13_98
; %bb.52:
	s_or_b64 exec, exec, s[12:13]
	v_mov_b32_e32 v27, s16
	s_and_saveexec_b64 s[4:5], s[10:11]
	s_cbranch_execnz .LBB13_99
.LBB13_53:
	s_or_b64 exec, exec, s[4:5]
	v_cmp_eq_u32_e64 s[4:5], v27, v24
	s_and_saveexec_b64 s[10:11], s[4:5]
	s_cbranch_execz .LBB13_55
.LBB13_54:
	ds_read2_b64 v[28:31], v14 offset1:2
	ds_read_u8 v27, v12 offset:2
	ds_read_u8 v32, v12
	ds_write_b8 v11, v26
	ds_write_b8 v11, v25 offset:2
	s_waitcnt lgkmcnt(4)
	ds_write2_b64 v14, v[30:31], v[28:29] offset1:2
	s_waitcnt lgkmcnt(4)
	ds_write_b8 v12, v27
	s_waitcnt lgkmcnt(4)
	ds_write_b8 v12, v32 offset:2
.LBB13_55:
	s_or_b64 exec, exec, s[10:11]
	s_waitcnt lgkmcnt(0)
	s_barrier
	ds_read_u16 v25, v1
                                        ; implicit-def: $sgpr16
	s_waitcnt lgkmcnt(0)
	v_cmp_le_i16_sdwa s[10:11], sext(v25), sext(v25) src0_sel:BYTE_0 src1_sel:BYTE_1
	v_cmp_gt_i16_sdwa s[4:5], sext(v25), sext(v25) src0_sel:BYTE_0 src1_sel:BYTE_1
	s_and_saveexec_b64 s[12:13], s[4:5]
	s_cbranch_execnz .LBB13_100
; %bb.56:
	s_or_b64 exec, exec, s[12:13]
	v_mov_b32_e32 v26, s16
	s_and_saveexec_b64 s[4:5], s[10:11]
	s_cbranch_execnz .LBB13_101
.LBB13_57:
	s_or_b64 exec, exec, s[4:5]
	v_cmp_eq_u32_e64 s[4:5], v26, v24
	s_and_saveexec_b64 s[10:11], s[4:5]
	s_cbranch_execz .LBB13_59
.LBB13_58:
	v_add_u32_e32 v30, v8, v10
	ds_read_b128 v[26:29], v30
	ds_read_u16 v31, v0
	v_mov_b32_e32 v24, 8
	s_movk_i32 s4, 0xff
	v_lshlrev_b16_sdwa v24, v24, sext(v25) dst_sel:DWORD dst_unused:UNUSED_PAD src0_sel:DWORD src1_sel:BYTE_0
	v_and_b32_sdwa v25, sext(v25), s4 dst_sel:DWORD dst_unused:UNUSED_PAD src0_sel:BYTE_1 src1_sel:DWORD
	v_or_b32_e32 v24, v25, v24
	ds_write_b16 v1, v24
	s_waitcnt lgkmcnt(2)
	v_mov_b32_e32 v24, v28
	v_mov_b32_e32 v25, v29
	s_mov_b32 s4, 0xc0c0001
	ds_write_b128 v30, v[24:27]
	s_waitcnt lgkmcnt(2)
	v_perm_b32 v24, 0, v31, s4
	ds_write_b16 v0, v24
.LBB13_59:
	s_or_b64 exec, exec, s[10:11]
	v_and_b32_e32 v24, 15, v3
	v_sub_u32_e32 v25, v17, v24
	v_add_u32_e32 v16, v16, v25
	s_waitcnt lgkmcnt(0)
	s_barrier
	ds_read_i8 v17, v16
	ds_read_i8 v24, v16 offset:16
	v_add_u32_e32 v15, v15, v25
	s_waitcnt lgkmcnt(0)
	v_cmp_le_i16_e64 s[12:13], v17, v24
	v_cmp_gt_i16_e64 s[4:5], v17, v24
	s_and_saveexec_b64 s[10:11], s[4:5]
	s_cbranch_execz .LBB13_61
; %bb.60:
	ds_read_u8 v26, v15
	s_andn2_b64 s[12:13], s[12:13], exec
	s_waitcnt lgkmcnt(0)
	v_and_b32_e32 v26, 1, v26
	v_cmp_eq_u32_e64 s[4:5], 1, v26
	s_xor_b64 s[4:5], s[4:5], -1
	s_and_b64 s[4:5], s[4:5], exec
	s_or_b64 s[12:13], s[12:13], s[4:5]
.LBB13_61:
	s_or_b64 exec, exec, s[10:11]
	s_and_saveexec_b64 s[10:11], s[12:13]
	s_cbranch_execz .LBB13_64
; %bb.62:
	ds_read_u8 v26, v15 offset:16
	s_waitcnt lgkmcnt(0)
	v_cmp_ne_u16_e64 s[4:5], 0, v26
	s_and_b64 exec, exec, s[4:5]
	s_cbranch_execz .LBB13_64
; %bb.63:
	v_lshl_add_u32 v13, v25, 3, v13
	ds_read2_b64 v[28:31], v13 offset1:16
	ds_read_u8 v25, v15
	ds_write_b8 v16, v24
	ds_write_b8 v16, v17 offset:16
	ds_write_b8 v15, v26
	s_waitcnt lgkmcnt(4)
	ds_write2_b64 v13, v[30:31], v[28:29] offset1:16
	s_waitcnt lgkmcnt(4)
	ds_write_b8 v15, v25 offset:16
.LBB13_64:
	s_or_b64 exec, exec, s[10:11]
	s_waitcnt lgkmcnt(0)
	s_barrier
	ds_read_i8 v13, v21
	ds_read_i8 v15, v21 offset:8
	s_waitcnt lgkmcnt(0)
	v_cmp_le_i16_e64 s[12:13], v13, v15
	v_cmp_gt_i16_e64 s[4:5], v13, v15
	s_and_saveexec_b64 s[10:11], s[4:5]
	s_cbranch_execz .LBB13_66
; %bb.65:
	ds_read_u8 v16, v22
	s_andn2_b64 s[12:13], s[12:13], exec
	s_waitcnt lgkmcnt(0)
	v_and_b32_e32 v16, 1, v16
	v_cmp_eq_u32_e64 s[4:5], 1, v16
	s_xor_b64 s[4:5], s[4:5], -1
	s_and_b64 s[4:5], s[4:5], exec
	s_or_b64 s[12:13], s[12:13], s[4:5]
.LBB13_66:
	s_or_b64 exec, exec, s[10:11]
	s_and_saveexec_b64 s[10:11], s[12:13]
	s_cbranch_execz .LBB13_69
; %bb.67:
	ds_read_u8 v16, v22 offset:8
	s_waitcnt lgkmcnt(0)
	v_cmp_ne_u16_e64 s[4:5], 0, v16
	s_and_b64 exec, exec, s[4:5]
	s_cbranch_execz .LBB13_69
; %bb.68:
	ds_read2_b64 v[24:27], v23 offset1:8
	ds_read_u8 v17, v22
	ds_write_b8 v21, v15
	ds_write_b8 v21, v13 offset:8
	ds_write_b8 v22, v16
	s_waitcnt lgkmcnt(4)
	ds_write2_b64 v23, v[26:27], v[24:25] offset1:8
	s_waitcnt lgkmcnt(4)
	ds_write_b8 v22, v17 offset:8
.LBB13_69:
	s_or_b64 exec, exec, s[10:11]
	s_waitcnt lgkmcnt(0)
	s_barrier
	ds_read_i8 v13, v18
	ds_read_i8 v15, v18 offset:4
	s_waitcnt lgkmcnt(0)
	v_cmp_le_i16_e64 s[12:13], v13, v15
	v_cmp_gt_i16_e64 s[4:5], v13, v15
	s_and_saveexec_b64 s[10:11], s[4:5]
	s_cbranch_execz .LBB13_71
; %bb.70:
	ds_read_u8 v16, v19
	s_andn2_b64 s[12:13], s[12:13], exec
	s_waitcnt lgkmcnt(0)
	v_and_b32_e32 v16, 1, v16
	v_cmp_eq_u32_e64 s[4:5], 1, v16
	s_xor_b64 s[4:5], s[4:5], -1
	s_and_b64 s[4:5], s[4:5], exec
	s_or_b64 s[12:13], s[12:13], s[4:5]
.LBB13_71:
	s_or_b64 exec, exec, s[10:11]
	s_and_saveexec_b64 s[10:11], s[12:13]
	s_cbranch_execz .LBB13_74
; %bb.72:
	ds_read_u8 v16, v19 offset:4
	s_waitcnt lgkmcnt(0)
	v_cmp_ne_u16_e64 s[4:5], 0, v16
	s_and_b64 exec, exec, s[4:5]
	s_cbranch_execz .LBB13_74
; %bb.73:
	ds_read2_b64 v[22:25], v20 offset1:4
	ds_read_u8 v17, v19
	ds_write_b8 v18, v15
	ds_write_b8 v18, v13 offset:4
	ds_write_b8 v19, v16
	s_waitcnt lgkmcnt(4)
	ds_write2_b64 v20, v[24:25], v[22:23] offset1:4
	s_waitcnt lgkmcnt(4)
	ds_write_b8 v19, v17 offset:4
.LBB13_74:
	;; [unrolled: 40-line block ×3, first 2 shown]
	s_or_b64 exec, exec, s[10:11]
	s_waitcnt lgkmcnt(0)
	s_barrier
	ds_read_u16 v11, v1
	s_waitcnt lgkmcnt(0)
	v_cmp_le_i16_sdwa s[12:13], sext(v11), sext(v11) src0_sel:BYTE_0 src1_sel:BYTE_1
	v_cmp_gt_i16_sdwa s[4:5], sext(v11), sext(v11) src0_sel:BYTE_0 src1_sel:BYTE_1
	s_and_saveexec_b64 s[10:11], s[4:5]
	s_cbranch_execz .LBB13_81
; %bb.80:
	ds_read_u8 v12, v0
	s_andn2_b64 s[12:13], s[12:13], exec
	s_waitcnt lgkmcnt(0)
	v_and_b32_e32 v12, 1, v12
	v_cmp_eq_u32_e64 s[4:5], 1, v12
	s_xor_b64 s[4:5], s[4:5], -1
	s_and_b64 s[4:5], s[4:5], exec
	s_or_b64 s[12:13], s[12:13], s[4:5]
.LBB13_81:
	s_or_b64 exec, exec, s[10:11]
	s_and_saveexec_b64 s[10:11], s[12:13]
	s_cbranch_execz .LBB13_84
; %bb.82:
	ds_read_u8 v12, v0 offset:1
	s_waitcnt lgkmcnt(0)
	v_cmp_ne_u16_e64 s[4:5], 0, v12
	s_and_b64 exec, exec, s[4:5]
	s_cbranch_execz .LBB13_84
; %bb.83:
	v_mov_b32_e32 v13, 8
	s_movk_i32 s4, 0xff
	v_lshlrev_b16_sdwa v13, v13, sext(v11) dst_sel:DWORD dst_unused:UNUSED_PAD src0_sel:DWORD src1_sel:BYTE_0
	v_and_b32_sdwa v11, sext(v11), s4 dst_sel:DWORD dst_unused:UNUSED_PAD src0_sel:BYTE_1 src1_sel:DWORD
	v_add_u32_e32 v10, v8, v10
	v_or_b32_e32 v11, v11, v13
	ds_read_b128 v[14:17], v10
	ds_write_b16 v1, v11
	ds_read_u8 v1, v0
	s_waitcnt lgkmcnt(2)
	v_mov_b32_e32 v18, v14
	v_mov_b32_e32 v19, v15
	s_waitcnt lgkmcnt(0)
	v_lshlrev_b16_e32 v1, 8, v1
	v_or_b32_e32 v1, v12, v1
	ds_write_b128 v10, v[16:19]
	ds_write_b16 v0, v1
.LBB13_84:
	s_or_b64 exec, exec, s[10:11]
	s_waitcnt lgkmcnt(0)
	s_barrier
	s_and_saveexec_b64 s[4:5], vcc
	s_cbranch_execz .LBB13_89
; %bb.85:
	s_and_saveexec_b64 s[4:5], s[0:1]
	s_cbranch_execz .LBB13_87
; %bb.86:
	ds_read_u8 v10, v9
	v_mad_u64_u32 v[0:1], s[0:1], v3, s14, v[2:3]
	ds_read_b64 v[8:9], v8
	s_waitcnt lgkmcnt(1)
	global_store_byte v0, v10, s[8:9]
	v_mad_u64_u32 v[0:1], s[0:1], v3, s15, v[4:5]
	v_mov_b32_e32 v1, 0
	v_lshlrev_b64 v[0:1], 3, v[0:1]
	v_mov_b32_e32 v3, s7
	v_add_co_u32_e32 v0, vcc, s6, v0
	v_addc_co_u32_e32 v1, vcc, v3, v1, vcc
	s_waitcnt lgkmcnt(0)
	global_store_dwordx2 v[0:1], v[8:9], off
.LBB13_87:
	s_or_b64 exec, exec, s[4:5]
	s_and_b64 exec, exec, s[2:3]
	s_cbranch_execz .LBB13_89
; %bb.88:
	ds_read_u8 v7, v7
	v_mad_u64_u32 v[0:1], s[0:1], v5, s14, v[2:3]
	ds_read_b64 v[2:3], v6
	s_waitcnt lgkmcnt(1)
	global_store_byte v0, v7, s[8:9]
	v_mad_u64_u32 v[0:1], s[0:1], v5, s15, v[4:5]
	v_mov_b32_e32 v1, 0
	v_lshlrev_b64 v[0:1], 3, v[0:1]
	v_mov_b32_e32 v4, s7
	v_add_co_u32_e32 v0, vcc, s6, v0
	v_addc_co_u32_e32 v1, vcc, v4, v1, vcc
	s_waitcnt lgkmcnt(0)
	global_store_dwordx2 v[0:1], v[2:3], off
.LBB13_89:
	s_endpgm
.LBB13_90:
	ds_read_u8 v20, v0
	s_andn2_b64 s[10:11], s[10:11], exec
	s_mov_b32 s16, 1
	s_waitcnt lgkmcnt(0)
	v_and_b32_e32 v20, 1, v20
	v_cmp_eq_u32_e64 s[4:5], 1, v20
	s_xor_b64 s[4:5], s[4:5], -1
	s_and_b64 s[4:5], s[4:5], exec
	s_or_b64 s[10:11], s[10:11], s[4:5]
	s_or_b64 exec, exec, s[12:13]
	v_mov_b32_e32 v20, s16
	s_and_saveexec_b64 s[4:5], s[10:11]
	s_cbranch_execz .LBB13_25
.LBB13_91:
	ds_read_u8 v20, v0 offset:1
	s_waitcnt lgkmcnt(0)
	v_xor_b32_e32 v20, 1, v20
	s_or_b64 exec, exec, s[4:5]
	v_cmp_eq_u32_e64 s[4:5], v20, v18
	s_and_saveexec_b64 s[10:11], s[4:5]
	s_cbranch_execnz .LBB13_26
	s_branch .LBB13_27
.LBB13_92:
	ds_read_u8 v24, v12
	s_andn2_b64 s[10:11], s[10:11], exec
	s_mov_b32 s16, 1
	s_waitcnt lgkmcnt(0)
	v_and_b32_e32 v24, 1, v24
	v_cmp_eq_u32_e64 s[4:5], 1, v24
	s_xor_b64 s[4:5], s[4:5], -1
	s_and_b64 s[4:5], s[4:5], exec
	s_or_b64 s[10:11], s[10:11], s[4:5]
	s_or_b64 exec, exec, s[12:13]
	v_mov_b32_e32 v24, s16
	s_and_saveexec_b64 s[4:5], s[10:11]
	s_cbranch_execz .LBB13_35
.LBB13_93:
	ds_read_u8 v24, v12 offset:2
	s_waitcnt lgkmcnt(0)
	v_xor_b32_e32 v24, 1, v24
	s_or_b64 exec, exec, s[4:5]
	v_cmp_eq_u32_e64 s[4:5], v24, v21
	s_and_saveexec_b64 s[10:11], s[4:5]
	s_cbranch_execnz .LBB13_36
	s_branch .LBB13_37
.LBB13_94:
	ds_read_u8 v23, v0
	s_andn2_b64 s[10:11], s[10:11], exec
	s_mov_b32 s16, 1
	s_waitcnt lgkmcnt(0)
	v_and_b32_e32 v23, 1, v23
	v_cmp_eq_u32_e64 s[4:5], 1, v23
	s_xor_b64 s[4:5], s[4:5], -1
	s_and_b64 s[4:5], s[4:5], exec
	s_or_b64 s[10:11], s[10:11], s[4:5]
	s_or_b64 exec, exec, s[12:13]
	v_mov_b32_e32 v23, s16
	s_and_saveexec_b64 s[4:5], s[10:11]
	s_cbranch_execz .LBB13_39
.LBB13_95:
	ds_read_u8 v23, v0 offset:1
	s_waitcnt lgkmcnt(0)
	v_xor_b32_e32 v23, 1, v23
	s_or_b64 exec, exec, s[4:5]
	v_cmp_eq_u32_e64 s[4:5], v23, v21
	s_and_saveexec_b64 s[10:11], s[4:5]
	s_cbranch_execnz .LBB13_40
	s_branch .LBB13_41
.LBB13_96:
	ds_read_u8 v27, v19
	s_andn2_b64 s[10:11], s[10:11], exec
	s_mov_b32 s16, 1
	s_waitcnt lgkmcnt(0)
	v_and_b32_e32 v27, 1, v27
	v_cmp_eq_u32_e64 s[4:5], 1, v27
	s_xor_b64 s[4:5], s[4:5], -1
	s_and_b64 s[4:5], s[4:5], exec
	s_or_b64 s[10:11], s[10:11], s[4:5]
	s_or_b64 exec, exec, s[12:13]
	v_mov_b32_e32 v27, s16
	s_and_saveexec_b64 s[4:5], s[10:11]
	s_cbranch_execz .LBB13_49
.LBB13_97:
	ds_read_u8 v27, v19 offset:4
	s_waitcnt lgkmcnt(0)
	v_xor_b32_e32 v27, 1, v27
	s_or_b64 exec, exec, s[4:5]
	v_cmp_eq_u32_e64 s[4:5], v27, v24
	s_and_saveexec_b64 s[10:11], s[4:5]
	s_cbranch_execnz .LBB13_50
	s_branch .LBB13_51
.LBB13_98:
	ds_read_u8 v27, v12
	s_andn2_b64 s[10:11], s[10:11], exec
	s_mov_b32 s16, 1
	s_waitcnt lgkmcnt(0)
	v_and_b32_e32 v27, 1, v27
	v_cmp_eq_u32_e64 s[4:5], 1, v27
	s_xor_b64 s[4:5], s[4:5], -1
	s_and_b64 s[4:5], s[4:5], exec
	s_or_b64 s[10:11], s[10:11], s[4:5]
	s_or_b64 exec, exec, s[12:13]
	v_mov_b32_e32 v27, s16
	s_and_saveexec_b64 s[4:5], s[10:11]
	s_cbranch_execz .LBB13_53
.LBB13_99:
	ds_read_u8 v27, v12 offset:2
	s_waitcnt lgkmcnt(0)
	v_xor_b32_e32 v27, 1, v27
	s_or_b64 exec, exec, s[4:5]
	v_cmp_eq_u32_e64 s[4:5], v27, v24
	s_and_saveexec_b64 s[10:11], s[4:5]
	s_cbranch_execnz .LBB13_54
	s_branch .LBB13_55
.LBB13_100:
	ds_read_u8 v26, v0
	s_andn2_b64 s[10:11], s[10:11], exec
	s_mov_b32 s16, 1
	s_waitcnt lgkmcnt(0)
	v_and_b32_e32 v26, 1, v26
	v_cmp_eq_u32_e64 s[4:5], 1, v26
	s_xor_b64 s[4:5], s[4:5], -1
	s_and_b64 s[4:5], s[4:5], exec
	s_or_b64 s[10:11], s[10:11], s[4:5]
	s_or_b64 exec, exec, s[12:13]
	v_mov_b32_e32 v26, s16
	s_and_saveexec_b64 s[4:5], s[10:11]
	s_cbranch_execz .LBB13_57
.LBB13_101:
	ds_read_u8 v26, v0 offset:1
	s_waitcnt lgkmcnt(0)
	v_xor_b32_e32 v26, 1, v26
	s_or_b64 exec, exec, s[4:5]
	v_cmp_eq_u32_e64 s[4:5], v26, v24
	s_and_saveexec_b64 s[10:11], s[4:5]
	s_cbranch_execnz .LBB13_58
	s_branch .LBB13_59
	.section	.rodata,"a",@progbits
	.p2align	6, 0x0
	.amdhsa_kernel _ZN2at6native20bitonicSortKVInPlaceILin1ELin1ELi16ELi16EalNS0_4GTOpIaLb1EEEjEEvNS_4cuda6detail10TensorInfoIT3_T6_EES8_S8_S8_NS6_IT4_S8_EES8_T5_
		.amdhsa_group_segment_fixed_size 5120
		.amdhsa_private_segment_fixed_size 0
		.amdhsa_kernarg_size 712
		.amdhsa_user_sgpr_count 6
		.amdhsa_user_sgpr_private_segment_buffer 1
		.amdhsa_user_sgpr_dispatch_ptr 0
		.amdhsa_user_sgpr_queue_ptr 0
		.amdhsa_user_sgpr_kernarg_segment_ptr 1
		.amdhsa_user_sgpr_dispatch_id 0
		.amdhsa_user_sgpr_flat_scratch_init 0
		.amdhsa_user_sgpr_kernarg_preload_length 0
		.amdhsa_user_sgpr_kernarg_preload_offset 0
		.amdhsa_user_sgpr_private_segment_size 0
		.amdhsa_uses_dynamic_stack 0
		.amdhsa_system_sgpr_private_segment_wavefront_offset 0
		.amdhsa_system_sgpr_workgroup_id_x 1
		.amdhsa_system_sgpr_workgroup_id_y 1
		.amdhsa_system_sgpr_workgroup_id_z 1
		.amdhsa_system_sgpr_workgroup_info 0
		.amdhsa_system_vgpr_workitem_id 1
		.amdhsa_next_free_vgpr 33
		.amdhsa_next_free_sgpr 17
		.amdhsa_accum_offset 36
		.amdhsa_reserve_vcc 1
		.amdhsa_reserve_flat_scratch 0
		.amdhsa_float_round_mode_32 0
		.amdhsa_float_round_mode_16_64 0
		.amdhsa_float_denorm_mode_32 3
		.amdhsa_float_denorm_mode_16_64 3
		.amdhsa_dx10_clamp 1
		.amdhsa_ieee_mode 1
		.amdhsa_fp16_overflow 0
		.amdhsa_tg_split 0
		.amdhsa_exception_fp_ieee_invalid_op 0
		.amdhsa_exception_fp_denorm_src 0
		.amdhsa_exception_fp_ieee_div_zero 0
		.amdhsa_exception_fp_ieee_overflow 0
		.amdhsa_exception_fp_ieee_underflow 0
		.amdhsa_exception_fp_ieee_inexact 0
		.amdhsa_exception_int_div_zero 0
	.end_amdhsa_kernel
	.section	.text._ZN2at6native20bitonicSortKVInPlaceILin1ELin1ELi16ELi16EalNS0_4GTOpIaLb1EEEjEEvNS_4cuda6detail10TensorInfoIT3_T6_EES8_S8_S8_NS6_IT4_S8_EES8_T5_,"axG",@progbits,_ZN2at6native20bitonicSortKVInPlaceILin1ELin1ELi16ELi16EalNS0_4GTOpIaLb1EEEjEEvNS_4cuda6detail10TensorInfoIT3_T6_EES8_S8_S8_NS6_IT4_S8_EES8_T5_,comdat
.Lfunc_end13:
	.size	_ZN2at6native20bitonicSortKVInPlaceILin1ELin1ELi16ELi16EalNS0_4GTOpIaLb1EEEjEEvNS_4cuda6detail10TensorInfoIT3_T6_EES8_S8_S8_NS6_IT4_S8_EES8_T5_, .Lfunc_end13-_ZN2at6native20bitonicSortKVInPlaceILin1ELin1ELi16ELi16EalNS0_4GTOpIaLb1EEEjEEvNS_4cuda6detail10TensorInfoIT3_T6_EES8_S8_S8_NS6_IT4_S8_EES8_T5_
                                        ; -- End function
	.section	.AMDGPU.csdata,"",@progbits
; Kernel info:
; codeLenInByte = 4924
; NumSgprs: 21
; NumVgprs: 33
; NumAgprs: 0
; TotalNumVgprs: 33
; ScratchSize: 0
; MemoryBound: 0
; FloatMode: 240
; IeeeMode: 1
; LDSByteSize: 5120 bytes/workgroup (compile time only)
; SGPRBlocks: 2
; VGPRBlocks: 4
; NumSGPRsForWavesPerEU: 21
; NumVGPRsForWavesPerEU: 33
; AccumOffset: 36
; Occupancy: 8
; WaveLimiterHint : 1
; COMPUTE_PGM_RSRC2:SCRATCH_EN: 0
; COMPUTE_PGM_RSRC2:USER_SGPR: 6
; COMPUTE_PGM_RSRC2:TRAP_HANDLER: 0
; COMPUTE_PGM_RSRC2:TGID_X_EN: 1
; COMPUTE_PGM_RSRC2:TGID_Y_EN: 1
; COMPUTE_PGM_RSRC2:TGID_Z_EN: 1
; COMPUTE_PGM_RSRC2:TIDIG_COMP_CNT: 1
; COMPUTE_PGM_RSRC3_GFX90A:ACCUM_OFFSET: 8
; COMPUTE_PGM_RSRC3_GFX90A:TG_SPLIT: 0
	.section	.text._ZN2at6native20bitonicSortKVInPlaceILin1ELin1ELi16ELi16EalNS0_4LTOpIaLb1EEEmEEvNS_4cuda6detail10TensorInfoIT3_T6_EES8_S8_S8_NS6_IT4_S8_EES8_T5_,"axG",@progbits,_ZN2at6native20bitonicSortKVInPlaceILin1ELin1ELi16ELi16EalNS0_4LTOpIaLb1EEEmEEvNS_4cuda6detail10TensorInfoIT3_T6_EES8_S8_S8_NS6_IT4_S8_EES8_T5_,comdat
	.protected	_ZN2at6native20bitonicSortKVInPlaceILin1ELin1ELi16ELi16EalNS0_4LTOpIaLb1EEEmEEvNS_4cuda6detail10TensorInfoIT3_T6_EES8_S8_S8_NS6_IT4_S8_EES8_T5_ ; -- Begin function _ZN2at6native20bitonicSortKVInPlaceILin1ELin1ELi16ELi16EalNS0_4LTOpIaLb1EEEmEEvNS_4cuda6detail10TensorInfoIT3_T6_EES8_S8_S8_NS6_IT4_S8_EES8_T5_
	.globl	_ZN2at6native20bitonicSortKVInPlaceILin1ELin1ELi16ELi16EalNS0_4LTOpIaLb1EEEmEEvNS_4cuda6detail10TensorInfoIT3_T6_EES8_S8_S8_NS6_IT4_S8_EES8_T5_
	.p2align	8
	.type	_ZN2at6native20bitonicSortKVInPlaceILin1ELin1ELi16ELi16EalNS0_4LTOpIaLb1EEEmEEvNS_4cuda6detail10TensorInfoIT3_T6_EES8_S8_S8_NS6_IT4_S8_EES8_T5_,@function
_ZN2at6native20bitonicSortKVInPlaceILin1ELin1ELi16ELi16EalNS0_4LTOpIaLb1EEEmEEvNS_4cuda6detail10TensorInfoIT3_T6_EES8_S8_S8_NS6_IT4_S8_EES8_T5_: ; @_ZN2at6native20bitonicSortKVInPlaceILin1ELin1ELi16ELi16EalNS0_4LTOpIaLb1EEEmEEvNS_4cuda6detail10TensorInfoIT3_T6_EES8_S8_S8_NS6_IT4_S8_EES8_T5_
; %bb.0:
	s_load_dwordx2 s[0:1], s[4:5], 0x368
	s_load_dwordx4 s[12:15], s[4:5], 0x1a0
	s_load_dword s9, s[4:5], 0x374
	s_add_u32 s2, s4, 0x368
	s_addc_u32 s3, s5, 0
	s_waitcnt lgkmcnt(0)
	s_mul_i32 s1, s1, s8
	s_add_i32 s1, s1, s7
	s_mul_i32 s0, s1, s0
	s_add_i32 s0, s0, s6
	s_lshr_b32 s6, s9, 16
	s_mul_hi_u32 s1, s0, s6
	s_mul_i32 s0, s0, s6
	v_pk_mov_b32 v[2:3], s[12:13], s[12:13] op_sel:[0,1]
	v_cmp_ge_u64_e32 vcc, s[0:1], v[2:3]
	s_cbranch_vccnz .LBB14_99
; %bb.1:
	v_mov_b32_e32 v1, s1
	s_load_dwordx2 s[6:7], s[4:5], 0x1b0
	s_load_dword s1, s[4:5], 0x198
	v_bfe_u32 v16, v0, 10, 10
	v_add_co_u32_e32 v4, vcc, s0, v16
	v_addc_co_u32_e32 v5, vcc, 0, v1, vcc
	v_mov_b32_e32 v8, 0
	s_waitcnt lgkmcnt(0)
	s_cmp_lt_i32 s1, 2
	v_pk_mov_b32 v[2:3], 0, 0
	v_pk_mov_b32 v[6:7], v[4:5], v[4:5] op_sel:[0,1]
	s_cbranch_scc1 .LBB14_9
; %bb.2:
	s_add_i32 s18, s1, 1
	s_add_i32 s0, s1, -1
	s_mov_b32 s1, 0
	s_lshl_b64 s[0:1], s[0:1], 3
	s_add_u32 s0, s0, s4
	s_addc_u32 s1, s1, s5
	s_add_u32 s8, s0, 8
	s_addc_u32 s9, s1, 0
	v_pk_mov_b32 v[2:3], 0, 0
	v_pk_mov_b32 v[10:11], v[4:5], v[4:5] op_sel:[0,1]
.LBB14_3:                               ; =>This Inner Loop Header: Depth=1
	s_load_dwordx2 s[10:11], s[8:9], 0x0
                                        ; implicit-def: $vgpr6_vgpr7
	s_waitcnt lgkmcnt(0)
	v_or_b32_e32 v9, s11, v11
	v_cmp_ne_u64_e32 vcc, 0, v[8:9]
	s_and_saveexec_b64 s[0:1], vcc
	s_xor_b64 s[16:17], exec, s[0:1]
	s_cbranch_execz .LBB14_5
; %bb.4:                                ;   in Loop: Header=BB14_3 Depth=1
	v_cvt_f32_u32_e32 v1, s10
	v_cvt_f32_u32_e32 v6, s11
	s_sub_u32 s0, 0, s10
	s_subb_u32 s1, 0, s11
	v_mac_f32_e32 v1, 0x4f800000, v6
	v_rcp_f32_e32 v1, v1
	v_mul_f32_e32 v1, 0x5f7ffffc, v1
	v_mul_f32_e32 v6, 0x2f800000, v1
	v_trunc_f32_e32 v6, v6
	v_mac_f32_e32 v1, 0xcf800000, v6
	v_cvt_u32_f32_e32 v6, v6
	v_cvt_u32_f32_e32 v1, v1
	v_mul_lo_u32 v7, s0, v6
	v_mul_hi_u32 v12, s0, v1
	v_mul_lo_u32 v9, s1, v1
	v_add_u32_e32 v7, v12, v7
	v_mul_lo_u32 v13, s0, v1
	v_add_u32_e32 v7, v7, v9
	v_mul_hi_u32 v12, v1, v13
	v_mul_lo_u32 v14, v1, v7
	v_mul_hi_u32 v9, v1, v7
	v_add_co_u32_e32 v12, vcc, v12, v14
	v_addc_co_u32_e32 v9, vcc, 0, v9, vcc
	v_mul_hi_u32 v15, v6, v13
	v_mul_lo_u32 v13, v6, v13
	v_add_co_u32_e32 v12, vcc, v12, v13
	v_mul_hi_u32 v14, v6, v7
	v_addc_co_u32_e32 v9, vcc, v9, v15, vcc
	v_addc_co_u32_e32 v12, vcc, 0, v14, vcc
	v_mul_lo_u32 v7, v6, v7
	v_add_co_u32_e32 v7, vcc, v9, v7
	v_addc_co_u32_e32 v9, vcc, 0, v12, vcc
	v_add_co_u32_e32 v1, vcc, v1, v7
	v_addc_co_u32_e32 v6, vcc, v6, v9, vcc
	v_mul_lo_u32 v7, s0, v6
	v_mul_hi_u32 v9, s0, v1
	v_add_u32_e32 v7, v9, v7
	v_mul_lo_u32 v9, s1, v1
	v_add_u32_e32 v7, v7, v9
	v_mul_lo_u32 v12, s0, v1
	v_mul_hi_u32 v13, v6, v12
	v_mul_lo_u32 v14, v6, v12
	v_mul_lo_u32 v17, v1, v7
	v_mul_hi_u32 v12, v1, v12
	v_mul_hi_u32 v15, v1, v7
	v_add_co_u32_e32 v12, vcc, v12, v17
	v_addc_co_u32_e32 v15, vcc, 0, v15, vcc
	v_add_co_u32_e32 v12, vcc, v12, v14
	v_mul_hi_u32 v9, v6, v7
	v_addc_co_u32_e32 v12, vcc, v15, v13, vcc
	v_addc_co_u32_e32 v9, vcc, 0, v9, vcc
	v_mul_lo_u32 v7, v6, v7
	v_add_co_u32_e32 v7, vcc, v12, v7
	v_addc_co_u32_e32 v9, vcc, 0, v9, vcc
	v_add_co_u32_e32 v1, vcc, v1, v7
	v_addc_co_u32_e32 v9, vcc, v6, v9, vcc
	v_mad_u64_u32 v[6:7], s[0:1], v10, v9, 0
	v_mul_hi_u32 v12, v10, v1
	v_add_co_u32_e32 v14, vcc, v12, v6
	v_addc_co_u32_e32 v15, vcc, 0, v7, vcc
	v_mad_u64_u32 v[12:13], s[0:1], v11, v1, 0
	v_add_co_u32_e32 v1, vcc, v14, v12
	v_mad_u64_u32 v[6:7], s[0:1], v11, v9, 0
	v_addc_co_u32_e32 v1, vcc, v15, v13, vcc
	v_addc_co_u32_e32 v7, vcc, 0, v7, vcc
	v_add_co_u32_e32 v1, vcc, v1, v6
	v_addc_co_u32_e32 v9, vcc, 0, v7, vcc
	v_mul_lo_u32 v12, s11, v1
	v_mul_lo_u32 v13, s10, v9
	v_mad_u64_u32 v[6:7], s[0:1], s10, v1, 0
	v_add3_u32 v7, v7, v13, v12
	v_sub_u32_e32 v12, v11, v7
	v_mov_b32_e32 v13, s11
	v_sub_co_u32_e32 v6, vcc, v10, v6
	v_subb_co_u32_e64 v12, s[0:1], v12, v13, vcc
	v_subrev_co_u32_e64 v13, s[0:1], s10, v6
	v_subbrev_co_u32_e64 v12, s[0:1], 0, v12, s[0:1]
	v_cmp_le_u32_e64 s[0:1], s11, v12
	v_cndmask_b32_e64 v14, 0, -1, s[0:1]
	v_cmp_le_u32_e64 s[0:1], s10, v13
	v_cndmask_b32_e64 v13, 0, -1, s[0:1]
	v_cmp_eq_u32_e64 s[0:1], s11, v12
	v_cndmask_b32_e64 v12, v14, v13, s[0:1]
	v_add_co_u32_e64 v13, s[0:1], 2, v1
	v_addc_co_u32_e64 v14, s[0:1], 0, v9, s[0:1]
	v_add_co_u32_e64 v15, s[0:1], 1, v1
	v_addc_co_u32_e64 v17, s[0:1], 0, v9, s[0:1]
	v_subb_co_u32_e32 v7, vcc, v11, v7, vcc
	v_cmp_ne_u32_e64 s[0:1], 0, v12
	v_cmp_le_u32_e32 vcc, s11, v7
	v_cndmask_b32_e64 v12, v17, v14, s[0:1]
	v_cndmask_b32_e64 v14, 0, -1, vcc
	v_cmp_le_u32_e32 vcc, s10, v6
	v_cndmask_b32_e64 v6, 0, -1, vcc
	v_cmp_eq_u32_e32 vcc, s11, v7
	v_cndmask_b32_e32 v6, v14, v6, vcc
	v_cmp_ne_u32_e32 vcc, 0, v6
	v_cndmask_b32_e64 v6, v15, v13, s[0:1]
	v_cndmask_b32_e32 v7, v9, v12, vcc
	v_cndmask_b32_e32 v6, v1, v6, vcc
.LBB14_5:                               ;   in Loop: Header=BB14_3 Depth=1
	s_andn2_saveexec_b64 s[0:1], s[16:17]
	s_cbranch_execz .LBB14_7
; %bb.6:                                ;   in Loop: Header=BB14_3 Depth=1
	v_cvt_f32_u32_e32 v1, s10
	s_sub_i32 s16, 0, s10
	v_rcp_iflag_f32_e32 v1, v1
	v_mul_f32_e32 v1, 0x4f7ffffe, v1
	v_cvt_u32_f32_e32 v1, v1
	v_mul_lo_u32 v6, s16, v1
	v_mul_hi_u32 v6, v1, v6
	v_add_u32_e32 v1, v1, v6
	v_mul_hi_u32 v1, v10, v1
	v_mul_lo_u32 v6, v1, s10
	v_sub_u32_e32 v6, v10, v6
	v_add_u32_e32 v7, 1, v1
	v_subrev_u32_e32 v9, s10, v6
	v_cmp_le_u32_e32 vcc, s10, v6
	v_cndmask_b32_e32 v6, v6, v9, vcc
	v_cndmask_b32_e32 v1, v1, v7, vcc
	v_add_u32_e32 v7, 1, v1
	v_cmp_le_u32_e32 vcc, s10, v6
	v_cndmask_b32_e32 v6, v1, v7, vcc
	v_mov_b32_e32 v7, v8
.LBB14_7:                               ;   in Loop: Header=BB14_3 Depth=1
	s_or_b64 exec, exec, s[0:1]
	v_mad_u64_u32 v[12:13], s[0:1], v6, s10, 0
	s_load_dwordx2 s[0:1], s[8:9], 0xc8
	v_mul_lo_u32 v1, v7, s10
	v_mul_lo_u32 v9, v6, s11
	v_add3_u32 v1, v13, v9, v1
	v_sub_co_u32_e32 v9, vcc, v10, v12
	s_add_i32 s18, s18, -1
	v_subb_co_u32_e32 v1, vcc, v11, v1, vcc
	s_add_u32 s8, s8, -8
	s_waitcnt lgkmcnt(0)
	v_mul_lo_u32 v1, s0, v1
	v_mul_lo_u32 v10, s1, v9
	v_mad_u64_u32 v[2:3], s[0:1], s0, v9, v[2:3]
	s_addc_u32 s9, s9, -1
	s_cmp_gt_u32 s18, 2
	v_add3_u32 v3, v10, v3, v1
	s_cbranch_scc0 .LBB14_9
; %bb.8:                                ;   in Loop: Header=BB14_3 Depth=1
	v_pk_mov_b32 v[10:11], v[6:7], v[6:7] op_sel:[0,1]
	s_branch .LBB14_3
.LBB14_9:
	s_load_dword s0, s[4:5], 0x350
	s_load_dwordx2 s[10:11], s[4:5], 0xd0
	v_pk_mov_b32 v[8:9], 0, 0
	v_pk_mov_b32 v[14:15], v[4:5], v[4:5] op_sel:[0,1]
	s_waitcnt lgkmcnt(0)
	s_cmp_lt_i32 s0, 2
	s_cbranch_scc1 .LBB14_17
; %bb.10:
	s_add_i32 s20, s0, 1
	s_add_i32 s0, s0, -1
	s_mov_b32 s1, 0
	s_lshl_b64 s[0:1], s[0:1], 3
	s_add_u32 s0, s0, s4
	s_addc_u32 s1, s1, s5
	s_add_u32 s8, s0, 0x1c0
	s_addc_u32 s9, s1, 0
	v_pk_mov_b32 v[8:9], 0, 0
	v_mov_b32_e32 v10, 0
	v_pk_mov_b32 v[12:13], v[4:5], v[4:5] op_sel:[0,1]
.LBB14_11:                              ; =>This Inner Loop Header: Depth=1
	s_load_dwordx2 s[16:17], s[8:9], 0x0
                                        ; implicit-def: $vgpr14_vgpr15
	s_waitcnt lgkmcnt(0)
	v_or_b32_e32 v11, s17, v13
	v_cmp_ne_u64_e32 vcc, 0, v[10:11]
	s_and_saveexec_b64 s[0:1], vcc
	s_xor_b64 s[18:19], exec, s[0:1]
	s_cbranch_execz .LBB14_13
; %bb.12:                               ;   in Loop: Header=BB14_11 Depth=1
	v_cvt_f32_u32_e32 v1, s16
	v_cvt_f32_u32_e32 v11, s17
	s_sub_u32 s0, 0, s16
	s_subb_u32 s1, 0, s17
	v_mac_f32_e32 v1, 0x4f800000, v11
	v_rcp_f32_e32 v1, v1
	v_mul_f32_e32 v1, 0x5f7ffffc, v1
	v_mul_f32_e32 v11, 0x2f800000, v1
	v_trunc_f32_e32 v11, v11
	v_mac_f32_e32 v1, 0xcf800000, v11
	v_cvt_u32_f32_e32 v11, v11
	v_cvt_u32_f32_e32 v1, v1
	v_mul_lo_u32 v14, s0, v11
	v_mul_hi_u32 v17, s0, v1
	v_mul_lo_u32 v15, s1, v1
	v_add_u32_e32 v14, v17, v14
	v_mul_lo_u32 v18, s0, v1
	v_add_u32_e32 v14, v14, v15
	v_mul_hi_u32 v17, v1, v18
	v_mul_lo_u32 v19, v1, v14
	v_mul_hi_u32 v15, v1, v14
	v_add_co_u32_e32 v17, vcc, v17, v19
	v_addc_co_u32_e32 v15, vcc, 0, v15, vcc
	v_mul_hi_u32 v20, v11, v18
	v_mul_lo_u32 v18, v11, v18
	v_add_co_u32_e32 v17, vcc, v17, v18
	v_mul_hi_u32 v19, v11, v14
	v_addc_co_u32_e32 v15, vcc, v15, v20, vcc
	v_addc_co_u32_e32 v17, vcc, 0, v19, vcc
	v_mul_lo_u32 v14, v11, v14
	v_add_co_u32_e32 v14, vcc, v15, v14
	v_addc_co_u32_e32 v15, vcc, 0, v17, vcc
	v_add_co_u32_e32 v1, vcc, v1, v14
	v_addc_co_u32_e32 v11, vcc, v11, v15, vcc
	v_mul_lo_u32 v14, s0, v11
	v_mul_hi_u32 v15, s0, v1
	v_add_u32_e32 v14, v15, v14
	v_mul_lo_u32 v15, s1, v1
	v_add_u32_e32 v14, v14, v15
	v_mul_lo_u32 v17, s0, v1
	v_mul_hi_u32 v18, v11, v17
	v_mul_lo_u32 v19, v11, v17
	v_mul_lo_u32 v21, v1, v14
	v_mul_hi_u32 v17, v1, v17
	v_mul_hi_u32 v20, v1, v14
	v_add_co_u32_e32 v17, vcc, v17, v21
	v_addc_co_u32_e32 v20, vcc, 0, v20, vcc
	v_add_co_u32_e32 v17, vcc, v17, v19
	v_mul_hi_u32 v15, v11, v14
	v_addc_co_u32_e32 v17, vcc, v20, v18, vcc
	v_addc_co_u32_e32 v15, vcc, 0, v15, vcc
	v_mul_lo_u32 v14, v11, v14
	v_add_co_u32_e32 v14, vcc, v17, v14
	v_addc_co_u32_e32 v15, vcc, 0, v15, vcc
	v_add_co_u32_e32 v1, vcc, v1, v14
	v_addc_co_u32_e32 v11, vcc, v11, v15, vcc
	v_mad_u64_u32 v[14:15], s[0:1], v12, v11, 0
	v_mul_hi_u32 v17, v12, v1
	v_add_co_u32_e32 v17, vcc, v17, v14
	v_addc_co_u32_e32 v20, vcc, 0, v15, vcc
	v_mad_u64_u32 v[18:19], s[0:1], v13, v1, 0
	v_add_co_u32_e32 v1, vcc, v17, v18
	v_mad_u64_u32 v[14:15], s[0:1], v13, v11, 0
	v_addc_co_u32_e32 v1, vcc, v20, v19, vcc
	v_addc_co_u32_e32 v11, vcc, 0, v15, vcc
	v_add_co_u32_e32 v1, vcc, v1, v14
	v_addc_co_u32_e32 v11, vcc, 0, v11, vcc
	v_mul_lo_u32 v17, s17, v1
	v_mul_lo_u32 v18, s16, v11
	v_mad_u64_u32 v[14:15], s[0:1], s16, v1, 0
	v_add3_u32 v15, v15, v18, v17
	v_sub_u32_e32 v17, v13, v15
	v_mov_b32_e32 v18, s17
	v_sub_co_u32_e32 v14, vcc, v12, v14
	v_subb_co_u32_e64 v17, s[0:1], v17, v18, vcc
	v_subrev_co_u32_e64 v18, s[0:1], s16, v14
	v_subbrev_co_u32_e64 v17, s[0:1], 0, v17, s[0:1]
	v_cmp_le_u32_e64 s[0:1], s17, v17
	v_cndmask_b32_e64 v19, 0, -1, s[0:1]
	v_cmp_le_u32_e64 s[0:1], s16, v18
	v_cndmask_b32_e64 v18, 0, -1, s[0:1]
	v_cmp_eq_u32_e64 s[0:1], s17, v17
	v_cndmask_b32_e64 v17, v19, v18, s[0:1]
	v_add_co_u32_e64 v18, s[0:1], 2, v1
	v_addc_co_u32_e64 v19, s[0:1], 0, v11, s[0:1]
	v_add_co_u32_e64 v20, s[0:1], 1, v1
	v_addc_co_u32_e64 v21, s[0:1], 0, v11, s[0:1]
	v_subb_co_u32_e32 v15, vcc, v13, v15, vcc
	v_cmp_ne_u32_e64 s[0:1], 0, v17
	v_cmp_le_u32_e32 vcc, s17, v15
	v_cndmask_b32_e64 v17, v21, v19, s[0:1]
	v_cndmask_b32_e64 v19, 0, -1, vcc
	v_cmp_le_u32_e32 vcc, s16, v14
	v_cndmask_b32_e64 v14, 0, -1, vcc
	v_cmp_eq_u32_e32 vcc, s17, v15
	v_cndmask_b32_e32 v14, v19, v14, vcc
	v_cmp_ne_u32_e32 vcc, 0, v14
	v_cndmask_b32_e32 v15, v11, v17, vcc
	v_cndmask_b32_e64 v11, v20, v18, s[0:1]
	v_cndmask_b32_e32 v14, v1, v11, vcc
.LBB14_13:                              ;   in Loop: Header=BB14_11 Depth=1
	s_andn2_saveexec_b64 s[0:1], s[18:19]
	s_cbranch_execz .LBB14_15
; %bb.14:                               ;   in Loop: Header=BB14_11 Depth=1
	v_cvt_f32_u32_e32 v1, s16
	s_sub_i32 s18, 0, s16
	v_rcp_iflag_f32_e32 v1, v1
	v_mul_f32_e32 v1, 0x4f7ffffe, v1
	v_cvt_u32_f32_e32 v1, v1
	v_mul_lo_u32 v11, s18, v1
	v_mul_hi_u32 v11, v1, v11
	v_add_u32_e32 v1, v1, v11
	v_mul_hi_u32 v1, v12, v1
	v_mul_lo_u32 v11, v1, s16
	v_sub_u32_e32 v11, v12, v11
	v_add_u32_e32 v14, 1, v1
	v_subrev_u32_e32 v15, s16, v11
	v_cmp_le_u32_e32 vcc, s16, v11
	v_cndmask_b32_e32 v11, v11, v15, vcc
	v_cndmask_b32_e32 v1, v1, v14, vcc
	v_add_u32_e32 v14, 1, v1
	v_cmp_le_u32_e32 vcc, s16, v11
	v_cndmask_b32_e32 v14, v1, v14, vcc
	v_mov_b32_e32 v15, v10
.LBB14_15:                              ;   in Loop: Header=BB14_11 Depth=1
	s_or_b64 exec, exec, s[0:1]
	v_mad_u64_u32 v[18:19], s[0:1], v14, s16, 0
	s_load_dwordx2 s[0:1], s[8:9], 0xc8
	v_mul_lo_u32 v1, v15, s16
	v_mul_lo_u32 v11, v14, s17
	v_add3_u32 v1, v19, v11, v1
	v_sub_co_u32_e32 v11, vcc, v12, v18
	s_add_i32 s20, s20, -1
	v_subb_co_u32_e32 v1, vcc, v13, v1, vcc
	s_add_u32 s8, s8, -8
	s_waitcnt lgkmcnt(0)
	v_mul_lo_u32 v1, s0, v1
	v_mul_lo_u32 v12, s1, v11
	v_mad_u64_u32 v[8:9], s[0:1], s0, v11, v[8:9]
	s_addc_u32 s9, s9, -1
	s_cmp_gt_u32 s20, 2
	v_add3_u32 v9, v12, v9, v1
	s_cbranch_scc0 .LBB14_17
; %bb.16:                               ;   in Loop: Header=BB14_11 Depth=1
	v_pk_mov_b32 v[12:13], v[14:15], v[14:15] op_sel:[0,1]
	s_branch .LBB14_11
.LBB14_17:
	s_load_dwordx2 s[0:1], s[4:5], 0x288
	s_load_dwordx2 s[8:9], s[4:5], 0x358
	;; [unrolled: 1-line block ×4, first 2 shown]
	v_cmp_gt_u64_e32 vcc, s[12:13], v[4:5]
	s_load_dword s12, s[2:3], 0xc
	s_waitcnt lgkmcnt(0)
	v_mul_lo_u32 v1, s1, v14
	v_mul_lo_u32 v10, s0, v15
	v_mad_u64_u32 v[4:5], s[0:1], s0, v14, 0
	v_add3_u32 v5, v5, v10, v1
	v_pk_mov_b32 v[10:11], s[16:17], s[16:17] op_sel:[0,1]
	v_mad_u64_u32 v[10:11], s[0:1], s10, v6, v[10:11]
	v_mul_lo_u32 v1, s10, v7
	v_mul_lo_u32 v6, s11, v6
	v_add3_u32 v1, v6, v11, v1
	v_add_co_u32_e64 v2, s[0:1], v10, v2
	v_addc_co_u32_e64 v3, s[0:1], v1, v3, s[0:1]
	v_lshlrev_b64 v[4:5], 3, v[4:5]
	v_mov_b32_e32 v1, s19
	v_add_co_u32_e64 v6, s[0:1], s18, v4
	v_addc_co_u32_e64 v1, s[0:1], v1, v5, s[0:1]
	v_lshlrev_b64 v[4:5], 3, v[8:9]
	v_add_co_u32_e64 v10, s[0:1], v6, v4
	v_addc_co_u32_e64 v11, s[0:1], v1, v5, s[0:1]
	v_mov_b32_e32 v1, 0
	v_and_b32_e32 v4, 0x3ff, v0
	v_mov_b32_e32 v5, v1
	v_cmp_gt_u64_e64 s[0:1], s[14:15], v[4:5]
	v_pk_mov_b32 v[6:7], 0, 0
	s_and_b64 s[4:5], vcc, s[0:1]
	v_mov_b32_e32 v0, 0
	v_pk_mov_b32 v[8:9], v[6:7], v[6:7] op_sel:[0,1]
	s_and_saveexec_b64 s[10:11], s[4:5]
	s_cbranch_execz .LBB14_19
; %bb.18:
	v_mad_u64_u32 v[8:9], s[2:3], v4, s6, v[2:3]
	v_mov_b32_e32 v0, v9
	v_mad_u64_u32 v[12:13], s[2:3], v4, s7, v[0:1]
	v_mov_b32_e32 v9, v12
	global_load_ubyte v0, v[8:9], off
	v_mad_u64_u32 v[8:9], s[2:3], v4, s8, 0
	v_mov_b32_e32 v12, v9
	v_mad_u64_u32 v[12:13], s[2:3], v4, s9, v[12:13]
	v_mov_b32_e32 v9, v12
	v_lshlrev_b64 v[8:9], 3, v[8:9]
	v_add_co_u32_e64 v8, s[2:3], v10, v8
	v_addc_co_u32_e64 v9, s[2:3], v11, v9, s[2:3]
	global_load_dwordx2 v[8:9], v[8:9], off
.LBB14_19:
	s_or_b64 exec, exec, s[10:11]
	v_lshlrev_b32_e32 v5, 5, v16
	v_add_u32_e32 v18, 0x1000, v5
	v_add_u32_e32 v17, 0x1200, v5
	;; [unrolled: 1-line block ×3, first 2 shown]
	s_and_b32 s16, 0xffff, s12
	v_cndmask_b32_e64 v13, 0, 1, s[4:5]
	s_waitcnt vmcnt(1)
	ds_write_b8 v12, v0
	v_add_u32_e32 v0, v17, v4
	ds_write_b8 v0, v13
	v_add_u32_e32 v0, s16, v4
	v_lshlrev_b32_e32 v15, 8, v16
	v_cmp_gt_u64_e64 s[2:3], s[14:15], v[0:1]
	v_lshl_add_u32 v5, v4, 3, v15
	s_and_b64 s[10:11], vcc, s[2:3]
	s_waitcnt vmcnt(0)
	ds_write_b64 v5, v[8:9]
	s_and_saveexec_b64 s[12:13], s[10:11]
	s_cbranch_execz .LBB14_21
; %bb.20:
	v_mad_u64_u32 v[6:7], s[4:5], v0, s6, v[2:3]
	v_mov_b32_e32 v8, v7
	v_mad_u64_u32 v[8:9], s[4:5], v0, s7, v[8:9]
	v_mov_b32_e32 v7, v8
	global_load_ubyte v1, v[6:7], off
	v_mad_u64_u32 v[6:7], s[4:5], v0, s8, 0
	v_mov_b32_e32 v8, v7
	v_mad_u64_u32 v[8:9], s[4:5], v0, s9, v[8:9]
	v_mov_b32_e32 v7, v8
	v_lshlrev_b64 v[6:7], 3, v[6:7]
	v_add_co_u32_e64 v6, s[4:5], v10, v6
	v_addc_co_u32_e64 v7, s[4:5], v11, v7, s[4:5]
	global_load_dwordx2 v[6:7], v[6:7], off
.LBB14_21:
	s_or_b64 exec, exec, s[12:13]
	v_add_u32_e32 v8, v18, v0
	s_waitcnt vmcnt(1)
	ds_write_b8 v8, v1
	v_lshl_add_u32 v1, s16, 3, v5
	v_lshlrev_b32_e32 v19, 1, v4
	v_cndmask_b32_e64 v9, 0, 1, s[10:11]
	s_waitcnt vmcnt(0)
	ds_write_b64 v1, v[6:7]
	v_add_u32_e32 v6, v17, v0
	v_add_u32_e32 v7, v18, v19
	ds_write_b8 v6, v9
	s_waitcnt lgkmcnt(0)
	s_barrier
	ds_read_u16 v13, v7
	s_mov_b32 s14, 1
	v_add_u32_e32 v6, v17, v19
	s_waitcnt lgkmcnt(0)
	v_ashrrev_i16_e32 v14, 8, v13
	v_cmp_ge_i16_sdwa s[10:11], sext(v13), v14 src0_sel:BYTE_0 src1_sel:DWORD
	v_cmp_lt_i16_sdwa s[4:5], sext(v13), v14 src0_sel:BYTE_0 src1_sel:DWORD
	s_and_saveexec_b64 s[12:13], s[4:5]
	s_xor_b64 s[12:13], exec, s[12:13]
	s_cbranch_execz .LBB14_23
; %bb.22:
	ds_read_u8 v9, v6
	s_andn2_b64 s[10:11], s[10:11], exec
	s_waitcnt lgkmcnt(0)
	v_and_b32_e32 v9, 1, v9
	v_cmp_eq_u32_e64 s[4:5], 1, v9
	s_xor_b64 s[4:5], s[4:5], -1
	s_and_b64 s[4:5], s[4:5], exec
	s_or_b64 s[10:11], s[10:11], s[4:5]
.LBB14_23:
	s_or_b64 exec, exec, s[12:13]
	v_mov_b32_e32 v20, s14
	s_and_saveexec_b64 s[4:5], s[10:11]
	s_cbranch_execz .LBB14_25
; %bb.24:
	ds_read_u8 v9, v6 offset:1
	s_waitcnt lgkmcnt(0)
	v_xor_b32_e32 v20, 1, v9
.LBB14_25:
	s_or_b64 exec, exec, s[4:5]
	v_and_b32_e32 v16, 1, v4
	v_lshlrev_b32_e32 v9, 3, v4
	v_cmp_eq_u32_e64 s[4:5], v20, v16
	s_and_saveexec_b64 s[10:11], s[4:5]
	s_cbranch_execz .LBB14_27
; %bb.26:
	v_mov_b32_e32 v24, 8
	v_lshlrev_b16_sdwa v13, v24, sext(v13) dst_sel:DWORD dst_unused:UNUSED_PAD src0_sel:DWORD src1_sel:BYTE_0
	v_add_u32_e32 v26, v5, v9
	v_or_b32_sdwa v13, v14, v13 dst_sel:DWORD dst_unused:UNUSED_PAD src0_sel:BYTE_0 src1_sel:DWORD
	ds_read_b128 v[20:23], v26
	ds_write_b16 v7, v13
	ds_read_u16 v13, v6
	s_mov_b32 s4, 0xc0c0001
	s_waitcnt lgkmcnt(2)
	v_mov_b32_e32 v24, v20
	v_mov_b32_e32 v25, v21
	s_waitcnt lgkmcnt(0)
	v_perm_b32 v13, 0, v13, s4
	ds_write_b128 v26, v[22:25]
	ds_write_b16 v6, v13
.LBB14_27:
	s_or_b64 exec, exec, s[10:11]
	v_sub_u32_e32 v16, v19, v16
	v_add_u32_e32 v13, v18, v16
	s_waitcnt lgkmcnt(0)
	s_barrier
	ds_read_i8 v21, v13
	ds_read_i8 v22, v13 offset:2
	s_mov_b64 s[10:11], -1
	v_add_u32_e32 v14, v17, v16
                                        ; implicit-def: $sgpr14
	s_waitcnt lgkmcnt(0)
	v_cmp_lt_i16_e64 s[4:5], v21, v22
	s_and_saveexec_b64 s[12:13], s[4:5]
	s_xor_b64 s[12:13], exec, s[12:13]
	s_cbranch_execz .LBB14_29
; %bb.28:
	ds_read_u8 v20, v14
	s_mov_b32 s14, 1
	s_waitcnt lgkmcnt(0)
	v_and_b32_e32 v20, 1, v20
	v_cmp_eq_u32_e64 s[4:5], 1, v20
	s_xor_b64 s[4:5], s[4:5], -1
	s_orn2_b64 s[10:11], s[4:5], exec
.LBB14_29:
	s_or_b64 exec, exec, s[12:13]
	v_mov_b32_e32 v23, s14
	s_and_saveexec_b64 s[4:5], s[10:11]
	s_cbranch_execz .LBB14_31
; %bb.30:
	ds_read_u8 v20, v14 offset:2
	s_waitcnt lgkmcnt(0)
	v_xor_b32_e32 v23, 1, v20
.LBB14_31:
	s_or_b64 exec, exec, s[4:5]
	v_bfe_u32 v20, v4, 1, 1
	v_lshl_add_u32 v16, v16, 3, v15
	v_cmp_eq_u32_e64 s[4:5], v23, v20
	s_and_saveexec_b64 s[10:11], s[4:5]
	s_cbranch_execz .LBB14_33
; %bb.32:
	ds_read2_b64 v[24:27], v16 offset1:2
	ds_read_u8 v23, v14 offset:2
	ds_read_u8 v28, v14
	ds_write_b8 v13, v22
	ds_write_b8 v13, v21 offset:2
	s_waitcnt lgkmcnt(4)
	ds_write2_b64 v16, v[26:27], v[24:25] offset1:2
	s_waitcnt lgkmcnt(4)
	ds_write_b8 v14, v23
	s_waitcnt lgkmcnt(4)
	ds_write_b8 v14, v28 offset:2
.LBB14_33:
	s_or_b64 exec, exec, s[10:11]
	s_waitcnt lgkmcnt(0)
	s_barrier
	ds_read_u16 v21, v7
                                        ; implicit-def: $sgpr14
	s_waitcnt lgkmcnt(0)
	v_cmp_ge_i16_sdwa s[10:11], sext(v21), sext(v21) src0_sel:BYTE_0 src1_sel:BYTE_1
	v_cmp_lt_i16_sdwa s[4:5], sext(v21), sext(v21) src0_sel:BYTE_0 src1_sel:BYTE_1
	s_and_saveexec_b64 s[12:13], s[4:5]
	s_cbranch_execnz .LBB14_100
; %bb.34:
	s_or_b64 exec, exec, s[12:13]
	v_mov_b32_e32 v22, s14
	s_and_saveexec_b64 s[4:5], s[10:11]
	s_cbranch_execnz .LBB14_101
.LBB14_35:
	s_or_b64 exec, exec, s[4:5]
	v_cmp_eq_u32_e64 s[4:5], v22, v20
	s_and_saveexec_b64 s[10:11], s[4:5]
	s_cbranch_execz .LBB14_37
.LBB14_36:
	v_add_u32_e32 v26, v5, v9
	ds_read_b128 v[22:25], v26
	ds_read_u16 v27, v6
	v_mov_b32_e32 v20, 8
	s_movk_i32 s4, 0xff
	v_lshlrev_b16_sdwa v20, v20, sext(v21) dst_sel:DWORD dst_unused:UNUSED_PAD src0_sel:DWORD src1_sel:BYTE_0
	v_and_b32_sdwa v21, sext(v21), s4 dst_sel:DWORD dst_unused:UNUSED_PAD src0_sel:BYTE_1 src1_sel:DWORD
	v_or_b32_e32 v20, v21, v20
	ds_write_b16 v7, v20
	s_waitcnt lgkmcnt(2)
	v_mov_b32_e32 v20, v24
	v_mov_b32_e32 v21, v25
	s_mov_b32 s4, 0xc0c0001
	ds_write_b128 v26, v[20:23]
	s_waitcnt lgkmcnt(2)
	v_perm_b32 v20, 0, v27, s4
	ds_write_b16 v6, v20
.LBB14_37:
	s_or_b64 exec, exec, s[10:11]
	v_and_b32_e32 v20, 3, v4
	v_sub_u32_e32 v22, v19, v20
	v_add_u32_e32 v20, v18, v22
	s_waitcnt lgkmcnt(0)
	s_barrier
	ds_read_i8 v24, v20
	ds_read_i8 v25, v20 offset:4
	v_add_u32_e32 v21, v17, v22
                                        ; implicit-def: $sgpr14
	s_waitcnt lgkmcnt(0)
	v_cmp_ge_i16_e64 s[10:11], v24, v25
	v_cmp_lt_i16_e64 s[4:5], v24, v25
	s_and_saveexec_b64 s[12:13], s[4:5]
	s_cbranch_execz .LBB14_39
; %bb.38:
	ds_read_u8 v23, v21
	s_andn2_b64 s[10:11], s[10:11], exec
	s_mov_b32 s14, 1
	s_waitcnt lgkmcnt(0)
	v_and_b32_e32 v23, 1, v23
	v_cmp_eq_u32_e64 s[4:5], 1, v23
	s_xor_b64 s[4:5], s[4:5], -1
	s_and_b64 s[4:5], s[4:5], exec
	s_or_b64 s[10:11], s[10:11], s[4:5]
.LBB14_39:
	s_or_b64 exec, exec, s[12:13]
	v_mov_b32_e32 v26, s14
	s_and_saveexec_b64 s[4:5], s[10:11]
	s_cbranch_execz .LBB14_41
; %bb.40:
	ds_read_u8 v23, v21 offset:4
	s_waitcnt lgkmcnt(0)
	v_xor_b32_e32 v26, 1, v23
.LBB14_41:
	s_or_b64 exec, exec, s[4:5]
	v_bfe_u32 v23, v4, 2, 1
	v_lshl_add_u32 v22, v22, 3, v15
	v_cmp_eq_u32_e64 s[4:5], v26, v23
	s_and_saveexec_b64 s[10:11], s[4:5]
	s_cbranch_execz .LBB14_43
; %bb.42:
	ds_read2_b64 v[26:29], v22 offset1:4
	ds_read_u8 v30, v21 offset:4
	ds_read_u8 v31, v21
	ds_write_b8 v20, v25
	ds_write_b8 v20, v24 offset:4
	s_waitcnt lgkmcnt(4)
	ds_write2_b64 v22, v[28:29], v[26:27] offset1:4
	s_waitcnt lgkmcnt(4)
	ds_write_b8 v21, v30
	s_waitcnt lgkmcnt(4)
	ds_write_b8 v21, v31 offset:4
.LBB14_43:
	s_or_b64 exec, exec, s[10:11]
	s_waitcnt lgkmcnt(0)
	s_barrier
	ds_read_i8 v24, v13
	ds_read_i8 v25, v13 offset:2
                                        ; implicit-def: $sgpr14
	s_waitcnt lgkmcnt(0)
	v_cmp_ge_i16_e64 s[10:11], v24, v25
	v_cmp_lt_i16_e64 s[4:5], v24, v25
	s_and_saveexec_b64 s[12:13], s[4:5]
	s_cbranch_execnz .LBB14_102
; %bb.44:
	s_or_b64 exec, exec, s[12:13]
	v_mov_b32_e32 v26, s14
	s_and_saveexec_b64 s[4:5], s[10:11]
	s_cbranch_execnz .LBB14_103
.LBB14_45:
	s_or_b64 exec, exec, s[4:5]
	v_cmp_eq_u32_e64 s[4:5], v26, v23
	s_and_saveexec_b64 s[10:11], s[4:5]
	s_cbranch_execz .LBB14_47
.LBB14_46:
	ds_read2_b64 v[26:29], v16 offset1:2
	ds_read_u8 v30, v14 offset:2
	ds_read_u8 v31, v14
	ds_write_b8 v13, v25
	ds_write_b8 v13, v24 offset:2
	s_waitcnt lgkmcnt(4)
	ds_write2_b64 v16, v[28:29], v[26:27] offset1:2
	s_waitcnt lgkmcnt(4)
	ds_write_b8 v14, v30
	s_waitcnt lgkmcnt(4)
	ds_write_b8 v14, v31 offset:2
.LBB14_47:
	s_or_b64 exec, exec, s[10:11]
	s_waitcnt lgkmcnt(0)
	s_barrier
	ds_read_u16 v24, v7
                                        ; implicit-def: $sgpr14
	s_waitcnt lgkmcnt(0)
	v_cmp_ge_i16_sdwa s[10:11], sext(v24), sext(v24) src0_sel:BYTE_0 src1_sel:BYTE_1
	v_cmp_lt_i16_sdwa s[4:5], sext(v24), sext(v24) src0_sel:BYTE_0 src1_sel:BYTE_1
	s_and_saveexec_b64 s[12:13], s[4:5]
	s_cbranch_execnz .LBB14_104
; %bb.48:
	s_or_b64 exec, exec, s[12:13]
	v_mov_b32_e32 v25, s14
	s_and_saveexec_b64 s[4:5], s[10:11]
	s_cbranch_execnz .LBB14_105
.LBB14_49:
	s_or_b64 exec, exec, s[4:5]
	v_cmp_eq_u32_e64 s[4:5], v25, v23
	s_and_saveexec_b64 s[10:11], s[4:5]
	s_cbranch_execz .LBB14_51
.LBB14_50:
	v_mov_b32_e32 v23, 8
	s_movk_i32 s4, 0xff
	v_lshlrev_b16_sdwa v23, v23, sext(v24) dst_sel:DWORD dst_unused:UNUSED_PAD src0_sel:DWORD src1_sel:BYTE_0
	v_and_b32_sdwa v24, sext(v24), s4 dst_sel:DWORD dst_unused:UNUSED_PAD src0_sel:BYTE_1 src1_sel:DWORD
	v_add_u32_e32 v30, v5, v9
	v_or_b32_e32 v23, v24, v23
	ds_read_b128 v[26:29], v30
	ds_write_b16 v7, v23
	ds_read_u16 v23, v6
	s_mov_b32 s4, 0xc0c0001
	s_waitcnt lgkmcnt(2)
	v_mov_b32_e32 v24, v28
	v_mov_b32_e32 v25, v29
	s_waitcnt lgkmcnt(0)
	v_perm_b32 v23, 0, v23, s4
	ds_write_b128 v30, v[24:27]
	ds_write_b16 v6, v23
.LBB14_51:
	s_or_b64 exec, exec, s[10:11]
	v_and_b32_e32 v23, 7, v4
	v_sub_u32_e32 v25, v19, v23
	v_add_u32_e32 v23, v18, v25
	s_waitcnt lgkmcnt(0)
	s_barrier
	ds_read_i8 v27, v23
	ds_read_i8 v28, v23 offset:8
	v_add_u32_e32 v24, v17, v25
                                        ; implicit-def: $sgpr14
	s_waitcnt lgkmcnt(0)
	v_cmp_ge_i16_e64 s[10:11], v27, v28
	v_cmp_lt_i16_e64 s[4:5], v27, v28
	s_and_saveexec_b64 s[12:13], s[4:5]
	s_cbranch_execz .LBB14_53
; %bb.52:
	ds_read_u8 v26, v24
	s_andn2_b64 s[10:11], s[10:11], exec
	s_mov_b32 s14, 1
	s_waitcnt lgkmcnt(0)
	v_and_b32_e32 v26, 1, v26
	v_cmp_eq_u32_e64 s[4:5], 1, v26
	s_xor_b64 s[4:5], s[4:5], -1
	s_and_b64 s[4:5], s[4:5], exec
	s_or_b64 s[10:11], s[10:11], s[4:5]
.LBB14_53:
	s_or_b64 exec, exec, s[12:13]
	v_mov_b32_e32 v29, s14
	s_and_saveexec_b64 s[4:5], s[10:11]
	s_cbranch_execz .LBB14_55
; %bb.54:
	ds_read_u8 v26, v24 offset:8
	s_waitcnt lgkmcnt(0)
	v_xor_b32_e32 v29, 1, v26
.LBB14_55:
	s_or_b64 exec, exec, s[4:5]
	v_bfe_u32 v26, v4, 3, 1
	v_lshl_add_u32 v25, v25, 3, v15
	v_cmp_eq_u32_e64 s[4:5], v29, v26
	s_and_saveexec_b64 s[10:11], s[4:5]
	s_cbranch_execz .LBB14_57
; %bb.56:
	ds_read2_b64 v[30:33], v25 offset1:8
	ds_read_u8 v29, v24 offset:8
	ds_read_u8 v34, v24
	ds_write_b8 v23, v28
	ds_write_b8 v23, v27 offset:8
	s_waitcnt lgkmcnt(4)
	ds_write2_b64 v25, v[32:33], v[30:31] offset1:8
	s_waitcnt lgkmcnt(4)
	ds_write_b8 v24, v29
	s_waitcnt lgkmcnt(4)
	ds_write_b8 v24, v34 offset:8
.LBB14_57:
	s_or_b64 exec, exec, s[10:11]
	s_waitcnt lgkmcnt(0)
	s_barrier
	ds_read_i8 v27, v20
	ds_read_i8 v28, v20 offset:4
                                        ; implicit-def: $sgpr14
	s_waitcnt lgkmcnt(0)
	v_cmp_ge_i16_e64 s[10:11], v27, v28
	v_cmp_lt_i16_e64 s[4:5], v27, v28
	s_and_saveexec_b64 s[12:13], s[4:5]
	s_cbranch_execnz .LBB14_106
; %bb.58:
	s_or_b64 exec, exec, s[12:13]
	v_mov_b32_e32 v29, s14
	s_and_saveexec_b64 s[4:5], s[10:11]
	s_cbranch_execnz .LBB14_107
.LBB14_59:
	s_or_b64 exec, exec, s[4:5]
	v_cmp_eq_u32_e64 s[4:5], v29, v26
	s_and_saveexec_b64 s[10:11], s[4:5]
	s_cbranch_execz .LBB14_61
.LBB14_60:
	ds_read2_b64 v[30:33], v22 offset1:4
	ds_read_u8 v29, v21 offset:4
	ds_read_u8 v34, v21
	ds_write_b8 v20, v28
	ds_write_b8 v20, v27 offset:4
	s_waitcnt lgkmcnt(4)
	ds_write2_b64 v22, v[32:33], v[30:31] offset1:4
	s_waitcnt lgkmcnt(4)
	ds_write_b8 v21, v29
	s_waitcnt lgkmcnt(4)
	ds_write_b8 v21, v34 offset:4
.LBB14_61:
	s_or_b64 exec, exec, s[10:11]
	s_waitcnt lgkmcnt(0)
	s_barrier
	ds_read_i8 v27, v13
	ds_read_i8 v28, v13 offset:2
                                        ; implicit-def: $sgpr14
	s_waitcnt lgkmcnt(0)
	v_cmp_ge_i16_e64 s[10:11], v27, v28
	v_cmp_lt_i16_e64 s[4:5], v27, v28
	s_and_saveexec_b64 s[12:13], s[4:5]
	s_cbranch_execnz .LBB14_108
; %bb.62:
	s_or_b64 exec, exec, s[12:13]
	v_mov_b32_e32 v29, s14
	s_and_saveexec_b64 s[4:5], s[10:11]
	s_cbranch_execnz .LBB14_109
.LBB14_63:
	s_or_b64 exec, exec, s[4:5]
	v_cmp_eq_u32_e64 s[4:5], v29, v26
	s_and_saveexec_b64 s[10:11], s[4:5]
	s_cbranch_execz .LBB14_65
.LBB14_64:
	ds_read2_b64 v[30:33], v16 offset1:2
	ds_read_u8 v29, v14 offset:2
	ds_read_u8 v34, v14
	ds_write_b8 v13, v28
	ds_write_b8 v13, v27 offset:2
	s_waitcnt lgkmcnt(4)
	ds_write2_b64 v16, v[32:33], v[30:31] offset1:2
	s_waitcnt lgkmcnt(4)
	ds_write_b8 v14, v29
	s_waitcnt lgkmcnt(4)
	ds_write_b8 v14, v34 offset:2
.LBB14_65:
	s_or_b64 exec, exec, s[10:11]
	s_waitcnt lgkmcnt(0)
	s_barrier
	ds_read_u16 v27, v7
                                        ; implicit-def: $sgpr14
	s_waitcnt lgkmcnt(0)
	v_cmp_ge_i16_sdwa s[10:11], sext(v27), sext(v27) src0_sel:BYTE_0 src1_sel:BYTE_1
	v_cmp_lt_i16_sdwa s[4:5], sext(v27), sext(v27) src0_sel:BYTE_0 src1_sel:BYTE_1
	s_and_saveexec_b64 s[12:13], s[4:5]
	s_cbranch_execnz .LBB14_110
; %bb.66:
	s_or_b64 exec, exec, s[12:13]
	v_mov_b32_e32 v28, s14
	s_and_saveexec_b64 s[4:5], s[10:11]
	s_cbranch_execnz .LBB14_111
.LBB14_67:
	s_or_b64 exec, exec, s[4:5]
	v_cmp_eq_u32_e64 s[4:5], v28, v26
	s_and_saveexec_b64 s[10:11], s[4:5]
	s_cbranch_execz .LBB14_69
.LBB14_68:
	v_add_u32_e32 v32, v5, v9
	ds_read_b128 v[28:31], v32
	ds_read_u16 v33, v6
	v_mov_b32_e32 v26, 8
	s_movk_i32 s4, 0xff
	v_lshlrev_b16_sdwa v26, v26, sext(v27) dst_sel:DWORD dst_unused:UNUSED_PAD src0_sel:DWORD src1_sel:BYTE_0
	v_and_b32_sdwa v27, sext(v27), s4 dst_sel:DWORD dst_unused:UNUSED_PAD src0_sel:BYTE_1 src1_sel:DWORD
	v_or_b32_e32 v26, v27, v26
	ds_write_b16 v7, v26
	s_waitcnt lgkmcnt(2)
	v_mov_b32_e32 v26, v30
	v_mov_b32_e32 v27, v31
	s_mov_b32 s4, 0xc0c0001
	ds_write_b128 v32, v[26:29]
	s_waitcnt lgkmcnt(2)
	v_perm_b32 v26, 0, v33, s4
	ds_write_b16 v6, v26
.LBB14_69:
	s_or_b64 exec, exec, s[10:11]
	v_and_b32_e32 v26, 15, v4
	v_sub_u32_e32 v27, v19, v26
	v_add_u32_e32 v18, v18, v27
	s_waitcnt lgkmcnt(0)
	s_barrier
	ds_read_i8 v19, v18
	ds_read_i8 v26, v18 offset:16
	v_add_u32_e32 v17, v17, v27
	s_waitcnt lgkmcnt(0)
	v_cmp_ge_i16_e64 s[12:13], v19, v26
	v_cmp_lt_i16_e64 s[4:5], v19, v26
	s_and_saveexec_b64 s[10:11], s[4:5]
	s_cbranch_execz .LBB14_71
; %bb.70:
	ds_read_u8 v28, v17
	s_andn2_b64 s[12:13], s[12:13], exec
	s_waitcnt lgkmcnt(0)
	v_and_b32_e32 v28, 1, v28
	v_cmp_eq_u32_e64 s[4:5], 1, v28
	s_xor_b64 s[4:5], s[4:5], -1
	s_and_b64 s[4:5], s[4:5], exec
	s_or_b64 s[12:13], s[12:13], s[4:5]
.LBB14_71:
	s_or_b64 exec, exec, s[10:11]
	s_and_saveexec_b64 s[10:11], s[12:13]
	s_cbranch_execz .LBB14_74
; %bb.72:
	ds_read_u8 v28, v17 offset:16
	s_waitcnt lgkmcnt(0)
	v_cmp_ne_u16_e64 s[4:5], 0, v28
	s_and_b64 exec, exec, s[4:5]
	s_cbranch_execz .LBB14_74
; %bb.73:
	v_lshl_add_u32 v15, v27, 3, v15
	ds_read2_b64 v[30:33], v15 offset1:16
	ds_read_u8 v27, v17
	ds_write_b8 v18, v26
	ds_write_b8 v18, v19 offset:16
	ds_write_b8 v17, v28
	s_waitcnt lgkmcnt(4)
	ds_write2_b64 v15, v[32:33], v[30:31] offset1:16
	s_waitcnt lgkmcnt(4)
	ds_write_b8 v17, v27 offset:16
.LBB14_74:
	s_or_b64 exec, exec, s[10:11]
	s_waitcnt lgkmcnt(0)
	s_barrier
	ds_read_i8 v15, v23
	ds_read_i8 v17, v23 offset:8
	s_waitcnt lgkmcnt(0)
	v_cmp_ge_i16_e64 s[12:13], v15, v17
	v_cmp_lt_i16_e64 s[4:5], v15, v17
	s_and_saveexec_b64 s[10:11], s[4:5]
	s_cbranch_execz .LBB14_76
; %bb.75:
	ds_read_u8 v18, v24
	s_andn2_b64 s[12:13], s[12:13], exec
	s_waitcnt lgkmcnt(0)
	v_and_b32_e32 v18, 1, v18
	v_cmp_eq_u32_e64 s[4:5], 1, v18
	s_xor_b64 s[4:5], s[4:5], -1
	s_and_b64 s[4:5], s[4:5], exec
	s_or_b64 s[12:13], s[12:13], s[4:5]
.LBB14_76:
	s_or_b64 exec, exec, s[10:11]
	s_and_saveexec_b64 s[10:11], s[12:13]
	s_cbranch_execz .LBB14_79
; %bb.77:
	ds_read_u8 v18, v24 offset:8
	s_waitcnt lgkmcnt(0)
	v_cmp_ne_u16_e64 s[4:5], 0, v18
	s_and_b64 exec, exec, s[4:5]
	s_cbranch_execz .LBB14_79
; %bb.78:
	ds_read2_b64 v[26:29], v25 offset1:8
	ds_read_u8 v19, v24
	ds_write_b8 v23, v17
	ds_write_b8 v23, v15 offset:8
	ds_write_b8 v24, v18
	s_waitcnt lgkmcnt(4)
	ds_write2_b64 v25, v[28:29], v[26:27] offset1:8
	s_waitcnt lgkmcnt(4)
	ds_write_b8 v24, v19 offset:8
.LBB14_79:
	s_or_b64 exec, exec, s[10:11]
	s_waitcnt lgkmcnt(0)
	s_barrier
	ds_read_i8 v15, v20
	ds_read_i8 v17, v20 offset:4
	s_waitcnt lgkmcnt(0)
	v_cmp_ge_i16_e64 s[12:13], v15, v17
	v_cmp_lt_i16_e64 s[4:5], v15, v17
	s_and_saveexec_b64 s[10:11], s[4:5]
	s_cbranch_execz .LBB14_81
; %bb.80:
	ds_read_u8 v18, v21
	s_andn2_b64 s[12:13], s[12:13], exec
	s_waitcnt lgkmcnt(0)
	v_and_b32_e32 v18, 1, v18
	v_cmp_eq_u32_e64 s[4:5], 1, v18
	s_xor_b64 s[4:5], s[4:5], -1
	s_and_b64 s[4:5], s[4:5], exec
	s_or_b64 s[12:13], s[12:13], s[4:5]
.LBB14_81:
	s_or_b64 exec, exec, s[10:11]
	s_and_saveexec_b64 s[10:11], s[12:13]
	s_cbranch_execz .LBB14_84
; %bb.82:
	ds_read_u8 v18, v21 offset:4
	s_waitcnt lgkmcnt(0)
	v_cmp_ne_u16_e64 s[4:5], 0, v18
	s_and_b64 exec, exec, s[4:5]
	s_cbranch_execz .LBB14_84
; %bb.83:
	ds_read2_b64 v[24:27], v22 offset1:4
	ds_read_u8 v19, v21
	ds_write_b8 v20, v17
	ds_write_b8 v20, v15 offset:4
	ds_write_b8 v21, v18
	s_waitcnt lgkmcnt(4)
	ds_write2_b64 v22, v[26:27], v[24:25] offset1:4
	s_waitcnt lgkmcnt(4)
	ds_write_b8 v21, v19 offset:4
.LBB14_84:
	s_or_b64 exec, exec, s[10:11]
	s_waitcnt lgkmcnt(0)
	s_barrier
	ds_read_i8 v15, v13
	ds_read_i8 v17, v13 offset:2
	s_waitcnt lgkmcnt(0)
	v_cmp_ge_i16_e64 s[12:13], v15, v17
	v_cmp_lt_i16_e64 s[4:5], v15, v17
	s_and_saveexec_b64 s[10:11], s[4:5]
	s_cbranch_execz .LBB14_86
; %bb.85:
	ds_read_u8 v18, v14
	s_andn2_b64 s[12:13], s[12:13], exec
	s_waitcnt lgkmcnt(0)
	v_and_b32_e32 v18, 1, v18
	v_cmp_eq_u32_e64 s[4:5], 1, v18
	s_xor_b64 s[4:5], s[4:5], -1
	s_and_b64 s[4:5], s[4:5], exec
	s_or_b64 s[12:13], s[12:13], s[4:5]
.LBB14_86:
	s_or_b64 exec, exec, s[10:11]
	s_and_saveexec_b64 s[10:11], s[12:13]
	s_cbranch_execz .LBB14_89
; %bb.87:
	ds_read_u8 v18, v14 offset:2
	s_waitcnt lgkmcnt(0)
	v_cmp_ne_u16_e64 s[4:5], 0, v18
	s_and_b64 exec, exec, s[4:5]
	s_cbranch_execz .LBB14_89
; %bb.88:
	ds_read2_b64 v[20:23], v16 offset1:2
	ds_read_u8 v19, v14
	ds_write_b8 v13, v17
	ds_write_b8 v13, v15 offset:2
	ds_write_b8 v14, v18
	s_waitcnt lgkmcnt(4)
	ds_write2_b64 v16, v[22:23], v[20:21] offset1:2
	s_waitcnt lgkmcnt(4)
	ds_write_b8 v14, v19 offset:2
.LBB14_89:
	s_or_b64 exec, exec, s[10:11]
	s_waitcnt lgkmcnt(0)
	s_barrier
	ds_read_u16 v13, v7
	s_waitcnt lgkmcnt(0)
	v_cmp_ge_i16_sdwa s[12:13], sext(v13), sext(v13) src0_sel:BYTE_0 src1_sel:BYTE_1
	v_cmp_lt_i16_sdwa s[4:5], sext(v13), sext(v13) src0_sel:BYTE_0 src1_sel:BYTE_1
	s_and_saveexec_b64 s[10:11], s[4:5]
	s_cbranch_execz .LBB14_91
; %bb.90:
	ds_read_u8 v14, v6
	s_andn2_b64 s[12:13], s[12:13], exec
	s_waitcnt lgkmcnt(0)
	v_and_b32_e32 v14, 1, v14
	v_cmp_eq_u32_e64 s[4:5], 1, v14
	s_xor_b64 s[4:5], s[4:5], -1
	s_and_b64 s[4:5], s[4:5], exec
	s_or_b64 s[12:13], s[12:13], s[4:5]
.LBB14_91:
	s_or_b64 exec, exec, s[10:11]
	s_and_saveexec_b64 s[10:11], s[12:13]
	s_cbranch_execz .LBB14_94
; %bb.92:
	ds_read_u8 v14, v6 offset:1
	s_waitcnt lgkmcnt(0)
	v_cmp_ne_u16_e64 s[4:5], 0, v14
	s_and_b64 exec, exec, s[4:5]
	s_cbranch_execz .LBB14_94
; %bb.93:
	v_mov_b32_e32 v15, 8
	s_movk_i32 s4, 0xff
	v_lshlrev_b16_sdwa v15, v15, sext(v13) dst_sel:DWORD dst_unused:UNUSED_PAD src0_sel:DWORD src1_sel:BYTE_0
	v_and_b32_sdwa v13, sext(v13), s4 dst_sel:DWORD dst_unused:UNUSED_PAD src0_sel:BYTE_1 src1_sel:DWORD
	v_add_u32_e32 v9, v5, v9
	v_or_b32_e32 v13, v13, v15
	ds_read_b128 v[16:19], v9
	ds_write_b16 v7, v13
	ds_read_u8 v7, v6
	s_waitcnt lgkmcnt(2)
	v_mov_b32_e32 v20, v16
	v_mov_b32_e32 v21, v17
	s_waitcnt lgkmcnt(0)
	v_lshlrev_b16_e32 v7, 8, v7
	v_or_b32_e32 v7, v14, v7
	ds_write_b128 v9, v[18:21]
	ds_write_b16 v6, v7
.LBB14_94:
	s_or_b64 exec, exec, s[10:11]
	s_waitcnt lgkmcnt(0)
	s_barrier
	s_and_saveexec_b64 s[4:5], vcc
	s_cbranch_execz .LBB14_99
; %bb.95:
	s_and_saveexec_b64 s[4:5], s[0:1]
	s_cbranch_execz .LBB14_97
; %bb.96:
	ds_read_u8 v9, v12
	v_mad_u64_u32 v[6:7], s[0:1], v4, s6, v[2:3]
	v_mov_b32_e32 v14, v7
	v_mad_u64_u32 v[12:13], s[0:1], v4, s7, v[14:15]
	v_mov_b32_e32 v7, v12
	s_waitcnt lgkmcnt(0)
	global_store_byte v[6:7], v9, off
	v_mad_u64_u32 v[6:7], s[0:1], v4, s8, 0
	v_mov_b32_e32 v14, v7
	ds_read_b64 v[12:13], v5
	v_mad_u64_u32 v[4:5], s[0:1], v4, s9, v[14:15]
	v_mov_b32_e32 v7, v4
	v_lshlrev_b64 v[4:5], 3, v[6:7]
	v_add_co_u32_e32 v4, vcc, v10, v4
	v_addc_co_u32_e32 v5, vcc, v11, v5, vcc
	s_waitcnt lgkmcnt(0)
	global_store_dwordx2 v[4:5], v[12:13], off
.LBB14_97:
	s_or_b64 exec, exec, s[4:5]
	s_and_b64 exec, exec, s[2:3]
	s_cbranch_execz .LBB14_99
; %bb.98:
	ds_read_u8 v6, v8
	v_mad_u64_u32 v[2:3], s[0:1], v0, s6, v[2:3]
	v_mov_b32_e32 v4, v3
	v_mad_u64_u32 v[4:5], s[0:1], v0, s7, v[4:5]
	v_mov_b32_e32 v3, v4
	ds_read_b64 v[4:5], v1
	s_waitcnt lgkmcnt(1)
	global_store_byte v[2:3], v6, off
	v_mad_u64_u32 v[2:3], s[0:1], v0, s8, 0
	v_mov_b32_e32 v6, v3
	v_mad_u64_u32 v[0:1], s[0:1], v0, s9, v[6:7]
	v_mov_b32_e32 v3, v0
	v_lshlrev_b64 v[0:1], 3, v[2:3]
	v_add_co_u32_e32 v0, vcc, v10, v0
	v_addc_co_u32_e32 v1, vcc, v11, v1, vcc
	s_waitcnt lgkmcnt(0)
	global_store_dwordx2 v[0:1], v[4:5], off
.LBB14_99:
	s_endpgm
.LBB14_100:
	ds_read_u8 v22, v6
	s_andn2_b64 s[10:11], s[10:11], exec
	s_mov_b32 s14, 1
	s_waitcnt lgkmcnt(0)
	v_and_b32_e32 v22, 1, v22
	v_cmp_eq_u32_e64 s[4:5], 1, v22
	s_xor_b64 s[4:5], s[4:5], -1
	s_and_b64 s[4:5], s[4:5], exec
	s_or_b64 s[10:11], s[10:11], s[4:5]
	s_or_b64 exec, exec, s[12:13]
	v_mov_b32_e32 v22, s14
	s_and_saveexec_b64 s[4:5], s[10:11]
	s_cbranch_execz .LBB14_35
.LBB14_101:
	ds_read_u8 v22, v6 offset:1
	s_waitcnt lgkmcnt(0)
	v_xor_b32_e32 v22, 1, v22
	s_or_b64 exec, exec, s[4:5]
	v_cmp_eq_u32_e64 s[4:5], v22, v20
	s_and_saveexec_b64 s[10:11], s[4:5]
	s_cbranch_execnz .LBB14_36
	s_branch .LBB14_37
.LBB14_102:
	ds_read_u8 v26, v14
	s_andn2_b64 s[10:11], s[10:11], exec
	s_mov_b32 s14, 1
	s_waitcnt lgkmcnt(0)
	v_and_b32_e32 v26, 1, v26
	v_cmp_eq_u32_e64 s[4:5], 1, v26
	s_xor_b64 s[4:5], s[4:5], -1
	s_and_b64 s[4:5], s[4:5], exec
	s_or_b64 s[10:11], s[10:11], s[4:5]
	s_or_b64 exec, exec, s[12:13]
	v_mov_b32_e32 v26, s14
	s_and_saveexec_b64 s[4:5], s[10:11]
	s_cbranch_execz .LBB14_45
.LBB14_103:
	ds_read_u8 v26, v14 offset:2
	s_waitcnt lgkmcnt(0)
	v_xor_b32_e32 v26, 1, v26
	s_or_b64 exec, exec, s[4:5]
	v_cmp_eq_u32_e64 s[4:5], v26, v23
	s_and_saveexec_b64 s[10:11], s[4:5]
	s_cbranch_execnz .LBB14_46
	s_branch .LBB14_47
.LBB14_104:
	ds_read_u8 v25, v6
	s_andn2_b64 s[10:11], s[10:11], exec
	s_mov_b32 s14, 1
	s_waitcnt lgkmcnt(0)
	v_and_b32_e32 v25, 1, v25
	v_cmp_eq_u32_e64 s[4:5], 1, v25
	s_xor_b64 s[4:5], s[4:5], -1
	s_and_b64 s[4:5], s[4:5], exec
	s_or_b64 s[10:11], s[10:11], s[4:5]
	s_or_b64 exec, exec, s[12:13]
	v_mov_b32_e32 v25, s14
	s_and_saveexec_b64 s[4:5], s[10:11]
	s_cbranch_execz .LBB14_49
.LBB14_105:
	ds_read_u8 v25, v6 offset:1
	s_waitcnt lgkmcnt(0)
	v_xor_b32_e32 v25, 1, v25
	s_or_b64 exec, exec, s[4:5]
	v_cmp_eq_u32_e64 s[4:5], v25, v23
	s_and_saveexec_b64 s[10:11], s[4:5]
	s_cbranch_execnz .LBB14_50
	s_branch .LBB14_51
.LBB14_106:
	ds_read_u8 v29, v21
	s_andn2_b64 s[10:11], s[10:11], exec
	s_mov_b32 s14, 1
	s_waitcnt lgkmcnt(0)
	v_and_b32_e32 v29, 1, v29
	v_cmp_eq_u32_e64 s[4:5], 1, v29
	s_xor_b64 s[4:5], s[4:5], -1
	s_and_b64 s[4:5], s[4:5], exec
	s_or_b64 s[10:11], s[10:11], s[4:5]
	s_or_b64 exec, exec, s[12:13]
	v_mov_b32_e32 v29, s14
	s_and_saveexec_b64 s[4:5], s[10:11]
	s_cbranch_execz .LBB14_59
.LBB14_107:
	ds_read_u8 v29, v21 offset:4
	s_waitcnt lgkmcnt(0)
	v_xor_b32_e32 v29, 1, v29
	s_or_b64 exec, exec, s[4:5]
	v_cmp_eq_u32_e64 s[4:5], v29, v26
	s_and_saveexec_b64 s[10:11], s[4:5]
	s_cbranch_execnz .LBB14_60
	s_branch .LBB14_61
.LBB14_108:
	ds_read_u8 v29, v14
	s_andn2_b64 s[10:11], s[10:11], exec
	s_mov_b32 s14, 1
	s_waitcnt lgkmcnt(0)
	v_and_b32_e32 v29, 1, v29
	v_cmp_eq_u32_e64 s[4:5], 1, v29
	s_xor_b64 s[4:5], s[4:5], -1
	s_and_b64 s[4:5], s[4:5], exec
	s_or_b64 s[10:11], s[10:11], s[4:5]
	s_or_b64 exec, exec, s[12:13]
	v_mov_b32_e32 v29, s14
	s_and_saveexec_b64 s[4:5], s[10:11]
	s_cbranch_execz .LBB14_63
.LBB14_109:
	ds_read_u8 v29, v14 offset:2
	s_waitcnt lgkmcnt(0)
	v_xor_b32_e32 v29, 1, v29
	s_or_b64 exec, exec, s[4:5]
	v_cmp_eq_u32_e64 s[4:5], v29, v26
	s_and_saveexec_b64 s[10:11], s[4:5]
	s_cbranch_execnz .LBB14_64
	s_branch .LBB14_65
.LBB14_110:
	ds_read_u8 v28, v6
	s_andn2_b64 s[10:11], s[10:11], exec
	s_mov_b32 s14, 1
	s_waitcnt lgkmcnt(0)
	v_and_b32_e32 v28, 1, v28
	v_cmp_eq_u32_e64 s[4:5], 1, v28
	s_xor_b64 s[4:5], s[4:5], -1
	s_and_b64 s[4:5], s[4:5], exec
	s_or_b64 s[10:11], s[10:11], s[4:5]
	s_or_b64 exec, exec, s[12:13]
	v_mov_b32_e32 v28, s14
	s_and_saveexec_b64 s[4:5], s[10:11]
	s_cbranch_execz .LBB14_67
.LBB14_111:
	ds_read_u8 v28, v6 offset:1
	s_waitcnt lgkmcnt(0)
	v_xor_b32_e32 v28, 1, v28
	s_or_b64 exec, exec, s[4:5]
	v_cmp_eq_u32_e64 s[4:5], v28, v26
	s_and_saveexec_b64 s[10:11], s[4:5]
	s_cbranch_execnz .LBB14_68
	s_branch .LBB14_69
	.section	.rodata,"a",@progbits
	.p2align	6, 0x0
	.amdhsa_kernel _ZN2at6native20bitonicSortKVInPlaceILin1ELin1ELi16ELi16EalNS0_4LTOpIaLb1EEEmEEvNS_4cuda6detail10TensorInfoIT3_T6_EES8_S8_S8_NS6_IT4_S8_EES8_T5_
		.amdhsa_group_segment_fixed_size 5120
		.amdhsa_private_segment_fixed_size 0
		.amdhsa_kernarg_size 1128
		.amdhsa_user_sgpr_count 6
		.amdhsa_user_sgpr_private_segment_buffer 1
		.amdhsa_user_sgpr_dispatch_ptr 0
		.amdhsa_user_sgpr_queue_ptr 0
		.amdhsa_user_sgpr_kernarg_segment_ptr 1
		.amdhsa_user_sgpr_dispatch_id 0
		.amdhsa_user_sgpr_flat_scratch_init 0
		.amdhsa_user_sgpr_kernarg_preload_length 0
		.amdhsa_user_sgpr_kernarg_preload_offset 0
		.amdhsa_user_sgpr_private_segment_size 0
		.amdhsa_uses_dynamic_stack 0
		.amdhsa_system_sgpr_private_segment_wavefront_offset 0
		.amdhsa_system_sgpr_workgroup_id_x 1
		.amdhsa_system_sgpr_workgroup_id_y 1
		.amdhsa_system_sgpr_workgroup_id_z 1
		.amdhsa_system_sgpr_workgroup_info 0
		.amdhsa_system_vgpr_workitem_id 1
		.amdhsa_next_free_vgpr 35
		.amdhsa_next_free_sgpr 21
		.amdhsa_accum_offset 36
		.amdhsa_reserve_vcc 1
		.amdhsa_reserve_flat_scratch 0
		.amdhsa_float_round_mode_32 0
		.amdhsa_float_round_mode_16_64 0
		.amdhsa_float_denorm_mode_32 3
		.amdhsa_float_denorm_mode_16_64 3
		.amdhsa_dx10_clamp 1
		.amdhsa_ieee_mode 1
		.amdhsa_fp16_overflow 0
		.amdhsa_tg_split 0
		.amdhsa_exception_fp_ieee_invalid_op 0
		.amdhsa_exception_fp_denorm_src 0
		.amdhsa_exception_fp_ieee_div_zero 0
		.amdhsa_exception_fp_ieee_overflow 0
		.amdhsa_exception_fp_ieee_underflow 0
		.amdhsa_exception_fp_ieee_inexact 0
		.amdhsa_exception_int_div_zero 0
	.end_amdhsa_kernel
	.section	.text._ZN2at6native20bitonicSortKVInPlaceILin1ELin1ELi16ELi16EalNS0_4LTOpIaLb1EEEmEEvNS_4cuda6detail10TensorInfoIT3_T6_EES8_S8_S8_NS6_IT4_S8_EES8_T5_,"axG",@progbits,_ZN2at6native20bitonicSortKVInPlaceILin1ELin1ELi16ELi16EalNS0_4LTOpIaLb1EEEmEEvNS_4cuda6detail10TensorInfoIT3_T6_EES8_S8_S8_NS6_IT4_S8_EES8_T5_,comdat
.Lfunc_end14:
	.size	_ZN2at6native20bitonicSortKVInPlaceILin1ELin1ELi16ELi16EalNS0_4LTOpIaLb1EEEmEEvNS_4cuda6detail10TensorInfoIT3_T6_EES8_S8_S8_NS6_IT4_S8_EES8_T5_, .Lfunc_end14-_ZN2at6native20bitonicSortKVInPlaceILin1ELin1ELi16ELi16EalNS0_4LTOpIaLb1EEEmEEvNS_4cuda6detail10TensorInfoIT3_T6_EES8_S8_S8_NS6_IT4_S8_EES8_T5_
                                        ; -- End function
	.section	.AMDGPU.csdata,"",@progbits
; Kernel info:
; codeLenInByte = 6632
; NumSgprs: 25
; NumVgprs: 35
; NumAgprs: 0
; TotalNumVgprs: 35
; ScratchSize: 0
; MemoryBound: 0
; FloatMode: 240
; IeeeMode: 1
; LDSByteSize: 5120 bytes/workgroup (compile time only)
; SGPRBlocks: 3
; VGPRBlocks: 4
; NumSGPRsForWavesPerEU: 25
; NumVGPRsForWavesPerEU: 35
; AccumOffset: 36
; Occupancy: 8
; WaveLimiterHint : 1
; COMPUTE_PGM_RSRC2:SCRATCH_EN: 0
; COMPUTE_PGM_RSRC2:USER_SGPR: 6
; COMPUTE_PGM_RSRC2:TRAP_HANDLER: 0
; COMPUTE_PGM_RSRC2:TGID_X_EN: 1
; COMPUTE_PGM_RSRC2:TGID_Y_EN: 1
; COMPUTE_PGM_RSRC2:TGID_Z_EN: 1
; COMPUTE_PGM_RSRC2:TIDIG_COMP_CNT: 1
; COMPUTE_PGM_RSRC3_GFX90A:ACCUM_OFFSET: 8
; COMPUTE_PGM_RSRC3_GFX90A:TG_SPLIT: 0
	.section	.text._ZN2at6native20bitonicSortKVInPlaceILin1ELin1ELi16ELi16EalNS0_4GTOpIaLb1EEEmEEvNS_4cuda6detail10TensorInfoIT3_T6_EES8_S8_S8_NS6_IT4_S8_EES8_T5_,"axG",@progbits,_ZN2at6native20bitonicSortKVInPlaceILin1ELin1ELi16ELi16EalNS0_4GTOpIaLb1EEEmEEvNS_4cuda6detail10TensorInfoIT3_T6_EES8_S8_S8_NS6_IT4_S8_EES8_T5_,comdat
	.protected	_ZN2at6native20bitonicSortKVInPlaceILin1ELin1ELi16ELi16EalNS0_4GTOpIaLb1EEEmEEvNS_4cuda6detail10TensorInfoIT3_T6_EES8_S8_S8_NS6_IT4_S8_EES8_T5_ ; -- Begin function _ZN2at6native20bitonicSortKVInPlaceILin1ELin1ELi16ELi16EalNS0_4GTOpIaLb1EEEmEEvNS_4cuda6detail10TensorInfoIT3_T6_EES8_S8_S8_NS6_IT4_S8_EES8_T5_
	.globl	_ZN2at6native20bitonicSortKVInPlaceILin1ELin1ELi16ELi16EalNS0_4GTOpIaLb1EEEmEEvNS_4cuda6detail10TensorInfoIT3_T6_EES8_S8_S8_NS6_IT4_S8_EES8_T5_
	.p2align	8
	.type	_ZN2at6native20bitonicSortKVInPlaceILin1ELin1ELi16ELi16EalNS0_4GTOpIaLb1EEEmEEvNS_4cuda6detail10TensorInfoIT3_T6_EES8_S8_S8_NS6_IT4_S8_EES8_T5_,@function
_ZN2at6native20bitonicSortKVInPlaceILin1ELin1ELi16ELi16EalNS0_4GTOpIaLb1EEEmEEvNS_4cuda6detail10TensorInfoIT3_T6_EES8_S8_S8_NS6_IT4_S8_EES8_T5_: ; @_ZN2at6native20bitonicSortKVInPlaceILin1ELin1ELi16ELi16EalNS0_4GTOpIaLb1EEEmEEvNS_4cuda6detail10TensorInfoIT3_T6_EES8_S8_S8_NS6_IT4_S8_EES8_T5_
; %bb.0:
	s_load_dwordx2 s[0:1], s[4:5], 0x368
	s_load_dwordx4 s[12:15], s[4:5], 0x1a0
	s_load_dword s9, s[4:5], 0x374
	s_add_u32 s2, s4, 0x368
	s_addc_u32 s3, s5, 0
	s_waitcnt lgkmcnt(0)
	s_mul_i32 s1, s1, s8
	s_add_i32 s1, s1, s7
	s_mul_i32 s0, s1, s0
	s_add_i32 s0, s0, s6
	s_lshr_b32 s6, s9, 16
	s_mul_hi_u32 s1, s0, s6
	s_mul_i32 s0, s0, s6
	v_pk_mov_b32 v[2:3], s[12:13], s[12:13] op_sel:[0,1]
	v_cmp_ge_u64_e32 vcc, s[0:1], v[2:3]
	s_cbranch_vccnz .LBB15_99
; %bb.1:
	v_mov_b32_e32 v1, s1
	s_load_dwordx2 s[6:7], s[4:5], 0x1b0
	s_load_dword s1, s[4:5], 0x198
	v_bfe_u32 v16, v0, 10, 10
	v_add_co_u32_e32 v4, vcc, s0, v16
	v_addc_co_u32_e32 v5, vcc, 0, v1, vcc
	v_mov_b32_e32 v8, 0
	s_waitcnt lgkmcnt(0)
	s_cmp_lt_i32 s1, 2
	v_pk_mov_b32 v[2:3], 0, 0
	v_pk_mov_b32 v[6:7], v[4:5], v[4:5] op_sel:[0,1]
	s_cbranch_scc1 .LBB15_9
; %bb.2:
	s_add_i32 s18, s1, 1
	s_add_i32 s0, s1, -1
	s_mov_b32 s1, 0
	s_lshl_b64 s[0:1], s[0:1], 3
	s_add_u32 s0, s0, s4
	s_addc_u32 s1, s1, s5
	s_add_u32 s8, s0, 8
	s_addc_u32 s9, s1, 0
	v_pk_mov_b32 v[2:3], 0, 0
	v_pk_mov_b32 v[10:11], v[4:5], v[4:5] op_sel:[0,1]
.LBB15_3:                               ; =>This Inner Loop Header: Depth=1
	s_load_dwordx2 s[10:11], s[8:9], 0x0
                                        ; implicit-def: $vgpr6_vgpr7
	s_waitcnt lgkmcnt(0)
	v_or_b32_e32 v9, s11, v11
	v_cmp_ne_u64_e32 vcc, 0, v[8:9]
	s_and_saveexec_b64 s[0:1], vcc
	s_xor_b64 s[16:17], exec, s[0:1]
	s_cbranch_execz .LBB15_5
; %bb.4:                                ;   in Loop: Header=BB15_3 Depth=1
	v_cvt_f32_u32_e32 v1, s10
	v_cvt_f32_u32_e32 v6, s11
	s_sub_u32 s0, 0, s10
	s_subb_u32 s1, 0, s11
	v_mac_f32_e32 v1, 0x4f800000, v6
	v_rcp_f32_e32 v1, v1
	v_mul_f32_e32 v1, 0x5f7ffffc, v1
	v_mul_f32_e32 v6, 0x2f800000, v1
	v_trunc_f32_e32 v6, v6
	v_mac_f32_e32 v1, 0xcf800000, v6
	v_cvt_u32_f32_e32 v6, v6
	v_cvt_u32_f32_e32 v1, v1
	v_mul_lo_u32 v7, s0, v6
	v_mul_hi_u32 v12, s0, v1
	v_mul_lo_u32 v9, s1, v1
	v_add_u32_e32 v7, v12, v7
	v_mul_lo_u32 v13, s0, v1
	v_add_u32_e32 v7, v7, v9
	v_mul_hi_u32 v12, v1, v13
	v_mul_lo_u32 v14, v1, v7
	v_mul_hi_u32 v9, v1, v7
	v_add_co_u32_e32 v12, vcc, v12, v14
	v_addc_co_u32_e32 v9, vcc, 0, v9, vcc
	v_mul_hi_u32 v15, v6, v13
	v_mul_lo_u32 v13, v6, v13
	v_add_co_u32_e32 v12, vcc, v12, v13
	v_mul_hi_u32 v14, v6, v7
	v_addc_co_u32_e32 v9, vcc, v9, v15, vcc
	v_addc_co_u32_e32 v12, vcc, 0, v14, vcc
	v_mul_lo_u32 v7, v6, v7
	v_add_co_u32_e32 v7, vcc, v9, v7
	v_addc_co_u32_e32 v9, vcc, 0, v12, vcc
	v_add_co_u32_e32 v1, vcc, v1, v7
	v_addc_co_u32_e32 v6, vcc, v6, v9, vcc
	v_mul_lo_u32 v7, s0, v6
	v_mul_hi_u32 v9, s0, v1
	v_add_u32_e32 v7, v9, v7
	v_mul_lo_u32 v9, s1, v1
	v_add_u32_e32 v7, v7, v9
	v_mul_lo_u32 v12, s0, v1
	v_mul_hi_u32 v13, v6, v12
	v_mul_lo_u32 v14, v6, v12
	v_mul_lo_u32 v17, v1, v7
	v_mul_hi_u32 v12, v1, v12
	v_mul_hi_u32 v15, v1, v7
	v_add_co_u32_e32 v12, vcc, v12, v17
	v_addc_co_u32_e32 v15, vcc, 0, v15, vcc
	v_add_co_u32_e32 v12, vcc, v12, v14
	v_mul_hi_u32 v9, v6, v7
	v_addc_co_u32_e32 v12, vcc, v15, v13, vcc
	v_addc_co_u32_e32 v9, vcc, 0, v9, vcc
	v_mul_lo_u32 v7, v6, v7
	v_add_co_u32_e32 v7, vcc, v12, v7
	v_addc_co_u32_e32 v9, vcc, 0, v9, vcc
	v_add_co_u32_e32 v1, vcc, v1, v7
	v_addc_co_u32_e32 v9, vcc, v6, v9, vcc
	v_mad_u64_u32 v[6:7], s[0:1], v10, v9, 0
	v_mul_hi_u32 v12, v10, v1
	v_add_co_u32_e32 v14, vcc, v12, v6
	v_addc_co_u32_e32 v15, vcc, 0, v7, vcc
	v_mad_u64_u32 v[12:13], s[0:1], v11, v1, 0
	v_add_co_u32_e32 v1, vcc, v14, v12
	v_mad_u64_u32 v[6:7], s[0:1], v11, v9, 0
	v_addc_co_u32_e32 v1, vcc, v15, v13, vcc
	v_addc_co_u32_e32 v7, vcc, 0, v7, vcc
	v_add_co_u32_e32 v1, vcc, v1, v6
	v_addc_co_u32_e32 v9, vcc, 0, v7, vcc
	v_mul_lo_u32 v12, s11, v1
	v_mul_lo_u32 v13, s10, v9
	v_mad_u64_u32 v[6:7], s[0:1], s10, v1, 0
	v_add3_u32 v7, v7, v13, v12
	v_sub_u32_e32 v12, v11, v7
	v_mov_b32_e32 v13, s11
	v_sub_co_u32_e32 v6, vcc, v10, v6
	v_subb_co_u32_e64 v12, s[0:1], v12, v13, vcc
	v_subrev_co_u32_e64 v13, s[0:1], s10, v6
	v_subbrev_co_u32_e64 v12, s[0:1], 0, v12, s[0:1]
	v_cmp_le_u32_e64 s[0:1], s11, v12
	v_cndmask_b32_e64 v14, 0, -1, s[0:1]
	v_cmp_le_u32_e64 s[0:1], s10, v13
	v_cndmask_b32_e64 v13, 0, -1, s[0:1]
	v_cmp_eq_u32_e64 s[0:1], s11, v12
	v_cndmask_b32_e64 v12, v14, v13, s[0:1]
	v_add_co_u32_e64 v13, s[0:1], 2, v1
	v_addc_co_u32_e64 v14, s[0:1], 0, v9, s[0:1]
	v_add_co_u32_e64 v15, s[0:1], 1, v1
	v_addc_co_u32_e64 v17, s[0:1], 0, v9, s[0:1]
	v_subb_co_u32_e32 v7, vcc, v11, v7, vcc
	v_cmp_ne_u32_e64 s[0:1], 0, v12
	v_cmp_le_u32_e32 vcc, s11, v7
	v_cndmask_b32_e64 v12, v17, v14, s[0:1]
	v_cndmask_b32_e64 v14, 0, -1, vcc
	v_cmp_le_u32_e32 vcc, s10, v6
	v_cndmask_b32_e64 v6, 0, -1, vcc
	v_cmp_eq_u32_e32 vcc, s11, v7
	v_cndmask_b32_e32 v6, v14, v6, vcc
	v_cmp_ne_u32_e32 vcc, 0, v6
	v_cndmask_b32_e64 v6, v15, v13, s[0:1]
	v_cndmask_b32_e32 v7, v9, v12, vcc
	v_cndmask_b32_e32 v6, v1, v6, vcc
.LBB15_5:                               ;   in Loop: Header=BB15_3 Depth=1
	s_andn2_saveexec_b64 s[0:1], s[16:17]
	s_cbranch_execz .LBB15_7
; %bb.6:                                ;   in Loop: Header=BB15_3 Depth=1
	v_cvt_f32_u32_e32 v1, s10
	s_sub_i32 s16, 0, s10
	v_rcp_iflag_f32_e32 v1, v1
	v_mul_f32_e32 v1, 0x4f7ffffe, v1
	v_cvt_u32_f32_e32 v1, v1
	v_mul_lo_u32 v6, s16, v1
	v_mul_hi_u32 v6, v1, v6
	v_add_u32_e32 v1, v1, v6
	v_mul_hi_u32 v1, v10, v1
	v_mul_lo_u32 v6, v1, s10
	v_sub_u32_e32 v6, v10, v6
	v_add_u32_e32 v7, 1, v1
	v_subrev_u32_e32 v9, s10, v6
	v_cmp_le_u32_e32 vcc, s10, v6
	v_cndmask_b32_e32 v6, v6, v9, vcc
	v_cndmask_b32_e32 v1, v1, v7, vcc
	v_add_u32_e32 v7, 1, v1
	v_cmp_le_u32_e32 vcc, s10, v6
	v_cndmask_b32_e32 v6, v1, v7, vcc
	v_mov_b32_e32 v7, v8
.LBB15_7:                               ;   in Loop: Header=BB15_3 Depth=1
	s_or_b64 exec, exec, s[0:1]
	v_mad_u64_u32 v[12:13], s[0:1], v6, s10, 0
	s_load_dwordx2 s[0:1], s[8:9], 0xc8
	v_mul_lo_u32 v1, v7, s10
	v_mul_lo_u32 v9, v6, s11
	v_add3_u32 v1, v13, v9, v1
	v_sub_co_u32_e32 v9, vcc, v10, v12
	s_add_i32 s18, s18, -1
	v_subb_co_u32_e32 v1, vcc, v11, v1, vcc
	s_add_u32 s8, s8, -8
	s_waitcnt lgkmcnt(0)
	v_mul_lo_u32 v1, s0, v1
	v_mul_lo_u32 v10, s1, v9
	v_mad_u64_u32 v[2:3], s[0:1], s0, v9, v[2:3]
	s_addc_u32 s9, s9, -1
	s_cmp_gt_u32 s18, 2
	v_add3_u32 v3, v10, v3, v1
	s_cbranch_scc0 .LBB15_9
; %bb.8:                                ;   in Loop: Header=BB15_3 Depth=1
	v_pk_mov_b32 v[10:11], v[6:7], v[6:7] op_sel:[0,1]
	s_branch .LBB15_3
.LBB15_9:
	s_load_dword s0, s[4:5], 0x350
	s_load_dwordx2 s[10:11], s[4:5], 0xd0
	v_pk_mov_b32 v[8:9], 0, 0
	v_pk_mov_b32 v[14:15], v[4:5], v[4:5] op_sel:[0,1]
	s_waitcnt lgkmcnt(0)
	s_cmp_lt_i32 s0, 2
	s_cbranch_scc1 .LBB15_17
; %bb.10:
	s_add_i32 s20, s0, 1
	s_add_i32 s0, s0, -1
	s_mov_b32 s1, 0
	s_lshl_b64 s[0:1], s[0:1], 3
	s_add_u32 s0, s0, s4
	s_addc_u32 s1, s1, s5
	s_add_u32 s8, s0, 0x1c0
	s_addc_u32 s9, s1, 0
	v_pk_mov_b32 v[8:9], 0, 0
	v_mov_b32_e32 v10, 0
	v_pk_mov_b32 v[12:13], v[4:5], v[4:5] op_sel:[0,1]
.LBB15_11:                              ; =>This Inner Loop Header: Depth=1
	s_load_dwordx2 s[16:17], s[8:9], 0x0
                                        ; implicit-def: $vgpr14_vgpr15
	s_waitcnt lgkmcnt(0)
	v_or_b32_e32 v11, s17, v13
	v_cmp_ne_u64_e32 vcc, 0, v[10:11]
	s_and_saveexec_b64 s[0:1], vcc
	s_xor_b64 s[18:19], exec, s[0:1]
	s_cbranch_execz .LBB15_13
; %bb.12:                               ;   in Loop: Header=BB15_11 Depth=1
	v_cvt_f32_u32_e32 v1, s16
	v_cvt_f32_u32_e32 v11, s17
	s_sub_u32 s0, 0, s16
	s_subb_u32 s1, 0, s17
	v_mac_f32_e32 v1, 0x4f800000, v11
	v_rcp_f32_e32 v1, v1
	v_mul_f32_e32 v1, 0x5f7ffffc, v1
	v_mul_f32_e32 v11, 0x2f800000, v1
	v_trunc_f32_e32 v11, v11
	v_mac_f32_e32 v1, 0xcf800000, v11
	v_cvt_u32_f32_e32 v11, v11
	v_cvt_u32_f32_e32 v1, v1
	v_mul_lo_u32 v14, s0, v11
	v_mul_hi_u32 v17, s0, v1
	v_mul_lo_u32 v15, s1, v1
	v_add_u32_e32 v14, v17, v14
	v_mul_lo_u32 v18, s0, v1
	v_add_u32_e32 v14, v14, v15
	v_mul_hi_u32 v17, v1, v18
	v_mul_lo_u32 v19, v1, v14
	v_mul_hi_u32 v15, v1, v14
	v_add_co_u32_e32 v17, vcc, v17, v19
	v_addc_co_u32_e32 v15, vcc, 0, v15, vcc
	v_mul_hi_u32 v20, v11, v18
	v_mul_lo_u32 v18, v11, v18
	v_add_co_u32_e32 v17, vcc, v17, v18
	v_mul_hi_u32 v19, v11, v14
	v_addc_co_u32_e32 v15, vcc, v15, v20, vcc
	v_addc_co_u32_e32 v17, vcc, 0, v19, vcc
	v_mul_lo_u32 v14, v11, v14
	v_add_co_u32_e32 v14, vcc, v15, v14
	v_addc_co_u32_e32 v15, vcc, 0, v17, vcc
	v_add_co_u32_e32 v1, vcc, v1, v14
	v_addc_co_u32_e32 v11, vcc, v11, v15, vcc
	v_mul_lo_u32 v14, s0, v11
	v_mul_hi_u32 v15, s0, v1
	v_add_u32_e32 v14, v15, v14
	v_mul_lo_u32 v15, s1, v1
	v_add_u32_e32 v14, v14, v15
	v_mul_lo_u32 v17, s0, v1
	v_mul_hi_u32 v18, v11, v17
	v_mul_lo_u32 v19, v11, v17
	v_mul_lo_u32 v21, v1, v14
	v_mul_hi_u32 v17, v1, v17
	v_mul_hi_u32 v20, v1, v14
	v_add_co_u32_e32 v17, vcc, v17, v21
	v_addc_co_u32_e32 v20, vcc, 0, v20, vcc
	v_add_co_u32_e32 v17, vcc, v17, v19
	v_mul_hi_u32 v15, v11, v14
	v_addc_co_u32_e32 v17, vcc, v20, v18, vcc
	v_addc_co_u32_e32 v15, vcc, 0, v15, vcc
	v_mul_lo_u32 v14, v11, v14
	v_add_co_u32_e32 v14, vcc, v17, v14
	v_addc_co_u32_e32 v15, vcc, 0, v15, vcc
	v_add_co_u32_e32 v1, vcc, v1, v14
	v_addc_co_u32_e32 v11, vcc, v11, v15, vcc
	v_mad_u64_u32 v[14:15], s[0:1], v12, v11, 0
	v_mul_hi_u32 v17, v12, v1
	v_add_co_u32_e32 v17, vcc, v17, v14
	v_addc_co_u32_e32 v20, vcc, 0, v15, vcc
	v_mad_u64_u32 v[18:19], s[0:1], v13, v1, 0
	v_add_co_u32_e32 v1, vcc, v17, v18
	v_mad_u64_u32 v[14:15], s[0:1], v13, v11, 0
	v_addc_co_u32_e32 v1, vcc, v20, v19, vcc
	v_addc_co_u32_e32 v11, vcc, 0, v15, vcc
	v_add_co_u32_e32 v1, vcc, v1, v14
	v_addc_co_u32_e32 v11, vcc, 0, v11, vcc
	v_mul_lo_u32 v17, s17, v1
	v_mul_lo_u32 v18, s16, v11
	v_mad_u64_u32 v[14:15], s[0:1], s16, v1, 0
	v_add3_u32 v15, v15, v18, v17
	v_sub_u32_e32 v17, v13, v15
	v_mov_b32_e32 v18, s17
	v_sub_co_u32_e32 v14, vcc, v12, v14
	v_subb_co_u32_e64 v17, s[0:1], v17, v18, vcc
	v_subrev_co_u32_e64 v18, s[0:1], s16, v14
	v_subbrev_co_u32_e64 v17, s[0:1], 0, v17, s[0:1]
	v_cmp_le_u32_e64 s[0:1], s17, v17
	v_cndmask_b32_e64 v19, 0, -1, s[0:1]
	v_cmp_le_u32_e64 s[0:1], s16, v18
	v_cndmask_b32_e64 v18, 0, -1, s[0:1]
	v_cmp_eq_u32_e64 s[0:1], s17, v17
	v_cndmask_b32_e64 v17, v19, v18, s[0:1]
	v_add_co_u32_e64 v18, s[0:1], 2, v1
	v_addc_co_u32_e64 v19, s[0:1], 0, v11, s[0:1]
	v_add_co_u32_e64 v20, s[0:1], 1, v1
	v_addc_co_u32_e64 v21, s[0:1], 0, v11, s[0:1]
	v_subb_co_u32_e32 v15, vcc, v13, v15, vcc
	v_cmp_ne_u32_e64 s[0:1], 0, v17
	v_cmp_le_u32_e32 vcc, s17, v15
	v_cndmask_b32_e64 v17, v21, v19, s[0:1]
	v_cndmask_b32_e64 v19, 0, -1, vcc
	v_cmp_le_u32_e32 vcc, s16, v14
	v_cndmask_b32_e64 v14, 0, -1, vcc
	v_cmp_eq_u32_e32 vcc, s17, v15
	v_cndmask_b32_e32 v14, v19, v14, vcc
	v_cmp_ne_u32_e32 vcc, 0, v14
	v_cndmask_b32_e32 v15, v11, v17, vcc
	v_cndmask_b32_e64 v11, v20, v18, s[0:1]
	v_cndmask_b32_e32 v14, v1, v11, vcc
.LBB15_13:                              ;   in Loop: Header=BB15_11 Depth=1
	s_andn2_saveexec_b64 s[0:1], s[18:19]
	s_cbranch_execz .LBB15_15
; %bb.14:                               ;   in Loop: Header=BB15_11 Depth=1
	v_cvt_f32_u32_e32 v1, s16
	s_sub_i32 s18, 0, s16
	v_rcp_iflag_f32_e32 v1, v1
	v_mul_f32_e32 v1, 0x4f7ffffe, v1
	v_cvt_u32_f32_e32 v1, v1
	v_mul_lo_u32 v11, s18, v1
	v_mul_hi_u32 v11, v1, v11
	v_add_u32_e32 v1, v1, v11
	v_mul_hi_u32 v1, v12, v1
	v_mul_lo_u32 v11, v1, s16
	v_sub_u32_e32 v11, v12, v11
	v_add_u32_e32 v14, 1, v1
	v_subrev_u32_e32 v15, s16, v11
	v_cmp_le_u32_e32 vcc, s16, v11
	v_cndmask_b32_e32 v11, v11, v15, vcc
	v_cndmask_b32_e32 v1, v1, v14, vcc
	v_add_u32_e32 v14, 1, v1
	v_cmp_le_u32_e32 vcc, s16, v11
	v_cndmask_b32_e32 v14, v1, v14, vcc
	v_mov_b32_e32 v15, v10
.LBB15_15:                              ;   in Loop: Header=BB15_11 Depth=1
	s_or_b64 exec, exec, s[0:1]
	v_mad_u64_u32 v[18:19], s[0:1], v14, s16, 0
	s_load_dwordx2 s[0:1], s[8:9], 0xc8
	v_mul_lo_u32 v1, v15, s16
	v_mul_lo_u32 v11, v14, s17
	v_add3_u32 v1, v19, v11, v1
	v_sub_co_u32_e32 v11, vcc, v12, v18
	s_add_i32 s20, s20, -1
	v_subb_co_u32_e32 v1, vcc, v13, v1, vcc
	s_add_u32 s8, s8, -8
	s_waitcnt lgkmcnt(0)
	v_mul_lo_u32 v1, s0, v1
	v_mul_lo_u32 v12, s1, v11
	v_mad_u64_u32 v[8:9], s[0:1], s0, v11, v[8:9]
	s_addc_u32 s9, s9, -1
	s_cmp_gt_u32 s20, 2
	v_add3_u32 v9, v12, v9, v1
	s_cbranch_scc0 .LBB15_17
; %bb.16:                               ;   in Loop: Header=BB15_11 Depth=1
	v_pk_mov_b32 v[12:13], v[14:15], v[14:15] op_sel:[0,1]
	s_branch .LBB15_11
.LBB15_17:
	s_load_dwordx2 s[0:1], s[4:5], 0x288
	s_load_dwordx2 s[8:9], s[4:5], 0x358
	;; [unrolled: 1-line block ×4, first 2 shown]
	v_cmp_gt_u64_e32 vcc, s[12:13], v[4:5]
	s_load_dword s12, s[2:3], 0xc
	s_waitcnt lgkmcnt(0)
	v_mul_lo_u32 v1, s1, v14
	v_mul_lo_u32 v10, s0, v15
	v_mad_u64_u32 v[4:5], s[0:1], s0, v14, 0
	v_add3_u32 v5, v5, v10, v1
	v_pk_mov_b32 v[10:11], s[16:17], s[16:17] op_sel:[0,1]
	v_mad_u64_u32 v[10:11], s[0:1], s10, v6, v[10:11]
	v_mul_lo_u32 v1, s10, v7
	v_mul_lo_u32 v6, s11, v6
	v_add3_u32 v1, v6, v11, v1
	v_add_co_u32_e64 v2, s[0:1], v10, v2
	v_addc_co_u32_e64 v3, s[0:1], v1, v3, s[0:1]
	v_lshlrev_b64 v[4:5], 3, v[4:5]
	v_mov_b32_e32 v1, s19
	v_add_co_u32_e64 v6, s[0:1], s18, v4
	v_addc_co_u32_e64 v1, s[0:1], v1, v5, s[0:1]
	v_lshlrev_b64 v[4:5], 3, v[8:9]
	v_add_co_u32_e64 v10, s[0:1], v6, v4
	v_addc_co_u32_e64 v11, s[0:1], v1, v5, s[0:1]
	v_mov_b32_e32 v1, 0
	v_and_b32_e32 v4, 0x3ff, v0
	v_mov_b32_e32 v5, v1
	v_cmp_gt_u64_e64 s[0:1], s[14:15], v[4:5]
	v_pk_mov_b32 v[6:7], 0, 0
	s_and_b64 s[4:5], vcc, s[0:1]
	v_mov_b32_e32 v0, 0
	v_pk_mov_b32 v[8:9], v[6:7], v[6:7] op_sel:[0,1]
	s_and_saveexec_b64 s[10:11], s[4:5]
	s_cbranch_execz .LBB15_19
; %bb.18:
	v_mad_u64_u32 v[8:9], s[2:3], v4, s6, v[2:3]
	v_mov_b32_e32 v0, v9
	v_mad_u64_u32 v[12:13], s[2:3], v4, s7, v[0:1]
	v_mov_b32_e32 v9, v12
	global_load_ubyte v0, v[8:9], off
	v_mad_u64_u32 v[8:9], s[2:3], v4, s8, 0
	v_mov_b32_e32 v12, v9
	v_mad_u64_u32 v[12:13], s[2:3], v4, s9, v[12:13]
	v_mov_b32_e32 v9, v12
	v_lshlrev_b64 v[8:9], 3, v[8:9]
	v_add_co_u32_e64 v8, s[2:3], v10, v8
	v_addc_co_u32_e64 v9, s[2:3], v11, v9, s[2:3]
	global_load_dwordx2 v[8:9], v[8:9], off
.LBB15_19:
	s_or_b64 exec, exec, s[10:11]
	v_lshlrev_b32_e32 v5, 5, v16
	v_add_u32_e32 v18, 0x1000, v5
	v_add_u32_e32 v17, 0x1200, v5
	;; [unrolled: 1-line block ×3, first 2 shown]
	s_and_b32 s16, 0xffff, s12
	v_cndmask_b32_e64 v13, 0, 1, s[4:5]
	s_waitcnt vmcnt(1)
	ds_write_b8 v12, v0
	v_add_u32_e32 v0, v17, v4
	ds_write_b8 v0, v13
	v_add_u32_e32 v0, s16, v4
	v_lshlrev_b32_e32 v15, 8, v16
	v_cmp_gt_u64_e64 s[2:3], s[14:15], v[0:1]
	v_lshl_add_u32 v5, v4, 3, v15
	s_and_b64 s[10:11], vcc, s[2:3]
	s_waitcnt vmcnt(0)
	ds_write_b64 v5, v[8:9]
	s_and_saveexec_b64 s[12:13], s[10:11]
	s_cbranch_execz .LBB15_21
; %bb.20:
	v_mad_u64_u32 v[6:7], s[4:5], v0, s6, v[2:3]
	v_mov_b32_e32 v8, v7
	v_mad_u64_u32 v[8:9], s[4:5], v0, s7, v[8:9]
	v_mov_b32_e32 v7, v8
	global_load_ubyte v1, v[6:7], off
	v_mad_u64_u32 v[6:7], s[4:5], v0, s8, 0
	v_mov_b32_e32 v8, v7
	v_mad_u64_u32 v[8:9], s[4:5], v0, s9, v[8:9]
	v_mov_b32_e32 v7, v8
	v_lshlrev_b64 v[6:7], 3, v[6:7]
	v_add_co_u32_e64 v6, s[4:5], v10, v6
	v_addc_co_u32_e64 v7, s[4:5], v11, v7, s[4:5]
	global_load_dwordx2 v[6:7], v[6:7], off
.LBB15_21:
	s_or_b64 exec, exec, s[12:13]
	v_add_u32_e32 v8, v18, v0
	s_waitcnt vmcnt(1)
	ds_write_b8 v8, v1
	v_lshl_add_u32 v1, s16, 3, v5
	v_lshlrev_b32_e32 v19, 1, v4
	v_cndmask_b32_e64 v9, 0, 1, s[10:11]
	s_waitcnt vmcnt(0)
	ds_write_b64 v1, v[6:7]
	v_add_u32_e32 v6, v17, v0
	v_add_u32_e32 v7, v18, v19
	ds_write_b8 v6, v9
	s_waitcnt lgkmcnt(0)
	s_barrier
	ds_read_u16 v13, v7
	s_mov_b32 s14, 1
	v_add_u32_e32 v6, v17, v19
	s_waitcnt lgkmcnt(0)
	v_ashrrev_i16_e32 v14, 8, v13
	v_cmp_le_i16_sdwa s[10:11], sext(v13), v14 src0_sel:BYTE_0 src1_sel:DWORD
	v_cmp_gt_i16_sdwa s[4:5], sext(v13), v14 src0_sel:BYTE_0 src1_sel:DWORD
	s_and_saveexec_b64 s[12:13], s[4:5]
	s_xor_b64 s[12:13], exec, s[12:13]
	s_cbranch_execz .LBB15_23
; %bb.22:
	ds_read_u8 v9, v6
	s_andn2_b64 s[10:11], s[10:11], exec
	s_waitcnt lgkmcnt(0)
	v_and_b32_e32 v9, 1, v9
	v_cmp_eq_u32_e64 s[4:5], 1, v9
	s_xor_b64 s[4:5], s[4:5], -1
	s_and_b64 s[4:5], s[4:5], exec
	s_or_b64 s[10:11], s[10:11], s[4:5]
.LBB15_23:
	s_or_b64 exec, exec, s[12:13]
	v_mov_b32_e32 v20, s14
	s_and_saveexec_b64 s[4:5], s[10:11]
	s_cbranch_execz .LBB15_25
; %bb.24:
	ds_read_u8 v9, v6 offset:1
	s_waitcnt lgkmcnt(0)
	v_xor_b32_e32 v20, 1, v9
.LBB15_25:
	s_or_b64 exec, exec, s[4:5]
	v_and_b32_e32 v16, 1, v4
	v_lshlrev_b32_e32 v9, 3, v4
	v_cmp_eq_u32_e64 s[4:5], v20, v16
	s_and_saveexec_b64 s[10:11], s[4:5]
	s_cbranch_execz .LBB15_27
; %bb.26:
	v_mov_b32_e32 v24, 8
	v_lshlrev_b16_sdwa v13, v24, sext(v13) dst_sel:DWORD dst_unused:UNUSED_PAD src0_sel:DWORD src1_sel:BYTE_0
	v_add_u32_e32 v26, v5, v9
	v_or_b32_sdwa v13, v14, v13 dst_sel:DWORD dst_unused:UNUSED_PAD src0_sel:BYTE_0 src1_sel:DWORD
	ds_read_b128 v[20:23], v26
	ds_write_b16 v7, v13
	ds_read_u16 v13, v6
	s_mov_b32 s4, 0xc0c0001
	s_waitcnt lgkmcnt(2)
	v_mov_b32_e32 v24, v20
	v_mov_b32_e32 v25, v21
	s_waitcnt lgkmcnt(0)
	v_perm_b32 v13, 0, v13, s4
	ds_write_b128 v26, v[22:25]
	ds_write_b16 v6, v13
.LBB15_27:
	s_or_b64 exec, exec, s[10:11]
	v_sub_u32_e32 v16, v19, v16
	v_add_u32_e32 v13, v18, v16
	s_waitcnt lgkmcnt(0)
	s_barrier
	ds_read_i8 v21, v13
	ds_read_i8 v22, v13 offset:2
	s_mov_b64 s[10:11], -1
	v_add_u32_e32 v14, v17, v16
                                        ; implicit-def: $sgpr14
	s_waitcnt lgkmcnt(0)
	v_cmp_gt_i16_e64 s[4:5], v21, v22
	s_and_saveexec_b64 s[12:13], s[4:5]
	s_xor_b64 s[12:13], exec, s[12:13]
	s_cbranch_execz .LBB15_29
; %bb.28:
	ds_read_u8 v20, v14
	s_mov_b32 s14, 1
	s_waitcnt lgkmcnt(0)
	v_and_b32_e32 v20, 1, v20
	v_cmp_eq_u32_e64 s[4:5], 1, v20
	s_xor_b64 s[4:5], s[4:5], -1
	s_orn2_b64 s[10:11], s[4:5], exec
.LBB15_29:
	s_or_b64 exec, exec, s[12:13]
	v_mov_b32_e32 v23, s14
	s_and_saveexec_b64 s[4:5], s[10:11]
	s_cbranch_execz .LBB15_31
; %bb.30:
	ds_read_u8 v20, v14 offset:2
	s_waitcnt lgkmcnt(0)
	v_xor_b32_e32 v23, 1, v20
.LBB15_31:
	s_or_b64 exec, exec, s[4:5]
	v_bfe_u32 v20, v4, 1, 1
	v_lshl_add_u32 v16, v16, 3, v15
	v_cmp_eq_u32_e64 s[4:5], v23, v20
	s_and_saveexec_b64 s[10:11], s[4:5]
	s_cbranch_execz .LBB15_33
; %bb.32:
	ds_read2_b64 v[24:27], v16 offset1:2
	ds_read_u8 v23, v14 offset:2
	ds_read_u8 v28, v14
	ds_write_b8 v13, v22
	ds_write_b8 v13, v21 offset:2
	s_waitcnt lgkmcnt(4)
	ds_write2_b64 v16, v[26:27], v[24:25] offset1:2
	s_waitcnt lgkmcnt(4)
	ds_write_b8 v14, v23
	s_waitcnt lgkmcnt(4)
	ds_write_b8 v14, v28 offset:2
.LBB15_33:
	s_or_b64 exec, exec, s[10:11]
	s_waitcnt lgkmcnt(0)
	s_barrier
	ds_read_u16 v21, v7
                                        ; implicit-def: $sgpr14
	s_waitcnt lgkmcnt(0)
	v_cmp_le_i16_sdwa s[10:11], sext(v21), sext(v21) src0_sel:BYTE_0 src1_sel:BYTE_1
	v_cmp_gt_i16_sdwa s[4:5], sext(v21), sext(v21) src0_sel:BYTE_0 src1_sel:BYTE_1
	s_and_saveexec_b64 s[12:13], s[4:5]
	s_cbranch_execnz .LBB15_100
; %bb.34:
	s_or_b64 exec, exec, s[12:13]
	v_mov_b32_e32 v22, s14
	s_and_saveexec_b64 s[4:5], s[10:11]
	s_cbranch_execnz .LBB15_101
.LBB15_35:
	s_or_b64 exec, exec, s[4:5]
	v_cmp_eq_u32_e64 s[4:5], v22, v20
	s_and_saveexec_b64 s[10:11], s[4:5]
	s_cbranch_execz .LBB15_37
.LBB15_36:
	v_add_u32_e32 v26, v5, v9
	ds_read_b128 v[22:25], v26
	ds_read_u16 v27, v6
	v_mov_b32_e32 v20, 8
	s_movk_i32 s4, 0xff
	v_lshlrev_b16_sdwa v20, v20, sext(v21) dst_sel:DWORD dst_unused:UNUSED_PAD src0_sel:DWORD src1_sel:BYTE_0
	v_and_b32_sdwa v21, sext(v21), s4 dst_sel:DWORD dst_unused:UNUSED_PAD src0_sel:BYTE_1 src1_sel:DWORD
	v_or_b32_e32 v20, v21, v20
	ds_write_b16 v7, v20
	s_waitcnt lgkmcnt(2)
	v_mov_b32_e32 v20, v24
	v_mov_b32_e32 v21, v25
	s_mov_b32 s4, 0xc0c0001
	ds_write_b128 v26, v[20:23]
	s_waitcnt lgkmcnt(2)
	v_perm_b32 v20, 0, v27, s4
	ds_write_b16 v6, v20
.LBB15_37:
	s_or_b64 exec, exec, s[10:11]
	v_and_b32_e32 v20, 3, v4
	v_sub_u32_e32 v22, v19, v20
	v_add_u32_e32 v20, v18, v22
	s_waitcnt lgkmcnt(0)
	s_barrier
	ds_read_i8 v24, v20
	ds_read_i8 v25, v20 offset:4
	v_add_u32_e32 v21, v17, v22
                                        ; implicit-def: $sgpr14
	s_waitcnt lgkmcnt(0)
	v_cmp_le_i16_e64 s[10:11], v24, v25
	v_cmp_gt_i16_e64 s[4:5], v24, v25
	s_and_saveexec_b64 s[12:13], s[4:5]
	s_cbranch_execz .LBB15_39
; %bb.38:
	ds_read_u8 v23, v21
	s_andn2_b64 s[10:11], s[10:11], exec
	s_mov_b32 s14, 1
	s_waitcnt lgkmcnt(0)
	v_and_b32_e32 v23, 1, v23
	v_cmp_eq_u32_e64 s[4:5], 1, v23
	s_xor_b64 s[4:5], s[4:5], -1
	s_and_b64 s[4:5], s[4:5], exec
	s_or_b64 s[10:11], s[10:11], s[4:5]
.LBB15_39:
	s_or_b64 exec, exec, s[12:13]
	v_mov_b32_e32 v26, s14
	s_and_saveexec_b64 s[4:5], s[10:11]
	s_cbranch_execz .LBB15_41
; %bb.40:
	ds_read_u8 v23, v21 offset:4
	s_waitcnt lgkmcnt(0)
	v_xor_b32_e32 v26, 1, v23
.LBB15_41:
	s_or_b64 exec, exec, s[4:5]
	v_bfe_u32 v23, v4, 2, 1
	v_lshl_add_u32 v22, v22, 3, v15
	v_cmp_eq_u32_e64 s[4:5], v26, v23
	s_and_saveexec_b64 s[10:11], s[4:5]
	s_cbranch_execz .LBB15_43
; %bb.42:
	ds_read2_b64 v[26:29], v22 offset1:4
	ds_read_u8 v30, v21 offset:4
	ds_read_u8 v31, v21
	ds_write_b8 v20, v25
	ds_write_b8 v20, v24 offset:4
	s_waitcnt lgkmcnt(4)
	ds_write2_b64 v22, v[28:29], v[26:27] offset1:4
	s_waitcnt lgkmcnt(4)
	ds_write_b8 v21, v30
	s_waitcnt lgkmcnt(4)
	ds_write_b8 v21, v31 offset:4
.LBB15_43:
	s_or_b64 exec, exec, s[10:11]
	s_waitcnt lgkmcnt(0)
	s_barrier
	ds_read_i8 v24, v13
	ds_read_i8 v25, v13 offset:2
                                        ; implicit-def: $sgpr14
	s_waitcnt lgkmcnt(0)
	v_cmp_le_i16_e64 s[10:11], v24, v25
	v_cmp_gt_i16_e64 s[4:5], v24, v25
	s_and_saveexec_b64 s[12:13], s[4:5]
	s_cbranch_execnz .LBB15_102
; %bb.44:
	s_or_b64 exec, exec, s[12:13]
	v_mov_b32_e32 v26, s14
	s_and_saveexec_b64 s[4:5], s[10:11]
	s_cbranch_execnz .LBB15_103
.LBB15_45:
	s_or_b64 exec, exec, s[4:5]
	v_cmp_eq_u32_e64 s[4:5], v26, v23
	s_and_saveexec_b64 s[10:11], s[4:5]
	s_cbranch_execz .LBB15_47
.LBB15_46:
	ds_read2_b64 v[26:29], v16 offset1:2
	ds_read_u8 v30, v14 offset:2
	ds_read_u8 v31, v14
	ds_write_b8 v13, v25
	ds_write_b8 v13, v24 offset:2
	s_waitcnt lgkmcnt(4)
	ds_write2_b64 v16, v[28:29], v[26:27] offset1:2
	s_waitcnt lgkmcnt(4)
	ds_write_b8 v14, v30
	s_waitcnt lgkmcnt(4)
	ds_write_b8 v14, v31 offset:2
.LBB15_47:
	s_or_b64 exec, exec, s[10:11]
	s_waitcnt lgkmcnt(0)
	s_barrier
	ds_read_u16 v24, v7
                                        ; implicit-def: $sgpr14
	s_waitcnt lgkmcnt(0)
	v_cmp_le_i16_sdwa s[10:11], sext(v24), sext(v24) src0_sel:BYTE_0 src1_sel:BYTE_1
	v_cmp_gt_i16_sdwa s[4:5], sext(v24), sext(v24) src0_sel:BYTE_0 src1_sel:BYTE_1
	s_and_saveexec_b64 s[12:13], s[4:5]
	s_cbranch_execnz .LBB15_104
; %bb.48:
	s_or_b64 exec, exec, s[12:13]
	v_mov_b32_e32 v25, s14
	s_and_saveexec_b64 s[4:5], s[10:11]
	s_cbranch_execnz .LBB15_105
.LBB15_49:
	s_or_b64 exec, exec, s[4:5]
	v_cmp_eq_u32_e64 s[4:5], v25, v23
	s_and_saveexec_b64 s[10:11], s[4:5]
	s_cbranch_execz .LBB15_51
.LBB15_50:
	v_mov_b32_e32 v23, 8
	s_movk_i32 s4, 0xff
	v_lshlrev_b16_sdwa v23, v23, sext(v24) dst_sel:DWORD dst_unused:UNUSED_PAD src0_sel:DWORD src1_sel:BYTE_0
	v_and_b32_sdwa v24, sext(v24), s4 dst_sel:DWORD dst_unused:UNUSED_PAD src0_sel:BYTE_1 src1_sel:DWORD
	v_add_u32_e32 v30, v5, v9
	v_or_b32_e32 v23, v24, v23
	ds_read_b128 v[26:29], v30
	ds_write_b16 v7, v23
	ds_read_u16 v23, v6
	s_mov_b32 s4, 0xc0c0001
	s_waitcnt lgkmcnt(2)
	v_mov_b32_e32 v24, v28
	v_mov_b32_e32 v25, v29
	s_waitcnt lgkmcnt(0)
	v_perm_b32 v23, 0, v23, s4
	ds_write_b128 v30, v[24:27]
	ds_write_b16 v6, v23
.LBB15_51:
	s_or_b64 exec, exec, s[10:11]
	v_and_b32_e32 v23, 7, v4
	v_sub_u32_e32 v25, v19, v23
	v_add_u32_e32 v23, v18, v25
	s_waitcnt lgkmcnt(0)
	s_barrier
	ds_read_i8 v27, v23
	ds_read_i8 v28, v23 offset:8
	v_add_u32_e32 v24, v17, v25
                                        ; implicit-def: $sgpr14
	s_waitcnt lgkmcnt(0)
	v_cmp_le_i16_e64 s[10:11], v27, v28
	v_cmp_gt_i16_e64 s[4:5], v27, v28
	s_and_saveexec_b64 s[12:13], s[4:5]
	s_cbranch_execz .LBB15_53
; %bb.52:
	ds_read_u8 v26, v24
	s_andn2_b64 s[10:11], s[10:11], exec
	s_mov_b32 s14, 1
	s_waitcnt lgkmcnt(0)
	v_and_b32_e32 v26, 1, v26
	v_cmp_eq_u32_e64 s[4:5], 1, v26
	s_xor_b64 s[4:5], s[4:5], -1
	s_and_b64 s[4:5], s[4:5], exec
	s_or_b64 s[10:11], s[10:11], s[4:5]
.LBB15_53:
	s_or_b64 exec, exec, s[12:13]
	v_mov_b32_e32 v29, s14
	s_and_saveexec_b64 s[4:5], s[10:11]
	s_cbranch_execz .LBB15_55
; %bb.54:
	ds_read_u8 v26, v24 offset:8
	s_waitcnt lgkmcnt(0)
	v_xor_b32_e32 v29, 1, v26
.LBB15_55:
	s_or_b64 exec, exec, s[4:5]
	v_bfe_u32 v26, v4, 3, 1
	v_lshl_add_u32 v25, v25, 3, v15
	v_cmp_eq_u32_e64 s[4:5], v29, v26
	s_and_saveexec_b64 s[10:11], s[4:5]
	s_cbranch_execz .LBB15_57
; %bb.56:
	ds_read2_b64 v[30:33], v25 offset1:8
	ds_read_u8 v29, v24 offset:8
	ds_read_u8 v34, v24
	ds_write_b8 v23, v28
	ds_write_b8 v23, v27 offset:8
	s_waitcnt lgkmcnt(4)
	ds_write2_b64 v25, v[32:33], v[30:31] offset1:8
	s_waitcnt lgkmcnt(4)
	ds_write_b8 v24, v29
	s_waitcnt lgkmcnt(4)
	ds_write_b8 v24, v34 offset:8
.LBB15_57:
	s_or_b64 exec, exec, s[10:11]
	s_waitcnt lgkmcnt(0)
	s_barrier
	ds_read_i8 v27, v20
	ds_read_i8 v28, v20 offset:4
                                        ; implicit-def: $sgpr14
	s_waitcnt lgkmcnt(0)
	v_cmp_le_i16_e64 s[10:11], v27, v28
	v_cmp_gt_i16_e64 s[4:5], v27, v28
	s_and_saveexec_b64 s[12:13], s[4:5]
	s_cbranch_execnz .LBB15_106
; %bb.58:
	s_or_b64 exec, exec, s[12:13]
	v_mov_b32_e32 v29, s14
	s_and_saveexec_b64 s[4:5], s[10:11]
	s_cbranch_execnz .LBB15_107
.LBB15_59:
	s_or_b64 exec, exec, s[4:5]
	v_cmp_eq_u32_e64 s[4:5], v29, v26
	s_and_saveexec_b64 s[10:11], s[4:5]
	s_cbranch_execz .LBB15_61
.LBB15_60:
	ds_read2_b64 v[30:33], v22 offset1:4
	ds_read_u8 v29, v21 offset:4
	ds_read_u8 v34, v21
	ds_write_b8 v20, v28
	ds_write_b8 v20, v27 offset:4
	s_waitcnt lgkmcnt(4)
	ds_write2_b64 v22, v[32:33], v[30:31] offset1:4
	s_waitcnt lgkmcnt(4)
	ds_write_b8 v21, v29
	s_waitcnt lgkmcnt(4)
	ds_write_b8 v21, v34 offset:4
.LBB15_61:
	s_or_b64 exec, exec, s[10:11]
	s_waitcnt lgkmcnt(0)
	s_barrier
	ds_read_i8 v27, v13
	ds_read_i8 v28, v13 offset:2
                                        ; implicit-def: $sgpr14
	s_waitcnt lgkmcnt(0)
	v_cmp_le_i16_e64 s[10:11], v27, v28
	v_cmp_gt_i16_e64 s[4:5], v27, v28
	s_and_saveexec_b64 s[12:13], s[4:5]
	s_cbranch_execnz .LBB15_108
; %bb.62:
	s_or_b64 exec, exec, s[12:13]
	v_mov_b32_e32 v29, s14
	s_and_saveexec_b64 s[4:5], s[10:11]
	s_cbranch_execnz .LBB15_109
.LBB15_63:
	s_or_b64 exec, exec, s[4:5]
	v_cmp_eq_u32_e64 s[4:5], v29, v26
	s_and_saveexec_b64 s[10:11], s[4:5]
	s_cbranch_execz .LBB15_65
.LBB15_64:
	ds_read2_b64 v[30:33], v16 offset1:2
	ds_read_u8 v29, v14 offset:2
	ds_read_u8 v34, v14
	ds_write_b8 v13, v28
	ds_write_b8 v13, v27 offset:2
	s_waitcnt lgkmcnt(4)
	ds_write2_b64 v16, v[32:33], v[30:31] offset1:2
	s_waitcnt lgkmcnt(4)
	ds_write_b8 v14, v29
	s_waitcnt lgkmcnt(4)
	ds_write_b8 v14, v34 offset:2
.LBB15_65:
	s_or_b64 exec, exec, s[10:11]
	s_waitcnt lgkmcnt(0)
	s_barrier
	ds_read_u16 v27, v7
                                        ; implicit-def: $sgpr14
	s_waitcnt lgkmcnt(0)
	v_cmp_le_i16_sdwa s[10:11], sext(v27), sext(v27) src0_sel:BYTE_0 src1_sel:BYTE_1
	v_cmp_gt_i16_sdwa s[4:5], sext(v27), sext(v27) src0_sel:BYTE_0 src1_sel:BYTE_1
	s_and_saveexec_b64 s[12:13], s[4:5]
	s_cbranch_execnz .LBB15_110
; %bb.66:
	s_or_b64 exec, exec, s[12:13]
	v_mov_b32_e32 v28, s14
	s_and_saveexec_b64 s[4:5], s[10:11]
	s_cbranch_execnz .LBB15_111
.LBB15_67:
	s_or_b64 exec, exec, s[4:5]
	v_cmp_eq_u32_e64 s[4:5], v28, v26
	s_and_saveexec_b64 s[10:11], s[4:5]
	s_cbranch_execz .LBB15_69
.LBB15_68:
	v_add_u32_e32 v32, v5, v9
	ds_read_b128 v[28:31], v32
	ds_read_u16 v33, v6
	v_mov_b32_e32 v26, 8
	s_movk_i32 s4, 0xff
	v_lshlrev_b16_sdwa v26, v26, sext(v27) dst_sel:DWORD dst_unused:UNUSED_PAD src0_sel:DWORD src1_sel:BYTE_0
	v_and_b32_sdwa v27, sext(v27), s4 dst_sel:DWORD dst_unused:UNUSED_PAD src0_sel:BYTE_1 src1_sel:DWORD
	v_or_b32_e32 v26, v27, v26
	ds_write_b16 v7, v26
	s_waitcnt lgkmcnt(2)
	v_mov_b32_e32 v26, v30
	v_mov_b32_e32 v27, v31
	s_mov_b32 s4, 0xc0c0001
	ds_write_b128 v32, v[26:29]
	s_waitcnt lgkmcnt(2)
	v_perm_b32 v26, 0, v33, s4
	ds_write_b16 v6, v26
.LBB15_69:
	s_or_b64 exec, exec, s[10:11]
	v_and_b32_e32 v26, 15, v4
	v_sub_u32_e32 v27, v19, v26
	v_add_u32_e32 v18, v18, v27
	s_waitcnt lgkmcnt(0)
	s_barrier
	ds_read_i8 v19, v18
	ds_read_i8 v26, v18 offset:16
	v_add_u32_e32 v17, v17, v27
	s_waitcnt lgkmcnt(0)
	v_cmp_le_i16_e64 s[12:13], v19, v26
	v_cmp_gt_i16_e64 s[4:5], v19, v26
	s_and_saveexec_b64 s[10:11], s[4:5]
	s_cbranch_execz .LBB15_71
; %bb.70:
	ds_read_u8 v28, v17
	s_andn2_b64 s[12:13], s[12:13], exec
	s_waitcnt lgkmcnt(0)
	v_and_b32_e32 v28, 1, v28
	v_cmp_eq_u32_e64 s[4:5], 1, v28
	s_xor_b64 s[4:5], s[4:5], -1
	s_and_b64 s[4:5], s[4:5], exec
	s_or_b64 s[12:13], s[12:13], s[4:5]
.LBB15_71:
	s_or_b64 exec, exec, s[10:11]
	s_and_saveexec_b64 s[10:11], s[12:13]
	s_cbranch_execz .LBB15_74
; %bb.72:
	ds_read_u8 v28, v17 offset:16
	s_waitcnt lgkmcnt(0)
	v_cmp_ne_u16_e64 s[4:5], 0, v28
	s_and_b64 exec, exec, s[4:5]
	s_cbranch_execz .LBB15_74
; %bb.73:
	v_lshl_add_u32 v15, v27, 3, v15
	ds_read2_b64 v[30:33], v15 offset1:16
	ds_read_u8 v27, v17
	ds_write_b8 v18, v26
	ds_write_b8 v18, v19 offset:16
	ds_write_b8 v17, v28
	s_waitcnt lgkmcnt(4)
	ds_write2_b64 v15, v[32:33], v[30:31] offset1:16
	s_waitcnt lgkmcnt(4)
	ds_write_b8 v17, v27 offset:16
.LBB15_74:
	s_or_b64 exec, exec, s[10:11]
	s_waitcnt lgkmcnt(0)
	s_barrier
	ds_read_i8 v15, v23
	ds_read_i8 v17, v23 offset:8
	s_waitcnt lgkmcnt(0)
	v_cmp_le_i16_e64 s[12:13], v15, v17
	v_cmp_gt_i16_e64 s[4:5], v15, v17
	s_and_saveexec_b64 s[10:11], s[4:5]
	s_cbranch_execz .LBB15_76
; %bb.75:
	ds_read_u8 v18, v24
	s_andn2_b64 s[12:13], s[12:13], exec
	s_waitcnt lgkmcnt(0)
	v_and_b32_e32 v18, 1, v18
	v_cmp_eq_u32_e64 s[4:5], 1, v18
	s_xor_b64 s[4:5], s[4:5], -1
	s_and_b64 s[4:5], s[4:5], exec
	s_or_b64 s[12:13], s[12:13], s[4:5]
.LBB15_76:
	s_or_b64 exec, exec, s[10:11]
	s_and_saveexec_b64 s[10:11], s[12:13]
	s_cbranch_execz .LBB15_79
; %bb.77:
	ds_read_u8 v18, v24 offset:8
	s_waitcnt lgkmcnt(0)
	v_cmp_ne_u16_e64 s[4:5], 0, v18
	s_and_b64 exec, exec, s[4:5]
	s_cbranch_execz .LBB15_79
; %bb.78:
	ds_read2_b64 v[26:29], v25 offset1:8
	ds_read_u8 v19, v24
	ds_write_b8 v23, v17
	ds_write_b8 v23, v15 offset:8
	ds_write_b8 v24, v18
	s_waitcnt lgkmcnt(4)
	ds_write2_b64 v25, v[28:29], v[26:27] offset1:8
	s_waitcnt lgkmcnt(4)
	ds_write_b8 v24, v19 offset:8
.LBB15_79:
	s_or_b64 exec, exec, s[10:11]
	s_waitcnt lgkmcnt(0)
	s_barrier
	ds_read_i8 v15, v20
	ds_read_i8 v17, v20 offset:4
	s_waitcnt lgkmcnt(0)
	v_cmp_le_i16_e64 s[12:13], v15, v17
	v_cmp_gt_i16_e64 s[4:5], v15, v17
	s_and_saveexec_b64 s[10:11], s[4:5]
	s_cbranch_execz .LBB15_81
; %bb.80:
	ds_read_u8 v18, v21
	s_andn2_b64 s[12:13], s[12:13], exec
	s_waitcnt lgkmcnt(0)
	v_and_b32_e32 v18, 1, v18
	v_cmp_eq_u32_e64 s[4:5], 1, v18
	s_xor_b64 s[4:5], s[4:5], -1
	s_and_b64 s[4:5], s[4:5], exec
	s_or_b64 s[12:13], s[12:13], s[4:5]
.LBB15_81:
	s_or_b64 exec, exec, s[10:11]
	s_and_saveexec_b64 s[10:11], s[12:13]
	s_cbranch_execz .LBB15_84
; %bb.82:
	ds_read_u8 v18, v21 offset:4
	s_waitcnt lgkmcnt(0)
	v_cmp_ne_u16_e64 s[4:5], 0, v18
	s_and_b64 exec, exec, s[4:5]
	s_cbranch_execz .LBB15_84
; %bb.83:
	ds_read2_b64 v[24:27], v22 offset1:4
	ds_read_u8 v19, v21
	ds_write_b8 v20, v17
	ds_write_b8 v20, v15 offset:4
	ds_write_b8 v21, v18
	s_waitcnt lgkmcnt(4)
	ds_write2_b64 v22, v[26:27], v[24:25] offset1:4
	s_waitcnt lgkmcnt(4)
	ds_write_b8 v21, v19 offset:4
.LBB15_84:
	s_or_b64 exec, exec, s[10:11]
	s_waitcnt lgkmcnt(0)
	s_barrier
	ds_read_i8 v15, v13
	ds_read_i8 v17, v13 offset:2
	s_waitcnt lgkmcnt(0)
	v_cmp_le_i16_e64 s[12:13], v15, v17
	v_cmp_gt_i16_e64 s[4:5], v15, v17
	s_and_saveexec_b64 s[10:11], s[4:5]
	s_cbranch_execz .LBB15_86
; %bb.85:
	ds_read_u8 v18, v14
	s_andn2_b64 s[12:13], s[12:13], exec
	s_waitcnt lgkmcnt(0)
	v_and_b32_e32 v18, 1, v18
	v_cmp_eq_u32_e64 s[4:5], 1, v18
	s_xor_b64 s[4:5], s[4:5], -1
	s_and_b64 s[4:5], s[4:5], exec
	s_or_b64 s[12:13], s[12:13], s[4:5]
.LBB15_86:
	s_or_b64 exec, exec, s[10:11]
	s_and_saveexec_b64 s[10:11], s[12:13]
	s_cbranch_execz .LBB15_89
; %bb.87:
	ds_read_u8 v18, v14 offset:2
	s_waitcnt lgkmcnt(0)
	v_cmp_ne_u16_e64 s[4:5], 0, v18
	s_and_b64 exec, exec, s[4:5]
	s_cbranch_execz .LBB15_89
; %bb.88:
	ds_read2_b64 v[20:23], v16 offset1:2
	ds_read_u8 v19, v14
	ds_write_b8 v13, v17
	ds_write_b8 v13, v15 offset:2
	ds_write_b8 v14, v18
	s_waitcnt lgkmcnt(4)
	ds_write2_b64 v16, v[22:23], v[20:21] offset1:2
	s_waitcnt lgkmcnt(4)
	ds_write_b8 v14, v19 offset:2
.LBB15_89:
	s_or_b64 exec, exec, s[10:11]
	s_waitcnt lgkmcnt(0)
	s_barrier
	ds_read_u16 v13, v7
	s_waitcnt lgkmcnt(0)
	v_cmp_le_i16_sdwa s[12:13], sext(v13), sext(v13) src0_sel:BYTE_0 src1_sel:BYTE_1
	v_cmp_gt_i16_sdwa s[4:5], sext(v13), sext(v13) src0_sel:BYTE_0 src1_sel:BYTE_1
	s_and_saveexec_b64 s[10:11], s[4:5]
	s_cbranch_execz .LBB15_91
; %bb.90:
	ds_read_u8 v14, v6
	s_andn2_b64 s[12:13], s[12:13], exec
	s_waitcnt lgkmcnt(0)
	v_and_b32_e32 v14, 1, v14
	v_cmp_eq_u32_e64 s[4:5], 1, v14
	s_xor_b64 s[4:5], s[4:5], -1
	s_and_b64 s[4:5], s[4:5], exec
	s_or_b64 s[12:13], s[12:13], s[4:5]
.LBB15_91:
	s_or_b64 exec, exec, s[10:11]
	s_and_saveexec_b64 s[10:11], s[12:13]
	s_cbranch_execz .LBB15_94
; %bb.92:
	ds_read_u8 v14, v6 offset:1
	s_waitcnt lgkmcnt(0)
	v_cmp_ne_u16_e64 s[4:5], 0, v14
	s_and_b64 exec, exec, s[4:5]
	s_cbranch_execz .LBB15_94
; %bb.93:
	v_mov_b32_e32 v15, 8
	s_movk_i32 s4, 0xff
	v_lshlrev_b16_sdwa v15, v15, sext(v13) dst_sel:DWORD dst_unused:UNUSED_PAD src0_sel:DWORD src1_sel:BYTE_0
	v_and_b32_sdwa v13, sext(v13), s4 dst_sel:DWORD dst_unused:UNUSED_PAD src0_sel:BYTE_1 src1_sel:DWORD
	v_add_u32_e32 v9, v5, v9
	v_or_b32_e32 v13, v13, v15
	ds_read_b128 v[16:19], v9
	ds_write_b16 v7, v13
	ds_read_u8 v7, v6
	s_waitcnt lgkmcnt(2)
	v_mov_b32_e32 v20, v16
	v_mov_b32_e32 v21, v17
	s_waitcnt lgkmcnt(0)
	v_lshlrev_b16_e32 v7, 8, v7
	v_or_b32_e32 v7, v14, v7
	ds_write_b128 v9, v[18:21]
	ds_write_b16 v6, v7
.LBB15_94:
	s_or_b64 exec, exec, s[10:11]
	s_waitcnt lgkmcnt(0)
	s_barrier
	s_and_saveexec_b64 s[4:5], vcc
	s_cbranch_execz .LBB15_99
; %bb.95:
	s_and_saveexec_b64 s[4:5], s[0:1]
	s_cbranch_execz .LBB15_97
; %bb.96:
	ds_read_u8 v9, v12
	v_mad_u64_u32 v[6:7], s[0:1], v4, s6, v[2:3]
	v_mov_b32_e32 v14, v7
	v_mad_u64_u32 v[12:13], s[0:1], v4, s7, v[14:15]
	v_mov_b32_e32 v7, v12
	s_waitcnt lgkmcnt(0)
	global_store_byte v[6:7], v9, off
	v_mad_u64_u32 v[6:7], s[0:1], v4, s8, 0
	v_mov_b32_e32 v14, v7
	ds_read_b64 v[12:13], v5
	v_mad_u64_u32 v[4:5], s[0:1], v4, s9, v[14:15]
	v_mov_b32_e32 v7, v4
	v_lshlrev_b64 v[4:5], 3, v[6:7]
	v_add_co_u32_e32 v4, vcc, v10, v4
	v_addc_co_u32_e32 v5, vcc, v11, v5, vcc
	s_waitcnt lgkmcnt(0)
	global_store_dwordx2 v[4:5], v[12:13], off
.LBB15_97:
	s_or_b64 exec, exec, s[4:5]
	s_and_b64 exec, exec, s[2:3]
	s_cbranch_execz .LBB15_99
; %bb.98:
	ds_read_u8 v6, v8
	v_mad_u64_u32 v[2:3], s[0:1], v0, s6, v[2:3]
	v_mov_b32_e32 v4, v3
	v_mad_u64_u32 v[4:5], s[0:1], v0, s7, v[4:5]
	v_mov_b32_e32 v3, v4
	ds_read_b64 v[4:5], v1
	s_waitcnt lgkmcnt(1)
	global_store_byte v[2:3], v6, off
	v_mad_u64_u32 v[2:3], s[0:1], v0, s8, 0
	v_mov_b32_e32 v6, v3
	v_mad_u64_u32 v[0:1], s[0:1], v0, s9, v[6:7]
	v_mov_b32_e32 v3, v0
	v_lshlrev_b64 v[0:1], 3, v[2:3]
	v_add_co_u32_e32 v0, vcc, v10, v0
	v_addc_co_u32_e32 v1, vcc, v11, v1, vcc
	s_waitcnt lgkmcnt(0)
	global_store_dwordx2 v[0:1], v[4:5], off
.LBB15_99:
	s_endpgm
.LBB15_100:
	ds_read_u8 v22, v6
	s_andn2_b64 s[10:11], s[10:11], exec
	s_mov_b32 s14, 1
	s_waitcnt lgkmcnt(0)
	v_and_b32_e32 v22, 1, v22
	v_cmp_eq_u32_e64 s[4:5], 1, v22
	s_xor_b64 s[4:5], s[4:5], -1
	s_and_b64 s[4:5], s[4:5], exec
	s_or_b64 s[10:11], s[10:11], s[4:5]
	s_or_b64 exec, exec, s[12:13]
	v_mov_b32_e32 v22, s14
	s_and_saveexec_b64 s[4:5], s[10:11]
	s_cbranch_execz .LBB15_35
.LBB15_101:
	ds_read_u8 v22, v6 offset:1
	s_waitcnt lgkmcnt(0)
	v_xor_b32_e32 v22, 1, v22
	s_or_b64 exec, exec, s[4:5]
	v_cmp_eq_u32_e64 s[4:5], v22, v20
	s_and_saveexec_b64 s[10:11], s[4:5]
	s_cbranch_execnz .LBB15_36
	s_branch .LBB15_37
.LBB15_102:
	ds_read_u8 v26, v14
	s_andn2_b64 s[10:11], s[10:11], exec
	s_mov_b32 s14, 1
	s_waitcnt lgkmcnt(0)
	v_and_b32_e32 v26, 1, v26
	v_cmp_eq_u32_e64 s[4:5], 1, v26
	s_xor_b64 s[4:5], s[4:5], -1
	s_and_b64 s[4:5], s[4:5], exec
	s_or_b64 s[10:11], s[10:11], s[4:5]
	s_or_b64 exec, exec, s[12:13]
	v_mov_b32_e32 v26, s14
	s_and_saveexec_b64 s[4:5], s[10:11]
	s_cbranch_execz .LBB15_45
.LBB15_103:
	ds_read_u8 v26, v14 offset:2
	s_waitcnt lgkmcnt(0)
	v_xor_b32_e32 v26, 1, v26
	s_or_b64 exec, exec, s[4:5]
	v_cmp_eq_u32_e64 s[4:5], v26, v23
	s_and_saveexec_b64 s[10:11], s[4:5]
	s_cbranch_execnz .LBB15_46
	s_branch .LBB15_47
.LBB15_104:
	ds_read_u8 v25, v6
	s_andn2_b64 s[10:11], s[10:11], exec
	s_mov_b32 s14, 1
	s_waitcnt lgkmcnt(0)
	v_and_b32_e32 v25, 1, v25
	v_cmp_eq_u32_e64 s[4:5], 1, v25
	s_xor_b64 s[4:5], s[4:5], -1
	s_and_b64 s[4:5], s[4:5], exec
	s_or_b64 s[10:11], s[10:11], s[4:5]
	s_or_b64 exec, exec, s[12:13]
	v_mov_b32_e32 v25, s14
	s_and_saveexec_b64 s[4:5], s[10:11]
	s_cbranch_execz .LBB15_49
.LBB15_105:
	ds_read_u8 v25, v6 offset:1
	s_waitcnt lgkmcnt(0)
	v_xor_b32_e32 v25, 1, v25
	s_or_b64 exec, exec, s[4:5]
	v_cmp_eq_u32_e64 s[4:5], v25, v23
	s_and_saveexec_b64 s[10:11], s[4:5]
	s_cbranch_execnz .LBB15_50
	s_branch .LBB15_51
.LBB15_106:
	ds_read_u8 v29, v21
	s_andn2_b64 s[10:11], s[10:11], exec
	s_mov_b32 s14, 1
	s_waitcnt lgkmcnt(0)
	v_and_b32_e32 v29, 1, v29
	v_cmp_eq_u32_e64 s[4:5], 1, v29
	s_xor_b64 s[4:5], s[4:5], -1
	s_and_b64 s[4:5], s[4:5], exec
	s_or_b64 s[10:11], s[10:11], s[4:5]
	s_or_b64 exec, exec, s[12:13]
	v_mov_b32_e32 v29, s14
	s_and_saveexec_b64 s[4:5], s[10:11]
	s_cbranch_execz .LBB15_59
.LBB15_107:
	ds_read_u8 v29, v21 offset:4
	s_waitcnt lgkmcnt(0)
	v_xor_b32_e32 v29, 1, v29
	s_or_b64 exec, exec, s[4:5]
	v_cmp_eq_u32_e64 s[4:5], v29, v26
	s_and_saveexec_b64 s[10:11], s[4:5]
	s_cbranch_execnz .LBB15_60
	s_branch .LBB15_61
.LBB15_108:
	ds_read_u8 v29, v14
	s_andn2_b64 s[10:11], s[10:11], exec
	s_mov_b32 s14, 1
	s_waitcnt lgkmcnt(0)
	v_and_b32_e32 v29, 1, v29
	v_cmp_eq_u32_e64 s[4:5], 1, v29
	s_xor_b64 s[4:5], s[4:5], -1
	s_and_b64 s[4:5], s[4:5], exec
	s_or_b64 s[10:11], s[10:11], s[4:5]
	s_or_b64 exec, exec, s[12:13]
	v_mov_b32_e32 v29, s14
	s_and_saveexec_b64 s[4:5], s[10:11]
	s_cbranch_execz .LBB15_63
.LBB15_109:
	ds_read_u8 v29, v14 offset:2
	s_waitcnt lgkmcnt(0)
	v_xor_b32_e32 v29, 1, v29
	s_or_b64 exec, exec, s[4:5]
	v_cmp_eq_u32_e64 s[4:5], v29, v26
	s_and_saveexec_b64 s[10:11], s[4:5]
	s_cbranch_execnz .LBB15_64
	s_branch .LBB15_65
.LBB15_110:
	ds_read_u8 v28, v6
	s_andn2_b64 s[10:11], s[10:11], exec
	s_mov_b32 s14, 1
	s_waitcnt lgkmcnt(0)
	v_and_b32_e32 v28, 1, v28
	v_cmp_eq_u32_e64 s[4:5], 1, v28
	s_xor_b64 s[4:5], s[4:5], -1
	s_and_b64 s[4:5], s[4:5], exec
	s_or_b64 s[10:11], s[10:11], s[4:5]
	s_or_b64 exec, exec, s[12:13]
	v_mov_b32_e32 v28, s14
	s_and_saveexec_b64 s[4:5], s[10:11]
	s_cbranch_execz .LBB15_67
.LBB15_111:
	ds_read_u8 v28, v6 offset:1
	s_waitcnt lgkmcnt(0)
	v_xor_b32_e32 v28, 1, v28
	s_or_b64 exec, exec, s[4:5]
	v_cmp_eq_u32_e64 s[4:5], v28, v26
	s_and_saveexec_b64 s[10:11], s[4:5]
	s_cbranch_execnz .LBB15_68
	s_branch .LBB15_69
	.section	.rodata,"a",@progbits
	.p2align	6, 0x0
	.amdhsa_kernel _ZN2at6native20bitonicSortKVInPlaceILin1ELin1ELi16ELi16EalNS0_4GTOpIaLb1EEEmEEvNS_4cuda6detail10TensorInfoIT3_T6_EES8_S8_S8_NS6_IT4_S8_EES8_T5_
		.amdhsa_group_segment_fixed_size 5120
		.amdhsa_private_segment_fixed_size 0
		.amdhsa_kernarg_size 1128
		.amdhsa_user_sgpr_count 6
		.amdhsa_user_sgpr_private_segment_buffer 1
		.amdhsa_user_sgpr_dispatch_ptr 0
		.amdhsa_user_sgpr_queue_ptr 0
		.amdhsa_user_sgpr_kernarg_segment_ptr 1
		.amdhsa_user_sgpr_dispatch_id 0
		.amdhsa_user_sgpr_flat_scratch_init 0
		.amdhsa_user_sgpr_kernarg_preload_length 0
		.amdhsa_user_sgpr_kernarg_preload_offset 0
		.amdhsa_user_sgpr_private_segment_size 0
		.amdhsa_uses_dynamic_stack 0
		.amdhsa_system_sgpr_private_segment_wavefront_offset 0
		.amdhsa_system_sgpr_workgroup_id_x 1
		.amdhsa_system_sgpr_workgroup_id_y 1
		.amdhsa_system_sgpr_workgroup_id_z 1
		.amdhsa_system_sgpr_workgroup_info 0
		.amdhsa_system_vgpr_workitem_id 1
		.amdhsa_next_free_vgpr 35
		.amdhsa_next_free_sgpr 21
		.amdhsa_accum_offset 36
		.amdhsa_reserve_vcc 1
		.amdhsa_reserve_flat_scratch 0
		.amdhsa_float_round_mode_32 0
		.amdhsa_float_round_mode_16_64 0
		.amdhsa_float_denorm_mode_32 3
		.amdhsa_float_denorm_mode_16_64 3
		.amdhsa_dx10_clamp 1
		.amdhsa_ieee_mode 1
		.amdhsa_fp16_overflow 0
		.amdhsa_tg_split 0
		.amdhsa_exception_fp_ieee_invalid_op 0
		.amdhsa_exception_fp_denorm_src 0
		.amdhsa_exception_fp_ieee_div_zero 0
		.amdhsa_exception_fp_ieee_overflow 0
		.amdhsa_exception_fp_ieee_underflow 0
		.amdhsa_exception_fp_ieee_inexact 0
		.amdhsa_exception_int_div_zero 0
	.end_amdhsa_kernel
	.section	.text._ZN2at6native20bitonicSortKVInPlaceILin1ELin1ELi16ELi16EalNS0_4GTOpIaLb1EEEmEEvNS_4cuda6detail10TensorInfoIT3_T6_EES8_S8_S8_NS6_IT4_S8_EES8_T5_,"axG",@progbits,_ZN2at6native20bitonicSortKVInPlaceILin1ELin1ELi16ELi16EalNS0_4GTOpIaLb1EEEmEEvNS_4cuda6detail10TensorInfoIT3_T6_EES8_S8_S8_NS6_IT4_S8_EES8_T5_,comdat
.Lfunc_end15:
	.size	_ZN2at6native20bitonicSortKVInPlaceILin1ELin1ELi16ELi16EalNS0_4GTOpIaLb1EEEmEEvNS_4cuda6detail10TensorInfoIT3_T6_EES8_S8_S8_NS6_IT4_S8_EES8_T5_, .Lfunc_end15-_ZN2at6native20bitonicSortKVInPlaceILin1ELin1ELi16ELi16EalNS0_4GTOpIaLb1EEEmEEvNS_4cuda6detail10TensorInfoIT3_T6_EES8_S8_S8_NS6_IT4_S8_EES8_T5_
                                        ; -- End function
	.section	.AMDGPU.csdata,"",@progbits
; Kernel info:
; codeLenInByte = 6632
; NumSgprs: 25
; NumVgprs: 35
; NumAgprs: 0
; TotalNumVgprs: 35
; ScratchSize: 0
; MemoryBound: 0
; FloatMode: 240
; IeeeMode: 1
; LDSByteSize: 5120 bytes/workgroup (compile time only)
; SGPRBlocks: 3
; VGPRBlocks: 4
; NumSGPRsForWavesPerEU: 25
; NumVGPRsForWavesPerEU: 35
; AccumOffset: 36
; Occupancy: 8
; WaveLimiterHint : 1
; COMPUTE_PGM_RSRC2:SCRATCH_EN: 0
; COMPUTE_PGM_RSRC2:USER_SGPR: 6
; COMPUTE_PGM_RSRC2:TRAP_HANDLER: 0
; COMPUTE_PGM_RSRC2:TGID_X_EN: 1
; COMPUTE_PGM_RSRC2:TGID_Y_EN: 1
; COMPUTE_PGM_RSRC2:TGID_Z_EN: 1
; COMPUTE_PGM_RSRC2:TIDIG_COMP_CNT: 1
; COMPUTE_PGM_RSRC3_GFX90A:ACCUM_OFFSET: 8
; COMPUTE_PGM_RSRC3_GFX90A:TG_SPLIT: 0
	.section	.text._ZN2at6native20bitonicSortKVInPlaceILin2ELin1ELi16ELi16EilNS0_4LTOpIiLb1EEEjEEvNS_4cuda6detail10TensorInfoIT3_T6_EES8_S8_S8_NS6_IT4_S8_EES8_T5_,"axG",@progbits,_ZN2at6native20bitonicSortKVInPlaceILin2ELin1ELi16ELi16EilNS0_4LTOpIiLb1EEEjEEvNS_4cuda6detail10TensorInfoIT3_T6_EES8_S8_S8_NS6_IT4_S8_EES8_T5_,comdat
	.protected	_ZN2at6native20bitonicSortKVInPlaceILin2ELin1ELi16ELi16EilNS0_4LTOpIiLb1EEEjEEvNS_4cuda6detail10TensorInfoIT3_T6_EES8_S8_S8_NS6_IT4_S8_EES8_T5_ ; -- Begin function _ZN2at6native20bitonicSortKVInPlaceILin2ELin1ELi16ELi16EilNS0_4LTOpIiLb1EEEjEEvNS_4cuda6detail10TensorInfoIT3_T6_EES8_S8_S8_NS6_IT4_S8_EES8_T5_
	.globl	_ZN2at6native20bitonicSortKVInPlaceILin2ELin1ELi16ELi16EilNS0_4LTOpIiLb1EEEjEEvNS_4cuda6detail10TensorInfoIT3_T6_EES8_S8_S8_NS6_IT4_S8_EES8_T5_
	.p2align	8
	.type	_ZN2at6native20bitonicSortKVInPlaceILin2ELin1ELi16ELi16EilNS0_4LTOpIiLb1EEEjEEvNS_4cuda6detail10TensorInfoIT3_T6_EES8_S8_S8_NS6_IT4_S8_EES8_T5_,@function
_ZN2at6native20bitonicSortKVInPlaceILin2ELin1ELi16ELi16EilNS0_4LTOpIiLb1EEEjEEvNS_4cuda6detail10TensorInfoIT3_T6_EES8_S8_S8_NS6_IT4_S8_EES8_T5_: ; @_ZN2at6native20bitonicSortKVInPlaceILin2ELin1ELi16ELi16EilNS0_4LTOpIiLb1EEEjEEvNS_4cuda6detail10TensorInfoIT3_T6_EES8_S8_S8_NS6_IT4_S8_EES8_T5_
; %bb.0:
	s_load_dwordx2 s[2:3], s[4:5], 0x1c8
	s_load_dwordx4 s[12:15], s[4:5], 0xd8
	s_load_dword s9, s[4:5], 0x1d4
	s_add_u32 s0, s4, 0x1c8
	s_addc_u32 s1, s5, 0
	s_waitcnt lgkmcnt(0)
	s_mul_i32 s3, s3, s8
	s_add_i32 s3, s3, s7
	s_mul_i32 s2, s3, s2
	s_add_i32 s8, s2, s6
	s_lshr_b32 s2, s9, 16
	s_mul_i32 s8, s8, s2
	s_cmp_ge_u32 s8, s12
	s_cbranch_scc1 .LBB16_86
; %bb.1:
	s_load_dwordx2 s[6:7], s[4:5], 0x0
	s_load_dword s9, s[4:5], 0x1b8
	s_add_u32 s2, s4, 0xe8
	v_bfe_u32 v5, v0, 10, 10
	s_addc_u32 s3, s5, 0
	v_add_u32_e32 v1, s8, v5
	s_waitcnt lgkmcnt(0)
	s_cmp_lt_i32 s9, 2
	v_mov_b32_e32 v2, 0
	v_mov_b32_e32 v6, v1
	s_cbranch_scc1 .LBB16_4
; %bb.2:
	s_add_i32 s10, s9, 1
	s_add_i32 s8, s9, -1
	s_mov_b32 s9, 0
	s_lshl_b64 s[8:9], s[8:9], 2
	s_add_u32 s8, s8, s2
	s_addc_u32 s9, s9, s3
	s_add_u32 s8, s8, 8
	s_addc_u32 s9, s9, 0
	v_mov_b32_e32 v2, 0
	v_mov_b32_e32 v6, v1
.LBB16_3:                               ; =>This Inner Loop Header: Depth=1
	s_load_dword s11, s[8:9], 0x0
	s_load_dword s15, s[8:9], 0x64
	v_mov_b32_e32 v3, v6
	s_add_i32 s10, s10, -1
	s_waitcnt lgkmcnt(0)
	v_cvt_f32_u32_e32 v4, s11
	s_sub_i32 s16, 0, s11
	s_add_u32 s8, s8, -4
	s_addc_u32 s9, s9, -1
	v_rcp_iflag_f32_e32 v4, v4
	s_cmp_gt_u32 s10, 2
	v_mul_f32_e32 v4, 0x4f7ffffe, v4
	v_cvt_u32_f32_e32 v4, v4
	v_mul_lo_u32 v6, s16, v4
	v_mul_hi_u32 v6, v4, v6
	v_add_u32_e32 v4, v4, v6
	v_mul_hi_u32 v4, v3, v4
	v_mul_lo_u32 v6, v4, s11
	v_sub_u32_e32 v6, v3, v6
	v_add_u32_e32 v7, 1, v4
	v_cmp_le_u32_e32 vcc, s11, v6
	v_cndmask_b32_e32 v4, v4, v7, vcc
	v_subrev_u32_e32 v7, s11, v6
	v_cndmask_b32_e32 v6, v6, v7, vcc
	v_add_u32_e32 v7, 1, v4
	v_cmp_le_u32_e32 vcc, s11, v6
	v_cndmask_b32_e32 v6, v4, v7, vcc
	v_mul_lo_u32 v4, v6, s11
	v_sub_u32_e32 v3, v3, v4
	v_mad_u64_u32 v[2:3], s[16:17], s15, v3, v[2:3]
	s_cbranch_scc1 .LBB16_3
.LBB16_4:
	s_load_dword s8, s[4:5], 0x6c
	s_load_dword s15, s[4:5], 0x1c0
	;; [unrolled: 1-line block ×3, first 2 shown]
	v_cmp_gt_u32_e32 vcc, s12, v1
	s_load_dword s12, s[0:1], 0xc
	s_waitcnt lgkmcnt(0)
	v_mul_lo_u32 v4, s8, v1
	s_load_dwordx2 s[8:9], s[2:3], 0x0
	v_mad_u64_u32 v[2:3], s[2:3], s10, v6, v[2:3]
	v_and_b32_e32 v3, 0x3ff, v0
	v_cmp_gt_u32_e64 s[0:1], s13, v3
	v_pk_mov_b32 v[0:1], 0, 0
	s_and_b64 s[4:5], vcc, s[0:1]
	v_mov_b32_e32 v10, 0
	v_mov_b32_e32 v8, 0
	v_pk_mov_b32 v[6:7], v[0:1], v[0:1] op_sel:[0,1]
	s_and_saveexec_b64 s[10:11], s[4:5]
	s_cbranch_execz .LBB16_6
; %bb.5:
	v_mad_u64_u32 v[6:7], s[2:3], v3, s14, v[4:5]
	v_mov_b32_e32 v7, 0
	v_lshlrev_b64 v[8:9], 2, v[6:7]
	v_mov_b32_e32 v6, s7
	v_add_co_u32_e64 v8, s[2:3], s6, v8
	v_addc_co_u32_e64 v9, s[2:3], v6, v9, s[2:3]
	v_mad_u64_u32 v[12:13], s[2:3], v3, s15, v[2:3]
	v_mov_b32_e32 v13, v7
	v_lshlrev_b64 v[6:7], 3, v[12:13]
	global_load_dword v8, v[8:9], off
	s_waitcnt lgkmcnt(0)
	v_mov_b32_e32 v9, s9
	v_add_co_u32_e64 v6, s[2:3], s8, v6
	v_addc_co_u32_e64 v7, s[2:3], v9, v7, s[2:3]
	global_load_dwordx2 v[6:7], v[6:7], off
.LBB16_6:
	s_or_b64 exec, exec, s[10:11]
	v_mov_b32_e32 v9, 0x1000
	v_lshl_add_u32 v18, v5, 7, v9
	v_mov_b32_e32 v9, 0x1800
	v_lshl_add_u32 v17, v5, 5, v9
	s_and_b32 s16, 0xffff, s12
	v_cndmask_b32_e64 v11, 0, 1, s[4:5]
	v_lshlrev_b32_e32 v15, 8, v5
	v_add_u32_e32 v5, v17, v3
	ds_write_b8 v5, v11
	v_add_u32_e32 v5, s16, v3
	v_lshl_add_u32 v9, v3, 2, v18
	v_cmp_gt_u32_e64 s[2:3], s13, v5
	s_waitcnt vmcnt(1)
	ds_write_b32 v9, v8
	v_lshl_add_u32 v8, v3, 3, v15
	s_and_b64 s[10:11], vcc, s[2:3]
	s_waitcnt vmcnt(0)
	ds_write_b64 v8, v[6:7]
	s_and_saveexec_b64 s[12:13], s[10:11]
	s_cbranch_execz .LBB16_8
; %bb.7:
	v_mad_u64_u32 v[0:1], s[4:5], v5, s14, v[4:5]
	v_mov_b32_e32 v1, 0
	v_lshlrev_b64 v[6:7], 2, v[0:1]
	v_mov_b32_e32 v0, s7
	v_add_co_u32_e64 v6, s[4:5], s6, v6
	v_addc_co_u32_e64 v7, s[4:5], v0, v7, s[4:5]
	global_load_dword v10, v[6:7], off
	v_mad_u64_u32 v[6:7], s[4:5], v5, s15, v[2:3]
	v_mov_b32_e32 v7, v1
	v_lshlrev_b64 v[0:1], 3, v[6:7]
	s_waitcnt lgkmcnt(0)
	v_mov_b32_e32 v6, s9
	v_add_co_u32_e64 v0, s[4:5], s8, v0
	v_addc_co_u32_e64 v1, s[4:5], v6, v1, s[4:5]
	global_load_dwordx2 v[0:1], v[0:1], off
.LBB16_8:
	s_or_b64 exec, exec, s[12:13]
	v_lshl_add_u32 v6, s16, 3, v8
	v_cndmask_b32_e64 v11, 0, 1, s[10:11]
	s_waitcnt vmcnt(0)
	ds_write_b64 v6, v[0:1]
	v_add_u32_e32 v0, v17, v5
	ds_write_b8 v0, v11
	v_lshlrev_b32_e32 v0, 2, v3
	v_lshl_add_u32 v7, s16, 2, v9
	v_add_u32_e32 v11, v9, v0
	ds_write_b32 v7, v10
	s_waitcnt lgkmcnt(0)
	s_barrier
	ds_read_b64 v[0:1], v11
	v_lshlrev_b32_e32 v19, 1, v3
	s_mov_b32 s16, 1
	v_add_u32_e32 v10, v17, v19
	s_waitcnt lgkmcnt(0)
	v_cmp_ge_i32_e64 s[10:11], v0, v1
	v_cmp_lt_i32_e64 s[4:5], v0, v1
	s_and_saveexec_b64 s[12:13], s[4:5]
	s_xor_b64 s[12:13], exec, s[12:13]
	s_cbranch_execz .LBB16_10
; %bb.9:
	ds_read_u8 v12, v10
	s_andn2_b64 s[10:11], s[10:11], exec
	s_waitcnt lgkmcnt(0)
	v_and_b32_e32 v12, 1, v12
	v_cmp_eq_u32_e64 s[4:5], 1, v12
	s_xor_b64 s[4:5], s[4:5], -1
	s_and_b64 s[4:5], s[4:5], exec
	s_or_b64 s[10:11], s[10:11], s[4:5]
.LBB16_10:
	s_or_b64 exec, exec, s[12:13]
	v_mov_b32_e32 v14, s16
	s_and_saveexec_b64 s[4:5], s[10:11]
	s_cbranch_execz .LBB16_12
; %bb.11:
	ds_read_u8 v12, v10 offset:1
	s_waitcnt lgkmcnt(0)
	v_xor_b32_e32 v14, 1, v12
.LBB16_12:
	s_or_b64 exec, exec, s[4:5]
	v_and_b32_e32 v13, 1, v3
	v_lshlrev_b32_e32 v12, 3, v3
	v_cmp_eq_u32_e64 s[4:5], v14, v13
	s_and_saveexec_b64 s[10:11], s[4:5]
	s_cbranch_execz .LBB16_14
; %bb.13:
	v_add_u32_e32 v14, v8, v12
	ds_read_b128 v[20:23], v14
	v_mov_b32_e32 v25, v0
	ds_read_u16 v0, v10
	v_mov_b32_e32 v24, v1
	s_mov_b32 s4, 0xc0c0001
	ds_write_b64 v11, v[24:25]
	s_waitcnt lgkmcnt(2)
	v_mov_b32_e32 v24, v20
	v_mov_b32_e32 v25, v21
	s_waitcnt lgkmcnt(1)
	v_perm_b32 v0, 0, v0, s4
	ds_write_b128 v14, v[22:25]
	ds_write_b16 v10, v0
.LBB16_14:
	s_or_b64 exec, exec, s[10:11]
	v_sub_u32_e32 v16, v19, v13
	v_lshl_add_u32 v13, v16, 2, v18
	s_waitcnt lgkmcnt(0)
	s_barrier
	ds_read2_b32 v[0:1], v13 offset1:2
	s_mov_b64 s[10:11], -1
	v_add_u32_e32 v14, v17, v16
                                        ; implicit-def: $sgpr16
	s_waitcnt lgkmcnt(0)
	v_cmp_lt_i32_e64 s[4:5], v0, v1
	s_and_saveexec_b64 s[12:13], s[4:5]
	s_xor_b64 s[12:13], exec, s[12:13]
	s_cbranch_execz .LBB16_16
; %bb.15:
	ds_read_u8 v20, v14
	s_mov_b32 s16, 1
	s_waitcnt lgkmcnt(0)
	v_and_b32_e32 v20, 1, v20
	v_cmp_eq_u32_e64 s[4:5], 1, v20
	s_xor_b64 s[4:5], s[4:5], -1
	s_orn2_b64 s[10:11], s[4:5], exec
.LBB16_16:
	s_or_b64 exec, exec, s[12:13]
	v_mov_b32_e32 v21, s16
	s_and_saveexec_b64 s[4:5], s[10:11]
	s_cbranch_execz .LBB16_18
; %bb.17:
	ds_read_u8 v20, v14 offset:2
	s_waitcnt lgkmcnt(0)
	v_xor_b32_e32 v21, 1, v20
.LBB16_18:
	s_or_b64 exec, exec, s[4:5]
	v_bfe_u32 v20, v3, 1, 1
	v_lshl_add_u32 v16, v16, 3, v15
	v_cmp_eq_u32_e64 s[4:5], v21, v20
	s_and_saveexec_b64 s[10:11], s[4:5]
	s_cbranch_execz .LBB16_20
; %bb.19:
	ds_read2_b64 v[22:25], v16 offset1:2
	ds_read_u8 v21, v14 offset:2
	ds_read_u8 v26, v14
	ds_write2_b32 v13, v1, v0 offset1:2
	s_waitcnt lgkmcnt(3)
	ds_write2_b64 v16, v[24:25], v[22:23] offset1:2
	s_waitcnt lgkmcnt(3)
	ds_write_b8 v14, v21
	s_waitcnt lgkmcnt(3)
	ds_write_b8 v14, v26 offset:2
.LBB16_20:
	s_or_b64 exec, exec, s[10:11]
	s_waitcnt lgkmcnt(0)
	s_barrier
	ds_read_b64 v[0:1], v11
                                        ; implicit-def: $sgpr16
	s_waitcnt lgkmcnt(0)
	v_cmp_ge_i32_e64 s[10:11], v0, v1
	v_cmp_lt_i32_e64 s[4:5], v0, v1
	s_and_saveexec_b64 s[12:13], s[4:5]
	s_cbranch_execnz .LBB16_87
; %bb.21:
	s_or_b64 exec, exec, s[12:13]
	v_mov_b32_e32 v21, s16
	s_and_saveexec_b64 s[4:5], s[10:11]
	s_cbranch_execnz .LBB16_88
.LBB16_22:
	s_or_b64 exec, exec, s[4:5]
	v_cmp_eq_u32_e64 s[4:5], v21, v20
	s_and_saveexec_b64 s[10:11], s[4:5]
	s_cbranch_execz .LBB16_24
.LBB16_23:
	v_add_u32_e32 v26, v8, v12
	ds_read_b128 v[20:23], v26
	v_mov_b32_e32 v25, v0
	ds_read_u16 v0, v10
	v_mov_b32_e32 v24, v1
	s_mov_b32 s4, 0xc0c0001
	ds_write_b64 v11, v[24:25]
	s_waitcnt lgkmcnt(2)
	v_mov_b32_e32 v24, v20
	v_mov_b32_e32 v25, v21
	s_waitcnt lgkmcnt(1)
	v_perm_b32 v0, 0, v0, s4
	ds_write_b128 v26, v[22:25]
	ds_write_b16 v10, v0
.LBB16_24:
	s_or_b64 exec, exec, s[10:11]
	v_and_b32_e32 v0, 3, v3
	v_sub_u32_e32 v22, v19, v0
	v_lshl_add_u32 v20, v22, 2, v18
	s_waitcnt lgkmcnt(0)
	s_barrier
	ds_read2_b32 v[0:1], v20 offset1:4
	v_add_u32_e32 v21, v17, v22
                                        ; implicit-def: $sgpr16
	s_waitcnt lgkmcnt(0)
	v_cmp_ge_i32_e64 s[10:11], v0, v1
	v_cmp_lt_i32_e64 s[4:5], v0, v1
	s_and_saveexec_b64 s[12:13], s[4:5]
	s_cbranch_execz .LBB16_26
; %bb.25:
	ds_read_u8 v23, v21
	s_andn2_b64 s[10:11], s[10:11], exec
	s_mov_b32 s16, 1
	s_waitcnt lgkmcnt(0)
	v_and_b32_e32 v23, 1, v23
	v_cmp_eq_u32_e64 s[4:5], 1, v23
	s_xor_b64 s[4:5], s[4:5], -1
	s_and_b64 s[4:5], s[4:5], exec
	s_or_b64 s[10:11], s[10:11], s[4:5]
.LBB16_26:
	s_or_b64 exec, exec, s[12:13]
	v_mov_b32_e32 v24, s16
	s_and_saveexec_b64 s[4:5], s[10:11]
	s_cbranch_execz .LBB16_28
; %bb.27:
	ds_read_u8 v23, v21 offset:4
	s_waitcnt lgkmcnt(0)
	v_xor_b32_e32 v24, 1, v23
.LBB16_28:
	s_or_b64 exec, exec, s[4:5]
	v_bfe_u32 v23, v3, 2, 1
	v_lshl_add_u32 v22, v22, 3, v15
	v_cmp_eq_u32_e64 s[4:5], v24, v23
	s_and_saveexec_b64 s[10:11], s[4:5]
	s_cbranch_execz .LBB16_30
; %bb.29:
	ds_read2_b64 v[24:27], v22 offset1:4
	ds_read_u8 v28, v21 offset:4
	ds_read_u8 v29, v21
	ds_write2_b32 v20, v1, v0 offset1:4
	s_waitcnt lgkmcnt(3)
	ds_write2_b64 v22, v[26:27], v[24:25] offset1:4
	s_waitcnt lgkmcnt(3)
	ds_write_b8 v21, v28
	s_waitcnt lgkmcnt(3)
	ds_write_b8 v21, v29 offset:4
.LBB16_30:
	s_or_b64 exec, exec, s[10:11]
	s_waitcnt lgkmcnt(0)
	s_barrier
	ds_read2_b32 v[0:1], v13 offset1:2
                                        ; implicit-def: $sgpr16
	s_waitcnt lgkmcnt(0)
	v_cmp_ge_i32_e64 s[10:11], v0, v1
	v_cmp_lt_i32_e64 s[4:5], v0, v1
	s_and_saveexec_b64 s[12:13], s[4:5]
	s_cbranch_execnz .LBB16_89
; %bb.31:
	s_or_b64 exec, exec, s[12:13]
	v_mov_b32_e32 v24, s16
	s_and_saveexec_b64 s[4:5], s[10:11]
	s_cbranch_execnz .LBB16_90
.LBB16_32:
	s_or_b64 exec, exec, s[4:5]
	v_cmp_eq_u32_e64 s[4:5], v24, v23
	s_and_saveexec_b64 s[10:11], s[4:5]
	s_cbranch_execz .LBB16_34
.LBB16_33:
	ds_read2_b64 v[24:27], v16 offset1:2
	ds_read_u8 v28, v14 offset:2
	ds_read_u8 v29, v14
	ds_write2_b32 v13, v1, v0 offset1:2
	s_waitcnt lgkmcnt(3)
	ds_write2_b64 v16, v[26:27], v[24:25] offset1:2
	s_waitcnt lgkmcnt(3)
	ds_write_b8 v14, v28
	s_waitcnt lgkmcnt(3)
	ds_write_b8 v14, v29 offset:2
.LBB16_34:
	s_or_b64 exec, exec, s[10:11]
	s_waitcnt lgkmcnt(0)
	s_barrier
	ds_read_b64 v[0:1], v11
                                        ; implicit-def: $sgpr16
	s_waitcnt lgkmcnt(0)
	v_cmp_ge_i32_e64 s[10:11], v0, v1
	v_cmp_lt_i32_e64 s[4:5], v0, v1
	s_and_saveexec_b64 s[12:13], s[4:5]
	s_cbranch_execnz .LBB16_91
; %bb.35:
	s_or_b64 exec, exec, s[12:13]
	v_mov_b32_e32 v24, s16
	s_and_saveexec_b64 s[4:5], s[10:11]
	s_cbranch_execnz .LBB16_92
.LBB16_36:
	s_or_b64 exec, exec, s[4:5]
	v_cmp_eq_u32_e64 s[4:5], v24, v23
	s_and_saveexec_b64 s[10:11], s[4:5]
	s_cbranch_execz .LBB16_38
.LBB16_37:
	v_add_u32_e32 v23, v8, v12
	ds_read_b128 v[24:27], v23
	v_mov_b32_e32 v29, v0
	ds_read_u16 v0, v10
	v_mov_b32_e32 v28, v1
	s_mov_b32 s4, 0xc0c0001
	ds_write_b64 v11, v[28:29]
	s_waitcnt lgkmcnt(2)
	v_mov_b32_e32 v28, v24
	v_mov_b32_e32 v29, v25
	s_waitcnt lgkmcnt(1)
	v_perm_b32 v0, 0, v0, s4
	ds_write_b128 v23, v[26:29]
	ds_write_b16 v10, v0
.LBB16_38:
	s_or_b64 exec, exec, s[10:11]
	v_and_b32_e32 v0, 7, v3
	v_sub_u32_e32 v25, v19, v0
	v_lshl_add_u32 v23, v25, 2, v18
	s_waitcnt lgkmcnt(0)
	s_barrier
	ds_read2_b32 v[0:1], v23 offset1:8
	v_add_u32_e32 v24, v17, v25
                                        ; implicit-def: $sgpr16
	s_waitcnt lgkmcnt(0)
	v_cmp_ge_i32_e64 s[10:11], v0, v1
	v_cmp_lt_i32_e64 s[4:5], v0, v1
	s_and_saveexec_b64 s[12:13], s[4:5]
	s_cbranch_execz .LBB16_40
; %bb.39:
	ds_read_u8 v26, v24
	s_andn2_b64 s[10:11], s[10:11], exec
	s_mov_b32 s16, 1
	s_waitcnt lgkmcnt(0)
	v_and_b32_e32 v26, 1, v26
	v_cmp_eq_u32_e64 s[4:5], 1, v26
	s_xor_b64 s[4:5], s[4:5], -1
	s_and_b64 s[4:5], s[4:5], exec
	s_or_b64 s[10:11], s[10:11], s[4:5]
.LBB16_40:
	s_or_b64 exec, exec, s[12:13]
	v_mov_b32_e32 v27, s16
	s_and_saveexec_b64 s[4:5], s[10:11]
	s_cbranch_execz .LBB16_42
; %bb.41:
	ds_read_u8 v26, v24 offset:8
	s_waitcnt lgkmcnt(0)
	v_xor_b32_e32 v27, 1, v26
.LBB16_42:
	s_or_b64 exec, exec, s[4:5]
	v_bfe_u32 v26, v3, 3, 1
	v_lshl_add_u32 v25, v25, 3, v15
	v_cmp_eq_u32_e64 s[4:5], v27, v26
	s_and_saveexec_b64 s[10:11], s[4:5]
	s_cbranch_execz .LBB16_44
; %bb.43:
	ds_read2_b64 v[28:31], v25 offset1:8
	ds_read_u8 v27, v24 offset:8
	ds_read_u8 v32, v24
	ds_write2_b32 v23, v1, v0 offset1:8
	s_waitcnt lgkmcnt(3)
	ds_write2_b64 v25, v[30:31], v[28:29] offset1:8
	s_waitcnt lgkmcnt(3)
	ds_write_b8 v24, v27
	s_waitcnt lgkmcnt(3)
	ds_write_b8 v24, v32 offset:8
.LBB16_44:
	s_or_b64 exec, exec, s[10:11]
	s_waitcnt lgkmcnt(0)
	s_barrier
	ds_read2_b32 v[0:1], v20 offset1:4
                                        ; implicit-def: $sgpr16
	s_waitcnt lgkmcnt(0)
	v_cmp_ge_i32_e64 s[10:11], v0, v1
	v_cmp_lt_i32_e64 s[4:5], v0, v1
	s_and_saveexec_b64 s[12:13], s[4:5]
	s_cbranch_execnz .LBB16_93
; %bb.45:
	s_or_b64 exec, exec, s[12:13]
	v_mov_b32_e32 v27, s16
	s_and_saveexec_b64 s[4:5], s[10:11]
	s_cbranch_execnz .LBB16_94
.LBB16_46:
	s_or_b64 exec, exec, s[4:5]
	v_cmp_eq_u32_e64 s[4:5], v27, v26
	s_and_saveexec_b64 s[10:11], s[4:5]
	s_cbranch_execz .LBB16_48
.LBB16_47:
	ds_read2_b64 v[28:31], v22 offset1:4
	ds_read_u8 v27, v21 offset:4
	ds_read_u8 v32, v21
	ds_write2_b32 v20, v1, v0 offset1:4
	s_waitcnt lgkmcnt(3)
	ds_write2_b64 v22, v[30:31], v[28:29] offset1:4
	s_waitcnt lgkmcnt(3)
	ds_write_b8 v21, v27
	s_waitcnt lgkmcnt(3)
	ds_write_b8 v21, v32 offset:4
.LBB16_48:
	s_or_b64 exec, exec, s[10:11]
	s_waitcnt lgkmcnt(0)
	s_barrier
	ds_read2_b32 v[0:1], v13 offset1:2
                                        ; implicit-def: $sgpr16
	s_waitcnt lgkmcnt(0)
	v_cmp_ge_i32_e64 s[10:11], v0, v1
	v_cmp_lt_i32_e64 s[4:5], v0, v1
	s_and_saveexec_b64 s[12:13], s[4:5]
	s_cbranch_execnz .LBB16_95
; %bb.49:
	s_or_b64 exec, exec, s[12:13]
	v_mov_b32_e32 v27, s16
	s_and_saveexec_b64 s[4:5], s[10:11]
	s_cbranch_execnz .LBB16_96
.LBB16_50:
	s_or_b64 exec, exec, s[4:5]
	v_cmp_eq_u32_e64 s[4:5], v27, v26
	s_and_saveexec_b64 s[10:11], s[4:5]
	s_cbranch_execz .LBB16_52
.LBB16_51:
	ds_read2_b64 v[28:31], v16 offset1:2
	ds_read_u8 v27, v14 offset:2
	ds_read_u8 v32, v14
	ds_write2_b32 v13, v1, v0 offset1:2
	s_waitcnt lgkmcnt(3)
	ds_write2_b64 v16, v[30:31], v[28:29] offset1:2
	s_waitcnt lgkmcnt(3)
	ds_write_b8 v14, v27
	s_waitcnt lgkmcnt(3)
	ds_write_b8 v14, v32 offset:2
.LBB16_52:
	s_or_b64 exec, exec, s[10:11]
	s_waitcnt lgkmcnt(0)
	s_barrier
	ds_read_b64 v[0:1], v11
                                        ; implicit-def: $sgpr16
	s_waitcnt lgkmcnt(0)
	v_cmp_ge_i32_e64 s[10:11], v0, v1
	v_cmp_lt_i32_e64 s[4:5], v0, v1
	s_and_saveexec_b64 s[12:13], s[4:5]
	s_cbranch_execnz .LBB16_97
; %bb.53:
	s_or_b64 exec, exec, s[12:13]
	v_mov_b32_e32 v27, s16
	s_and_saveexec_b64 s[4:5], s[10:11]
	s_cbranch_execnz .LBB16_98
.LBB16_54:
	s_or_b64 exec, exec, s[4:5]
	v_cmp_eq_u32_e64 s[4:5], v27, v26
	s_and_saveexec_b64 s[10:11], s[4:5]
	s_cbranch_execz .LBB16_56
.LBB16_55:
	v_add_u32_e32 v32, v8, v12
	ds_read_b128 v[26:29], v32
	v_mov_b32_e32 v31, v0
	ds_read_u16 v0, v10
	v_mov_b32_e32 v30, v1
	s_mov_b32 s4, 0xc0c0001
	ds_write_b64 v11, v[30:31]
	s_waitcnt lgkmcnt(2)
	v_mov_b32_e32 v30, v26
	v_mov_b32_e32 v31, v27
	s_waitcnt lgkmcnt(1)
	v_perm_b32 v0, 0, v0, s4
	ds_write_b128 v32, v[28:31]
	ds_write_b16 v10, v0
.LBB16_56:
	s_or_b64 exec, exec, s[10:11]
	v_and_b32_e32 v0, 15, v3
	v_sub_u32_e32 v19, v19, v0
	v_lshl_add_u32 v18, v19, 2, v18
	s_waitcnt lgkmcnt(0)
	s_barrier
	ds_read2_b32 v[0:1], v18 offset1:16
	v_add_u32_e32 v17, v17, v19
	s_waitcnt lgkmcnt(0)
	v_cmp_ge_i32_e64 s[12:13], v0, v1
	v_cmp_lt_i32_e64 s[4:5], v0, v1
	s_and_saveexec_b64 s[10:11], s[4:5]
	s_cbranch_execz .LBB16_58
; %bb.57:
	ds_read_u8 v26, v17
	s_andn2_b64 s[12:13], s[12:13], exec
	s_waitcnt lgkmcnt(0)
	v_and_b32_e32 v26, 1, v26
	v_cmp_eq_u32_e64 s[4:5], 1, v26
	s_xor_b64 s[4:5], s[4:5], -1
	s_and_b64 s[4:5], s[4:5], exec
	s_or_b64 s[12:13], s[12:13], s[4:5]
.LBB16_58:
	s_or_b64 exec, exec, s[10:11]
	s_and_saveexec_b64 s[10:11], s[12:13]
	s_cbranch_execz .LBB16_61
; %bb.59:
	ds_read_u8 v26, v17 offset:16
	s_waitcnt lgkmcnt(0)
	v_cmp_ne_u16_e64 s[4:5], 0, v26
	s_and_b64 exec, exec, s[4:5]
	s_cbranch_execz .LBB16_61
; %bb.60:
	v_lshl_add_u32 v15, v19, 3, v15
	ds_read2_b64 v[28:31], v15 offset1:16
	ds_read_u8 v19, v17
	ds_write2_b32 v18, v1, v0 offset1:16
	ds_write_b8 v17, v26
	s_waitcnt lgkmcnt(3)
	ds_write2_b64 v15, v[30:31], v[28:29] offset1:16
	s_waitcnt lgkmcnt(3)
	ds_write_b8 v17, v19 offset:16
.LBB16_61:
	s_or_b64 exec, exec, s[10:11]
	s_waitcnt lgkmcnt(0)
	s_barrier
	ds_read2_b32 v[0:1], v23 offset1:8
	s_waitcnt lgkmcnt(0)
	v_cmp_ge_i32_e64 s[12:13], v0, v1
	v_cmp_lt_i32_e64 s[4:5], v0, v1
	s_and_saveexec_b64 s[10:11], s[4:5]
	s_cbranch_execz .LBB16_63
; %bb.62:
	ds_read_u8 v15, v24
	s_andn2_b64 s[12:13], s[12:13], exec
	s_waitcnt lgkmcnt(0)
	v_and_b32_e32 v15, 1, v15
	v_cmp_eq_u32_e64 s[4:5], 1, v15
	s_xor_b64 s[4:5], s[4:5], -1
	s_and_b64 s[4:5], s[4:5], exec
	s_or_b64 s[12:13], s[12:13], s[4:5]
.LBB16_63:
	s_or_b64 exec, exec, s[10:11]
	s_and_saveexec_b64 s[10:11], s[12:13]
	s_cbranch_execz .LBB16_66
; %bb.64:
	ds_read_u8 v15, v24 offset:8
	s_waitcnt lgkmcnt(0)
	v_cmp_ne_u16_e64 s[4:5], 0, v15
	s_and_b64 exec, exec, s[4:5]
	s_cbranch_execz .LBB16_66
; %bb.65:
	ds_read2_b64 v[26:29], v25 offset1:8
	ds_read_u8 v17, v24
	ds_write2_b32 v23, v1, v0 offset1:8
	ds_write_b8 v24, v15
	s_waitcnt lgkmcnt(3)
	ds_write2_b64 v25, v[28:29], v[26:27] offset1:8
	s_waitcnt lgkmcnt(3)
	ds_write_b8 v24, v17 offset:8
.LBB16_66:
	s_or_b64 exec, exec, s[10:11]
	s_waitcnt lgkmcnt(0)
	s_barrier
	ds_read2_b32 v[0:1], v20 offset1:4
	s_waitcnt lgkmcnt(0)
	v_cmp_ge_i32_e64 s[12:13], v0, v1
	v_cmp_lt_i32_e64 s[4:5], v0, v1
	s_and_saveexec_b64 s[10:11], s[4:5]
	s_cbranch_execz .LBB16_68
; %bb.67:
	ds_read_u8 v15, v21
	s_andn2_b64 s[12:13], s[12:13], exec
	s_waitcnt lgkmcnt(0)
	v_and_b32_e32 v15, 1, v15
	v_cmp_eq_u32_e64 s[4:5], 1, v15
	s_xor_b64 s[4:5], s[4:5], -1
	s_and_b64 s[4:5], s[4:5], exec
	s_or_b64 s[12:13], s[12:13], s[4:5]
.LBB16_68:
	s_or_b64 exec, exec, s[10:11]
	s_and_saveexec_b64 s[10:11], s[12:13]
	s_cbranch_execz .LBB16_71
; %bb.69:
	ds_read_u8 v15, v21 offset:4
	s_waitcnt lgkmcnt(0)
	v_cmp_ne_u16_e64 s[4:5], 0, v15
	s_and_b64 exec, exec, s[4:5]
	s_cbranch_execz .LBB16_71
; %bb.70:
	ds_read2_b64 v[24:27], v22 offset1:4
	ds_read_u8 v17, v21
	ds_write2_b32 v20, v1, v0 offset1:4
	ds_write_b8 v21, v15
	s_waitcnt lgkmcnt(3)
	ds_write2_b64 v22, v[26:27], v[24:25] offset1:4
	s_waitcnt lgkmcnt(3)
	ds_write_b8 v21, v17 offset:4
.LBB16_71:
	;; [unrolled: 38-line block ×3, first 2 shown]
	s_or_b64 exec, exec, s[10:11]
	s_waitcnt lgkmcnt(0)
	s_barrier
	ds_read_b64 v[0:1], v11
	s_waitcnt lgkmcnt(0)
	v_cmp_ge_i32_e64 s[12:13], v0, v1
	v_cmp_lt_i32_e64 s[4:5], v0, v1
	s_and_saveexec_b64 s[10:11], s[4:5]
	s_cbranch_execz .LBB16_78
; %bb.77:
	ds_read_u8 v13, v10
	s_andn2_b64 s[12:13], s[12:13], exec
	s_waitcnt lgkmcnt(0)
	v_and_b32_e32 v13, 1, v13
	v_cmp_eq_u32_e64 s[4:5], 1, v13
	s_xor_b64 s[4:5], s[4:5], -1
	s_and_b64 s[4:5], s[4:5], exec
	s_or_b64 s[12:13], s[12:13], s[4:5]
.LBB16_78:
	s_or_b64 exec, exec, s[10:11]
	s_and_saveexec_b64 s[10:11], s[12:13]
	s_cbranch_execz .LBB16_81
; %bb.79:
	ds_read_u8 v13, v10 offset:1
	s_waitcnt lgkmcnt(0)
	v_cmp_ne_u16_e64 s[4:5], 0, v13
	s_and_b64 exec, exec, s[4:5]
	s_cbranch_execz .LBB16_81
; %bb.80:
	v_add_u32_e32 v12, v8, v12
	ds_read_b128 v[14:17], v12
	v_mov_b32_e32 v19, v0
	ds_read_u8 v0, v10
	v_mov_b32_e32 v18, v1
	ds_write_b64 v11, v[18:19]
	s_waitcnt lgkmcnt(2)
	v_mov_b32_e32 v18, v14
	v_mov_b32_e32 v19, v15
	s_waitcnt lgkmcnt(1)
	v_lshlrev_b16_e32 v0, 8, v0
	v_or_b32_e32 v0, v13, v0
	ds_write_b128 v12, v[16:19]
	ds_write_b16 v10, v0
.LBB16_81:
	s_or_b64 exec, exec, s[10:11]
	s_waitcnt lgkmcnt(0)
	s_barrier
	s_and_saveexec_b64 s[4:5], vcc
	s_cbranch_execz .LBB16_86
; %bb.82:
	s_and_saveexec_b64 s[4:5], s[0:1]
	s_cbranch_execz .LBB16_84
; %bb.83:
	ds_read_b32 v12, v9
	v_mad_u64_u32 v[0:1], s[0:1], v3, s14, v[4:5]
	v_mov_b32_e32 v1, 0
	v_lshlrev_b64 v[10:11], 2, v[0:1]
	v_mov_b32_e32 v0, s7
	v_add_co_u32_e32 v10, vcc, s6, v10
	v_addc_co_u32_e32 v11, vcc, v0, v11, vcc
	ds_read_b64 v[8:9], v8
	s_waitcnt lgkmcnt(1)
	global_store_dword v[10:11], v12, off
	v_mad_u64_u32 v[10:11], s[0:1], v3, s15, v[2:3]
	v_mov_b32_e32 v11, v1
	v_lshlrev_b64 v[0:1], 3, v[10:11]
	v_mov_b32_e32 v3, s9
	v_add_co_u32_e32 v0, vcc, s8, v0
	v_addc_co_u32_e32 v1, vcc, v3, v1, vcc
	s_waitcnt lgkmcnt(0)
	global_store_dwordx2 v[0:1], v[8:9], off
.LBB16_84:
	s_or_b64 exec, exec, s[4:5]
	s_and_b64 exec, exec, s[2:3]
	s_cbranch_execz .LBB16_86
; %bb.85:
	ds_read_b32 v3, v7
	v_mad_u64_u32 v[0:1], s[0:1], v5, s14, v[4:5]
	v_mov_b32_e32 v1, 0
	v_lshlrev_b64 v[8:9], 2, v[0:1]
	v_mov_b32_e32 v0, s7
	v_add_co_u32_e32 v8, vcc, s6, v8
	v_addc_co_u32_e32 v9, vcc, v0, v9, vcc
	ds_read_b64 v[6:7], v6
	s_waitcnt lgkmcnt(1)
	global_store_dword v[8:9], v3, off
	v_mad_u64_u32 v[2:3], s[0:1], v5, s15, v[2:3]
	v_mov_b32_e32 v3, v1
	v_lshlrev_b64 v[0:1], 3, v[2:3]
	v_mov_b32_e32 v2, s9
	v_add_co_u32_e32 v0, vcc, s8, v0
	v_addc_co_u32_e32 v1, vcc, v2, v1, vcc
	s_waitcnt lgkmcnt(0)
	global_store_dwordx2 v[0:1], v[6:7], off
.LBB16_86:
	s_endpgm
.LBB16_87:
	ds_read_u8 v21, v10
	s_andn2_b64 s[10:11], s[10:11], exec
	s_mov_b32 s16, 1
	s_waitcnt lgkmcnt(0)
	v_and_b32_e32 v21, 1, v21
	v_cmp_eq_u32_e64 s[4:5], 1, v21
	s_xor_b64 s[4:5], s[4:5], -1
	s_and_b64 s[4:5], s[4:5], exec
	s_or_b64 s[10:11], s[10:11], s[4:5]
	s_or_b64 exec, exec, s[12:13]
	v_mov_b32_e32 v21, s16
	s_and_saveexec_b64 s[4:5], s[10:11]
	s_cbranch_execz .LBB16_22
.LBB16_88:
	ds_read_u8 v21, v10 offset:1
	s_waitcnt lgkmcnt(0)
	v_xor_b32_e32 v21, 1, v21
	s_or_b64 exec, exec, s[4:5]
	v_cmp_eq_u32_e64 s[4:5], v21, v20
	s_and_saveexec_b64 s[10:11], s[4:5]
	s_cbranch_execnz .LBB16_23
	s_branch .LBB16_24
.LBB16_89:
	ds_read_u8 v24, v14
	s_andn2_b64 s[10:11], s[10:11], exec
	s_mov_b32 s16, 1
	s_waitcnt lgkmcnt(0)
	v_and_b32_e32 v24, 1, v24
	v_cmp_eq_u32_e64 s[4:5], 1, v24
	s_xor_b64 s[4:5], s[4:5], -1
	s_and_b64 s[4:5], s[4:5], exec
	s_or_b64 s[10:11], s[10:11], s[4:5]
	s_or_b64 exec, exec, s[12:13]
	v_mov_b32_e32 v24, s16
	s_and_saveexec_b64 s[4:5], s[10:11]
	s_cbranch_execz .LBB16_32
.LBB16_90:
	ds_read_u8 v24, v14 offset:2
	s_waitcnt lgkmcnt(0)
	v_xor_b32_e32 v24, 1, v24
	s_or_b64 exec, exec, s[4:5]
	v_cmp_eq_u32_e64 s[4:5], v24, v23
	s_and_saveexec_b64 s[10:11], s[4:5]
	s_cbranch_execnz .LBB16_33
	s_branch .LBB16_34
.LBB16_91:
	ds_read_u8 v24, v10
	s_andn2_b64 s[10:11], s[10:11], exec
	s_mov_b32 s16, 1
	s_waitcnt lgkmcnt(0)
	v_and_b32_e32 v24, 1, v24
	v_cmp_eq_u32_e64 s[4:5], 1, v24
	s_xor_b64 s[4:5], s[4:5], -1
	s_and_b64 s[4:5], s[4:5], exec
	s_or_b64 s[10:11], s[10:11], s[4:5]
	s_or_b64 exec, exec, s[12:13]
	v_mov_b32_e32 v24, s16
	s_and_saveexec_b64 s[4:5], s[10:11]
	s_cbranch_execz .LBB16_36
.LBB16_92:
	ds_read_u8 v24, v10 offset:1
	s_waitcnt lgkmcnt(0)
	v_xor_b32_e32 v24, 1, v24
	s_or_b64 exec, exec, s[4:5]
	v_cmp_eq_u32_e64 s[4:5], v24, v23
	s_and_saveexec_b64 s[10:11], s[4:5]
	s_cbranch_execnz .LBB16_37
	s_branch .LBB16_38
.LBB16_93:
	ds_read_u8 v27, v21
	s_andn2_b64 s[10:11], s[10:11], exec
	s_mov_b32 s16, 1
	s_waitcnt lgkmcnt(0)
	v_and_b32_e32 v27, 1, v27
	v_cmp_eq_u32_e64 s[4:5], 1, v27
	s_xor_b64 s[4:5], s[4:5], -1
	s_and_b64 s[4:5], s[4:5], exec
	s_or_b64 s[10:11], s[10:11], s[4:5]
	s_or_b64 exec, exec, s[12:13]
	v_mov_b32_e32 v27, s16
	s_and_saveexec_b64 s[4:5], s[10:11]
	s_cbranch_execz .LBB16_46
.LBB16_94:
	ds_read_u8 v27, v21 offset:4
	s_waitcnt lgkmcnt(0)
	v_xor_b32_e32 v27, 1, v27
	s_or_b64 exec, exec, s[4:5]
	v_cmp_eq_u32_e64 s[4:5], v27, v26
	s_and_saveexec_b64 s[10:11], s[4:5]
	s_cbranch_execnz .LBB16_47
	s_branch .LBB16_48
.LBB16_95:
	ds_read_u8 v27, v14
	s_andn2_b64 s[10:11], s[10:11], exec
	s_mov_b32 s16, 1
	s_waitcnt lgkmcnt(0)
	v_and_b32_e32 v27, 1, v27
	v_cmp_eq_u32_e64 s[4:5], 1, v27
	s_xor_b64 s[4:5], s[4:5], -1
	s_and_b64 s[4:5], s[4:5], exec
	s_or_b64 s[10:11], s[10:11], s[4:5]
	s_or_b64 exec, exec, s[12:13]
	v_mov_b32_e32 v27, s16
	s_and_saveexec_b64 s[4:5], s[10:11]
	s_cbranch_execz .LBB16_50
.LBB16_96:
	ds_read_u8 v27, v14 offset:2
	s_waitcnt lgkmcnt(0)
	v_xor_b32_e32 v27, 1, v27
	s_or_b64 exec, exec, s[4:5]
	v_cmp_eq_u32_e64 s[4:5], v27, v26
	s_and_saveexec_b64 s[10:11], s[4:5]
	s_cbranch_execnz .LBB16_51
	s_branch .LBB16_52
.LBB16_97:
	ds_read_u8 v27, v10
	s_andn2_b64 s[10:11], s[10:11], exec
	s_mov_b32 s16, 1
	s_waitcnt lgkmcnt(0)
	v_and_b32_e32 v27, 1, v27
	v_cmp_eq_u32_e64 s[4:5], 1, v27
	s_xor_b64 s[4:5], s[4:5], -1
	s_and_b64 s[4:5], s[4:5], exec
	s_or_b64 s[10:11], s[10:11], s[4:5]
	s_or_b64 exec, exec, s[12:13]
	v_mov_b32_e32 v27, s16
	s_and_saveexec_b64 s[4:5], s[10:11]
	s_cbranch_execz .LBB16_54
.LBB16_98:
	ds_read_u8 v27, v10 offset:1
	s_waitcnt lgkmcnt(0)
	v_xor_b32_e32 v27, 1, v27
	s_or_b64 exec, exec, s[4:5]
	v_cmp_eq_u32_e64 s[4:5], v27, v26
	s_and_saveexec_b64 s[10:11], s[4:5]
	s_cbranch_execnz .LBB16_55
	s_branch .LBB16_56
	.section	.rodata,"a",@progbits
	.p2align	6, 0x0
	.amdhsa_kernel _ZN2at6native20bitonicSortKVInPlaceILin2ELin1ELi16ELi16EilNS0_4LTOpIiLb1EEEjEEvNS_4cuda6detail10TensorInfoIT3_T6_EES8_S8_S8_NS6_IT4_S8_EES8_T5_
		.amdhsa_group_segment_fixed_size 6656
		.amdhsa_private_segment_fixed_size 0
		.amdhsa_kernarg_size 712
		.amdhsa_user_sgpr_count 6
		.amdhsa_user_sgpr_private_segment_buffer 1
		.amdhsa_user_sgpr_dispatch_ptr 0
		.amdhsa_user_sgpr_queue_ptr 0
		.amdhsa_user_sgpr_kernarg_segment_ptr 1
		.amdhsa_user_sgpr_dispatch_id 0
		.amdhsa_user_sgpr_flat_scratch_init 0
		.amdhsa_user_sgpr_kernarg_preload_length 0
		.amdhsa_user_sgpr_kernarg_preload_offset 0
		.amdhsa_user_sgpr_private_segment_size 0
		.amdhsa_uses_dynamic_stack 0
		.amdhsa_system_sgpr_private_segment_wavefront_offset 0
		.amdhsa_system_sgpr_workgroup_id_x 1
		.amdhsa_system_sgpr_workgroup_id_y 1
		.amdhsa_system_sgpr_workgroup_id_z 1
		.amdhsa_system_sgpr_workgroup_info 0
		.amdhsa_system_vgpr_workitem_id 1
		.amdhsa_next_free_vgpr 33
		.amdhsa_next_free_sgpr 18
		.amdhsa_accum_offset 36
		.amdhsa_reserve_vcc 1
		.amdhsa_reserve_flat_scratch 0
		.amdhsa_float_round_mode_32 0
		.amdhsa_float_round_mode_16_64 0
		.amdhsa_float_denorm_mode_32 3
		.amdhsa_float_denorm_mode_16_64 3
		.amdhsa_dx10_clamp 1
		.amdhsa_ieee_mode 1
		.amdhsa_fp16_overflow 0
		.amdhsa_tg_split 0
		.amdhsa_exception_fp_ieee_invalid_op 0
		.amdhsa_exception_fp_denorm_src 0
		.amdhsa_exception_fp_ieee_div_zero 0
		.amdhsa_exception_fp_ieee_overflow 0
		.amdhsa_exception_fp_ieee_underflow 0
		.amdhsa_exception_fp_ieee_inexact 0
		.amdhsa_exception_int_div_zero 0
	.end_amdhsa_kernel
	.section	.text._ZN2at6native20bitonicSortKVInPlaceILin2ELin1ELi16ELi16EilNS0_4LTOpIiLb1EEEjEEvNS_4cuda6detail10TensorInfoIT3_T6_EES8_S8_S8_NS6_IT4_S8_EES8_T5_,"axG",@progbits,_ZN2at6native20bitonicSortKVInPlaceILin2ELin1ELi16ELi16EilNS0_4LTOpIiLb1EEEjEEvNS_4cuda6detail10TensorInfoIT3_T6_EES8_S8_S8_NS6_IT4_S8_EES8_T5_,comdat
.Lfunc_end16:
	.size	_ZN2at6native20bitonicSortKVInPlaceILin2ELin1ELi16ELi16EilNS0_4LTOpIiLb1EEEjEEvNS_4cuda6detail10TensorInfoIT3_T6_EES8_S8_S8_NS6_IT4_S8_EES8_T5_, .Lfunc_end16-_ZN2at6native20bitonicSortKVInPlaceILin2ELin1ELi16ELi16EilNS0_4LTOpIiLb1EEEjEEvNS_4cuda6detail10TensorInfoIT3_T6_EES8_S8_S8_NS6_IT4_S8_EES8_T5_
                                        ; -- End function
	.section	.AMDGPU.csdata,"",@progbits
; Kernel info:
; codeLenInByte = 4604
; NumSgprs: 22
; NumVgprs: 33
; NumAgprs: 0
; TotalNumVgprs: 33
; ScratchSize: 0
; MemoryBound: 0
; FloatMode: 240
; IeeeMode: 1
; LDSByteSize: 6656 bytes/workgroup (compile time only)
; SGPRBlocks: 2
; VGPRBlocks: 4
; NumSGPRsForWavesPerEU: 22
; NumVGPRsForWavesPerEU: 33
; AccumOffset: 36
; Occupancy: 8
; WaveLimiterHint : 1
; COMPUTE_PGM_RSRC2:SCRATCH_EN: 0
; COMPUTE_PGM_RSRC2:USER_SGPR: 6
; COMPUTE_PGM_RSRC2:TRAP_HANDLER: 0
; COMPUTE_PGM_RSRC2:TGID_X_EN: 1
; COMPUTE_PGM_RSRC2:TGID_Y_EN: 1
; COMPUTE_PGM_RSRC2:TGID_Z_EN: 1
; COMPUTE_PGM_RSRC2:TIDIG_COMP_CNT: 1
; COMPUTE_PGM_RSRC3_GFX90A:ACCUM_OFFSET: 8
; COMPUTE_PGM_RSRC3_GFX90A:TG_SPLIT: 0
	.section	.text._ZN2at6native20bitonicSortKVInPlaceILin2ELin1ELi16ELi16EilNS0_4GTOpIiLb1EEEjEEvNS_4cuda6detail10TensorInfoIT3_T6_EES8_S8_S8_NS6_IT4_S8_EES8_T5_,"axG",@progbits,_ZN2at6native20bitonicSortKVInPlaceILin2ELin1ELi16ELi16EilNS0_4GTOpIiLb1EEEjEEvNS_4cuda6detail10TensorInfoIT3_T6_EES8_S8_S8_NS6_IT4_S8_EES8_T5_,comdat
	.protected	_ZN2at6native20bitonicSortKVInPlaceILin2ELin1ELi16ELi16EilNS0_4GTOpIiLb1EEEjEEvNS_4cuda6detail10TensorInfoIT3_T6_EES8_S8_S8_NS6_IT4_S8_EES8_T5_ ; -- Begin function _ZN2at6native20bitonicSortKVInPlaceILin2ELin1ELi16ELi16EilNS0_4GTOpIiLb1EEEjEEvNS_4cuda6detail10TensorInfoIT3_T6_EES8_S8_S8_NS6_IT4_S8_EES8_T5_
	.globl	_ZN2at6native20bitonicSortKVInPlaceILin2ELin1ELi16ELi16EilNS0_4GTOpIiLb1EEEjEEvNS_4cuda6detail10TensorInfoIT3_T6_EES8_S8_S8_NS6_IT4_S8_EES8_T5_
	.p2align	8
	.type	_ZN2at6native20bitonicSortKVInPlaceILin2ELin1ELi16ELi16EilNS0_4GTOpIiLb1EEEjEEvNS_4cuda6detail10TensorInfoIT3_T6_EES8_S8_S8_NS6_IT4_S8_EES8_T5_,@function
_ZN2at6native20bitonicSortKVInPlaceILin2ELin1ELi16ELi16EilNS0_4GTOpIiLb1EEEjEEvNS_4cuda6detail10TensorInfoIT3_T6_EES8_S8_S8_NS6_IT4_S8_EES8_T5_: ; @_ZN2at6native20bitonicSortKVInPlaceILin2ELin1ELi16ELi16EilNS0_4GTOpIiLb1EEEjEEvNS_4cuda6detail10TensorInfoIT3_T6_EES8_S8_S8_NS6_IT4_S8_EES8_T5_
; %bb.0:
	s_load_dwordx2 s[2:3], s[4:5], 0x1c8
	s_load_dwordx4 s[12:15], s[4:5], 0xd8
	s_load_dword s9, s[4:5], 0x1d4
	s_add_u32 s0, s4, 0x1c8
	s_addc_u32 s1, s5, 0
	s_waitcnt lgkmcnt(0)
	s_mul_i32 s3, s3, s8
	s_add_i32 s3, s3, s7
	s_mul_i32 s2, s3, s2
	s_add_i32 s8, s2, s6
	s_lshr_b32 s2, s9, 16
	s_mul_i32 s8, s8, s2
	s_cmp_ge_u32 s8, s12
	s_cbranch_scc1 .LBB17_86
; %bb.1:
	s_load_dwordx2 s[6:7], s[4:5], 0x0
	s_load_dword s9, s[4:5], 0x1b8
	s_add_u32 s2, s4, 0xe8
	v_bfe_u32 v5, v0, 10, 10
	s_addc_u32 s3, s5, 0
	v_add_u32_e32 v1, s8, v5
	s_waitcnt lgkmcnt(0)
	s_cmp_lt_i32 s9, 2
	v_mov_b32_e32 v2, 0
	v_mov_b32_e32 v6, v1
	s_cbranch_scc1 .LBB17_4
; %bb.2:
	s_add_i32 s10, s9, 1
	s_add_i32 s8, s9, -1
	s_mov_b32 s9, 0
	s_lshl_b64 s[8:9], s[8:9], 2
	s_add_u32 s8, s8, s2
	s_addc_u32 s9, s9, s3
	s_add_u32 s8, s8, 8
	s_addc_u32 s9, s9, 0
	v_mov_b32_e32 v2, 0
	v_mov_b32_e32 v6, v1
.LBB17_3:                               ; =>This Inner Loop Header: Depth=1
	s_load_dword s11, s[8:9], 0x0
	s_load_dword s15, s[8:9], 0x64
	v_mov_b32_e32 v3, v6
	s_add_i32 s10, s10, -1
	s_waitcnt lgkmcnt(0)
	v_cvt_f32_u32_e32 v4, s11
	s_sub_i32 s16, 0, s11
	s_add_u32 s8, s8, -4
	s_addc_u32 s9, s9, -1
	v_rcp_iflag_f32_e32 v4, v4
	s_cmp_gt_u32 s10, 2
	v_mul_f32_e32 v4, 0x4f7ffffe, v4
	v_cvt_u32_f32_e32 v4, v4
	v_mul_lo_u32 v6, s16, v4
	v_mul_hi_u32 v6, v4, v6
	v_add_u32_e32 v4, v4, v6
	v_mul_hi_u32 v4, v3, v4
	v_mul_lo_u32 v6, v4, s11
	v_sub_u32_e32 v6, v3, v6
	v_add_u32_e32 v7, 1, v4
	v_cmp_le_u32_e32 vcc, s11, v6
	v_cndmask_b32_e32 v4, v4, v7, vcc
	v_subrev_u32_e32 v7, s11, v6
	v_cndmask_b32_e32 v6, v6, v7, vcc
	v_add_u32_e32 v7, 1, v4
	v_cmp_le_u32_e32 vcc, s11, v6
	v_cndmask_b32_e32 v6, v4, v7, vcc
	v_mul_lo_u32 v4, v6, s11
	v_sub_u32_e32 v3, v3, v4
	v_mad_u64_u32 v[2:3], s[16:17], s15, v3, v[2:3]
	s_cbranch_scc1 .LBB17_3
.LBB17_4:
	s_load_dword s8, s[4:5], 0x6c
	s_load_dword s15, s[4:5], 0x1c0
	;; [unrolled: 1-line block ×3, first 2 shown]
	v_cmp_gt_u32_e32 vcc, s12, v1
	s_load_dword s12, s[0:1], 0xc
	s_waitcnt lgkmcnt(0)
	v_mul_lo_u32 v4, s8, v1
	s_load_dwordx2 s[8:9], s[2:3], 0x0
	v_mad_u64_u32 v[2:3], s[2:3], s10, v6, v[2:3]
	v_and_b32_e32 v3, 0x3ff, v0
	v_cmp_gt_u32_e64 s[0:1], s13, v3
	v_pk_mov_b32 v[0:1], 0, 0
	s_and_b64 s[4:5], vcc, s[0:1]
	v_mov_b32_e32 v10, 0
	v_mov_b32_e32 v8, 0
	v_pk_mov_b32 v[6:7], v[0:1], v[0:1] op_sel:[0,1]
	s_and_saveexec_b64 s[10:11], s[4:5]
	s_cbranch_execz .LBB17_6
; %bb.5:
	v_mad_u64_u32 v[6:7], s[2:3], v3, s14, v[4:5]
	v_mov_b32_e32 v7, 0
	v_lshlrev_b64 v[8:9], 2, v[6:7]
	v_mov_b32_e32 v6, s7
	v_add_co_u32_e64 v8, s[2:3], s6, v8
	v_addc_co_u32_e64 v9, s[2:3], v6, v9, s[2:3]
	v_mad_u64_u32 v[12:13], s[2:3], v3, s15, v[2:3]
	v_mov_b32_e32 v13, v7
	v_lshlrev_b64 v[6:7], 3, v[12:13]
	global_load_dword v8, v[8:9], off
	s_waitcnt lgkmcnt(0)
	v_mov_b32_e32 v9, s9
	v_add_co_u32_e64 v6, s[2:3], s8, v6
	v_addc_co_u32_e64 v7, s[2:3], v9, v7, s[2:3]
	global_load_dwordx2 v[6:7], v[6:7], off
.LBB17_6:
	s_or_b64 exec, exec, s[10:11]
	v_mov_b32_e32 v9, 0x1000
	v_lshl_add_u32 v18, v5, 7, v9
	v_mov_b32_e32 v9, 0x1800
	v_lshl_add_u32 v17, v5, 5, v9
	s_and_b32 s16, 0xffff, s12
	v_cndmask_b32_e64 v11, 0, 1, s[4:5]
	v_lshlrev_b32_e32 v15, 8, v5
	v_add_u32_e32 v5, v17, v3
	ds_write_b8 v5, v11
	v_add_u32_e32 v5, s16, v3
	v_lshl_add_u32 v9, v3, 2, v18
	v_cmp_gt_u32_e64 s[2:3], s13, v5
	s_waitcnt vmcnt(1)
	ds_write_b32 v9, v8
	v_lshl_add_u32 v8, v3, 3, v15
	s_and_b64 s[10:11], vcc, s[2:3]
	s_waitcnt vmcnt(0)
	ds_write_b64 v8, v[6:7]
	s_and_saveexec_b64 s[12:13], s[10:11]
	s_cbranch_execz .LBB17_8
; %bb.7:
	v_mad_u64_u32 v[0:1], s[4:5], v5, s14, v[4:5]
	v_mov_b32_e32 v1, 0
	v_lshlrev_b64 v[6:7], 2, v[0:1]
	v_mov_b32_e32 v0, s7
	v_add_co_u32_e64 v6, s[4:5], s6, v6
	v_addc_co_u32_e64 v7, s[4:5], v0, v7, s[4:5]
	global_load_dword v10, v[6:7], off
	v_mad_u64_u32 v[6:7], s[4:5], v5, s15, v[2:3]
	v_mov_b32_e32 v7, v1
	v_lshlrev_b64 v[0:1], 3, v[6:7]
	s_waitcnt lgkmcnt(0)
	v_mov_b32_e32 v6, s9
	v_add_co_u32_e64 v0, s[4:5], s8, v0
	v_addc_co_u32_e64 v1, s[4:5], v6, v1, s[4:5]
	global_load_dwordx2 v[0:1], v[0:1], off
.LBB17_8:
	s_or_b64 exec, exec, s[12:13]
	v_lshl_add_u32 v6, s16, 3, v8
	v_cndmask_b32_e64 v11, 0, 1, s[10:11]
	s_waitcnt vmcnt(0)
	ds_write_b64 v6, v[0:1]
	v_add_u32_e32 v0, v17, v5
	ds_write_b8 v0, v11
	v_lshlrev_b32_e32 v0, 2, v3
	v_lshl_add_u32 v7, s16, 2, v9
	v_add_u32_e32 v11, v9, v0
	ds_write_b32 v7, v10
	s_waitcnt lgkmcnt(0)
	s_barrier
	ds_read_b64 v[0:1], v11
	v_lshlrev_b32_e32 v19, 1, v3
	s_mov_b32 s16, 1
	v_add_u32_e32 v10, v17, v19
	s_waitcnt lgkmcnt(0)
	v_cmp_le_i32_e64 s[10:11], v0, v1
	v_cmp_gt_i32_e64 s[4:5], v0, v1
	s_and_saveexec_b64 s[12:13], s[4:5]
	s_xor_b64 s[12:13], exec, s[12:13]
	s_cbranch_execz .LBB17_10
; %bb.9:
	ds_read_u8 v12, v10
	s_andn2_b64 s[10:11], s[10:11], exec
	s_waitcnt lgkmcnt(0)
	v_and_b32_e32 v12, 1, v12
	v_cmp_eq_u32_e64 s[4:5], 1, v12
	s_xor_b64 s[4:5], s[4:5], -1
	s_and_b64 s[4:5], s[4:5], exec
	s_or_b64 s[10:11], s[10:11], s[4:5]
.LBB17_10:
	s_or_b64 exec, exec, s[12:13]
	v_mov_b32_e32 v14, s16
	s_and_saveexec_b64 s[4:5], s[10:11]
	s_cbranch_execz .LBB17_12
; %bb.11:
	ds_read_u8 v12, v10 offset:1
	s_waitcnt lgkmcnt(0)
	v_xor_b32_e32 v14, 1, v12
.LBB17_12:
	s_or_b64 exec, exec, s[4:5]
	v_and_b32_e32 v13, 1, v3
	v_lshlrev_b32_e32 v12, 3, v3
	v_cmp_eq_u32_e64 s[4:5], v14, v13
	s_and_saveexec_b64 s[10:11], s[4:5]
	s_cbranch_execz .LBB17_14
; %bb.13:
	v_add_u32_e32 v14, v8, v12
	ds_read_b128 v[20:23], v14
	v_mov_b32_e32 v25, v0
	ds_read_u16 v0, v10
	v_mov_b32_e32 v24, v1
	s_mov_b32 s4, 0xc0c0001
	ds_write_b64 v11, v[24:25]
	s_waitcnt lgkmcnt(2)
	v_mov_b32_e32 v24, v20
	v_mov_b32_e32 v25, v21
	s_waitcnt lgkmcnt(1)
	v_perm_b32 v0, 0, v0, s4
	ds_write_b128 v14, v[22:25]
	ds_write_b16 v10, v0
.LBB17_14:
	s_or_b64 exec, exec, s[10:11]
	v_sub_u32_e32 v16, v19, v13
	v_lshl_add_u32 v13, v16, 2, v18
	s_waitcnt lgkmcnt(0)
	s_barrier
	ds_read2_b32 v[0:1], v13 offset1:2
	s_mov_b64 s[10:11], -1
	v_add_u32_e32 v14, v17, v16
                                        ; implicit-def: $sgpr16
	s_waitcnt lgkmcnt(0)
	v_cmp_gt_i32_e64 s[4:5], v0, v1
	s_and_saveexec_b64 s[12:13], s[4:5]
	s_xor_b64 s[12:13], exec, s[12:13]
	s_cbranch_execz .LBB17_16
; %bb.15:
	ds_read_u8 v20, v14
	s_mov_b32 s16, 1
	s_waitcnt lgkmcnt(0)
	v_and_b32_e32 v20, 1, v20
	v_cmp_eq_u32_e64 s[4:5], 1, v20
	s_xor_b64 s[4:5], s[4:5], -1
	s_orn2_b64 s[10:11], s[4:5], exec
.LBB17_16:
	s_or_b64 exec, exec, s[12:13]
	v_mov_b32_e32 v21, s16
	s_and_saveexec_b64 s[4:5], s[10:11]
	s_cbranch_execz .LBB17_18
; %bb.17:
	ds_read_u8 v20, v14 offset:2
	s_waitcnt lgkmcnt(0)
	v_xor_b32_e32 v21, 1, v20
.LBB17_18:
	s_or_b64 exec, exec, s[4:5]
	v_bfe_u32 v20, v3, 1, 1
	v_lshl_add_u32 v16, v16, 3, v15
	v_cmp_eq_u32_e64 s[4:5], v21, v20
	s_and_saveexec_b64 s[10:11], s[4:5]
	s_cbranch_execz .LBB17_20
; %bb.19:
	ds_read2_b64 v[22:25], v16 offset1:2
	ds_read_u8 v21, v14 offset:2
	ds_read_u8 v26, v14
	ds_write2_b32 v13, v1, v0 offset1:2
	s_waitcnt lgkmcnt(3)
	ds_write2_b64 v16, v[24:25], v[22:23] offset1:2
	s_waitcnt lgkmcnt(3)
	ds_write_b8 v14, v21
	s_waitcnt lgkmcnt(3)
	ds_write_b8 v14, v26 offset:2
.LBB17_20:
	s_or_b64 exec, exec, s[10:11]
	s_waitcnt lgkmcnt(0)
	s_barrier
	ds_read_b64 v[0:1], v11
                                        ; implicit-def: $sgpr16
	s_waitcnt lgkmcnt(0)
	v_cmp_le_i32_e64 s[10:11], v0, v1
	v_cmp_gt_i32_e64 s[4:5], v0, v1
	s_and_saveexec_b64 s[12:13], s[4:5]
	s_cbranch_execnz .LBB17_87
; %bb.21:
	s_or_b64 exec, exec, s[12:13]
	v_mov_b32_e32 v21, s16
	s_and_saveexec_b64 s[4:5], s[10:11]
	s_cbranch_execnz .LBB17_88
.LBB17_22:
	s_or_b64 exec, exec, s[4:5]
	v_cmp_eq_u32_e64 s[4:5], v21, v20
	s_and_saveexec_b64 s[10:11], s[4:5]
	s_cbranch_execz .LBB17_24
.LBB17_23:
	v_add_u32_e32 v26, v8, v12
	ds_read_b128 v[20:23], v26
	v_mov_b32_e32 v25, v0
	ds_read_u16 v0, v10
	v_mov_b32_e32 v24, v1
	s_mov_b32 s4, 0xc0c0001
	ds_write_b64 v11, v[24:25]
	s_waitcnt lgkmcnt(2)
	v_mov_b32_e32 v24, v20
	v_mov_b32_e32 v25, v21
	s_waitcnt lgkmcnt(1)
	v_perm_b32 v0, 0, v0, s4
	ds_write_b128 v26, v[22:25]
	ds_write_b16 v10, v0
.LBB17_24:
	s_or_b64 exec, exec, s[10:11]
	v_and_b32_e32 v0, 3, v3
	v_sub_u32_e32 v22, v19, v0
	v_lshl_add_u32 v20, v22, 2, v18
	s_waitcnt lgkmcnt(0)
	s_barrier
	ds_read2_b32 v[0:1], v20 offset1:4
	v_add_u32_e32 v21, v17, v22
                                        ; implicit-def: $sgpr16
	s_waitcnt lgkmcnt(0)
	v_cmp_le_i32_e64 s[10:11], v0, v1
	v_cmp_gt_i32_e64 s[4:5], v0, v1
	s_and_saveexec_b64 s[12:13], s[4:5]
	s_cbranch_execz .LBB17_26
; %bb.25:
	ds_read_u8 v23, v21
	s_andn2_b64 s[10:11], s[10:11], exec
	s_mov_b32 s16, 1
	s_waitcnt lgkmcnt(0)
	v_and_b32_e32 v23, 1, v23
	v_cmp_eq_u32_e64 s[4:5], 1, v23
	s_xor_b64 s[4:5], s[4:5], -1
	s_and_b64 s[4:5], s[4:5], exec
	s_or_b64 s[10:11], s[10:11], s[4:5]
.LBB17_26:
	s_or_b64 exec, exec, s[12:13]
	v_mov_b32_e32 v24, s16
	s_and_saveexec_b64 s[4:5], s[10:11]
	s_cbranch_execz .LBB17_28
; %bb.27:
	ds_read_u8 v23, v21 offset:4
	s_waitcnt lgkmcnt(0)
	v_xor_b32_e32 v24, 1, v23
.LBB17_28:
	s_or_b64 exec, exec, s[4:5]
	v_bfe_u32 v23, v3, 2, 1
	v_lshl_add_u32 v22, v22, 3, v15
	v_cmp_eq_u32_e64 s[4:5], v24, v23
	s_and_saveexec_b64 s[10:11], s[4:5]
	s_cbranch_execz .LBB17_30
; %bb.29:
	ds_read2_b64 v[24:27], v22 offset1:4
	ds_read_u8 v28, v21 offset:4
	ds_read_u8 v29, v21
	ds_write2_b32 v20, v1, v0 offset1:4
	s_waitcnt lgkmcnt(3)
	ds_write2_b64 v22, v[26:27], v[24:25] offset1:4
	s_waitcnt lgkmcnt(3)
	ds_write_b8 v21, v28
	s_waitcnt lgkmcnt(3)
	ds_write_b8 v21, v29 offset:4
.LBB17_30:
	s_or_b64 exec, exec, s[10:11]
	s_waitcnt lgkmcnt(0)
	s_barrier
	ds_read2_b32 v[0:1], v13 offset1:2
                                        ; implicit-def: $sgpr16
	s_waitcnt lgkmcnt(0)
	v_cmp_le_i32_e64 s[10:11], v0, v1
	v_cmp_gt_i32_e64 s[4:5], v0, v1
	s_and_saveexec_b64 s[12:13], s[4:5]
	s_cbranch_execnz .LBB17_89
; %bb.31:
	s_or_b64 exec, exec, s[12:13]
	v_mov_b32_e32 v24, s16
	s_and_saveexec_b64 s[4:5], s[10:11]
	s_cbranch_execnz .LBB17_90
.LBB17_32:
	s_or_b64 exec, exec, s[4:5]
	v_cmp_eq_u32_e64 s[4:5], v24, v23
	s_and_saveexec_b64 s[10:11], s[4:5]
	s_cbranch_execz .LBB17_34
.LBB17_33:
	ds_read2_b64 v[24:27], v16 offset1:2
	ds_read_u8 v28, v14 offset:2
	ds_read_u8 v29, v14
	ds_write2_b32 v13, v1, v0 offset1:2
	s_waitcnt lgkmcnt(3)
	ds_write2_b64 v16, v[26:27], v[24:25] offset1:2
	s_waitcnt lgkmcnt(3)
	ds_write_b8 v14, v28
	s_waitcnt lgkmcnt(3)
	ds_write_b8 v14, v29 offset:2
.LBB17_34:
	s_or_b64 exec, exec, s[10:11]
	s_waitcnt lgkmcnt(0)
	s_barrier
	ds_read_b64 v[0:1], v11
                                        ; implicit-def: $sgpr16
	s_waitcnt lgkmcnt(0)
	v_cmp_le_i32_e64 s[10:11], v0, v1
	v_cmp_gt_i32_e64 s[4:5], v0, v1
	s_and_saveexec_b64 s[12:13], s[4:5]
	s_cbranch_execnz .LBB17_91
; %bb.35:
	s_or_b64 exec, exec, s[12:13]
	v_mov_b32_e32 v24, s16
	s_and_saveexec_b64 s[4:5], s[10:11]
	s_cbranch_execnz .LBB17_92
.LBB17_36:
	s_or_b64 exec, exec, s[4:5]
	v_cmp_eq_u32_e64 s[4:5], v24, v23
	s_and_saveexec_b64 s[10:11], s[4:5]
	s_cbranch_execz .LBB17_38
.LBB17_37:
	v_add_u32_e32 v23, v8, v12
	ds_read_b128 v[24:27], v23
	v_mov_b32_e32 v29, v0
	ds_read_u16 v0, v10
	v_mov_b32_e32 v28, v1
	s_mov_b32 s4, 0xc0c0001
	ds_write_b64 v11, v[28:29]
	s_waitcnt lgkmcnt(2)
	v_mov_b32_e32 v28, v24
	v_mov_b32_e32 v29, v25
	s_waitcnt lgkmcnt(1)
	v_perm_b32 v0, 0, v0, s4
	ds_write_b128 v23, v[26:29]
	ds_write_b16 v10, v0
.LBB17_38:
	s_or_b64 exec, exec, s[10:11]
	v_and_b32_e32 v0, 7, v3
	v_sub_u32_e32 v25, v19, v0
	v_lshl_add_u32 v23, v25, 2, v18
	s_waitcnt lgkmcnt(0)
	s_barrier
	ds_read2_b32 v[0:1], v23 offset1:8
	v_add_u32_e32 v24, v17, v25
                                        ; implicit-def: $sgpr16
	s_waitcnt lgkmcnt(0)
	v_cmp_le_i32_e64 s[10:11], v0, v1
	v_cmp_gt_i32_e64 s[4:5], v0, v1
	s_and_saveexec_b64 s[12:13], s[4:5]
	s_cbranch_execz .LBB17_40
; %bb.39:
	ds_read_u8 v26, v24
	s_andn2_b64 s[10:11], s[10:11], exec
	s_mov_b32 s16, 1
	s_waitcnt lgkmcnt(0)
	v_and_b32_e32 v26, 1, v26
	v_cmp_eq_u32_e64 s[4:5], 1, v26
	s_xor_b64 s[4:5], s[4:5], -1
	s_and_b64 s[4:5], s[4:5], exec
	s_or_b64 s[10:11], s[10:11], s[4:5]
.LBB17_40:
	s_or_b64 exec, exec, s[12:13]
	v_mov_b32_e32 v27, s16
	s_and_saveexec_b64 s[4:5], s[10:11]
	s_cbranch_execz .LBB17_42
; %bb.41:
	ds_read_u8 v26, v24 offset:8
	s_waitcnt lgkmcnt(0)
	v_xor_b32_e32 v27, 1, v26
.LBB17_42:
	s_or_b64 exec, exec, s[4:5]
	v_bfe_u32 v26, v3, 3, 1
	v_lshl_add_u32 v25, v25, 3, v15
	v_cmp_eq_u32_e64 s[4:5], v27, v26
	s_and_saveexec_b64 s[10:11], s[4:5]
	s_cbranch_execz .LBB17_44
; %bb.43:
	ds_read2_b64 v[28:31], v25 offset1:8
	ds_read_u8 v27, v24 offset:8
	ds_read_u8 v32, v24
	ds_write2_b32 v23, v1, v0 offset1:8
	s_waitcnt lgkmcnt(3)
	ds_write2_b64 v25, v[30:31], v[28:29] offset1:8
	s_waitcnt lgkmcnt(3)
	ds_write_b8 v24, v27
	s_waitcnt lgkmcnt(3)
	ds_write_b8 v24, v32 offset:8
.LBB17_44:
	s_or_b64 exec, exec, s[10:11]
	s_waitcnt lgkmcnt(0)
	s_barrier
	ds_read2_b32 v[0:1], v20 offset1:4
                                        ; implicit-def: $sgpr16
	s_waitcnt lgkmcnt(0)
	v_cmp_le_i32_e64 s[10:11], v0, v1
	v_cmp_gt_i32_e64 s[4:5], v0, v1
	s_and_saveexec_b64 s[12:13], s[4:5]
	s_cbranch_execnz .LBB17_93
; %bb.45:
	s_or_b64 exec, exec, s[12:13]
	v_mov_b32_e32 v27, s16
	s_and_saveexec_b64 s[4:5], s[10:11]
	s_cbranch_execnz .LBB17_94
.LBB17_46:
	s_or_b64 exec, exec, s[4:5]
	v_cmp_eq_u32_e64 s[4:5], v27, v26
	s_and_saveexec_b64 s[10:11], s[4:5]
	s_cbranch_execz .LBB17_48
.LBB17_47:
	ds_read2_b64 v[28:31], v22 offset1:4
	ds_read_u8 v27, v21 offset:4
	ds_read_u8 v32, v21
	ds_write2_b32 v20, v1, v0 offset1:4
	s_waitcnt lgkmcnt(3)
	ds_write2_b64 v22, v[30:31], v[28:29] offset1:4
	s_waitcnt lgkmcnt(3)
	ds_write_b8 v21, v27
	s_waitcnt lgkmcnt(3)
	ds_write_b8 v21, v32 offset:4
.LBB17_48:
	s_or_b64 exec, exec, s[10:11]
	s_waitcnt lgkmcnt(0)
	s_barrier
	ds_read2_b32 v[0:1], v13 offset1:2
                                        ; implicit-def: $sgpr16
	s_waitcnt lgkmcnt(0)
	v_cmp_le_i32_e64 s[10:11], v0, v1
	v_cmp_gt_i32_e64 s[4:5], v0, v1
	s_and_saveexec_b64 s[12:13], s[4:5]
	s_cbranch_execnz .LBB17_95
; %bb.49:
	s_or_b64 exec, exec, s[12:13]
	v_mov_b32_e32 v27, s16
	s_and_saveexec_b64 s[4:5], s[10:11]
	s_cbranch_execnz .LBB17_96
.LBB17_50:
	s_or_b64 exec, exec, s[4:5]
	v_cmp_eq_u32_e64 s[4:5], v27, v26
	s_and_saveexec_b64 s[10:11], s[4:5]
	s_cbranch_execz .LBB17_52
.LBB17_51:
	ds_read2_b64 v[28:31], v16 offset1:2
	ds_read_u8 v27, v14 offset:2
	ds_read_u8 v32, v14
	ds_write2_b32 v13, v1, v0 offset1:2
	s_waitcnt lgkmcnt(3)
	ds_write2_b64 v16, v[30:31], v[28:29] offset1:2
	s_waitcnt lgkmcnt(3)
	ds_write_b8 v14, v27
	s_waitcnt lgkmcnt(3)
	ds_write_b8 v14, v32 offset:2
.LBB17_52:
	s_or_b64 exec, exec, s[10:11]
	s_waitcnt lgkmcnt(0)
	s_barrier
	ds_read_b64 v[0:1], v11
                                        ; implicit-def: $sgpr16
	s_waitcnt lgkmcnt(0)
	v_cmp_le_i32_e64 s[10:11], v0, v1
	v_cmp_gt_i32_e64 s[4:5], v0, v1
	s_and_saveexec_b64 s[12:13], s[4:5]
	s_cbranch_execnz .LBB17_97
; %bb.53:
	s_or_b64 exec, exec, s[12:13]
	v_mov_b32_e32 v27, s16
	s_and_saveexec_b64 s[4:5], s[10:11]
	s_cbranch_execnz .LBB17_98
.LBB17_54:
	s_or_b64 exec, exec, s[4:5]
	v_cmp_eq_u32_e64 s[4:5], v27, v26
	s_and_saveexec_b64 s[10:11], s[4:5]
	s_cbranch_execz .LBB17_56
.LBB17_55:
	v_add_u32_e32 v32, v8, v12
	ds_read_b128 v[26:29], v32
	v_mov_b32_e32 v31, v0
	ds_read_u16 v0, v10
	v_mov_b32_e32 v30, v1
	s_mov_b32 s4, 0xc0c0001
	ds_write_b64 v11, v[30:31]
	s_waitcnt lgkmcnt(2)
	v_mov_b32_e32 v30, v26
	v_mov_b32_e32 v31, v27
	s_waitcnt lgkmcnt(1)
	v_perm_b32 v0, 0, v0, s4
	ds_write_b128 v32, v[28:31]
	ds_write_b16 v10, v0
.LBB17_56:
	s_or_b64 exec, exec, s[10:11]
	v_and_b32_e32 v0, 15, v3
	v_sub_u32_e32 v19, v19, v0
	v_lshl_add_u32 v18, v19, 2, v18
	s_waitcnt lgkmcnt(0)
	s_barrier
	ds_read2_b32 v[0:1], v18 offset1:16
	v_add_u32_e32 v17, v17, v19
	s_waitcnt lgkmcnt(0)
	v_cmp_le_i32_e64 s[12:13], v0, v1
	v_cmp_gt_i32_e64 s[4:5], v0, v1
	s_and_saveexec_b64 s[10:11], s[4:5]
	s_cbranch_execz .LBB17_58
; %bb.57:
	ds_read_u8 v26, v17
	s_andn2_b64 s[12:13], s[12:13], exec
	s_waitcnt lgkmcnt(0)
	v_and_b32_e32 v26, 1, v26
	v_cmp_eq_u32_e64 s[4:5], 1, v26
	s_xor_b64 s[4:5], s[4:5], -1
	s_and_b64 s[4:5], s[4:5], exec
	s_or_b64 s[12:13], s[12:13], s[4:5]
.LBB17_58:
	s_or_b64 exec, exec, s[10:11]
	s_and_saveexec_b64 s[10:11], s[12:13]
	s_cbranch_execz .LBB17_61
; %bb.59:
	ds_read_u8 v26, v17 offset:16
	s_waitcnt lgkmcnt(0)
	v_cmp_ne_u16_e64 s[4:5], 0, v26
	s_and_b64 exec, exec, s[4:5]
	s_cbranch_execz .LBB17_61
; %bb.60:
	v_lshl_add_u32 v15, v19, 3, v15
	ds_read2_b64 v[28:31], v15 offset1:16
	ds_read_u8 v19, v17
	ds_write2_b32 v18, v1, v0 offset1:16
	ds_write_b8 v17, v26
	s_waitcnt lgkmcnt(3)
	ds_write2_b64 v15, v[30:31], v[28:29] offset1:16
	s_waitcnt lgkmcnt(3)
	ds_write_b8 v17, v19 offset:16
.LBB17_61:
	s_or_b64 exec, exec, s[10:11]
	s_waitcnt lgkmcnt(0)
	s_barrier
	ds_read2_b32 v[0:1], v23 offset1:8
	s_waitcnt lgkmcnt(0)
	v_cmp_le_i32_e64 s[12:13], v0, v1
	v_cmp_gt_i32_e64 s[4:5], v0, v1
	s_and_saveexec_b64 s[10:11], s[4:5]
	s_cbranch_execz .LBB17_63
; %bb.62:
	ds_read_u8 v15, v24
	s_andn2_b64 s[12:13], s[12:13], exec
	s_waitcnt lgkmcnt(0)
	v_and_b32_e32 v15, 1, v15
	v_cmp_eq_u32_e64 s[4:5], 1, v15
	s_xor_b64 s[4:5], s[4:5], -1
	s_and_b64 s[4:5], s[4:5], exec
	s_or_b64 s[12:13], s[12:13], s[4:5]
.LBB17_63:
	s_or_b64 exec, exec, s[10:11]
	s_and_saveexec_b64 s[10:11], s[12:13]
	s_cbranch_execz .LBB17_66
; %bb.64:
	ds_read_u8 v15, v24 offset:8
	s_waitcnt lgkmcnt(0)
	v_cmp_ne_u16_e64 s[4:5], 0, v15
	s_and_b64 exec, exec, s[4:5]
	s_cbranch_execz .LBB17_66
; %bb.65:
	ds_read2_b64 v[26:29], v25 offset1:8
	ds_read_u8 v17, v24
	ds_write2_b32 v23, v1, v0 offset1:8
	ds_write_b8 v24, v15
	s_waitcnt lgkmcnt(3)
	ds_write2_b64 v25, v[28:29], v[26:27] offset1:8
	s_waitcnt lgkmcnt(3)
	ds_write_b8 v24, v17 offset:8
.LBB17_66:
	s_or_b64 exec, exec, s[10:11]
	s_waitcnt lgkmcnt(0)
	s_barrier
	ds_read2_b32 v[0:1], v20 offset1:4
	s_waitcnt lgkmcnt(0)
	v_cmp_le_i32_e64 s[12:13], v0, v1
	v_cmp_gt_i32_e64 s[4:5], v0, v1
	s_and_saveexec_b64 s[10:11], s[4:5]
	s_cbranch_execz .LBB17_68
; %bb.67:
	ds_read_u8 v15, v21
	s_andn2_b64 s[12:13], s[12:13], exec
	s_waitcnt lgkmcnt(0)
	v_and_b32_e32 v15, 1, v15
	v_cmp_eq_u32_e64 s[4:5], 1, v15
	s_xor_b64 s[4:5], s[4:5], -1
	s_and_b64 s[4:5], s[4:5], exec
	s_or_b64 s[12:13], s[12:13], s[4:5]
.LBB17_68:
	s_or_b64 exec, exec, s[10:11]
	s_and_saveexec_b64 s[10:11], s[12:13]
	s_cbranch_execz .LBB17_71
; %bb.69:
	ds_read_u8 v15, v21 offset:4
	s_waitcnt lgkmcnt(0)
	v_cmp_ne_u16_e64 s[4:5], 0, v15
	s_and_b64 exec, exec, s[4:5]
	s_cbranch_execz .LBB17_71
; %bb.70:
	ds_read2_b64 v[24:27], v22 offset1:4
	ds_read_u8 v17, v21
	ds_write2_b32 v20, v1, v0 offset1:4
	ds_write_b8 v21, v15
	s_waitcnt lgkmcnt(3)
	ds_write2_b64 v22, v[26:27], v[24:25] offset1:4
	s_waitcnt lgkmcnt(3)
	ds_write_b8 v21, v17 offset:4
.LBB17_71:
	;; [unrolled: 38-line block ×3, first 2 shown]
	s_or_b64 exec, exec, s[10:11]
	s_waitcnt lgkmcnt(0)
	s_barrier
	ds_read_b64 v[0:1], v11
	s_waitcnt lgkmcnt(0)
	v_cmp_le_i32_e64 s[12:13], v0, v1
	v_cmp_gt_i32_e64 s[4:5], v0, v1
	s_and_saveexec_b64 s[10:11], s[4:5]
	s_cbranch_execz .LBB17_78
; %bb.77:
	ds_read_u8 v13, v10
	s_andn2_b64 s[12:13], s[12:13], exec
	s_waitcnt lgkmcnt(0)
	v_and_b32_e32 v13, 1, v13
	v_cmp_eq_u32_e64 s[4:5], 1, v13
	s_xor_b64 s[4:5], s[4:5], -1
	s_and_b64 s[4:5], s[4:5], exec
	s_or_b64 s[12:13], s[12:13], s[4:5]
.LBB17_78:
	s_or_b64 exec, exec, s[10:11]
	s_and_saveexec_b64 s[10:11], s[12:13]
	s_cbranch_execz .LBB17_81
; %bb.79:
	ds_read_u8 v13, v10 offset:1
	s_waitcnt lgkmcnt(0)
	v_cmp_ne_u16_e64 s[4:5], 0, v13
	s_and_b64 exec, exec, s[4:5]
	s_cbranch_execz .LBB17_81
; %bb.80:
	v_add_u32_e32 v12, v8, v12
	ds_read_b128 v[14:17], v12
	v_mov_b32_e32 v19, v0
	ds_read_u8 v0, v10
	v_mov_b32_e32 v18, v1
	ds_write_b64 v11, v[18:19]
	s_waitcnt lgkmcnt(2)
	v_mov_b32_e32 v18, v14
	v_mov_b32_e32 v19, v15
	s_waitcnt lgkmcnt(1)
	v_lshlrev_b16_e32 v0, 8, v0
	v_or_b32_e32 v0, v13, v0
	ds_write_b128 v12, v[16:19]
	ds_write_b16 v10, v0
.LBB17_81:
	s_or_b64 exec, exec, s[10:11]
	s_waitcnt lgkmcnt(0)
	s_barrier
	s_and_saveexec_b64 s[4:5], vcc
	s_cbranch_execz .LBB17_86
; %bb.82:
	s_and_saveexec_b64 s[4:5], s[0:1]
	s_cbranch_execz .LBB17_84
; %bb.83:
	ds_read_b32 v12, v9
	v_mad_u64_u32 v[0:1], s[0:1], v3, s14, v[4:5]
	v_mov_b32_e32 v1, 0
	v_lshlrev_b64 v[10:11], 2, v[0:1]
	v_mov_b32_e32 v0, s7
	v_add_co_u32_e32 v10, vcc, s6, v10
	v_addc_co_u32_e32 v11, vcc, v0, v11, vcc
	ds_read_b64 v[8:9], v8
	s_waitcnt lgkmcnt(1)
	global_store_dword v[10:11], v12, off
	v_mad_u64_u32 v[10:11], s[0:1], v3, s15, v[2:3]
	v_mov_b32_e32 v11, v1
	v_lshlrev_b64 v[0:1], 3, v[10:11]
	v_mov_b32_e32 v3, s9
	v_add_co_u32_e32 v0, vcc, s8, v0
	v_addc_co_u32_e32 v1, vcc, v3, v1, vcc
	s_waitcnt lgkmcnt(0)
	global_store_dwordx2 v[0:1], v[8:9], off
.LBB17_84:
	s_or_b64 exec, exec, s[4:5]
	s_and_b64 exec, exec, s[2:3]
	s_cbranch_execz .LBB17_86
; %bb.85:
	ds_read_b32 v3, v7
	v_mad_u64_u32 v[0:1], s[0:1], v5, s14, v[4:5]
	v_mov_b32_e32 v1, 0
	v_lshlrev_b64 v[8:9], 2, v[0:1]
	v_mov_b32_e32 v0, s7
	v_add_co_u32_e32 v8, vcc, s6, v8
	v_addc_co_u32_e32 v9, vcc, v0, v9, vcc
	ds_read_b64 v[6:7], v6
	s_waitcnt lgkmcnt(1)
	global_store_dword v[8:9], v3, off
	v_mad_u64_u32 v[2:3], s[0:1], v5, s15, v[2:3]
	v_mov_b32_e32 v3, v1
	v_lshlrev_b64 v[0:1], 3, v[2:3]
	v_mov_b32_e32 v2, s9
	v_add_co_u32_e32 v0, vcc, s8, v0
	v_addc_co_u32_e32 v1, vcc, v2, v1, vcc
	s_waitcnt lgkmcnt(0)
	global_store_dwordx2 v[0:1], v[6:7], off
.LBB17_86:
	s_endpgm
.LBB17_87:
	ds_read_u8 v21, v10
	s_andn2_b64 s[10:11], s[10:11], exec
	s_mov_b32 s16, 1
	s_waitcnt lgkmcnt(0)
	v_and_b32_e32 v21, 1, v21
	v_cmp_eq_u32_e64 s[4:5], 1, v21
	s_xor_b64 s[4:5], s[4:5], -1
	s_and_b64 s[4:5], s[4:5], exec
	s_or_b64 s[10:11], s[10:11], s[4:5]
	s_or_b64 exec, exec, s[12:13]
	v_mov_b32_e32 v21, s16
	s_and_saveexec_b64 s[4:5], s[10:11]
	s_cbranch_execz .LBB17_22
.LBB17_88:
	ds_read_u8 v21, v10 offset:1
	s_waitcnt lgkmcnt(0)
	v_xor_b32_e32 v21, 1, v21
	s_or_b64 exec, exec, s[4:5]
	v_cmp_eq_u32_e64 s[4:5], v21, v20
	s_and_saveexec_b64 s[10:11], s[4:5]
	s_cbranch_execnz .LBB17_23
	s_branch .LBB17_24
.LBB17_89:
	ds_read_u8 v24, v14
	s_andn2_b64 s[10:11], s[10:11], exec
	s_mov_b32 s16, 1
	s_waitcnt lgkmcnt(0)
	v_and_b32_e32 v24, 1, v24
	v_cmp_eq_u32_e64 s[4:5], 1, v24
	s_xor_b64 s[4:5], s[4:5], -1
	s_and_b64 s[4:5], s[4:5], exec
	s_or_b64 s[10:11], s[10:11], s[4:5]
	s_or_b64 exec, exec, s[12:13]
	v_mov_b32_e32 v24, s16
	s_and_saveexec_b64 s[4:5], s[10:11]
	s_cbranch_execz .LBB17_32
.LBB17_90:
	ds_read_u8 v24, v14 offset:2
	s_waitcnt lgkmcnt(0)
	v_xor_b32_e32 v24, 1, v24
	s_or_b64 exec, exec, s[4:5]
	v_cmp_eq_u32_e64 s[4:5], v24, v23
	s_and_saveexec_b64 s[10:11], s[4:5]
	s_cbranch_execnz .LBB17_33
	s_branch .LBB17_34
.LBB17_91:
	ds_read_u8 v24, v10
	s_andn2_b64 s[10:11], s[10:11], exec
	s_mov_b32 s16, 1
	s_waitcnt lgkmcnt(0)
	v_and_b32_e32 v24, 1, v24
	v_cmp_eq_u32_e64 s[4:5], 1, v24
	s_xor_b64 s[4:5], s[4:5], -1
	s_and_b64 s[4:5], s[4:5], exec
	s_or_b64 s[10:11], s[10:11], s[4:5]
	s_or_b64 exec, exec, s[12:13]
	v_mov_b32_e32 v24, s16
	s_and_saveexec_b64 s[4:5], s[10:11]
	s_cbranch_execz .LBB17_36
.LBB17_92:
	ds_read_u8 v24, v10 offset:1
	s_waitcnt lgkmcnt(0)
	v_xor_b32_e32 v24, 1, v24
	s_or_b64 exec, exec, s[4:5]
	v_cmp_eq_u32_e64 s[4:5], v24, v23
	s_and_saveexec_b64 s[10:11], s[4:5]
	s_cbranch_execnz .LBB17_37
	s_branch .LBB17_38
.LBB17_93:
	ds_read_u8 v27, v21
	s_andn2_b64 s[10:11], s[10:11], exec
	s_mov_b32 s16, 1
	s_waitcnt lgkmcnt(0)
	v_and_b32_e32 v27, 1, v27
	v_cmp_eq_u32_e64 s[4:5], 1, v27
	s_xor_b64 s[4:5], s[4:5], -1
	s_and_b64 s[4:5], s[4:5], exec
	s_or_b64 s[10:11], s[10:11], s[4:5]
	s_or_b64 exec, exec, s[12:13]
	v_mov_b32_e32 v27, s16
	s_and_saveexec_b64 s[4:5], s[10:11]
	s_cbranch_execz .LBB17_46
.LBB17_94:
	ds_read_u8 v27, v21 offset:4
	s_waitcnt lgkmcnt(0)
	v_xor_b32_e32 v27, 1, v27
	s_or_b64 exec, exec, s[4:5]
	v_cmp_eq_u32_e64 s[4:5], v27, v26
	s_and_saveexec_b64 s[10:11], s[4:5]
	s_cbranch_execnz .LBB17_47
	s_branch .LBB17_48
.LBB17_95:
	ds_read_u8 v27, v14
	s_andn2_b64 s[10:11], s[10:11], exec
	s_mov_b32 s16, 1
	s_waitcnt lgkmcnt(0)
	v_and_b32_e32 v27, 1, v27
	v_cmp_eq_u32_e64 s[4:5], 1, v27
	s_xor_b64 s[4:5], s[4:5], -1
	s_and_b64 s[4:5], s[4:5], exec
	s_or_b64 s[10:11], s[10:11], s[4:5]
	s_or_b64 exec, exec, s[12:13]
	v_mov_b32_e32 v27, s16
	s_and_saveexec_b64 s[4:5], s[10:11]
	s_cbranch_execz .LBB17_50
.LBB17_96:
	ds_read_u8 v27, v14 offset:2
	s_waitcnt lgkmcnt(0)
	v_xor_b32_e32 v27, 1, v27
	s_or_b64 exec, exec, s[4:5]
	v_cmp_eq_u32_e64 s[4:5], v27, v26
	s_and_saveexec_b64 s[10:11], s[4:5]
	s_cbranch_execnz .LBB17_51
	s_branch .LBB17_52
.LBB17_97:
	ds_read_u8 v27, v10
	s_andn2_b64 s[10:11], s[10:11], exec
	s_mov_b32 s16, 1
	s_waitcnt lgkmcnt(0)
	v_and_b32_e32 v27, 1, v27
	v_cmp_eq_u32_e64 s[4:5], 1, v27
	s_xor_b64 s[4:5], s[4:5], -1
	s_and_b64 s[4:5], s[4:5], exec
	s_or_b64 s[10:11], s[10:11], s[4:5]
	s_or_b64 exec, exec, s[12:13]
	v_mov_b32_e32 v27, s16
	s_and_saveexec_b64 s[4:5], s[10:11]
	s_cbranch_execz .LBB17_54
.LBB17_98:
	ds_read_u8 v27, v10 offset:1
	s_waitcnt lgkmcnt(0)
	v_xor_b32_e32 v27, 1, v27
	s_or_b64 exec, exec, s[4:5]
	v_cmp_eq_u32_e64 s[4:5], v27, v26
	s_and_saveexec_b64 s[10:11], s[4:5]
	s_cbranch_execnz .LBB17_55
	s_branch .LBB17_56
	.section	.rodata,"a",@progbits
	.p2align	6, 0x0
	.amdhsa_kernel _ZN2at6native20bitonicSortKVInPlaceILin2ELin1ELi16ELi16EilNS0_4GTOpIiLb1EEEjEEvNS_4cuda6detail10TensorInfoIT3_T6_EES8_S8_S8_NS6_IT4_S8_EES8_T5_
		.amdhsa_group_segment_fixed_size 6656
		.amdhsa_private_segment_fixed_size 0
		.amdhsa_kernarg_size 712
		.amdhsa_user_sgpr_count 6
		.amdhsa_user_sgpr_private_segment_buffer 1
		.amdhsa_user_sgpr_dispatch_ptr 0
		.amdhsa_user_sgpr_queue_ptr 0
		.amdhsa_user_sgpr_kernarg_segment_ptr 1
		.amdhsa_user_sgpr_dispatch_id 0
		.amdhsa_user_sgpr_flat_scratch_init 0
		.amdhsa_user_sgpr_kernarg_preload_length 0
		.amdhsa_user_sgpr_kernarg_preload_offset 0
		.amdhsa_user_sgpr_private_segment_size 0
		.amdhsa_uses_dynamic_stack 0
		.amdhsa_system_sgpr_private_segment_wavefront_offset 0
		.amdhsa_system_sgpr_workgroup_id_x 1
		.amdhsa_system_sgpr_workgroup_id_y 1
		.amdhsa_system_sgpr_workgroup_id_z 1
		.amdhsa_system_sgpr_workgroup_info 0
		.amdhsa_system_vgpr_workitem_id 1
		.amdhsa_next_free_vgpr 33
		.amdhsa_next_free_sgpr 18
		.amdhsa_accum_offset 36
		.amdhsa_reserve_vcc 1
		.amdhsa_reserve_flat_scratch 0
		.amdhsa_float_round_mode_32 0
		.amdhsa_float_round_mode_16_64 0
		.amdhsa_float_denorm_mode_32 3
		.amdhsa_float_denorm_mode_16_64 3
		.amdhsa_dx10_clamp 1
		.amdhsa_ieee_mode 1
		.amdhsa_fp16_overflow 0
		.amdhsa_tg_split 0
		.amdhsa_exception_fp_ieee_invalid_op 0
		.amdhsa_exception_fp_denorm_src 0
		.amdhsa_exception_fp_ieee_div_zero 0
		.amdhsa_exception_fp_ieee_overflow 0
		.amdhsa_exception_fp_ieee_underflow 0
		.amdhsa_exception_fp_ieee_inexact 0
		.amdhsa_exception_int_div_zero 0
	.end_amdhsa_kernel
	.section	.text._ZN2at6native20bitonicSortKVInPlaceILin2ELin1ELi16ELi16EilNS0_4GTOpIiLb1EEEjEEvNS_4cuda6detail10TensorInfoIT3_T6_EES8_S8_S8_NS6_IT4_S8_EES8_T5_,"axG",@progbits,_ZN2at6native20bitonicSortKVInPlaceILin2ELin1ELi16ELi16EilNS0_4GTOpIiLb1EEEjEEvNS_4cuda6detail10TensorInfoIT3_T6_EES8_S8_S8_NS6_IT4_S8_EES8_T5_,comdat
.Lfunc_end17:
	.size	_ZN2at6native20bitonicSortKVInPlaceILin2ELin1ELi16ELi16EilNS0_4GTOpIiLb1EEEjEEvNS_4cuda6detail10TensorInfoIT3_T6_EES8_S8_S8_NS6_IT4_S8_EES8_T5_, .Lfunc_end17-_ZN2at6native20bitonicSortKVInPlaceILin2ELin1ELi16ELi16EilNS0_4GTOpIiLb1EEEjEEvNS_4cuda6detail10TensorInfoIT3_T6_EES8_S8_S8_NS6_IT4_S8_EES8_T5_
                                        ; -- End function
	.section	.AMDGPU.csdata,"",@progbits
; Kernel info:
; codeLenInByte = 4604
; NumSgprs: 22
; NumVgprs: 33
; NumAgprs: 0
; TotalNumVgprs: 33
; ScratchSize: 0
; MemoryBound: 0
; FloatMode: 240
; IeeeMode: 1
; LDSByteSize: 6656 bytes/workgroup (compile time only)
; SGPRBlocks: 2
; VGPRBlocks: 4
; NumSGPRsForWavesPerEU: 22
; NumVGPRsForWavesPerEU: 33
; AccumOffset: 36
; Occupancy: 8
; WaveLimiterHint : 1
; COMPUTE_PGM_RSRC2:SCRATCH_EN: 0
; COMPUTE_PGM_RSRC2:USER_SGPR: 6
; COMPUTE_PGM_RSRC2:TRAP_HANDLER: 0
; COMPUTE_PGM_RSRC2:TGID_X_EN: 1
; COMPUTE_PGM_RSRC2:TGID_Y_EN: 1
; COMPUTE_PGM_RSRC2:TGID_Z_EN: 1
; COMPUTE_PGM_RSRC2:TIDIG_COMP_CNT: 1
; COMPUTE_PGM_RSRC3_GFX90A:ACCUM_OFFSET: 8
; COMPUTE_PGM_RSRC3_GFX90A:TG_SPLIT: 0
	.section	.text._ZN2at6native20bitonicSortKVInPlaceILi2ELin1ELi16ELi16EilNS0_4LTOpIiLb1EEEjEEvNS_4cuda6detail10TensorInfoIT3_T6_EES8_S8_S8_NS6_IT4_S8_EES8_T5_,"axG",@progbits,_ZN2at6native20bitonicSortKVInPlaceILi2ELin1ELi16ELi16EilNS0_4LTOpIiLb1EEEjEEvNS_4cuda6detail10TensorInfoIT3_T6_EES8_S8_S8_NS6_IT4_S8_EES8_T5_,comdat
	.protected	_ZN2at6native20bitonicSortKVInPlaceILi2ELin1ELi16ELi16EilNS0_4LTOpIiLb1EEEjEEvNS_4cuda6detail10TensorInfoIT3_T6_EES8_S8_S8_NS6_IT4_S8_EES8_T5_ ; -- Begin function _ZN2at6native20bitonicSortKVInPlaceILi2ELin1ELi16ELi16EilNS0_4LTOpIiLb1EEEjEEvNS_4cuda6detail10TensorInfoIT3_T6_EES8_S8_S8_NS6_IT4_S8_EES8_T5_
	.globl	_ZN2at6native20bitonicSortKVInPlaceILi2ELin1ELi16ELi16EilNS0_4LTOpIiLb1EEEjEEvNS_4cuda6detail10TensorInfoIT3_T6_EES8_S8_S8_NS6_IT4_S8_EES8_T5_
	.p2align	8
	.type	_ZN2at6native20bitonicSortKVInPlaceILi2ELin1ELi16ELi16EilNS0_4LTOpIiLb1EEEjEEvNS_4cuda6detail10TensorInfoIT3_T6_EES8_S8_S8_NS6_IT4_S8_EES8_T5_,@function
_ZN2at6native20bitonicSortKVInPlaceILi2ELin1ELi16ELi16EilNS0_4LTOpIiLb1EEEjEEvNS_4cuda6detail10TensorInfoIT3_T6_EES8_S8_S8_NS6_IT4_S8_EES8_T5_: ; @_ZN2at6native20bitonicSortKVInPlaceILi2ELin1ELi16ELi16EilNS0_4LTOpIiLb1EEEjEEvNS_4cuda6detail10TensorInfoIT3_T6_EES8_S8_S8_NS6_IT4_S8_EES8_T5_
; %bb.0:
	s_load_dwordx2 s[0:1], s[4:5], 0x1c8
	s_load_dwordx4 s[12:15], s[4:5], 0xd8
	s_load_dword s9, s[4:5], 0x1d4
	s_add_u32 s2, s4, 0x1c8
	s_addc_u32 s3, s5, 0
	s_waitcnt lgkmcnt(0)
	s_mul_i32 s1, s1, s8
	s_add_i32 s1, s1, s7
	s_mul_i32 s0, s1, s0
	s_add_i32 s0, s0, s6
	s_lshr_b32 s1, s9, 16
	s_mul_i32 s0, s0, s1
	s_cmp_ge_u32 s0, s12
	s_cbranch_scc1 .LBB18_86
; %bb.1:
	s_load_dword s15, s[4:5], 0xc
	s_load_dwordx2 s[8:9], s[4:5], 0x6c
	s_load_dword s17, s[4:5], 0x1b8
	s_add_u32 s10, s4, 0xe8
	v_bfe_u32 v8, v0, 10, 10
	s_waitcnt lgkmcnt(0)
	v_cvt_f32_u32_e32 v1, s15
	s_load_dwordx2 s[6:7], s[4:5], 0x0
	s_addc_u32 s11, s5, 0
	s_mov_b32 s1, 0
	v_rcp_iflag_f32_e32 v1, v1
	v_mov_b32_e32 v2, 0
	v_mul_f32_e32 v1, 0x4f7ffffe, v1
	v_cvt_u32_f32_e32 v3, v1
	v_add_u32_e32 v1, s0, v8
	s_sub_i32 s0, 0, s15
	s_cmp_lt_i32 s17, 2
	v_mul_lo_u32 v4, s0, v3
	v_mul_hi_u32 v4, v3, v4
	v_add_u32_e32 v3, v3, v4
	v_mad_u64_u32 v[4:5], s[18:19], v1, v3, 0
	v_mov_b32_e32 v6, v1
	s_cbranch_scc1 .LBB18_4
; %bb.2:
	s_add_i32 s0, s17, -1
	s_add_i32 s16, s17, 1
	s_lshl_b64 s[0:1], s[0:1], 2
	s_add_u32 s0, s0, s10
	s_addc_u32 s1, s1, s11
	s_add_u32 s0, s0, 8
	s_addc_u32 s1, s1, 0
	v_mov_b32_e32 v2, 0
	v_mov_b32_e32 v6, v1
.LBB18_3:                               ; =>This Inner Loop Header: Depth=1
	s_load_dword s17, s[0:1], 0x0
	s_load_dword s18, s[0:1], 0x64
	v_mov_b32_e32 v3, v6
	s_add_i32 s16, s16, -1
	s_waitcnt lgkmcnt(0)
	v_cvt_f32_u32_e32 v4, s17
	s_sub_i32 s19, 0, s17
	s_add_u32 s0, s0, -4
	s_addc_u32 s1, s1, -1
	v_rcp_iflag_f32_e32 v4, v4
	s_cmp_gt_u32 s16, 2
	v_mul_f32_e32 v4, 0x4f7ffffe, v4
	v_cvt_u32_f32_e32 v4, v4
	v_mul_lo_u32 v6, s19, v4
	v_mul_hi_u32 v6, v4, v6
	v_add_u32_e32 v4, v4, v6
	v_mul_hi_u32 v4, v3, v4
	v_mul_lo_u32 v6, v4, s17
	v_sub_u32_e32 v6, v3, v6
	v_add_u32_e32 v7, 1, v4
	v_cmp_le_u32_e32 vcc, s17, v6
	v_cndmask_b32_e32 v4, v4, v7, vcc
	v_subrev_u32_e32 v7, s17, v6
	v_cndmask_b32_e32 v6, v6, v7, vcc
	v_add_u32_e32 v7, 1, v4
	v_cmp_le_u32_e32 vcc, s17, v6
	v_cndmask_b32_e32 v6, v4, v7, vcc
	v_mul_lo_u32 v4, v6, s17
	v_sub_u32_e32 v3, v3, v4
	v_mad_u64_u32 v[2:3], s[18:19], s18, v3, v[2:3]
	s_cbranch_scc1 .LBB18_3
.LBB18_4:
	v_mul_lo_u32 v3, v5, s15
	v_sub_u32_e32 v3, v1, v3
	v_add_u32_e32 v4, 1, v5
	v_cmp_le_u32_e64 s[0:1], s15, v3
	v_cndmask_b32_e64 v4, v5, v4, s[0:1]
	v_subrev_u32_e32 v5, s15, v3
	v_cndmask_b32_e64 v3, v3, v5, s[0:1]
	v_add_u32_e32 v5, 1, v4
	v_cmp_le_u32_e64 s[0:1], s15, v3
	v_cndmask_b32_e64 v3, v4, v5, s[0:1]
	v_cmp_gt_u32_e32 vcc, s12, v1
	v_mul_lo_u32 v4, v3, s15
	s_load_dword s15, s[4:5], 0x1c0
	s_load_dword s12, s[10:11], 0x6c
	v_sub_u32_e32 v1, v1, v4
	v_mul_lo_u32 v4, v1, s9
	v_mad_u64_u32 v[4:5], s[0:1], v3, s8, v[4:5]
	s_load_dwordx2 s[8:9], s[10:11], 0x0
	s_waitcnt lgkmcnt(0)
	v_mad_u64_u32 v[2:3], s[0:1], s12, v6, v[2:3]
	s_load_dword s12, s[2:3], 0xc
	v_and_b32_e32 v3, 0x3ff, v0
	v_cmp_gt_u32_e64 s[0:1], s13, v3
	v_pk_mov_b32 v[0:1], 0, 0
	s_and_b64 s[4:5], vcc, s[0:1]
	v_mov_b32_e32 v10, 0
	v_mov_b32_e32 v5, 0
	v_pk_mov_b32 v[6:7], v[0:1], v[0:1] op_sel:[0,1]
	s_and_saveexec_b64 s[10:11], s[4:5]
	s_cbranch_execz .LBB18_6
; %bb.5:
	v_mad_u64_u32 v[6:7], s[2:3], v3, s14, v[4:5]
	v_mov_b32_e32 v7, 0
	v_lshlrev_b64 v[12:13], 2, v[6:7]
	v_mov_b32_e32 v5, s7
	v_add_co_u32_e64 v12, s[2:3], s6, v12
	v_addc_co_u32_e64 v13, s[2:3], v5, v13, s[2:3]
	global_load_dword v5, v[12:13], off
	v_mad_u64_u32 v[12:13], s[2:3], v3, s15, v[2:3]
	v_mov_b32_e32 v13, v7
	v_lshlrev_b64 v[6:7], 3, v[12:13]
	v_mov_b32_e32 v9, s9
	v_add_co_u32_e64 v6, s[2:3], s8, v6
	v_addc_co_u32_e64 v7, s[2:3], v9, v7, s[2:3]
	global_load_dwordx2 v[6:7], v[6:7], off
.LBB18_6:
	s_or_b64 exec, exec, s[10:11]
	v_mov_b32_e32 v9, 0x1000
	v_lshl_add_u32 v18, v8, 7, v9
	v_mov_b32_e32 v9, 0x1800
	v_lshl_add_u32 v17, v8, 5, v9
	v_lshl_add_u32 v9, v3, 2, v18
	s_waitcnt lgkmcnt(0)
	s_and_b32 s16, 0xffff, s12
	v_cndmask_b32_e64 v11, 0, 1, s[4:5]
	s_waitcnt vmcnt(1)
	ds_write_b32 v9, v5
	v_add_u32_e32 v5, v17, v3
	ds_write_b8 v5, v11
	v_add_u32_e32 v5, s16, v3
	v_lshlrev_b32_e32 v15, 8, v8
	v_cmp_gt_u32_e64 s[2:3], s13, v5
	v_lshl_add_u32 v8, v3, 3, v15
	s_and_b64 s[10:11], vcc, s[2:3]
	s_waitcnt vmcnt(0)
	ds_write_b64 v8, v[6:7]
	s_and_saveexec_b64 s[12:13], s[10:11]
	s_cbranch_execz .LBB18_8
; %bb.7:
	v_mad_u64_u32 v[0:1], s[4:5], v5, s14, v[4:5]
	v_mov_b32_e32 v1, 0
	v_lshlrev_b64 v[6:7], 2, v[0:1]
	v_mov_b32_e32 v0, s7
	v_add_co_u32_e64 v6, s[4:5], s6, v6
	v_addc_co_u32_e64 v7, s[4:5], v0, v7, s[4:5]
	global_load_dword v10, v[6:7], off
	v_mad_u64_u32 v[6:7], s[4:5], v5, s15, v[2:3]
	v_mov_b32_e32 v7, v1
	v_lshlrev_b64 v[0:1], 3, v[6:7]
	v_mov_b32_e32 v6, s9
	v_add_co_u32_e64 v0, s[4:5], s8, v0
	v_addc_co_u32_e64 v1, s[4:5], v6, v1, s[4:5]
	global_load_dwordx2 v[0:1], v[0:1], off
.LBB18_8:
	s_or_b64 exec, exec, s[12:13]
	v_lshl_add_u32 v6, s16, 3, v8
	v_cndmask_b32_e64 v11, 0, 1, s[10:11]
	s_waitcnt vmcnt(0)
	ds_write_b64 v6, v[0:1]
	v_add_u32_e32 v0, v17, v5
	ds_write_b8 v0, v11
	v_lshlrev_b32_e32 v0, 2, v3
	v_lshl_add_u32 v7, s16, 2, v9
	v_add_u32_e32 v11, v9, v0
	ds_write_b32 v7, v10
	s_waitcnt lgkmcnt(0)
	s_barrier
	ds_read_b64 v[0:1], v11
	v_lshlrev_b32_e32 v19, 1, v3
	s_mov_b32 s16, 1
	v_add_u32_e32 v10, v17, v19
	s_waitcnt lgkmcnt(0)
	v_cmp_ge_i32_e64 s[10:11], v0, v1
	v_cmp_lt_i32_e64 s[4:5], v0, v1
	s_and_saveexec_b64 s[12:13], s[4:5]
	s_xor_b64 s[12:13], exec, s[12:13]
	s_cbranch_execz .LBB18_10
; %bb.9:
	ds_read_u8 v12, v10
	s_andn2_b64 s[10:11], s[10:11], exec
	s_waitcnt lgkmcnt(0)
	v_and_b32_e32 v12, 1, v12
	v_cmp_eq_u32_e64 s[4:5], 1, v12
	s_xor_b64 s[4:5], s[4:5], -1
	s_and_b64 s[4:5], s[4:5], exec
	s_or_b64 s[10:11], s[10:11], s[4:5]
.LBB18_10:
	s_or_b64 exec, exec, s[12:13]
	v_mov_b32_e32 v14, s16
	s_and_saveexec_b64 s[4:5], s[10:11]
	s_cbranch_execz .LBB18_12
; %bb.11:
	ds_read_u8 v12, v10 offset:1
	s_waitcnt lgkmcnt(0)
	v_xor_b32_e32 v14, 1, v12
.LBB18_12:
	s_or_b64 exec, exec, s[4:5]
	v_and_b32_e32 v13, 1, v3
	v_lshlrev_b32_e32 v12, 3, v3
	v_cmp_eq_u32_e64 s[4:5], v14, v13
	s_and_saveexec_b64 s[10:11], s[4:5]
	s_cbranch_execz .LBB18_14
; %bb.13:
	v_add_u32_e32 v14, v8, v12
	ds_read_b128 v[20:23], v14
	v_mov_b32_e32 v25, v0
	ds_read_u16 v0, v10
	v_mov_b32_e32 v24, v1
	s_mov_b32 s4, 0xc0c0001
	ds_write_b64 v11, v[24:25]
	s_waitcnt lgkmcnt(2)
	v_mov_b32_e32 v24, v20
	v_mov_b32_e32 v25, v21
	s_waitcnt lgkmcnt(1)
	v_perm_b32 v0, 0, v0, s4
	ds_write_b128 v14, v[22:25]
	ds_write_b16 v10, v0
.LBB18_14:
	s_or_b64 exec, exec, s[10:11]
	v_sub_u32_e32 v16, v19, v13
	v_lshl_add_u32 v13, v16, 2, v18
	s_waitcnt lgkmcnt(0)
	s_barrier
	ds_read2_b32 v[0:1], v13 offset1:2
	s_mov_b64 s[10:11], -1
	v_add_u32_e32 v14, v17, v16
                                        ; implicit-def: $sgpr16
	s_waitcnt lgkmcnt(0)
	v_cmp_lt_i32_e64 s[4:5], v0, v1
	s_and_saveexec_b64 s[12:13], s[4:5]
	s_xor_b64 s[12:13], exec, s[12:13]
	s_cbranch_execz .LBB18_16
; %bb.15:
	ds_read_u8 v20, v14
	s_mov_b32 s16, 1
	s_waitcnt lgkmcnt(0)
	v_and_b32_e32 v20, 1, v20
	v_cmp_eq_u32_e64 s[4:5], 1, v20
	s_xor_b64 s[4:5], s[4:5], -1
	s_orn2_b64 s[10:11], s[4:5], exec
.LBB18_16:
	s_or_b64 exec, exec, s[12:13]
	v_mov_b32_e32 v21, s16
	s_and_saveexec_b64 s[4:5], s[10:11]
	s_cbranch_execz .LBB18_18
; %bb.17:
	ds_read_u8 v20, v14 offset:2
	s_waitcnt lgkmcnt(0)
	v_xor_b32_e32 v21, 1, v20
.LBB18_18:
	s_or_b64 exec, exec, s[4:5]
	v_bfe_u32 v20, v3, 1, 1
	v_lshl_add_u32 v16, v16, 3, v15
	v_cmp_eq_u32_e64 s[4:5], v21, v20
	s_and_saveexec_b64 s[10:11], s[4:5]
	s_cbranch_execz .LBB18_20
; %bb.19:
	ds_read2_b64 v[22:25], v16 offset1:2
	ds_read_u8 v21, v14 offset:2
	ds_read_u8 v26, v14
	ds_write2_b32 v13, v1, v0 offset1:2
	s_waitcnt lgkmcnt(3)
	ds_write2_b64 v16, v[24:25], v[22:23] offset1:2
	s_waitcnt lgkmcnt(3)
	ds_write_b8 v14, v21
	s_waitcnt lgkmcnt(3)
	ds_write_b8 v14, v26 offset:2
.LBB18_20:
	s_or_b64 exec, exec, s[10:11]
	s_waitcnt lgkmcnt(0)
	s_barrier
	ds_read_b64 v[0:1], v11
                                        ; implicit-def: $sgpr16
	s_waitcnt lgkmcnt(0)
	v_cmp_ge_i32_e64 s[10:11], v0, v1
	v_cmp_lt_i32_e64 s[4:5], v0, v1
	s_and_saveexec_b64 s[12:13], s[4:5]
	s_cbranch_execnz .LBB18_87
; %bb.21:
	s_or_b64 exec, exec, s[12:13]
	v_mov_b32_e32 v21, s16
	s_and_saveexec_b64 s[4:5], s[10:11]
	s_cbranch_execnz .LBB18_88
.LBB18_22:
	s_or_b64 exec, exec, s[4:5]
	v_cmp_eq_u32_e64 s[4:5], v21, v20
	s_and_saveexec_b64 s[10:11], s[4:5]
	s_cbranch_execz .LBB18_24
.LBB18_23:
	v_add_u32_e32 v26, v8, v12
	ds_read_b128 v[20:23], v26
	v_mov_b32_e32 v25, v0
	ds_read_u16 v0, v10
	v_mov_b32_e32 v24, v1
	s_mov_b32 s4, 0xc0c0001
	ds_write_b64 v11, v[24:25]
	s_waitcnt lgkmcnt(2)
	v_mov_b32_e32 v24, v20
	v_mov_b32_e32 v25, v21
	s_waitcnt lgkmcnt(1)
	v_perm_b32 v0, 0, v0, s4
	ds_write_b128 v26, v[22:25]
	ds_write_b16 v10, v0
.LBB18_24:
	s_or_b64 exec, exec, s[10:11]
	v_and_b32_e32 v0, 3, v3
	v_sub_u32_e32 v22, v19, v0
	v_lshl_add_u32 v20, v22, 2, v18
	s_waitcnt lgkmcnt(0)
	s_barrier
	ds_read2_b32 v[0:1], v20 offset1:4
	v_add_u32_e32 v21, v17, v22
                                        ; implicit-def: $sgpr16
	s_waitcnt lgkmcnt(0)
	v_cmp_ge_i32_e64 s[10:11], v0, v1
	v_cmp_lt_i32_e64 s[4:5], v0, v1
	s_and_saveexec_b64 s[12:13], s[4:5]
	s_cbranch_execz .LBB18_26
; %bb.25:
	ds_read_u8 v23, v21
	s_andn2_b64 s[10:11], s[10:11], exec
	s_mov_b32 s16, 1
	s_waitcnt lgkmcnt(0)
	v_and_b32_e32 v23, 1, v23
	v_cmp_eq_u32_e64 s[4:5], 1, v23
	s_xor_b64 s[4:5], s[4:5], -1
	s_and_b64 s[4:5], s[4:5], exec
	s_or_b64 s[10:11], s[10:11], s[4:5]
.LBB18_26:
	s_or_b64 exec, exec, s[12:13]
	v_mov_b32_e32 v24, s16
	s_and_saveexec_b64 s[4:5], s[10:11]
	s_cbranch_execz .LBB18_28
; %bb.27:
	ds_read_u8 v23, v21 offset:4
	s_waitcnt lgkmcnt(0)
	v_xor_b32_e32 v24, 1, v23
.LBB18_28:
	s_or_b64 exec, exec, s[4:5]
	v_bfe_u32 v23, v3, 2, 1
	v_lshl_add_u32 v22, v22, 3, v15
	v_cmp_eq_u32_e64 s[4:5], v24, v23
	s_and_saveexec_b64 s[10:11], s[4:5]
	s_cbranch_execz .LBB18_30
; %bb.29:
	ds_read2_b64 v[24:27], v22 offset1:4
	ds_read_u8 v28, v21 offset:4
	ds_read_u8 v29, v21
	ds_write2_b32 v20, v1, v0 offset1:4
	s_waitcnt lgkmcnt(3)
	ds_write2_b64 v22, v[26:27], v[24:25] offset1:4
	s_waitcnt lgkmcnt(3)
	ds_write_b8 v21, v28
	s_waitcnt lgkmcnt(3)
	ds_write_b8 v21, v29 offset:4
.LBB18_30:
	s_or_b64 exec, exec, s[10:11]
	s_waitcnt lgkmcnt(0)
	s_barrier
	ds_read2_b32 v[0:1], v13 offset1:2
                                        ; implicit-def: $sgpr16
	s_waitcnt lgkmcnt(0)
	v_cmp_ge_i32_e64 s[10:11], v0, v1
	v_cmp_lt_i32_e64 s[4:5], v0, v1
	s_and_saveexec_b64 s[12:13], s[4:5]
	s_cbranch_execnz .LBB18_89
; %bb.31:
	s_or_b64 exec, exec, s[12:13]
	v_mov_b32_e32 v24, s16
	s_and_saveexec_b64 s[4:5], s[10:11]
	s_cbranch_execnz .LBB18_90
.LBB18_32:
	s_or_b64 exec, exec, s[4:5]
	v_cmp_eq_u32_e64 s[4:5], v24, v23
	s_and_saveexec_b64 s[10:11], s[4:5]
	s_cbranch_execz .LBB18_34
.LBB18_33:
	ds_read2_b64 v[24:27], v16 offset1:2
	ds_read_u8 v28, v14 offset:2
	ds_read_u8 v29, v14
	ds_write2_b32 v13, v1, v0 offset1:2
	s_waitcnt lgkmcnt(3)
	ds_write2_b64 v16, v[26:27], v[24:25] offset1:2
	s_waitcnt lgkmcnt(3)
	ds_write_b8 v14, v28
	s_waitcnt lgkmcnt(3)
	ds_write_b8 v14, v29 offset:2
.LBB18_34:
	s_or_b64 exec, exec, s[10:11]
	s_waitcnt lgkmcnt(0)
	s_barrier
	ds_read_b64 v[0:1], v11
                                        ; implicit-def: $sgpr16
	s_waitcnt lgkmcnt(0)
	v_cmp_ge_i32_e64 s[10:11], v0, v1
	v_cmp_lt_i32_e64 s[4:5], v0, v1
	s_and_saveexec_b64 s[12:13], s[4:5]
	s_cbranch_execnz .LBB18_91
; %bb.35:
	s_or_b64 exec, exec, s[12:13]
	v_mov_b32_e32 v24, s16
	s_and_saveexec_b64 s[4:5], s[10:11]
	s_cbranch_execnz .LBB18_92
.LBB18_36:
	s_or_b64 exec, exec, s[4:5]
	v_cmp_eq_u32_e64 s[4:5], v24, v23
	s_and_saveexec_b64 s[10:11], s[4:5]
	s_cbranch_execz .LBB18_38
.LBB18_37:
	v_add_u32_e32 v23, v8, v12
	ds_read_b128 v[24:27], v23
	v_mov_b32_e32 v29, v0
	ds_read_u16 v0, v10
	v_mov_b32_e32 v28, v1
	s_mov_b32 s4, 0xc0c0001
	ds_write_b64 v11, v[28:29]
	s_waitcnt lgkmcnt(2)
	v_mov_b32_e32 v28, v24
	v_mov_b32_e32 v29, v25
	s_waitcnt lgkmcnt(1)
	v_perm_b32 v0, 0, v0, s4
	ds_write_b128 v23, v[26:29]
	ds_write_b16 v10, v0
.LBB18_38:
	s_or_b64 exec, exec, s[10:11]
	v_and_b32_e32 v0, 7, v3
	v_sub_u32_e32 v25, v19, v0
	v_lshl_add_u32 v23, v25, 2, v18
	s_waitcnt lgkmcnt(0)
	s_barrier
	ds_read2_b32 v[0:1], v23 offset1:8
	v_add_u32_e32 v24, v17, v25
                                        ; implicit-def: $sgpr16
	s_waitcnt lgkmcnt(0)
	v_cmp_ge_i32_e64 s[10:11], v0, v1
	v_cmp_lt_i32_e64 s[4:5], v0, v1
	s_and_saveexec_b64 s[12:13], s[4:5]
	s_cbranch_execz .LBB18_40
; %bb.39:
	ds_read_u8 v26, v24
	s_andn2_b64 s[10:11], s[10:11], exec
	s_mov_b32 s16, 1
	s_waitcnt lgkmcnt(0)
	v_and_b32_e32 v26, 1, v26
	v_cmp_eq_u32_e64 s[4:5], 1, v26
	s_xor_b64 s[4:5], s[4:5], -1
	s_and_b64 s[4:5], s[4:5], exec
	s_or_b64 s[10:11], s[10:11], s[4:5]
.LBB18_40:
	s_or_b64 exec, exec, s[12:13]
	v_mov_b32_e32 v27, s16
	s_and_saveexec_b64 s[4:5], s[10:11]
	s_cbranch_execz .LBB18_42
; %bb.41:
	ds_read_u8 v26, v24 offset:8
	s_waitcnt lgkmcnt(0)
	v_xor_b32_e32 v27, 1, v26
.LBB18_42:
	s_or_b64 exec, exec, s[4:5]
	v_bfe_u32 v26, v3, 3, 1
	v_lshl_add_u32 v25, v25, 3, v15
	v_cmp_eq_u32_e64 s[4:5], v27, v26
	s_and_saveexec_b64 s[10:11], s[4:5]
	s_cbranch_execz .LBB18_44
; %bb.43:
	ds_read2_b64 v[28:31], v25 offset1:8
	ds_read_u8 v27, v24 offset:8
	ds_read_u8 v32, v24
	ds_write2_b32 v23, v1, v0 offset1:8
	s_waitcnt lgkmcnt(3)
	ds_write2_b64 v25, v[30:31], v[28:29] offset1:8
	s_waitcnt lgkmcnt(3)
	ds_write_b8 v24, v27
	s_waitcnt lgkmcnt(3)
	ds_write_b8 v24, v32 offset:8
.LBB18_44:
	s_or_b64 exec, exec, s[10:11]
	s_waitcnt lgkmcnt(0)
	s_barrier
	ds_read2_b32 v[0:1], v20 offset1:4
                                        ; implicit-def: $sgpr16
	s_waitcnt lgkmcnt(0)
	v_cmp_ge_i32_e64 s[10:11], v0, v1
	v_cmp_lt_i32_e64 s[4:5], v0, v1
	s_and_saveexec_b64 s[12:13], s[4:5]
	s_cbranch_execnz .LBB18_93
; %bb.45:
	s_or_b64 exec, exec, s[12:13]
	v_mov_b32_e32 v27, s16
	s_and_saveexec_b64 s[4:5], s[10:11]
	s_cbranch_execnz .LBB18_94
.LBB18_46:
	s_or_b64 exec, exec, s[4:5]
	v_cmp_eq_u32_e64 s[4:5], v27, v26
	s_and_saveexec_b64 s[10:11], s[4:5]
	s_cbranch_execz .LBB18_48
.LBB18_47:
	ds_read2_b64 v[28:31], v22 offset1:4
	ds_read_u8 v27, v21 offset:4
	ds_read_u8 v32, v21
	ds_write2_b32 v20, v1, v0 offset1:4
	s_waitcnt lgkmcnt(3)
	ds_write2_b64 v22, v[30:31], v[28:29] offset1:4
	s_waitcnt lgkmcnt(3)
	ds_write_b8 v21, v27
	s_waitcnt lgkmcnt(3)
	ds_write_b8 v21, v32 offset:4
.LBB18_48:
	s_or_b64 exec, exec, s[10:11]
	s_waitcnt lgkmcnt(0)
	s_barrier
	ds_read2_b32 v[0:1], v13 offset1:2
                                        ; implicit-def: $sgpr16
	s_waitcnt lgkmcnt(0)
	v_cmp_ge_i32_e64 s[10:11], v0, v1
	v_cmp_lt_i32_e64 s[4:5], v0, v1
	s_and_saveexec_b64 s[12:13], s[4:5]
	s_cbranch_execnz .LBB18_95
; %bb.49:
	s_or_b64 exec, exec, s[12:13]
	v_mov_b32_e32 v27, s16
	s_and_saveexec_b64 s[4:5], s[10:11]
	s_cbranch_execnz .LBB18_96
.LBB18_50:
	s_or_b64 exec, exec, s[4:5]
	v_cmp_eq_u32_e64 s[4:5], v27, v26
	s_and_saveexec_b64 s[10:11], s[4:5]
	s_cbranch_execz .LBB18_52
.LBB18_51:
	ds_read2_b64 v[28:31], v16 offset1:2
	ds_read_u8 v27, v14 offset:2
	ds_read_u8 v32, v14
	ds_write2_b32 v13, v1, v0 offset1:2
	s_waitcnt lgkmcnt(3)
	ds_write2_b64 v16, v[30:31], v[28:29] offset1:2
	s_waitcnt lgkmcnt(3)
	ds_write_b8 v14, v27
	s_waitcnt lgkmcnt(3)
	ds_write_b8 v14, v32 offset:2
.LBB18_52:
	s_or_b64 exec, exec, s[10:11]
	s_waitcnt lgkmcnt(0)
	s_barrier
	ds_read_b64 v[0:1], v11
                                        ; implicit-def: $sgpr16
	s_waitcnt lgkmcnt(0)
	v_cmp_ge_i32_e64 s[10:11], v0, v1
	v_cmp_lt_i32_e64 s[4:5], v0, v1
	s_and_saveexec_b64 s[12:13], s[4:5]
	s_cbranch_execnz .LBB18_97
; %bb.53:
	s_or_b64 exec, exec, s[12:13]
	v_mov_b32_e32 v27, s16
	s_and_saveexec_b64 s[4:5], s[10:11]
	s_cbranch_execnz .LBB18_98
.LBB18_54:
	s_or_b64 exec, exec, s[4:5]
	v_cmp_eq_u32_e64 s[4:5], v27, v26
	s_and_saveexec_b64 s[10:11], s[4:5]
	s_cbranch_execz .LBB18_56
.LBB18_55:
	v_add_u32_e32 v32, v8, v12
	ds_read_b128 v[26:29], v32
	v_mov_b32_e32 v31, v0
	ds_read_u16 v0, v10
	v_mov_b32_e32 v30, v1
	s_mov_b32 s4, 0xc0c0001
	ds_write_b64 v11, v[30:31]
	s_waitcnt lgkmcnt(2)
	v_mov_b32_e32 v30, v26
	v_mov_b32_e32 v31, v27
	s_waitcnt lgkmcnt(1)
	v_perm_b32 v0, 0, v0, s4
	ds_write_b128 v32, v[28:31]
	ds_write_b16 v10, v0
.LBB18_56:
	s_or_b64 exec, exec, s[10:11]
	v_and_b32_e32 v0, 15, v3
	v_sub_u32_e32 v19, v19, v0
	v_lshl_add_u32 v18, v19, 2, v18
	s_waitcnt lgkmcnt(0)
	s_barrier
	ds_read2_b32 v[0:1], v18 offset1:16
	v_add_u32_e32 v17, v17, v19
	s_waitcnt lgkmcnt(0)
	v_cmp_ge_i32_e64 s[12:13], v0, v1
	v_cmp_lt_i32_e64 s[4:5], v0, v1
	s_and_saveexec_b64 s[10:11], s[4:5]
	s_cbranch_execz .LBB18_58
; %bb.57:
	ds_read_u8 v26, v17
	s_andn2_b64 s[12:13], s[12:13], exec
	s_waitcnt lgkmcnt(0)
	v_and_b32_e32 v26, 1, v26
	v_cmp_eq_u32_e64 s[4:5], 1, v26
	s_xor_b64 s[4:5], s[4:5], -1
	s_and_b64 s[4:5], s[4:5], exec
	s_or_b64 s[12:13], s[12:13], s[4:5]
.LBB18_58:
	s_or_b64 exec, exec, s[10:11]
	s_and_saveexec_b64 s[10:11], s[12:13]
	s_cbranch_execz .LBB18_61
; %bb.59:
	ds_read_u8 v26, v17 offset:16
	s_waitcnt lgkmcnt(0)
	v_cmp_ne_u16_e64 s[4:5], 0, v26
	s_and_b64 exec, exec, s[4:5]
	s_cbranch_execz .LBB18_61
; %bb.60:
	v_lshl_add_u32 v15, v19, 3, v15
	ds_read2_b64 v[28:31], v15 offset1:16
	ds_read_u8 v19, v17
	ds_write2_b32 v18, v1, v0 offset1:16
	ds_write_b8 v17, v26
	s_waitcnt lgkmcnt(3)
	ds_write2_b64 v15, v[30:31], v[28:29] offset1:16
	s_waitcnt lgkmcnt(3)
	ds_write_b8 v17, v19 offset:16
.LBB18_61:
	s_or_b64 exec, exec, s[10:11]
	s_waitcnt lgkmcnt(0)
	s_barrier
	ds_read2_b32 v[0:1], v23 offset1:8
	s_waitcnt lgkmcnt(0)
	v_cmp_ge_i32_e64 s[12:13], v0, v1
	v_cmp_lt_i32_e64 s[4:5], v0, v1
	s_and_saveexec_b64 s[10:11], s[4:5]
	s_cbranch_execz .LBB18_63
; %bb.62:
	ds_read_u8 v15, v24
	s_andn2_b64 s[12:13], s[12:13], exec
	s_waitcnt lgkmcnt(0)
	v_and_b32_e32 v15, 1, v15
	v_cmp_eq_u32_e64 s[4:5], 1, v15
	s_xor_b64 s[4:5], s[4:5], -1
	s_and_b64 s[4:5], s[4:5], exec
	s_or_b64 s[12:13], s[12:13], s[4:5]
.LBB18_63:
	s_or_b64 exec, exec, s[10:11]
	s_and_saveexec_b64 s[10:11], s[12:13]
	s_cbranch_execz .LBB18_66
; %bb.64:
	ds_read_u8 v15, v24 offset:8
	s_waitcnt lgkmcnt(0)
	v_cmp_ne_u16_e64 s[4:5], 0, v15
	s_and_b64 exec, exec, s[4:5]
	s_cbranch_execz .LBB18_66
; %bb.65:
	ds_read2_b64 v[26:29], v25 offset1:8
	ds_read_u8 v17, v24
	ds_write2_b32 v23, v1, v0 offset1:8
	ds_write_b8 v24, v15
	s_waitcnt lgkmcnt(3)
	ds_write2_b64 v25, v[28:29], v[26:27] offset1:8
	s_waitcnt lgkmcnt(3)
	ds_write_b8 v24, v17 offset:8
.LBB18_66:
	s_or_b64 exec, exec, s[10:11]
	s_waitcnt lgkmcnt(0)
	s_barrier
	ds_read2_b32 v[0:1], v20 offset1:4
	s_waitcnt lgkmcnt(0)
	v_cmp_ge_i32_e64 s[12:13], v0, v1
	v_cmp_lt_i32_e64 s[4:5], v0, v1
	s_and_saveexec_b64 s[10:11], s[4:5]
	s_cbranch_execz .LBB18_68
; %bb.67:
	ds_read_u8 v15, v21
	s_andn2_b64 s[12:13], s[12:13], exec
	s_waitcnt lgkmcnt(0)
	v_and_b32_e32 v15, 1, v15
	v_cmp_eq_u32_e64 s[4:5], 1, v15
	s_xor_b64 s[4:5], s[4:5], -1
	s_and_b64 s[4:5], s[4:5], exec
	s_or_b64 s[12:13], s[12:13], s[4:5]
.LBB18_68:
	s_or_b64 exec, exec, s[10:11]
	s_and_saveexec_b64 s[10:11], s[12:13]
	s_cbranch_execz .LBB18_71
; %bb.69:
	ds_read_u8 v15, v21 offset:4
	s_waitcnt lgkmcnt(0)
	v_cmp_ne_u16_e64 s[4:5], 0, v15
	s_and_b64 exec, exec, s[4:5]
	s_cbranch_execz .LBB18_71
; %bb.70:
	ds_read2_b64 v[24:27], v22 offset1:4
	ds_read_u8 v17, v21
	ds_write2_b32 v20, v1, v0 offset1:4
	ds_write_b8 v21, v15
	s_waitcnt lgkmcnt(3)
	ds_write2_b64 v22, v[26:27], v[24:25] offset1:4
	s_waitcnt lgkmcnt(3)
	ds_write_b8 v21, v17 offset:4
.LBB18_71:
	;; [unrolled: 38-line block ×3, first 2 shown]
	s_or_b64 exec, exec, s[10:11]
	s_waitcnt lgkmcnt(0)
	s_barrier
	ds_read_b64 v[0:1], v11
	s_waitcnt lgkmcnt(0)
	v_cmp_ge_i32_e64 s[12:13], v0, v1
	v_cmp_lt_i32_e64 s[4:5], v0, v1
	s_and_saveexec_b64 s[10:11], s[4:5]
	s_cbranch_execz .LBB18_78
; %bb.77:
	ds_read_u8 v13, v10
	s_andn2_b64 s[12:13], s[12:13], exec
	s_waitcnt lgkmcnt(0)
	v_and_b32_e32 v13, 1, v13
	v_cmp_eq_u32_e64 s[4:5], 1, v13
	s_xor_b64 s[4:5], s[4:5], -1
	s_and_b64 s[4:5], s[4:5], exec
	s_or_b64 s[12:13], s[12:13], s[4:5]
.LBB18_78:
	s_or_b64 exec, exec, s[10:11]
	s_and_saveexec_b64 s[10:11], s[12:13]
	s_cbranch_execz .LBB18_81
; %bb.79:
	ds_read_u8 v13, v10 offset:1
	s_waitcnt lgkmcnt(0)
	v_cmp_ne_u16_e64 s[4:5], 0, v13
	s_and_b64 exec, exec, s[4:5]
	s_cbranch_execz .LBB18_81
; %bb.80:
	v_add_u32_e32 v12, v8, v12
	ds_read_b128 v[14:17], v12
	v_mov_b32_e32 v19, v0
	ds_read_u8 v0, v10
	v_mov_b32_e32 v18, v1
	ds_write_b64 v11, v[18:19]
	s_waitcnt lgkmcnt(2)
	v_mov_b32_e32 v18, v14
	v_mov_b32_e32 v19, v15
	s_waitcnt lgkmcnt(1)
	v_lshlrev_b16_e32 v0, 8, v0
	v_or_b32_e32 v0, v13, v0
	ds_write_b128 v12, v[16:19]
	ds_write_b16 v10, v0
.LBB18_81:
	s_or_b64 exec, exec, s[10:11]
	s_waitcnt lgkmcnt(0)
	s_barrier
	s_and_saveexec_b64 s[4:5], vcc
	s_cbranch_execz .LBB18_86
; %bb.82:
	s_and_saveexec_b64 s[4:5], s[0:1]
	s_cbranch_execz .LBB18_84
; %bb.83:
	ds_read_b32 v12, v9
	v_mad_u64_u32 v[0:1], s[0:1], v3, s14, v[4:5]
	v_mov_b32_e32 v1, 0
	v_lshlrev_b64 v[10:11], 2, v[0:1]
	v_mov_b32_e32 v0, s7
	v_add_co_u32_e32 v10, vcc, s6, v10
	v_addc_co_u32_e32 v11, vcc, v0, v11, vcc
	ds_read_b64 v[8:9], v8
	s_waitcnt lgkmcnt(1)
	global_store_dword v[10:11], v12, off
	v_mad_u64_u32 v[10:11], s[0:1], v3, s15, v[2:3]
	v_mov_b32_e32 v11, v1
	v_lshlrev_b64 v[0:1], 3, v[10:11]
	v_mov_b32_e32 v3, s9
	v_add_co_u32_e32 v0, vcc, s8, v0
	v_addc_co_u32_e32 v1, vcc, v3, v1, vcc
	s_waitcnt lgkmcnt(0)
	global_store_dwordx2 v[0:1], v[8:9], off
.LBB18_84:
	s_or_b64 exec, exec, s[4:5]
	s_and_b64 exec, exec, s[2:3]
	s_cbranch_execz .LBB18_86
; %bb.85:
	ds_read_b32 v3, v7
	v_mad_u64_u32 v[0:1], s[0:1], v5, s14, v[4:5]
	v_mov_b32_e32 v1, 0
	v_lshlrev_b64 v[8:9], 2, v[0:1]
	v_mov_b32_e32 v0, s7
	v_add_co_u32_e32 v8, vcc, s6, v8
	v_addc_co_u32_e32 v9, vcc, v0, v9, vcc
	ds_read_b64 v[6:7], v6
	s_waitcnt lgkmcnt(1)
	global_store_dword v[8:9], v3, off
	v_mad_u64_u32 v[2:3], s[0:1], v5, s15, v[2:3]
	v_mov_b32_e32 v3, v1
	v_lshlrev_b64 v[0:1], 3, v[2:3]
	v_mov_b32_e32 v2, s9
	v_add_co_u32_e32 v0, vcc, s8, v0
	v_addc_co_u32_e32 v1, vcc, v2, v1, vcc
	s_waitcnt lgkmcnt(0)
	global_store_dwordx2 v[0:1], v[6:7], off
.LBB18_86:
	s_endpgm
.LBB18_87:
	ds_read_u8 v21, v10
	s_andn2_b64 s[10:11], s[10:11], exec
	s_mov_b32 s16, 1
	s_waitcnt lgkmcnt(0)
	v_and_b32_e32 v21, 1, v21
	v_cmp_eq_u32_e64 s[4:5], 1, v21
	s_xor_b64 s[4:5], s[4:5], -1
	s_and_b64 s[4:5], s[4:5], exec
	s_or_b64 s[10:11], s[10:11], s[4:5]
	s_or_b64 exec, exec, s[12:13]
	v_mov_b32_e32 v21, s16
	s_and_saveexec_b64 s[4:5], s[10:11]
	s_cbranch_execz .LBB18_22
.LBB18_88:
	ds_read_u8 v21, v10 offset:1
	s_waitcnt lgkmcnt(0)
	v_xor_b32_e32 v21, 1, v21
	s_or_b64 exec, exec, s[4:5]
	v_cmp_eq_u32_e64 s[4:5], v21, v20
	s_and_saveexec_b64 s[10:11], s[4:5]
	s_cbranch_execnz .LBB18_23
	s_branch .LBB18_24
.LBB18_89:
	ds_read_u8 v24, v14
	s_andn2_b64 s[10:11], s[10:11], exec
	s_mov_b32 s16, 1
	s_waitcnt lgkmcnt(0)
	v_and_b32_e32 v24, 1, v24
	v_cmp_eq_u32_e64 s[4:5], 1, v24
	s_xor_b64 s[4:5], s[4:5], -1
	s_and_b64 s[4:5], s[4:5], exec
	s_or_b64 s[10:11], s[10:11], s[4:5]
	s_or_b64 exec, exec, s[12:13]
	v_mov_b32_e32 v24, s16
	s_and_saveexec_b64 s[4:5], s[10:11]
	s_cbranch_execz .LBB18_32
.LBB18_90:
	ds_read_u8 v24, v14 offset:2
	s_waitcnt lgkmcnt(0)
	v_xor_b32_e32 v24, 1, v24
	s_or_b64 exec, exec, s[4:5]
	v_cmp_eq_u32_e64 s[4:5], v24, v23
	s_and_saveexec_b64 s[10:11], s[4:5]
	s_cbranch_execnz .LBB18_33
	s_branch .LBB18_34
.LBB18_91:
	ds_read_u8 v24, v10
	s_andn2_b64 s[10:11], s[10:11], exec
	s_mov_b32 s16, 1
	s_waitcnt lgkmcnt(0)
	v_and_b32_e32 v24, 1, v24
	v_cmp_eq_u32_e64 s[4:5], 1, v24
	s_xor_b64 s[4:5], s[4:5], -1
	s_and_b64 s[4:5], s[4:5], exec
	s_or_b64 s[10:11], s[10:11], s[4:5]
	s_or_b64 exec, exec, s[12:13]
	v_mov_b32_e32 v24, s16
	s_and_saveexec_b64 s[4:5], s[10:11]
	s_cbranch_execz .LBB18_36
.LBB18_92:
	ds_read_u8 v24, v10 offset:1
	s_waitcnt lgkmcnt(0)
	v_xor_b32_e32 v24, 1, v24
	s_or_b64 exec, exec, s[4:5]
	v_cmp_eq_u32_e64 s[4:5], v24, v23
	s_and_saveexec_b64 s[10:11], s[4:5]
	s_cbranch_execnz .LBB18_37
	s_branch .LBB18_38
.LBB18_93:
	ds_read_u8 v27, v21
	s_andn2_b64 s[10:11], s[10:11], exec
	s_mov_b32 s16, 1
	s_waitcnt lgkmcnt(0)
	v_and_b32_e32 v27, 1, v27
	v_cmp_eq_u32_e64 s[4:5], 1, v27
	s_xor_b64 s[4:5], s[4:5], -1
	s_and_b64 s[4:5], s[4:5], exec
	s_or_b64 s[10:11], s[10:11], s[4:5]
	s_or_b64 exec, exec, s[12:13]
	v_mov_b32_e32 v27, s16
	s_and_saveexec_b64 s[4:5], s[10:11]
	s_cbranch_execz .LBB18_46
.LBB18_94:
	ds_read_u8 v27, v21 offset:4
	s_waitcnt lgkmcnt(0)
	v_xor_b32_e32 v27, 1, v27
	s_or_b64 exec, exec, s[4:5]
	v_cmp_eq_u32_e64 s[4:5], v27, v26
	s_and_saveexec_b64 s[10:11], s[4:5]
	s_cbranch_execnz .LBB18_47
	s_branch .LBB18_48
.LBB18_95:
	ds_read_u8 v27, v14
	s_andn2_b64 s[10:11], s[10:11], exec
	s_mov_b32 s16, 1
	s_waitcnt lgkmcnt(0)
	v_and_b32_e32 v27, 1, v27
	v_cmp_eq_u32_e64 s[4:5], 1, v27
	s_xor_b64 s[4:5], s[4:5], -1
	s_and_b64 s[4:5], s[4:5], exec
	s_or_b64 s[10:11], s[10:11], s[4:5]
	s_or_b64 exec, exec, s[12:13]
	v_mov_b32_e32 v27, s16
	s_and_saveexec_b64 s[4:5], s[10:11]
	s_cbranch_execz .LBB18_50
.LBB18_96:
	ds_read_u8 v27, v14 offset:2
	s_waitcnt lgkmcnt(0)
	v_xor_b32_e32 v27, 1, v27
	s_or_b64 exec, exec, s[4:5]
	v_cmp_eq_u32_e64 s[4:5], v27, v26
	s_and_saveexec_b64 s[10:11], s[4:5]
	s_cbranch_execnz .LBB18_51
	s_branch .LBB18_52
.LBB18_97:
	ds_read_u8 v27, v10
	s_andn2_b64 s[10:11], s[10:11], exec
	s_mov_b32 s16, 1
	s_waitcnt lgkmcnt(0)
	v_and_b32_e32 v27, 1, v27
	v_cmp_eq_u32_e64 s[4:5], 1, v27
	s_xor_b64 s[4:5], s[4:5], -1
	s_and_b64 s[4:5], s[4:5], exec
	s_or_b64 s[10:11], s[10:11], s[4:5]
	s_or_b64 exec, exec, s[12:13]
	v_mov_b32_e32 v27, s16
	s_and_saveexec_b64 s[4:5], s[10:11]
	s_cbranch_execz .LBB18_54
.LBB18_98:
	ds_read_u8 v27, v10 offset:1
	s_waitcnt lgkmcnt(0)
	v_xor_b32_e32 v27, 1, v27
	s_or_b64 exec, exec, s[4:5]
	v_cmp_eq_u32_e64 s[4:5], v27, v26
	s_and_saveexec_b64 s[10:11], s[4:5]
	s_cbranch_execnz .LBB18_55
	s_branch .LBB18_56
	.section	.rodata,"a",@progbits
	.p2align	6, 0x0
	.amdhsa_kernel _ZN2at6native20bitonicSortKVInPlaceILi2ELin1ELi16ELi16EilNS0_4LTOpIiLb1EEEjEEvNS_4cuda6detail10TensorInfoIT3_T6_EES8_S8_S8_NS6_IT4_S8_EES8_T5_
		.amdhsa_group_segment_fixed_size 6656
		.amdhsa_private_segment_fixed_size 0
		.amdhsa_kernarg_size 712
		.amdhsa_user_sgpr_count 6
		.amdhsa_user_sgpr_private_segment_buffer 1
		.amdhsa_user_sgpr_dispatch_ptr 0
		.amdhsa_user_sgpr_queue_ptr 0
		.amdhsa_user_sgpr_kernarg_segment_ptr 1
		.amdhsa_user_sgpr_dispatch_id 0
		.amdhsa_user_sgpr_flat_scratch_init 0
		.amdhsa_user_sgpr_kernarg_preload_length 0
		.amdhsa_user_sgpr_kernarg_preload_offset 0
		.amdhsa_user_sgpr_private_segment_size 0
		.amdhsa_uses_dynamic_stack 0
		.amdhsa_system_sgpr_private_segment_wavefront_offset 0
		.amdhsa_system_sgpr_workgroup_id_x 1
		.amdhsa_system_sgpr_workgroup_id_y 1
		.amdhsa_system_sgpr_workgroup_id_z 1
		.amdhsa_system_sgpr_workgroup_info 0
		.amdhsa_system_vgpr_workitem_id 1
		.amdhsa_next_free_vgpr 33
		.amdhsa_next_free_sgpr 20
		.amdhsa_accum_offset 36
		.amdhsa_reserve_vcc 1
		.amdhsa_reserve_flat_scratch 0
		.amdhsa_float_round_mode_32 0
		.amdhsa_float_round_mode_16_64 0
		.amdhsa_float_denorm_mode_32 3
		.amdhsa_float_denorm_mode_16_64 3
		.amdhsa_dx10_clamp 1
		.amdhsa_ieee_mode 1
		.amdhsa_fp16_overflow 0
		.amdhsa_tg_split 0
		.amdhsa_exception_fp_ieee_invalid_op 0
		.amdhsa_exception_fp_denorm_src 0
		.amdhsa_exception_fp_ieee_div_zero 0
		.amdhsa_exception_fp_ieee_overflow 0
		.amdhsa_exception_fp_ieee_underflow 0
		.amdhsa_exception_fp_ieee_inexact 0
		.amdhsa_exception_int_div_zero 0
	.end_amdhsa_kernel
	.section	.text._ZN2at6native20bitonicSortKVInPlaceILi2ELin1ELi16ELi16EilNS0_4LTOpIiLb1EEEjEEvNS_4cuda6detail10TensorInfoIT3_T6_EES8_S8_S8_NS6_IT4_S8_EES8_T5_,"axG",@progbits,_ZN2at6native20bitonicSortKVInPlaceILi2ELin1ELi16ELi16EilNS0_4LTOpIiLb1EEEjEEvNS_4cuda6detail10TensorInfoIT3_T6_EES8_S8_S8_NS6_IT4_S8_EES8_T5_,comdat
.Lfunc_end18:
	.size	_ZN2at6native20bitonicSortKVInPlaceILi2ELin1ELi16ELi16EilNS0_4LTOpIiLb1EEEjEEvNS_4cuda6detail10TensorInfoIT3_T6_EES8_S8_S8_NS6_IT4_S8_EES8_T5_, .Lfunc_end18-_ZN2at6native20bitonicSortKVInPlaceILi2ELin1ELi16ELi16EilNS0_4LTOpIiLb1EEEjEEvNS_4cuda6detail10TensorInfoIT3_T6_EES8_S8_S8_NS6_IT4_S8_EES8_T5_
                                        ; -- End function
	.section	.AMDGPU.csdata,"",@progbits
; Kernel info:
; codeLenInByte = 4744
; NumSgprs: 24
; NumVgprs: 33
; NumAgprs: 0
; TotalNumVgprs: 33
; ScratchSize: 0
; MemoryBound: 0
; FloatMode: 240
; IeeeMode: 1
; LDSByteSize: 6656 bytes/workgroup (compile time only)
; SGPRBlocks: 2
; VGPRBlocks: 4
; NumSGPRsForWavesPerEU: 24
; NumVGPRsForWavesPerEU: 33
; AccumOffset: 36
; Occupancy: 8
; WaveLimiterHint : 1
; COMPUTE_PGM_RSRC2:SCRATCH_EN: 0
; COMPUTE_PGM_RSRC2:USER_SGPR: 6
; COMPUTE_PGM_RSRC2:TRAP_HANDLER: 0
; COMPUTE_PGM_RSRC2:TGID_X_EN: 1
; COMPUTE_PGM_RSRC2:TGID_Y_EN: 1
; COMPUTE_PGM_RSRC2:TGID_Z_EN: 1
; COMPUTE_PGM_RSRC2:TIDIG_COMP_CNT: 1
; COMPUTE_PGM_RSRC3_GFX90A:ACCUM_OFFSET: 8
; COMPUTE_PGM_RSRC3_GFX90A:TG_SPLIT: 0
	.section	.text._ZN2at6native20bitonicSortKVInPlaceILi2ELin1ELi16ELi16EilNS0_4GTOpIiLb1EEEjEEvNS_4cuda6detail10TensorInfoIT3_T6_EES8_S8_S8_NS6_IT4_S8_EES8_T5_,"axG",@progbits,_ZN2at6native20bitonicSortKVInPlaceILi2ELin1ELi16ELi16EilNS0_4GTOpIiLb1EEEjEEvNS_4cuda6detail10TensorInfoIT3_T6_EES8_S8_S8_NS6_IT4_S8_EES8_T5_,comdat
	.protected	_ZN2at6native20bitonicSortKVInPlaceILi2ELin1ELi16ELi16EilNS0_4GTOpIiLb1EEEjEEvNS_4cuda6detail10TensorInfoIT3_T6_EES8_S8_S8_NS6_IT4_S8_EES8_T5_ ; -- Begin function _ZN2at6native20bitonicSortKVInPlaceILi2ELin1ELi16ELi16EilNS0_4GTOpIiLb1EEEjEEvNS_4cuda6detail10TensorInfoIT3_T6_EES8_S8_S8_NS6_IT4_S8_EES8_T5_
	.globl	_ZN2at6native20bitonicSortKVInPlaceILi2ELin1ELi16ELi16EilNS0_4GTOpIiLb1EEEjEEvNS_4cuda6detail10TensorInfoIT3_T6_EES8_S8_S8_NS6_IT4_S8_EES8_T5_
	.p2align	8
	.type	_ZN2at6native20bitonicSortKVInPlaceILi2ELin1ELi16ELi16EilNS0_4GTOpIiLb1EEEjEEvNS_4cuda6detail10TensorInfoIT3_T6_EES8_S8_S8_NS6_IT4_S8_EES8_T5_,@function
_ZN2at6native20bitonicSortKVInPlaceILi2ELin1ELi16ELi16EilNS0_4GTOpIiLb1EEEjEEvNS_4cuda6detail10TensorInfoIT3_T6_EES8_S8_S8_NS6_IT4_S8_EES8_T5_: ; @_ZN2at6native20bitonicSortKVInPlaceILi2ELin1ELi16ELi16EilNS0_4GTOpIiLb1EEEjEEvNS_4cuda6detail10TensorInfoIT3_T6_EES8_S8_S8_NS6_IT4_S8_EES8_T5_
; %bb.0:
	s_load_dwordx2 s[0:1], s[4:5], 0x1c8
	s_load_dwordx4 s[12:15], s[4:5], 0xd8
	s_load_dword s9, s[4:5], 0x1d4
	s_add_u32 s2, s4, 0x1c8
	s_addc_u32 s3, s5, 0
	s_waitcnt lgkmcnt(0)
	s_mul_i32 s1, s1, s8
	s_add_i32 s1, s1, s7
	s_mul_i32 s0, s1, s0
	s_add_i32 s0, s0, s6
	s_lshr_b32 s1, s9, 16
	s_mul_i32 s0, s0, s1
	s_cmp_ge_u32 s0, s12
	s_cbranch_scc1 .LBB19_86
; %bb.1:
	s_load_dword s15, s[4:5], 0xc
	s_load_dwordx2 s[8:9], s[4:5], 0x6c
	s_load_dword s17, s[4:5], 0x1b8
	s_add_u32 s10, s4, 0xe8
	v_bfe_u32 v8, v0, 10, 10
	s_waitcnt lgkmcnt(0)
	v_cvt_f32_u32_e32 v1, s15
	s_load_dwordx2 s[6:7], s[4:5], 0x0
	s_addc_u32 s11, s5, 0
	s_mov_b32 s1, 0
	v_rcp_iflag_f32_e32 v1, v1
	v_mov_b32_e32 v2, 0
	v_mul_f32_e32 v1, 0x4f7ffffe, v1
	v_cvt_u32_f32_e32 v3, v1
	v_add_u32_e32 v1, s0, v8
	s_sub_i32 s0, 0, s15
	s_cmp_lt_i32 s17, 2
	v_mul_lo_u32 v4, s0, v3
	v_mul_hi_u32 v4, v3, v4
	v_add_u32_e32 v3, v3, v4
	v_mad_u64_u32 v[4:5], s[18:19], v1, v3, 0
	v_mov_b32_e32 v6, v1
	s_cbranch_scc1 .LBB19_4
; %bb.2:
	s_add_i32 s0, s17, -1
	s_add_i32 s16, s17, 1
	s_lshl_b64 s[0:1], s[0:1], 2
	s_add_u32 s0, s0, s10
	s_addc_u32 s1, s1, s11
	s_add_u32 s0, s0, 8
	s_addc_u32 s1, s1, 0
	v_mov_b32_e32 v2, 0
	v_mov_b32_e32 v6, v1
.LBB19_3:                               ; =>This Inner Loop Header: Depth=1
	s_load_dword s17, s[0:1], 0x0
	s_load_dword s18, s[0:1], 0x64
	v_mov_b32_e32 v3, v6
	s_add_i32 s16, s16, -1
	s_waitcnt lgkmcnt(0)
	v_cvt_f32_u32_e32 v4, s17
	s_sub_i32 s19, 0, s17
	s_add_u32 s0, s0, -4
	s_addc_u32 s1, s1, -1
	v_rcp_iflag_f32_e32 v4, v4
	s_cmp_gt_u32 s16, 2
	v_mul_f32_e32 v4, 0x4f7ffffe, v4
	v_cvt_u32_f32_e32 v4, v4
	v_mul_lo_u32 v6, s19, v4
	v_mul_hi_u32 v6, v4, v6
	v_add_u32_e32 v4, v4, v6
	v_mul_hi_u32 v4, v3, v4
	v_mul_lo_u32 v6, v4, s17
	v_sub_u32_e32 v6, v3, v6
	v_add_u32_e32 v7, 1, v4
	v_cmp_le_u32_e32 vcc, s17, v6
	v_cndmask_b32_e32 v4, v4, v7, vcc
	v_subrev_u32_e32 v7, s17, v6
	v_cndmask_b32_e32 v6, v6, v7, vcc
	v_add_u32_e32 v7, 1, v4
	v_cmp_le_u32_e32 vcc, s17, v6
	v_cndmask_b32_e32 v6, v4, v7, vcc
	v_mul_lo_u32 v4, v6, s17
	v_sub_u32_e32 v3, v3, v4
	v_mad_u64_u32 v[2:3], s[18:19], s18, v3, v[2:3]
	s_cbranch_scc1 .LBB19_3
.LBB19_4:
	v_mul_lo_u32 v3, v5, s15
	v_sub_u32_e32 v3, v1, v3
	v_add_u32_e32 v4, 1, v5
	v_cmp_le_u32_e64 s[0:1], s15, v3
	v_cndmask_b32_e64 v4, v5, v4, s[0:1]
	v_subrev_u32_e32 v5, s15, v3
	v_cndmask_b32_e64 v3, v3, v5, s[0:1]
	v_add_u32_e32 v5, 1, v4
	v_cmp_le_u32_e64 s[0:1], s15, v3
	v_cndmask_b32_e64 v3, v4, v5, s[0:1]
	v_cmp_gt_u32_e32 vcc, s12, v1
	v_mul_lo_u32 v4, v3, s15
	s_load_dword s15, s[4:5], 0x1c0
	s_load_dword s12, s[10:11], 0x6c
	v_sub_u32_e32 v1, v1, v4
	v_mul_lo_u32 v4, v1, s9
	v_mad_u64_u32 v[4:5], s[0:1], v3, s8, v[4:5]
	s_load_dwordx2 s[8:9], s[10:11], 0x0
	s_waitcnt lgkmcnt(0)
	v_mad_u64_u32 v[2:3], s[0:1], s12, v6, v[2:3]
	s_load_dword s12, s[2:3], 0xc
	v_and_b32_e32 v3, 0x3ff, v0
	v_cmp_gt_u32_e64 s[0:1], s13, v3
	v_pk_mov_b32 v[0:1], 0, 0
	s_and_b64 s[4:5], vcc, s[0:1]
	v_mov_b32_e32 v10, 0
	v_mov_b32_e32 v5, 0
	v_pk_mov_b32 v[6:7], v[0:1], v[0:1] op_sel:[0,1]
	s_and_saveexec_b64 s[10:11], s[4:5]
	s_cbranch_execz .LBB19_6
; %bb.5:
	v_mad_u64_u32 v[6:7], s[2:3], v3, s14, v[4:5]
	v_mov_b32_e32 v7, 0
	v_lshlrev_b64 v[12:13], 2, v[6:7]
	v_mov_b32_e32 v5, s7
	v_add_co_u32_e64 v12, s[2:3], s6, v12
	v_addc_co_u32_e64 v13, s[2:3], v5, v13, s[2:3]
	global_load_dword v5, v[12:13], off
	v_mad_u64_u32 v[12:13], s[2:3], v3, s15, v[2:3]
	v_mov_b32_e32 v13, v7
	v_lshlrev_b64 v[6:7], 3, v[12:13]
	v_mov_b32_e32 v9, s9
	v_add_co_u32_e64 v6, s[2:3], s8, v6
	v_addc_co_u32_e64 v7, s[2:3], v9, v7, s[2:3]
	global_load_dwordx2 v[6:7], v[6:7], off
.LBB19_6:
	s_or_b64 exec, exec, s[10:11]
	v_mov_b32_e32 v9, 0x1000
	v_lshl_add_u32 v18, v8, 7, v9
	v_mov_b32_e32 v9, 0x1800
	v_lshl_add_u32 v17, v8, 5, v9
	v_lshl_add_u32 v9, v3, 2, v18
	s_waitcnt lgkmcnt(0)
	s_and_b32 s16, 0xffff, s12
	v_cndmask_b32_e64 v11, 0, 1, s[4:5]
	s_waitcnt vmcnt(1)
	ds_write_b32 v9, v5
	v_add_u32_e32 v5, v17, v3
	ds_write_b8 v5, v11
	v_add_u32_e32 v5, s16, v3
	v_lshlrev_b32_e32 v15, 8, v8
	v_cmp_gt_u32_e64 s[2:3], s13, v5
	v_lshl_add_u32 v8, v3, 3, v15
	s_and_b64 s[10:11], vcc, s[2:3]
	s_waitcnt vmcnt(0)
	ds_write_b64 v8, v[6:7]
	s_and_saveexec_b64 s[12:13], s[10:11]
	s_cbranch_execz .LBB19_8
; %bb.7:
	v_mad_u64_u32 v[0:1], s[4:5], v5, s14, v[4:5]
	v_mov_b32_e32 v1, 0
	v_lshlrev_b64 v[6:7], 2, v[0:1]
	v_mov_b32_e32 v0, s7
	v_add_co_u32_e64 v6, s[4:5], s6, v6
	v_addc_co_u32_e64 v7, s[4:5], v0, v7, s[4:5]
	global_load_dword v10, v[6:7], off
	v_mad_u64_u32 v[6:7], s[4:5], v5, s15, v[2:3]
	v_mov_b32_e32 v7, v1
	v_lshlrev_b64 v[0:1], 3, v[6:7]
	v_mov_b32_e32 v6, s9
	v_add_co_u32_e64 v0, s[4:5], s8, v0
	v_addc_co_u32_e64 v1, s[4:5], v6, v1, s[4:5]
	global_load_dwordx2 v[0:1], v[0:1], off
.LBB19_8:
	s_or_b64 exec, exec, s[12:13]
	v_lshl_add_u32 v6, s16, 3, v8
	v_cndmask_b32_e64 v11, 0, 1, s[10:11]
	s_waitcnt vmcnt(0)
	ds_write_b64 v6, v[0:1]
	v_add_u32_e32 v0, v17, v5
	ds_write_b8 v0, v11
	v_lshlrev_b32_e32 v0, 2, v3
	v_lshl_add_u32 v7, s16, 2, v9
	v_add_u32_e32 v11, v9, v0
	ds_write_b32 v7, v10
	s_waitcnt lgkmcnt(0)
	s_barrier
	ds_read_b64 v[0:1], v11
	v_lshlrev_b32_e32 v19, 1, v3
	s_mov_b32 s16, 1
	v_add_u32_e32 v10, v17, v19
	s_waitcnt lgkmcnt(0)
	v_cmp_le_i32_e64 s[10:11], v0, v1
	v_cmp_gt_i32_e64 s[4:5], v0, v1
	s_and_saveexec_b64 s[12:13], s[4:5]
	s_xor_b64 s[12:13], exec, s[12:13]
	s_cbranch_execz .LBB19_10
; %bb.9:
	ds_read_u8 v12, v10
	s_andn2_b64 s[10:11], s[10:11], exec
	s_waitcnt lgkmcnt(0)
	v_and_b32_e32 v12, 1, v12
	v_cmp_eq_u32_e64 s[4:5], 1, v12
	s_xor_b64 s[4:5], s[4:5], -1
	s_and_b64 s[4:5], s[4:5], exec
	s_or_b64 s[10:11], s[10:11], s[4:5]
.LBB19_10:
	s_or_b64 exec, exec, s[12:13]
	v_mov_b32_e32 v14, s16
	s_and_saveexec_b64 s[4:5], s[10:11]
	s_cbranch_execz .LBB19_12
; %bb.11:
	ds_read_u8 v12, v10 offset:1
	s_waitcnt lgkmcnt(0)
	v_xor_b32_e32 v14, 1, v12
.LBB19_12:
	s_or_b64 exec, exec, s[4:5]
	v_and_b32_e32 v13, 1, v3
	v_lshlrev_b32_e32 v12, 3, v3
	v_cmp_eq_u32_e64 s[4:5], v14, v13
	s_and_saveexec_b64 s[10:11], s[4:5]
	s_cbranch_execz .LBB19_14
; %bb.13:
	v_add_u32_e32 v14, v8, v12
	ds_read_b128 v[20:23], v14
	v_mov_b32_e32 v25, v0
	ds_read_u16 v0, v10
	v_mov_b32_e32 v24, v1
	s_mov_b32 s4, 0xc0c0001
	ds_write_b64 v11, v[24:25]
	s_waitcnt lgkmcnt(2)
	v_mov_b32_e32 v24, v20
	v_mov_b32_e32 v25, v21
	s_waitcnt lgkmcnt(1)
	v_perm_b32 v0, 0, v0, s4
	ds_write_b128 v14, v[22:25]
	ds_write_b16 v10, v0
.LBB19_14:
	s_or_b64 exec, exec, s[10:11]
	v_sub_u32_e32 v16, v19, v13
	v_lshl_add_u32 v13, v16, 2, v18
	s_waitcnt lgkmcnt(0)
	s_barrier
	ds_read2_b32 v[0:1], v13 offset1:2
	s_mov_b64 s[10:11], -1
	v_add_u32_e32 v14, v17, v16
                                        ; implicit-def: $sgpr16
	s_waitcnt lgkmcnt(0)
	v_cmp_gt_i32_e64 s[4:5], v0, v1
	s_and_saveexec_b64 s[12:13], s[4:5]
	s_xor_b64 s[12:13], exec, s[12:13]
	s_cbranch_execz .LBB19_16
; %bb.15:
	ds_read_u8 v20, v14
	s_mov_b32 s16, 1
	s_waitcnt lgkmcnt(0)
	v_and_b32_e32 v20, 1, v20
	v_cmp_eq_u32_e64 s[4:5], 1, v20
	s_xor_b64 s[4:5], s[4:5], -1
	s_orn2_b64 s[10:11], s[4:5], exec
.LBB19_16:
	s_or_b64 exec, exec, s[12:13]
	v_mov_b32_e32 v21, s16
	s_and_saveexec_b64 s[4:5], s[10:11]
	s_cbranch_execz .LBB19_18
; %bb.17:
	ds_read_u8 v20, v14 offset:2
	s_waitcnt lgkmcnt(0)
	v_xor_b32_e32 v21, 1, v20
.LBB19_18:
	s_or_b64 exec, exec, s[4:5]
	v_bfe_u32 v20, v3, 1, 1
	v_lshl_add_u32 v16, v16, 3, v15
	v_cmp_eq_u32_e64 s[4:5], v21, v20
	s_and_saveexec_b64 s[10:11], s[4:5]
	s_cbranch_execz .LBB19_20
; %bb.19:
	ds_read2_b64 v[22:25], v16 offset1:2
	ds_read_u8 v21, v14 offset:2
	ds_read_u8 v26, v14
	ds_write2_b32 v13, v1, v0 offset1:2
	s_waitcnt lgkmcnt(3)
	ds_write2_b64 v16, v[24:25], v[22:23] offset1:2
	s_waitcnt lgkmcnt(3)
	ds_write_b8 v14, v21
	s_waitcnt lgkmcnt(3)
	ds_write_b8 v14, v26 offset:2
.LBB19_20:
	s_or_b64 exec, exec, s[10:11]
	s_waitcnt lgkmcnt(0)
	s_barrier
	ds_read_b64 v[0:1], v11
                                        ; implicit-def: $sgpr16
	s_waitcnt lgkmcnt(0)
	v_cmp_le_i32_e64 s[10:11], v0, v1
	v_cmp_gt_i32_e64 s[4:5], v0, v1
	s_and_saveexec_b64 s[12:13], s[4:5]
	s_cbranch_execnz .LBB19_87
; %bb.21:
	s_or_b64 exec, exec, s[12:13]
	v_mov_b32_e32 v21, s16
	s_and_saveexec_b64 s[4:5], s[10:11]
	s_cbranch_execnz .LBB19_88
.LBB19_22:
	s_or_b64 exec, exec, s[4:5]
	v_cmp_eq_u32_e64 s[4:5], v21, v20
	s_and_saveexec_b64 s[10:11], s[4:5]
	s_cbranch_execz .LBB19_24
.LBB19_23:
	v_add_u32_e32 v26, v8, v12
	ds_read_b128 v[20:23], v26
	v_mov_b32_e32 v25, v0
	ds_read_u16 v0, v10
	v_mov_b32_e32 v24, v1
	s_mov_b32 s4, 0xc0c0001
	ds_write_b64 v11, v[24:25]
	s_waitcnt lgkmcnt(2)
	v_mov_b32_e32 v24, v20
	v_mov_b32_e32 v25, v21
	s_waitcnt lgkmcnt(1)
	v_perm_b32 v0, 0, v0, s4
	ds_write_b128 v26, v[22:25]
	ds_write_b16 v10, v0
.LBB19_24:
	s_or_b64 exec, exec, s[10:11]
	v_and_b32_e32 v0, 3, v3
	v_sub_u32_e32 v22, v19, v0
	v_lshl_add_u32 v20, v22, 2, v18
	s_waitcnt lgkmcnt(0)
	s_barrier
	ds_read2_b32 v[0:1], v20 offset1:4
	v_add_u32_e32 v21, v17, v22
                                        ; implicit-def: $sgpr16
	s_waitcnt lgkmcnt(0)
	v_cmp_le_i32_e64 s[10:11], v0, v1
	v_cmp_gt_i32_e64 s[4:5], v0, v1
	s_and_saveexec_b64 s[12:13], s[4:5]
	s_cbranch_execz .LBB19_26
; %bb.25:
	ds_read_u8 v23, v21
	s_andn2_b64 s[10:11], s[10:11], exec
	s_mov_b32 s16, 1
	s_waitcnt lgkmcnt(0)
	v_and_b32_e32 v23, 1, v23
	v_cmp_eq_u32_e64 s[4:5], 1, v23
	s_xor_b64 s[4:5], s[4:5], -1
	s_and_b64 s[4:5], s[4:5], exec
	s_or_b64 s[10:11], s[10:11], s[4:5]
.LBB19_26:
	s_or_b64 exec, exec, s[12:13]
	v_mov_b32_e32 v24, s16
	s_and_saveexec_b64 s[4:5], s[10:11]
	s_cbranch_execz .LBB19_28
; %bb.27:
	ds_read_u8 v23, v21 offset:4
	s_waitcnt lgkmcnt(0)
	v_xor_b32_e32 v24, 1, v23
.LBB19_28:
	s_or_b64 exec, exec, s[4:5]
	v_bfe_u32 v23, v3, 2, 1
	v_lshl_add_u32 v22, v22, 3, v15
	v_cmp_eq_u32_e64 s[4:5], v24, v23
	s_and_saveexec_b64 s[10:11], s[4:5]
	s_cbranch_execz .LBB19_30
; %bb.29:
	ds_read2_b64 v[24:27], v22 offset1:4
	ds_read_u8 v28, v21 offset:4
	ds_read_u8 v29, v21
	ds_write2_b32 v20, v1, v0 offset1:4
	s_waitcnt lgkmcnt(3)
	ds_write2_b64 v22, v[26:27], v[24:25] offset1:4
	s_waitcnt lgkmcnt(3)
	ds_write_b8 v21, v28
	s_waitcnt lgkmcnt(3)
	ds_write_b8 v21, v29 offset:4
.LBB19_30:
	s_or_b64 exec, exec, s[10:11]
	s_waitcnt lgkmcnt(0)
	s_barrier
	ds_read2_b32 v[0:1], v13 offset1:2
                                        ; implicit-def: $sgpr16
	s_waitcnt lgkmcnt(0)
	v_cmp_le_i32_e64 s[10:11], v0, v1
	v_cmp_gt_i32_e64 s[4:5], v0, v1
	s_and_saveexec_b64 s[12:13], s[4:5]
	s_cbranch_execnz .LBB19_89
; %bb.31:
	s_or_b64 exec, exec, s[12:13]
	v_mov_b32_e32 v24, s16
	s_and_saveexec_b64 s[4:5], s[10:11]
	s_cbranch_execnz .LBB19_90
.LBB19_32:
	s_or_b64 exec, exec, s[4:5]
	v_cmp_eq_u32_e64 s[4:5], v24, v23
	s_and_saveexec_b64 s[10:11], s[4:5]
	s_cbranch_execz .LBB19_34
.LBB19_33:
	ds_read2_b64 v[24:27], v16 offset1:2
	ds_read_u8 v28, v14 offset:2
	ds_read_u8 v29, v14
	ds_write2_b32 v13, v1, v0 offset1:2
	s_waitcnt lgkmcnt(3)
	ds_write2_b64 v16, v[26:27], v[24:25] offset1:2
	s_waitcnt lgkmcnt(3)
	ds_write_b8 v14, v28
	s_waitcnt lgkmcnt(3)
	ds_write_b8 v14, v29 offset:2
.LBB19_34:
	s_or_b64 exec, exec, s[10:11]
	s_waitcnt lgkmcnt(0)
	s_barrier
	ds_read_b64 v[0:1], v11
                                        ; implicit-def: $sgpr16
	s_waitcnt lgkmcnt(0)
	v_cmp_le_i32_e64 s[10:11], v0, v1
	v_cmp_gt_i32_e64 s[4:5], v0, v1
	s_and_saveexec_b64 s[12:13], s[4:5]
	s_cbranch_execnz .LBB19_91
; %bb.35:
	s_or_b64 exec, exec, s[12:13]
	v_mov_b32_e32 v24, s16
	s_and_saveexec_b64 s[4:5], s[10:11]
	s_cbranch_execnz .LBB19_92
.LBB19_36:
	s_or_b64 exec, exec, s[4:5]
	v_cmp_eq_u32_e64 s[4:5], v24, v23
	s_and_saveexec_b64 s[10:11], s[4:5]
	s_cbranch_execz .LBB19_38
.LBB19_37:
	v_add_u32_e32 v23, v8, v12
	ds_read_b128 v[24:27], v23
	v_mov_b32_e32 v29, v0
	ds_read_u16 v0, v10
	v_mov_b32_e32 v28, v1
	s_mov_b32 s4, 0xc0c0001
	ds_write_b64 v11, v[28:29]
	s_waitcnt lgkmcnt(2)
	v_mov_b32_e32 v28, v24
	v_mov_b32_e32 v29, v25
	s_waitcnt lgkmcnt(1)
	v_perm_b32 v0, 0, v0, s4
	ds_write_b128 v23, v[26:29]
	ds_write_b16 v10, v0
.LBB19_38:
	s_or_b64 exec, exec, s[10:11]
	v_and_b32_e32 v0, 7, v3
	v_sub_u32_e32 v25, v19, v0
	v_lshl_add_u32 v23, v25, 2, v18
	s_waitcnt lgkmcnt(0)
	s_barrier
	ds_read2_b32 v[0:1], v23 offset1:8
	v_add_u32_e32 v24, v17, v25
                                        ; implicit-def: $sgpr16
	s_waitcnt lgkmcnt(0)
	v_cmp_le_i32_e64 s[10:11], v0, v1
	v_cmp_gt_i32_e64 s[4:5], v0, v1
	s_and_saveexec_b64 s[12:13], s[4:5]
	s_cbranch_execz .LBB19_40
; %bb.39:
	ds_read_u8 v26, v24
	s_andn2_b64 s[10:11], s[10:11], exec
	s_mov_b32 s16, 1
	s_waitcnt lgkmcnt(0)
	v_and_b32_e32 v26, 1, v26
	v_cmp_eq_u32_e64 s[4:5], 1, v26
	s_xor_b64 s[4:5], s[4:5], -1
	s_and_b64 s[4:5], s[4:5], exec
	s_or_b64 s[10:11], s[10:11], s[4:5]
.LBB19_40:
	s_or_b64 exec, exec, s[12:13]
	v_mov_b32_e32 v27, s16
	s_and_saveexec_b64 s[4:5], s[10:11]
	s_cbranch_execz .LBB19_42
; %bb.41:
	ds_read_u8 v26, v24 offset:8
	s_waitcnt lgkmcnt(0)
	v_xor_b32_e32 v27, 1, v26
.LBB19_42:
	s_or_b64 exec, exec, s[4:5]
	v_bfe_u32 v26, v3, 3, 1
	v_lshl_add_u32 v25, v25, 3, v15
	v_cmp_eq_u32_e64 s[4:5], v27, v26
	s_and_saveexec_b64 s[10:11], s[4:5]
	s_cbranch_execz .LBB19_44
; %bb.43:
	ds_read2_b64 v[28:31], v25 offset1:8
	ds_read_u8 v27, v24 offset:8
	ds_read_u8 v32, v24
	ds_write2_b32 v23, v1, v0 offset1:8
	s_waitcnt lgkmcnt(3)
	ds_write2_b64 v25, v[30:31], v[28:29] offset1:8
	s_waitcnt lgkmcnt(3)
	ds_write_b8 v24, v27
	s_waitcnt lgkmcnt(3)
	ds_write_b8 v24, v32 offset:8
.LBB19_44:
	s_or_b64 exec, exec, s[10:11]
	s_waitcnt lgkmcnt(0)
	s_barrier
	ds_read2_b32 v[0:1], v20 offset1:4
                                        ; implicit-def: $sgpr16
	s_waitcnt lgkmcnt(0)
	v_cmp_le_i32_e64 s[10:11], v0, v1
	v_cmp_gt_i32_e64 s[4:5], v0, v1
	s_and_saveexec_b64 s[12:13], s[4:5]
	s_cbranch_execnz .LBB19_93
; %bb.45:
	s_or_b64 exec, exec, s[12:13]
	v_mov_b32_e32 v27, s16
	s_and_saveexec_b64 s[4:5], s[10:11]
	s_cbranch_execnz .LBB19_94
.LBB19_46:
	s_or_b64 exec, exec, s[4:5]
	v_cmp_eq_u32_e64 s[4:5], v27, v26
	s_and_saveexec_b64 s[10:11], s[4:5]
	s_cbranch_execz .LBB19_48
.LBB19_47:
	ds_read2_b64 v[28:31], v22 offset1:4
	ds_read_u8 v27, v21 offset:4
	ds_read_u8 v32, v21
	ds_write2_b32 v20, v1, v0 offset1:4
	s_waitcnt lgkmcnt(3)
	ds_write2_b64 v22, v[30:31], v[28:29] offset1:4
	s_waitcnt lgkmcnt(3)
	ds_write_b8 v21, v27
	s_waitcnt lgkmcnt(3)
	ds_write_b8 v21, v32 offset:4
.LBB19_48:
	s_or_b64 exec, exec, s[10:11]
	s_waitcnt lgkmcnt(0)
	s_barrier
	ds_read2_b32 v[0:1], v13 offset1:2
                                        ; implicit-def: $sgpr16
	s_waitcnt lgkmcnt(0)
	v_cmp_le_i32_e64 s[10:11], v0, v1
	v_cmp_gt_i32_e64 s[4:5], v0, v1
	s_and_saveexec_b64 s[12:13], s[4:5]
	s_cbranch_execnz .LBB19_95
; %bb.49:
	s_or_b64 exec, exec, s[12:13]
	v_mov_b32_e32 v27, s16
	s_and_saveexec_b64 s[4:5], s[10:11]
	s_cbranch_execnz .LBB19_96
.LBB19_50:
	s_or_b64 exec, exec, s[4:5]
	v_cmp_eq_u32_e64 s[4:5], v27, v26
	s_and_saveexec_b64 s[10:11], s[4:5]
	s_cbranch_execz .LBB19_52
.LBB19_51:
	ds_read2_b64 v[28:31], v16 offset1:2
	ds_read_u8 v27, v14 offset:2
	ds_read_u8 v32, v14
	ds_write2_b32 v13, v1, v0 offset1:2
	s_waitcnt lgkmcnt(3)
	ds_write2_b64 v16, v[30:31], v[28:29] offset1:2
	s_waitcnt lgkmcnt(3)
	ds_write_b8 v14, v27
	s_waitcnt lgkmcnt(3)
	ds_write_b8 v14, v32 offset:2
.LBB19_52:
	s_or_b64 exec, exec, s[10:11]
	s_waitcnt lgkmcnt(0)
	s_barrier
	ds_read_b64 v[0:1], v11
                                        ; implicit-def: $sgpr16
	s_waitcnt lgkmcnt(0)
	v_cmp_le_i32_e64 s[10:11], v0, v1
	v_cmp_gt_i32_e64 s[4:5], v0, v1
	s_and_saveexec_b64 s[12:13], s[4:5]
	s_cbranch_execnz .LBB19_97
; %bb.53:
	s_or_b64 exec, exec, s[12:13]
	v_mov_b32_e32 v27, s16
	s_and_saveexec_b64 s[4:5], s[10:11]
	s_cbranch_execnz .LBB19_98
.LBB19_54:
	s_or_b64 exec, exec, s[4:5]
	v_cmp_eq_u32_e64 s[4:5], v27, v26
	s_and_saveexec_b64 s[10:11], s[4:5]
	s_cbranch_execz .LBB19_56
.LBB19_55:
	v_add_u32_e32 v32, v8, v12
	ds_read_b128 v[26:29], v32
	v_mov_b32_e32 v31, v0
	ds_read_u16 v0, v10
	v_mov_b32_e32 v30, v1
	s_mov_b32 s4, 0xc0c0001
	ds_write_b64 v11, v[30:31]
	s_waitcnt lgkmcnt(2)
	v_mov_b32_e32 v30, v26
	v_mov_b32_e32 v31, v27
	s_waitcnt lgkmcnt(1)
	v_perm_b32 v0, 0, v0, s4
	ds_write_b128 v32, v[28:31]
	ds_write_b16 v10, v0
.LBB19_56:
	s_or_b64 exec, exec, s[10:11]
	v_and_b32_e32 v0, 15, v3
	v_sub_u32_e32 v19, v19, v0
	v_lshl_add_u32 v18, v19, 2, v18
	s_waitcnt lgkmcnt(0)
	s_barrier
	ds_read2_b32 v[0:1], v18 offset1:16
	v_add_u32_e32 v17, v17, v19
	s_waitcnt lgkmcnt(0)
	v_cmp_le_i32_e64 s[12:13], v0, v1
	v_cmp_gt_i32_e64 s[4:5], v0, v1
	s_and_saveexec_b64 s[10:11], s[4:5]
	s_cbranch_execz .LBB19_58
; %bb.57:
	ds_read_u8 v26, v17
	s_andn2_b64 s[12:13], s[12:13], exec
	s_waitcnt lgkmcnt(0)
	v_and_b32_e32 v26, 1, v26
	v_cmp_eq_u32_e64 s[4:5], 1, v26
	s_xor_b64 s[4:5], s[4:5], -1
	s_and_b64 s[4:5], s[4:5], exec
	s_or_b64 s[12:13], s[12:13], s[4:5]
.LBB19_58:
	s_or_b64 exec, exec, s[10:11]
	s_and_saveexec_b64 s[10:11], s[12:13]
	s_cbranch_execz .LBB19_61
; %bb.59:
	ds_read_u8 v26, v17 offset:16
	s_waitcnt lgkmcnt(0)
	v_cmp_ne_u16_e64 s[4:5], 0, v26
	s_and_b64 exec, exec, s[4:5]
	s_cbranch_execz .LBB19_61
; %bb.60:
	v_lshl_add_u32 v15, v19, 3, v15
	ds_read2_b64 v[28:31], v15 offset1:16
	ds_read_u8 v19, v17
	ds_write2_b32 v18, v1, v0 offset1:16
	ds_write_b8 v17, v26
	s_waitcnt lgkmcnt(3)
	ds_write2_b64 v15, v[30:31], v[28:29] offset1:16
	s_waitcnt lgkmcnt(3)
	ds_write_b8 v17, v19 offset:16
.LBB19_61:
	s_or_b64 exec, exec, s[10:11]
	s_waitcnt lgkmcnt(0)
	s_barrier
	ds_read2_b32 v[0:1], v23 offset1:8
	s_waitcnt lgkmcnt(0)
	v_cmp_le_i32_e64 s[12:13], v0, v1
	v_cmp_gt_i32_e64 s[4:5], v0, v1
	s_and_saveexec_b64 s[10:11], s[4:5]
	s_cbranch_execz .LBB19_63
; %bb.62:
	ds_read_u8 v15, v24
	s_andn2_b64 s[12:13], s[12:13], exec
	s_waitcnt lgkmcnt(0)
	v_and_b32_e32 v15, 1, v15
	v_cmp_eq_u32_e64 s[4:5], 1, v15
	s_xor_b64 s[4:5], s[4:5], -1
	s_and_b64 s[4:5], s[4:5], exec
	s_or_b64 s[12:13], s[12:13], s[4:5]
.LBB19_63:
	s_or_b64 exec, exec, s[10:11]
	s_and_saveexec_b64 s[10:11], s[12:13]
	s_cbranch_execz .LBB19_66
; %bb.64:
	ds_read_u8 v15, v24 offset:8
	s_waitcnt lgkmcnt(0)
	v_cmp_ne_u16_e64 s[4:5], 0, v15
	s_and_b64 exec, exec, s[4:5]
	s_cbranch_execz .LBB19_66
; %bb.65:
	ds_read2_b64 v[26:29], v25 offset1:8
	ds_read_u8 v17, v24
	ds_write2_b32 v23, v1, v0 offset1:8
	ds_write_b8 v24, v15
	s_waitcnt lgkmcnt(3)
	ds_write2_b64 v25, v[28:29], v[26:27] offset1:8
	s_waitcnt lgkmcnt(3)
	ds_write_b8 v24, v17 offset:8
.LBB19_66:
	s_or_b64 exec, exec, s[10:11]
	s_waitcnt lgkmcnt(0)
	s_barrier
	ds_read2_b32 v[0:1], v20 offset1:4
	s_waitcnt lgkmcnt(0)
	v_cmp_le_i32_e64 s[12:13], v0, v1
	v_cmp_gt_i32_e64 s[4:5], v0, v1
	s_and_saveexec_b64 s[10:11], s[4:5]
	s_cbranch_execz .LBB19_68
; %bb.67:
	ds_read_u8 v15, v21
	s_andn2_b64 s[12:13], s[12:13], exec
	s_waitcnt lgkmcnt(0)
	v_and_b32_e32 v15, 1, v15
	v_cmp_eq_u32_e64 s[4:5], 1, v15
	s_xor_b64 s[4:5], s[4:5], -1
	s_and_b64 s[4:5], s[4:5], exec
	s_or_b64 s[12:13], s[12:13], s[4:5]
.LBB19_68:
	s_or_b64 exec, exec, s[10:11]
	s_and_saveexec_b64 s[10:11], s[12:13]
	s_cbranch_execz .LBB19_71
; %bb.69:
	ds_read_u8 v15, v21 offset:4
	s_waitcnt lgkmcnt(0)
	v_cmp_ne_u16_e64 s[4:5], 0, v15
	s_and_b64 exec, exec, s[4:5]
	s_cbranch_execz .LBB19_71
; %bb.70:
	ds_read2_b64 v[24:27], v22 offset1:4
	ds_read_u8 v17, v21
	ds_write2_b32 v20, v1, v0 offset1:4
	ds_write_b8 v21, v15
	s_waitcnt lgkmcnt(3)
	ds_write2_b64 v22, v[26:27], v[24:25] offset1:4
	s_waitcnt lgkmcnt(3)
	ds_write_b8 v21, v17 offset:4
.LBB19_71:
	;; [unrolled: 38-line block ×3, first 2 shown]
	s_or_b64 exec, exec, s[10:11]
	s_waitcnt lgkmcnt(0)
	s_barrier
	ds_read_b64 v[0:1], v11
	s_waitcnt lgkmcnt(0)
	v_cmp_le_i32_e64 s[12:13], v0, v1
	v_cmp_gt_i32_e64 s[4:5], v0, v1
	s_and_saveexec_b64 s[10:11], s[4:5]
	s_cbranch_execz .LBB19_78
; %bb.77:
	ds_read_u8 v13, v10
	s_andn2_b64 s[12:13], s[12:13], exec
	s_waitcnt lgkmcnt(0)
	v_and_b32_e32 v13, 1, v13
	v_cmp_eq_u32_e64 s[4:5], 1, v13
	s_xor_b64 s[4:5], s[4:5], -1
	s_and_b64 s[4:5], s[4:5], exec
	s_or_b64 s[12:13], s[12:13], s[4:5]
.LBB19_78:
	s_or_b64 exec, exec, s[10:11]
	s_and_saveexec_b64 s[10:11], s[12:13]
	s_cbranch_execz .LBB19_81
; %bb.79:
	ds_read_u8 v13, v10 offset:1
	s_waitcnt lgkmcnt(0)
	v_cmp_ne_u16_e64 s[4:5], 0, v13
	s_and_b64 exec, exec, s[4:5]
	s_cbranch_execz .LBB19_81
; %bb.80:
	v_add_u32_e32 v12, v8, v12
	ds_read_b128 v[14:17], v12
	v_mov_b32_e32 v19, v0
	ds_read_u8 v0, v10
	v_mov_b32_e32 v18, v1
	ds_write_b64 v11, v[18:19]
	s_waitcnt lgkmcnt(2)
	v_mov_b32_e32 v18, v14
	v_mov_b32_e32 v19, v15
	s_waitcnt lgkmcnt(1)
	v_lshlrev_b16_e32 v0, 8, v0
	v_or_b32_e32 v0, v13, v0
	ds_write_b128 v12, v[16:19]
	ds_write_b16 v10, v0
.LBB19_81:
	s_or_b64 exec, exec, s[10:11]
	s_waitcnt lgkmcnt(0)
	s_barrier
	s_and_saveexec_b64 s[4:5], vcc
	s_cbranch_execz .LBB19_86
; %bb.82:
	s_and_saveexec_b64 s[4:5], s[0:1]
	s_cbranch_execz .LBB19_84
; %bb.83:
	ds_read_b32 v12, v9
	v_mad_u64_u32 v[0:1], s[0:1], v3, s14, v[4:5]
	v_mov_b32_e32 v1, 0
	v_lshlrev_b64 v[10:11], 2, v[0:1]
	v_mov_b32_e32 v0, s7
	v_add_co_u32_e32 v10, vcc, s6, v10
	v_addc_co_u32_e32 v11, vcc, v0, v11, vcc
	ds_read_b64 v[8:9], v8
	s_waitcnt lgkmcnt(1)
	global_store_dword v[10:11], v12, off
	v_mad_u64_u32 v[10:11], s[0:1], v3, s15, v[2:3]
	v_mov_b32_e32 v11, v1
	v_lshlrev_b64 v[0:1], 3, v[10:11]
	v_mov_b32_e32 v3, s9
	v_add_co_u32_e32 v0, vcc, s8, v0
	v_addc_co_u32_e32 v1, vcc, v3, v1, vcc
	s_waitcnt lgkmcnt(0)
	global_store_dwordx2 v[0:1], v[8:9], off
.LBB19_84:
	s_or_b64 exec, exec, s[4:5]
	s_and_b64 exec, exec, s[2:3]
	s_cbranch_execz .LBB19_86
; %bb.85:
	ds_read_b32 v3, v7
	v_mad_u64_u32 v[0:1], s[0:1], v5, s14, v[4:5]
	v_mov_b32_e32 v1, 0
	v_lshlrev_b64 v[8:9], 2, v[0:1]
	v_mov_b32_e32 v0, s7
	v_add_co_u32_e32 v8, vcc, s6, v8
	v_addc_co_u32_e32 v9, vcc, v0, v9, vcc
	ds_read_b64 v[6:7], v6
	s_waitcnt lgkmcnt(1)
	global_store_dword v[8:9], v3, off
	v_mad_u64_u32 v[2:3], s[0:1], v5, s15, v[2:3]
	v_mov_b32_e32 v3, v1
	v_lshlrev_b64 v[0:1], 3, v[2:3]
	v_mov_b32_e32 v2, s9
	v_add_co_u32_e32 v0, vcc, s8, v0
	v_addc_co_u32_e32 v1, vcc, v2, v1, vcc
	s_waitcnt lgkmcnt(0)
	global_store_dwordx2 v[0:1], v[6:7], off
.LBB19_86:
	s_endpgm
.LBB19_87:
	ds_read_u8 v21, v10
	s_andn2_b64 s[10:11], s[10:11], exec
	s_mov_b32 s16, 1
	s_waitcnt lgkmcnt(0)
	v_and_b32_e32 v21, 1, v21
	v_cmp_eq_u32_e64 s[4:5], 1, v21
	s_xor_b64 s[4:5], s[4:5], -1
	s_and_b64 s[4:5], s[4:5], exec
	s_or_b64 s[10:11], s[10:11], s[4:5]
	s_or_b64 exec, exec, s[12:13]
	v_mov_b32_e32 v21, s16
	s_and_saveexec_b64 s[4:5], s[10:11]
	s_cbranch_execz .LBB19_22
.LBB19_88:
	ds_read_u8 v21, v10 offset:1
	s_waitcnt lgkmcnt(0)
	v_xor_b32_e32 v21, 1, v21
	s_or_b64 exec, exec, s[4:5]
	v_cmp_eq_u32_e64 s[4:5], v21, v20
	s_and_saveexec_b64 s[10:11], s[4:5]
	s_cbranch_execnz .LBB19_23
	s_branch .LBB19_24
.LBB19_89:
	ds_read_u8 v24, v14
	s_andn2_b64 s[10:11], s[10:11], exec
	s_mov_b32 s16, 1
	s_waitcnt lgkmcnt(0)
	v_and_b32_e32 v24, 1, v24
	v_cmp_eq_u32_e64 s[4:5], 1, v24
	s_xor_b64 s[4:5], s[4:5], -1
	s_and_b64 s[4:5], s[4:5], exec
	s_or_b64 s[10:11], s[10:11], s[4:5]
	s_or_b64 exec, exec, s[12:13]
	v_mov_b32_e32 v24, s16
	s_and_saveexec_b64 s[4:5], s[10:11]
	s_cbranch_execz .LBB19_32
.LBB19_90:
	ds_read_u8 v24, v14 offset:2
	s_waitcnt lgkmcnt(0)
	v_xor_b32_e32 v24, 1, v24
	s_or_b64 exec, exec, s[4:5]
	v_cmp_eq_u32_e64 s[4:5], v24, v23
	s_and_saveexec_b64 s[10:11], s[4:5]
	s_cbranch_execnz .LBB19_33
	s_branch .LBB19_34
.LBB19_91:
	ds_read_u8 v24, v10
	s_andn2_b64 s[10:11], s[10:11], exec
	s_mov_b32 s16, 1
	s_waitcnt lgkmcnt(0)
	v_and_b32_e32 v24, 1, v24
	v_cmp_eq_u32_e64 s[4:5], 1, v24
	s_xor_b64 s[4:5], s[4:5], -1
	s_and_b64 s[4:5], s[4:5], exec
	s_or_b64 s[10:11], s[10:11], s[4:5]
	s_or_b64 exec, exec, s[12:13]
	v_mov_b32_e32 v24, s16
	s_and_saveexec_b64 s[4:5], s[10:11]
	s_cbranch_execz .LBB19_36
.LBB19_92:
	ds_read_u8 v24, v10 offset:1
	s_waitcnt lgkmcnt(0)
	v_xor_b32_e32 v24, 1, v24
	s_or_b64 exec, exec, s[4:5]
	v_cmp_eq_u32_e64 s[4:5], v24, v23
	s_and_saveexec_b64 s[10:11], s[4:5]
	s_cbranch_execnz .LBB19_37
	s_branch .LBB19_38
.LBB19_93:
	ds_read_u8 v27, v21
	s_andn2_b64 s[10:11], s[10:11], exec
	s_mov_b32 s16, 1
	s_waitcnt lgkmcnt(0)
	v_and_b32_e32 v27, 1, v27
	v_cmp_eq_u32_e64 s[4:5], 1, v27
	s_xor_b64 s[4:5], s[4:5], -1
	s_and_b64 s[4:5], s[4:5], exec
	s_or_b64 s[10:11], s[10:11], s[4:5]
	s_or_b64 exec, exec, s[12:13]
	v_mov_b32_e32 v27, s16
	s_and_saveexec_b64 s[4:5], s[10:11]
	s_cbranch_execz .LBB19_46
.LBB19_94:
	ds_read_u8 v27, v21 offset:4
	s_waitcnt lgkmcnt(0)
	v_xor_b32_e32 v27, 1, v27
	s_or_b64 exec, exec, s[4:5]
	v_cmp_eq_u32_e64 s[4:5], v27, v26
	s_and_saveexec_b64 s[10:11], s[4:5]
	s_cbranch_execnz .LBB19_47
	s_branch .LBB19_48
.LBB19_95:
	ds_read_u8 v27, v14
	s_andn2_b64 s[10:11], s[10:11], exec
	s_mov_b32 s16, 1
	s_waitcnt lgkmcnt(0)
	v_and_b32_e32 v27, 1, v27
	v_cmp_eq_u32_e64 s[4:5], 1, v27
	s_xor_b64 s[4:5], s[4:5], -1
	s_and_b64 s[4:5], s[4:5], exec
	s_or_b64 s[10:11], s[10:11], s[4:5]
	s_or_b64 exec, exec, s[12:13]
	v_mov_b32_e32 v27, s16
	s_and_saveexec_b64 s[4:5], s[10:11]
	s_cbranch_execz .LBB19_50
.LBB19_96:
	ds_read_u8 v27, v14 offset:2
	s_waitcnt lgkmcnt(0)
	v_xor_b32_e32 v27, 1, v27
	s_or_b64 exec, exec, s[4:5]
	v_cmp_eq_u32_e64 s[4:5], v27, v26
	s_and_saveexec_b64 s[10:11], s[4:5]
	s_cbranch_execnz .LBB19_51
	s_branch .LBB19_52
.LBB19_97:
	ds_read_u8 v27, v10
	s_andn2_b64 s[10:11], s[10:11], exec
	s_mov_b32 s16, 1
	s_waitcnt lgkmcnt(0)
	v_and_b32_e32 v27, 1, v27
	v_cmp_eq_u32_e64 s[4:5], 1, v27
	s_xor_b64 s[4:5], s[4:5], -1
	s_and_b64 s[4:5], s[4:5], exec
	s_or_b64 s[10:11], s[10:11], s[4:5]
	s_or_b64 exec, exec, s[12:13]
	v_mov_b32_e32 v27, s16
	s_and_saveexec_b64 s[4:5], s[10:11]
	s_cbranch_execz .LBB19_54
.LBB19_98:
	ds_read_u8 v27, v10 offset:1
	s_waitcnt lgkmcnt(0)
	v_xor_b32_e32 v27, 1, v27
	s_or_b64 exec, exec, s[4:5]
	v_cmp_eq_u32_e64 s[4:5], v27, v26
	s_and_saveexec_b64 s[10:11], s[4:5]
	s_cbranch_execnz .LBB19_55
	s_branch .LBB19_56
	.section	.rodata,"a",@progbits
	.p2align	6, 0x0
	.amdhsa_kernel _ZN2at6native20bitonicSortKVInPlaceILi2ELin1ELi16ELi16EilNS0_4GTOpIiLb1EEEjEEvNS_4cuda6detail10TensorInfoIT3_T6_EES8_S8_S8_NS6_IT4_S8_EES8_T5_
		.amdhsa_group_segment_fixed_size 6656
		.amdhsa_private_segment_fixed_size 0
		.amdhsa_kernarg_size 712
		.amdhsa_user_sgpr_count 6
		.amdhsa_user_sgpr_private_segment_buffer 1
		.amdhsa_user_sgpr_dispatch_ptr 0
		.amdhsa_user_sgpr_queue_ptr 0
		.amdhsa_user_sgpr_kernarg_segment_ptr 1
		.amdhsa_user_sgpr_dispatch_id 0
		.amdhsa_user_sgpr_flat_scratch_init 0
		.amdhsa_user_sgpr_kernarg_preload_length 0
		.amdhsa_user_sgpr_kernarg_preload_offset 0
		.amdhsa_user_sgpr_private_segment_size 0
		.amdhsa_uses_dynamic_stack 0
		.amdhsa_system_sgpr_private_segment_wavefront_offset 0
		.amdhsa_system_sgpr_workgroup_id_x 1
		.amdhsa_system_sgpr_workgroup_id_y 1
		.amdhsa_system_sgpr_workgroup_id_z 1
		.amdhsa_system_sgpr_workgroup_info 0
		.amdhsa_system_vgpr_workitem_id 1
		.amdhsa_next_free_vgpr 33
		.amdhsa_next_free_sgpr 20
		.amdhsa_accum_offset 36
		.amdhsa_reserve_vcc 1
		.amdhsa_reserve_flat_scratch 0
		.amdhsa_float_round_mode_32 0
		.amdhsa_float_round_mode_16_64 0
		.amdhsa_float_denorm_mode_32 3
		.amdhsa_float_denorm_mode_16_64 3
		.amdhsa_dx10_clamp 1
		.amdhsa_ieee_mode 1
		.amdhsa_fp16_overflow 0
		.amdhsa_tg_split 0
		.amdhsa_exception_fp_ieee_invalid_op 0
		.amdhsa_exception_fp_denorm_src 0
		.amdhsa_exception_fp_ieee_div_zero 0
		.amdhsa_exception_fp_ieee_overflow 0
		.amdhsa_exception_fp_ieee_underflow 0
		.amdhsa_exception_fp_ieee_inexact 0
		.amdhsa_exception_int_div_zero 0
	.end_amdhsa_kernel
	.section	.text._ZN2at6native20bitonicSortKVInPlaceILi2ELin1ELi16ELi16EilNS0_4GTOpIiLb1EEEjEEvNS_4cuda6detail10TensorInfoIT3_T6_EES8_S8_S8_NS6_IT4_S8_EES8_T5_,"axG",@progbits,_ZN2at6native20bitonicSortKVInPlaceILi2ELin1ELi16ELi16EilNS0_4GTOpIiLb1EEEjEEvNS_4cuda6detail10TensorInfoIT3_T6_EES8_S8_S8_NS6_IT4_S8_EES8_T5_,comdat
.Lfunc_end19:
	.size	_ZN2at6native20bitonicSortKVInPlaceILi2ELin1ELi16ELi16EilNS0_4GTOpIiLb1EEEjEEvNS_4cuda6detail10TensorInfoIT3_T6_EES8_S8_S8_NS6_IT4_S8_EES8_T5_, .Lfunc_end19-_ZN2at6native20bitonicSortKVInPlaceILi2ELin1ELi16ELi16EilNS0_4GTOpIiLb1EEEjEEvNS_4cuda6detail10TensorInfoIT3_T6_EES8_S8_S8_NS6_IT4_S8_EES8_T5_
                                        ; -- End function
	.section	.AMDGPU.csdata,"",@progbits
; Kernel info:
; codeLenInByte = 4744
; NumSgprs: 24
; NumVgprs: 33
; NumAgprs: 0
; TotalNumVgprs: 33
; ScratchSize: 0
; MemoryBound: 0
; FloatMode: 240
; IeeeMode: 1
; LDSByteSize: 6656 bytes/workgroup (compile time only)
; SGPRBlocks: 2
; VGPRBlocks: 4
; NumSGPRsForWavesPerEU: 24
; NumVGPRsForWavesPerEU: 33
; AccumOffset: 36
; Occupancy: 8
; WaveLimiterHint : 1
; COMPUTE_PGM_RSRC2:SCRATCH_EN: 0
; COMPUTE_PGM_RSRC2:USER_SGPR: 6
; COMPUTE_PGM_RSRC2:TRAP_HANDLER: 0
; COMPUTE_PGM_RSRC2:TGID_X_EN: 1
; COMPUTE_PGM_RSRC2:TGID_Y_EN: 1
; COMPUTE_PGM_RSRC2:TGID_Z_EN: 1
; COMPUTE_PGM_RSRC2:TIDIG_COMP_CNT: 1
; COMPUTE_PGM_RSRC3_GFX90A:ACCUM_OFFSET: 8
; COMPUTE_PGM_RSRC3_GFX90A:TG_SPLIT: 0
	.section	.text._ZN2at6native20bitonicSortKVInPlaceILin1ELin1ELi16ELi16EilNS0_4LTOpIiLb1EEEjEEvNS_4cuda6detail10TensorInfoIT3_T6_EES8_S8_S8_NS6_IT4_S8_EES8_T5_,"axG",@progbits,_ZN2at6native20bitonicSortKVInPlaceILin1ELin1ELi16ELi16EilNS0_4LTOpIiLb1EEEjEEvNS_4cuda6detail10TensorInfoIT3_T6_EES8_S8_S8_NS6_IT4_S8_EES8_T5_,comdat
	.protected	_ZN2at6native20bitonicSortKVInPlaceILin1ELin1ELi16ELi16EilNS0_4LTOpIiLb1EEEjEEvNS_4cuda6detail10TensorInfoIT3_T6_EES8_S8_S8_NS6_IT4_S8_EES8_T5_ ; -- Begin function _ZN2at6native20bitonicSortKVInPlaceILin1ELin1ELi16ELi16EilNS0_4LTOpIiLb1EEEjEEvNS_4cuda6detail10TensorInfoIT3_T6_EES8_S8_S8_NS6_IT4_S8_EES8_T5_
	.globl	_ZN2at6native20bitonicSortKVInPlaceILin1ELin1ELi16ELi16EilNS0_4LTOpIiLb1EEEjEEvNS_4cuda6detail10TensorInfoIT3_T6_EES8_S8_S8_NS6_IT4_S8_EES8_T5_
	.p2align	8
	.type	_ZN2at6native20bitonicSortKVInPlaceILin1ELin1ELi16ELi16EilNS0_4LTOpIiLb1EEEjEEvNS_4cuda6detail10TensorInfoIT3_T6_EES8_S8_S8_NS6_IT4_S8_EES8_T5_,@function
_ZN2at6native20bitonicSortKVInPlaceILin1ELin1ELi16ELi16EilNS0_4LTOpIiLb1EEEjEEvNS_4cuda6detail10TensorInfoIT3_T6_EES8_S8_S8_NS6_IT4_S8_EES8_T5_: ; @_ZN2at6native20bitonicSortKVInPlaceILin1ELin1ELi16ELi16EilNS0_4LTOpIiLb1EEEjEEvNS_4cuda6detail10TensorInfoIT3_T6_EES8_S8_S8_NS6_IT4_S8_EES8_T5_
; %bb.0:
	s_load_dwordx2 s[2:3], s[4:5], 0x1c8
	s_load_dwordx4 s[12:15], s[4:5], 0xd8
	s_load_dword s9, s[4:5], 0x1d4
	s_add_u32 s0, s4, 0x1c8
	s_addc_u32 s1, s5, 0
	s_waitcnt lgkmcnt(0)
	s_mul_i32 s3, s3, s8
	s_add_i32 s3, s3, s7
	s_mul_i32 s2, s3, s2
	s_add_i32 s3, s2, s6
	s_lshr_b32 s2, s9, 16
	s_mul_i32 s3, s3, s2
	s_cmp_ge_u32 s3, s12
	s_cbranch_scc1 .LBB20_89
; %bb.1:
	s_load_dword s2, s[4:5], 0xd0
	v_bfe_u32 v8, v0, 10, 10
	v_add_u32_e32 v1, s3, v8
	v_mov_b32_e32 v2, 0
	v_mov_b32_e32 v4, v1
	s_waitcnt lgkmcnt(0)
	s_cmp_lt_i32 s2, 2
	s_cbranch_scc1 .LBB20_4
; %bb.2:
	s_add_i32 s6, s2, 1
	s_add_i32 s2, s2, -1
	s_mov_b32 s3, 0
	s_lshl_b64 s[2:3], s[2:3], 2
	s_add_u32 s2, s2, s4
	s_addc_u32 s3, s3, s5
	s_add_u32 s2, s2, 8
	s_addc_u32 s3, s3, 0
	v_mov_b32_e32 v2, 0
	v_mov_b32_e32 v4, v1
.LBB20_3:                               ; =>This Inner Loop Header: Depth=1
	s_load_dword s7, s[2:3], 0x0
	s_load_dword s8, s[2:3], 0x64
	v_mov_b32_e32 v3, v4
	s_add_i32 s6, s6, -1
	s_waitcnt lgkmcnt(0)
	v_cvt_f32_u32_e32 v4, s7
	s_sub_i32 s9, 0, s7
	s_add_u32 s2, s2, -4
	s_addc_u32 s3, s3, -1
	v_rcp_iflag_f32_e32 v4, v4
	s_cmp_gt_u32 s6, 2
	v_mul_f32_e32 v4, 0x4f7ffffe, v4
	v_cvt_u32_f32_e32 v4, v4
	v_mul_lo_u32 v5, s9, v4
	v_mul_hi_u32 v5, v4, v5
	v_add_u32_e32 v4, v4, v5
	v_mul_hi_u32 v4, v3, v4
	v_mul_lo_u32 v5, v4, s7
	v_sub_u32_e32 v5, v3, v5
	v_add_u32_e32 v6, 1, v4
	v_cmp_le_u32_e32 vcc, s7, v5
	v_cndmask_b32_e32 v4, v4, v6, vcc
	v_subrev_u32_e32 v6, s7, v5
	v_cndmask_b32_e32 v5, v5, v6, vcc
	v_add_u32_e32 v6, 1, v4
	v_cmp_le_u32_e32 vcc, s7, v5
	v_cndmask_b32_e32 v4, v4, v6, vcc
	v_mul_lo_u32 v5, v4, s7
	v_sub_u32_e32 v3, v3, v5
	v_mad_u64_u32 v[2:3], s[8:9], s8, v3, v[2:3]
	s_cbranch_scc1 .LBB20_3
.LBB20_4:
	s_load_dword s2, s[4:5], 0x1b8
	v_mov_b32_e32 v6, 0
	v_mov_b32_e32 v3, v1
	s_waitcnt lgkmcnt(0)
	s_cmp_lt_i32 s2, 2
	s_cbranch_scc1 .LBB20_7
; %bb.5:
	s_add_i32 s6, s2, 1
	s_add_i32 s2, s2, -1
	s_mov_b32 s3, 0
	s_lshl_b64 s[2:3], s[2:3], 2
	s_add_u32 s2, s2, s4
	s_addc_u32 s3, s3, s5
	s_add_u32 s2, s2, 0xf0
	s_addc_u32 s3, s3, 0
	v_mov_b32_e32 v6, 0
	v_mov_b32_e32 v3, v1
.LBB20_6:                               ; =>This Inner Loop Header: Depth=1
	s_load_dword s7, s[2:3], 0x0
	s_load_dword s8, s[2:3], 0x64
	v_mov_b32_e32 v5, v3
	s_add_i32 s6, s6, -1
	s_waitcnt lgkmcnt(0)
	v_cvt_f32_u32_e32 v3, s7
	s_sub_i32 s9, 0, s7
	s_add_u32 s2, s2, -4
	s_addc_u32 s3, s3, -1
	v_rcp_iflag_f32_e32 v3, v3
	s_cmp_gt_u32 s6, 2
	v_mul_f32_e32 v3, 0x4f7ffffe, v3
	v_cvt_u32_f32_e32 v3, v3
	v_mul_lo_u32 v7, s9, v3
	v_mul_hi_u32 v7, v3, v7
	v_add_u32_e32 v3, v3, v7
	v_mul_hi_u32 v3, v5, v3
	v_mul_lo_u32 v7, v3, s7
	v_sub_u32_e32 v7, v5, v7
	v_add_u32_e32 v9, 1, v3
	v_cmp_le_u32_e32 vcc, s7, v7
	v_cndmask_b32_e32 v3, v3, v9, vcc
	v_subrev_u32_e32 v9, s7, v7
	v_cndmask_b32_e32 v7, v7, v9, vcc
	v_add_u32_e32 v9, 1, v3
	v_cmp_le_u32_e32 vcc, s7, v7
	v_cndmask_b32_e32 v3, v3, v9, vcc
	v_mul_lo_u32 v7, v3, s7
	v_sub_u32_e32 v5, v5, v7
	v_mad_u64_u32 v[6:7], s[8:9], s8, v5, v[6:7]
	s_cbranch_scc1 .LBB20_6
.LBB20_7:
	s_load_dword s2, s[4:5], 0x6c
	v_cmp_gt_u32_e32 vcc, s12, v1
	v_mov_b32_e32 v10, 0
	s_waitcnt lgkmcnt(0)
	v_mad_u64_u32 v[4:5], s[2:3], s2, v4, v[2:3]
	s_load_dword s15, s[4:5], 0x1c0
	s_load_dword s2, s[4:5], 0x154
	s_load_dwordx2 s[8:9], s[4:5], 0x0
	s_load_dwordx2 s[6:7], s[4:5], 0xe8
	s_load_dword s12, s[0:1], 0xc
	v_mov_b32_e32 v5, 0
	s_waitcnt lgkmcnt(0)
	v_mad_u64_u32 v[2:3], s[2:3], s2, v3, v[6:7]
	v_and_b32_e32 v3, 0x3ff, v0
	v_cmp_gt_u32_e64 s[0:1], s13, v3
	v_pk_mov_b32 v[0:1], 0, 0
	s_and_b64 s[4:5], vcc, s[0:1]
	v_pk_mov_b32 v[6:7], v[0:1], v[0:1] op_sel:[0,1]
	s_and_saveexec_b64 s[10:11], s[4:5]
	s_cbranch_execz .LBB20_9
; %bb.8:
	v_mad_u64_u32 v[6:7], s[2:3], v3, s14, v[4:5]
	v_mov_b32_e32 v7, 0
	v_lshlrev_b64 v[12:13], 2, v[6:7]
	v_mov_b32_e32 v5, s9
	v_add_co_u32_e64 v12, s[2:3], s8, v12
	v_addc_co_u32_e64 v13, s[2:3], v5, v13, s[2:3]
	global_load_dword v5, v[12:13], off
	v_mad_u64_u32 v[12:13], s[2:3], v3, s15, v[2:3]
	v_mov_b32_e32 v13, v7
	v_lshlrev_b64 v[6:7], 3, v[12:13]
	v_mov_b32_e32 v9, s7
	v_add_co_u32_e64 v6, s[2:3], s6, v6
	v_addc_co_u32_e64 v7, s[2:3], v9, v7, s[2:3]
	global_load_dwordx2 v[6:7], v[6:7], off
.LBB20_9:
	s_or_b64 exec, exec, s[10:11]
	v_mov_b32_e32 v9, 0x1000
	v_lshl_add_u32 v18, v8, 7, v9
	v_mov_b32_e32 v9, 0x1800
	v_lshl_add_u32 v17, v8, 5, v9
	v_lshl_add_u32 v9, v3, 2, v18
	s_and_b32 s16, 0xffff, s12
	v_cndmask_b32_e64 v11, 0, 1, s[4:5]
	s_waitcnt vmcnt(1)
	ds_write_b32 v9, v5
	v_add_u32_e32 v5, v17, v3
	ds_write_b8 v5, v11
	v_add_u32_e32 v5, s16, v3
	v_lshlrev_b32_e32 v15, 8, v8
	v_cmp_gt_u32_e64 s[2:3], s13, v5
	v_lshl_add_u32 v8, v3, 3, v15
	s_and_b64 s[10:11], vcc, s[2:3]
	s_waitcnt vmcnt(0)
	ds_write_b64 v8, v[6:7]
	s_and_saveexec_b64 s[12:13], s[10:11]
	s_cbranch_execz .LBB20_11
; %bb.10:
	v_mad_u64_u32 v[0:1], s[4:5], v5, s14, v[4:5]
	v_mov_b32_e32 v1, 0
	v_lshlrev_b64 v[6:7], 2, v[0:1]
	v_mov_b32_e32 v0, s9
	v_add_co_u32_e64 v6, s[4:5], s8, v6
	v_addc_co_u32_e64 v7, s[4:5], v0, v7, s[4:5]
	global_load_dword v10, v[6:7], off
	v_mad_u64_u32 v[6:7], s[4:5], v5, s15, v[2:3]
	v_mov_b32_e32 v7, v1
	v_lshlrev_b64 v[0:1], 3, v[6:7]
	v_mov_b32_e32 v6, s7
	v_add_co_u32_e64 v0, s[4:5], s6, v0
	v_addc_co_u32_e64 v1, s[4:5], v6, v1, s[4:5]
	global_load_dwordx2 v[0:1], v[0:1], off
.LBB20_11:
	s_or_b64 exec, exec, s[12:13]
	v_lshl_add_u32 v6, s16, 3, v8
	v_cndmask_b32_e64 v11, 0, 1, s[10:11]
	s_waitcnt vmcnt(0)
	ds_write_b64 v6, v[0:1]
	v_add_u32_e32 v0, v17, v5
	ds_write_b8 v0, v11
	v_lshlrev_b32_e32 v0, 2, v3
	v_lshl_add_u32 v7, s16, 2, v9
	v_add_u32_e32 v11, v9, v0
	ds_write_b32 v7, v10
	s_waitcnt lgkmcnt(0)
	s_barrier
	ds_read_b64 v[0:1], v11
	v_lshlrev_b32_e32 v19, 1, v3
	s_mov_b32 s16, 1
	v_add_u32_e32 v10, v17, v19
	s_waitcnt lgkmcnt(0)
	v_cmp_ge_i32_e64 s[10:11], v0, v1
	v_cmp_lt_i32_e64 s[4:5], v0, v1
	s_and_saveexec_b64 s[12:13], s[4:5]
	s_xor_b64 s[12:13], exec, s[12:13]
	s_cbranch_execz .LBB20_13
; %bb.12:
	ds_read_u8 v12, v10
	s_andn2_b64 s[10:11], s[10:11], exec
	s_waitcnt lgkmcnt(0)
	v_and_b32_e32 v12, 1, v12
	v_cmp_eq_u32_e64 s[4:5], 1, v12
	s_xor_b64 s[4:5], s[4:5], -1
	s_and_b64 s[4:5], s[4:5], exec
	s_or_b64 s[10:11], s[10:11], s[4:5]
.LBB20_13:
	s_or_b64 exec, exec, s[12:13]
	v_mov_b32_e32 v14, s16
	s_and_saveexec_b64 s[4:5], s[10:11]
	s_cbranch_execz .LBB20_15
; %bb.14:
	ds_read_u8 v12, v10 offset:1
	s_waitcnt lgkmcnt(0)
	v_xor_b32_e32 v14, 1, v12
.LBB20_15:
	s_or_b64 exec, exec, s[4:5]
	v_and_b32_e32 v13, 1, v3
	v_lshlrev_b32_e32 v12, 3, v3
	v_cmp_eq_u32_e64 s[4:5], v14, v13
	s_and_saveexec_b64 s[10:11], s[4:5]
	s_cbranch_execz .LBB20_17
; %bb.16:
	v_add_u32_e32 v14, v8, v12
	ds_read_b128 v[20:23], v14
	v_mov_b32_e32 v25, v0
	ds_read_u16 v0, v10
	v_mov_b32_e32 v24, v1
	s_mov_b32 s4, 0xc0c0001
	ds_write_b64 v11, v[24:25]
	s_waitcnt lgkmcnt(2)
	v_mov_b32_e32 v24, v20
	v_mov_b32_e32 v25, v21
	s_waitcnt lgkmcnt(1)
	v_perm_b32 v0, 0, v0, s4
	ds_write_b128 v14, v[22:25]
	ds_write_b16 v10, v0
.LBB20_17:
	s_or_b64 exec, exec, s[10:11]
	v_sub_u32_e32 v16, v19, v13
	v_lshl_add_u32 v13, v16, 2, v18
	s_waitcnt lgkmcnt(0)
	s_barrier
	ds_read2_b32 v[0:1], v13 offset1:2
	s_mov_b64 s[10:11], -1
	v_add_u32_e32 v14, v17, v16
                                        ; implicit-def: $sgpr16
	s_waitcnt lgkmcnt(0)
	v_cmp_lt_i32_e64 s[4:5], v0, v1
	s_and_saveexec_b64 s[12:13], s[4:5]
	s_xor_b64 s[12:13], exec, s[12:13]
	s_cbranch_execz .LBB20_19
; %bb.18:
	ds_read_u8 v20, v14
	s_mov_b32 s16, 1
	s_waitcnt lgkmcnt(0)
	v_and_b32_e32 v20, 1, v20
	v_cmp_eq_u32_e64 s[4:5], 1, v20
	s_xor_b64 s[4:5], s[4:5], -1
	s_orn2_b64 s[10:11], s[4:5], exec
.LBB20_19:
	s_or_b64 exec, exec, s[12:13]
	v_mov_b32_e32 v21, s16
	s_and_saveexec_b64 s[4:5], s[10:11]
	s_cbranch_execz .LBB20_21
; %bb.20:
	ds_read_u8 v20, v14 offset:2
	s_waitcnt lgkmcnt(0)
	v_xor_b32_e32 v21, 1, v20
.LBB20_21:
	s_or_b64 exec, exec, s[4:5]
	v_bfe_u32 v20, v3, 1, 1
	v_lshl_add_u32 v16, v16, 3, v15
	v_cmp_eq_u32_e64 s[4:5], v21, v20
	s_and_saveexec_b64 s[10:11], s[4:5]
	s_cbranch_execz .LBB20_23
; %bb.22:
	ds_read2_b64 v[22:25], v16 offset1:2
	ds_read_u8 v21, v14 offset:2
	ds_read_u8 v26, v14
	ds_write2_b32 v13, v1, v0 offset1:2
	s_waitcnt lgkmcnt(3)
	ds_write2_b64 v16, v[24:25], v[22:23] offset1:2
	s_waitcnt lgkmcnt(3)
	ds_write_b8 v14, v21
	s_waitcnt lgkmcnt(3)
	ds_write_b8 v14, v26 offset:2
.LBB20_23:
	s_or_b64 exec, exec, s[10:11]
	s_waitcnt lgkmcnt(0)
	s_barrier
	ds_read_b64 v[0:1], v11
                                        ; implicit-def: $sgpr16
	s_waitcnt lgkmcnt(0)
	v_cmp_ge_i32_e64 s[10:11], v0, v1
	v_cmp_lt_i32_e64 s[4:5], v0, v1
	s_and_saveexec_b64 s[12:13], s[4:5]
	s_cbranch_execnz .LBB20_90
; %bb.24:
	s_or_b64 exec, exec, s[12:13]
	v_mov_b32_e32 v21, s16
	s_and_saveexec_b64 s[4:5], s[10:11]
	s_cbranch_execnz .LBB20_91
.LBB20_25:
	s_or_b64 exec, exec, s[4:5]
	v_cmp_eq_u32_e64 s[4:5], v21, v20
	s_and_saveexec_b64 s[10:11], s[4:5]
	s_cbranch_execz .LBB20_27
.LBB20_26:
	v_add_u32_e32 v26, v8, v12
	ds_read_b128 v[20:23], v26
	v_mov_b32_e32 v25, v0
	ds_read_u16 v0, v10
	v_mov_b32_e32 v24, v1
	s_mov_b32 s4, 0xc0c0001
	ds_write_b64 v11, v[24:25]
	s_waitcnt lgkmcnt(2)
	v_mov_b32_e32 v24, v20
	v_mov_b32_e32 v25, v21
	s_waitcnt lgkmcnt(1)
	v_perm_b32 v0, 0, v0, s4
	ds_write_b128 v26, v[22:25]
	ds_write_b16 v10, v0
.LBB20_27:
	s_or_b64 exec, exec, s[10:11]
	v_and_b32_e32 v0, 3, v3
	v_sub_u32_e32 v22, v19, v0
	v_lshl_add_u32 v20, v22, 2, v18
	s_waitcnt lgkmcnt(0)
	s_barrier
	ds_read2_b32 v[0:1], v20 offset1:4
	v_add_u32_e32 v21, v17, v22
                                        ; implicit-def: $sgpr16
	s_waitcnt lgkmcnt(0)
	v_cmp_ge_i32_e64 s[10:11], v0, v1
	v_cmp_lt_i32_e64 s[4:5], v0, v1
	s_and_saveexec_b64 s[12:13], s[4:5]
	s_cbranch_execz .LBB20_29
; %bb.28:
	ds_read_u8 v23, v21
	s_andn2_b64 s[10:11], s[10:11], exec
	s_mov_b32 s16, 1
	s_waitcnt lgkmcnt(0)
	v_and_b32_e32 v23, 1, v23
	v_cmp_eq_u32_e64 s[4:5], 1, v23
	s_xor_b64 s[4:5], s[4:5], -1
	s_and_b64 s[4:5], s[4:5], exec
	s_or_b64 s[10:11], s[10:11], s[4:5]
.LBB20_29:
	s_or_b64 exec, exec, s[12:13]
	v_mov_b32_e32 v24, s16
	s_and_saveexec_b64 s[4:5], s[10:11]
	s_cbranch_execz .LBB20_31
; %bb.30:
	ds_read_u8 v23, v21 offset:4
	s_waitcnt lgkmcnt(0)
	v_xor_b32_e32 v24, 1, v23
.LBB20_31:
	s_or_b64 exec, exec, s[4:5]
	v_bfe_u32 v23, v3, 2, 1
	v_lshl_add_u32 v22, v22, 3, v15
	v_cmp_eq_u32_e64 s[4:5], v24, v23
	s_and_saveexec_b64 s[10:11], s[4:5]
	s_cbranch_execz .LBB20_33
; %bb.32:
	ds_read2_b64 v[24:27], v22 offset1:4
	ds_read_u8 v28, v21 offset:4
	ds_read_u8 v29, v21
	ds_write2_b32 v20, v1, v0 offset1:4
	s_waitcnt lgkmcnt(3)
	ds_write2_b64 v22, v[26:27], v[24:25] offset1:4
	s_waitcnt lgkmcnt(3)
	ds_write_b8 v21, v28
	s_waitcnt lgkmcnt(3)
	ds_write_b8 v21, v29 offset:4
.LBB20_33:
	s_or_b64 exec, exec, s[10:11]
	s_waitcnt lgkmcnt(0)
	s_barrier
	ds_read2_b32 v[0:1], v13 offset1:2
                                        ; implicit-def: $sgpr16
	s_waitcnt lgkmcnt(0)
	v_cmp_ge_i32_e64 s[10:11], v0, v1
	v_cmp_lt_i32_e64 s[4:5], v0, v1
	s_and_saveexec_b64 s[12:13], s[4:5]
	s_cbranch_execnz .LBB20_92
; %bb.34:
	s_or_b64 exec, exec, s[12:13]
	v_mov_b32_e32 v24, s16
	s_and_saveexec_b64 s[4:5], s[10:11]
	s_cbranch_execnz .LBB20_93
.LBB20_35:
	s_or_b64 exec, exec, s[4:5]
	v_cmp_eq_u32_e64 s[4:5], v24, v23
	s_and_saveexec_b64 s[10:11], s[4:5]
	s_cbranch_execz .LBB20_37
.LBB20_36:
	ds_read2_b64 v[24:27], v16 offset1:2
	ds_read_u8 v28, v14 offset:2
	ds_read_u8 v29, v14
	ds_write2_b32 v13, v1, v0 offset1:2
	s_waitcnt lgkmcnt(3)
	ds_write2_b64 v16, v[26:27], v[24:25] offset1:2
	s_waitcnt lgkmcnt(3)
	ds_write_b8 v14, v28
	s_waitcnt lgkmcnt(3)
	ds_write_b8 v14, v29 offset:2
.LBB20_37:
	s_or_b64 exec, exec, s[10:11]
	s_waitcnt lgkmcnt(0)
	s_barrier
	ds_read_b64 v[0:1], v11
                                        ; implicit-def: $sgpr16
	s_waitcnt lgkmcnt(0)
	v_cmp_ge_i32_e64 s[10:11], v0, v1
	v_cmp_lt_i32_e64 s[4:5], v0, v1
	s_and_saveexec_b64 s[12:13], s[4:5]
	s_cbranch_execnz .LBB20_94
; %bb.38:
	s_or_b64 exec, exec, s[12:13]
	v_mov_b32_e32 v24, s16
	s_and_saveexec_b64 s[4:5], s[10:11]
	s_cbranch_execnz .LBB20_95
.LBB20_39:
	s_or_b64 exec, exec, s[4:5]
	v_cmp_eq_u32_e64 s[4:5], v24, v23
	s_and_saveexec_b64 s[10:11], s[4:5]
	s_cbranch_execz .LBB20_41
.LBB20_40:
	v_add_u32_e32 v23, v8, v12
	ds_read_b128 v[24:27], v23
	v_mov_b32_e32 v29, v0
	ds_read_u16 v0, v10
	v_mov_b32_e32 v28, v1
	s_mov_b32 s4, 0xc0c0001
	ds_write_b64 v11, v[28:29]
	s_waitcnt lgkmcnt(2)
	v_mov_b32_e32 v28, v24
	v_mov_b32_e32 v29, v25
	s_waitcnt lgkmcnt(1)
	v_perm_b32 v0, 0, v0, s4
	ds_write_b128 v23, v[26:29]
	ds_write_b16 v10, v0
.LBB20_41:
	s_or_b64 exec, exec, s[10:11]
	v_and_b32_e32 v0, 7, v3
	v_sub_u32_e32 v25, v19, v0
	v_lshl_add_u32 v23, v25, 2, v18
	s_waitcnt lgkmcnt(0)
	s_barrier
	ds_read2_b32 v[0:1], v23 offset1:8
	v_add_u32_e32 v24, v17, v25
                                        ; implicit-def: $sgpr16
	s_waitcnt lgkmcnt(0)
	v_cmp_ge_i32_e64 s[10:11], v0, v1
	v_cmp_lt_i32_e64 s[4:5], v0, v1
	s_and_saveexec_b64 s[12:13], s[4:5]
	s_cbranch_execz .LBB20_43
; %bb.42:
	ds_read_u8 v26, v24
	s_andn2_b64 s[10:11], s[10:11], exec
	s_mov_b32 s16, 1
	s_waitcnt lgkmcnt(0)
	v_and_b32_e32 v26, 1, v26
	v_cmp_eq_u32_e64 s[4:5], 1, v26
	s_xor_b64 s[4:5], s[4:5], -1
	s_and_b64 s[4:5], s[4:5], exec
	s_or_b64 s[10:11], s[10:11], s[4:5]
.LBB20_43:
	s_or_b64 exec, exec, s[12:13]
	v_mov_b32_e32 v27, s16
	s_and_saveexec_b64 s[4:5], s[10:11]
	s_cbranch_execz .LBB20_45
; %bb.44:
	ds_read_u8 v26, v24 offset:8
	s_waitcnt lgkmcnt(0)
	v_xor_b32_e32 v27, 1, v26
.LBB20_45:
	s_or_b64 exec, exec, s[4:5]
	v_bfe_u32 v26, v3, 3, 1
	v_lshl_add_u32 v25, v25, 3, v15
	v_cmp_eq_u32_e64 s[4:5], v27, v26
	s_and_saveexec_b64 s[10:11], s[4:5]
	s_cbranch_execz .LBB20_47
; %bb.46:
	ds_read2_b64 v[28:31], v25 offset1:8
	ds_read_u8 v27, v24 offset:8
	ds_read_u8 v32, v24
	ds_write2_b32 v23, v1, v0 offset1:8
	s_waitcnt lgkmcnt(3)
	ds_write2_b64 v25, v[30:31], v[28:29] offset1:8
	s_waitcnt lgkmcnt(3)
	ds_write_b8 v24, v27
	s_waitcnt lgkmcnt(3)
	ds_write_b8 v24, v32 offset:8
.LBB20_47:
	s_or_b64 exec, exec, s[10:11]
	s_waitcnt lgkmcnt(0)
	s_barrier
	ds_read2_b32 v[0:1], v20 offset1:4
                                        ; implicit-def: $sgpr16
	s_waitcnt lgkmcnt(0)
	v_cmp_ge_i32_e64 s[10:11], v0, v1
	v_cmp_lt_i32_e64 s[4:5], v0, v1
	s_and_saveexec_b64 s[12:13], s[4:5]
	s_cbranch_execnz .LBB20_96
; %bb.48:
	s_or_b64 exec, exec, s[12:13]
	v_mov_b32_e32 v27, s16
	s_and_saveexec_b64 s[4:5], s[10:11]
	s_cbranch_execnz .LBB20_97
.LBB20_49:
	s_or_b64 exec, exec, s[4:5]
	v_cmp_eq_u32_e64 s[4:5], v27, v26
	s_and_saveexec_b64 s[10:11], s[4:5]
	s_cbranch_execz .LBB20_51
.LBB20_50:
	ds_read2_b64 v[28:31], v22 offset1:4
	ds_read_u8 v27, v21 offset:4
	ds_read_u8 v32, v21
	ds_write2_b32 v20, v1, v0 offset1:4
	s_waitcnt lgkmcnt(3)
	ds_write2_b64 v22, v[30:31], v[28:29] offset1:4
	s_waitcnt lgkmcnt(3)
	ds_write_b8 v21, v27
	s_waitcnt lgkmcnt(3)
	ds_write_b8 v21, v32 offset:4
.LBB20_51:
	s_or_b64 exec, exec, s[10:11]
	s_waitcnt lgkmcnt(0)
	s_barrier
	ds_read2_b32 v[0:1], v13 offset1:2
                                        ; implicit-def: $sgpr16
	s_waitcnt lgkmcnt(0)
	v_cmp_ge_i32_e64 s[10:11], v0, v1
	v_cmp_lt_i32_e64 s[4:5], v0, v1
	s_and_saveexec_b64 s[12:13], s[4:5]
	s_cbranch_execnz .LBB20_98
; %bb.52:
	s_or_b64 exec, exec, s[12:13]
	v_mov_b32_e32 v27, s16
	s_and_saveexec_b64 s[4:5], s[10:11]
	s_cbranch_execnz .LBB20_99
.LBB20_53:
	s_or_b64 exec, exec, s[4:5]
	v_cmp_eq_u32_e64 s[4:5], v27, v26
	s_and_saveexec_b64 s[10:11], s[4:5]
	s_cbranch_execz .LBB20_55
.LBB20_54:
	ds_read2_b64 v[28:31], v16 offset1:2
	ds_read_u8 v27, v14 offset:2
	ds_read_u8 v32, v14
	ds_write2_b32 v13, v1, v0 offset1:2
	s_waitcnt lgkmcnt(3)
	ds_write2_b64 v16, v[30:31], v[28:29] offset1:2
	s_waitcnt lgkmcnt(3)
	ds_write_b8 v14, v27
	s_waitcnt lgkmcnt(3)
	ds_write_b8 v14, v32 offset:2
.LBB20_55:
	s_or_b64 exec, exec, s[10:11]
	s_waitcnt lgkmcnt(0)
	s_barrier
	ds_read_b64 v[0:1], v11
                                        ; implicit-def: $sgpr16
	s_waitcnt lgkmcnt(0)
	v_cmp_ge_i32_e64 s[10:11], v0, v1
	v_cmp_lt_i32_e64 s[4:5], v0, v1
	s_and_saveexec_b64 s[12:13], s[4:5]
	s_cbranch_execnz .LBB20_100
; %bb.56:
	s_or_b64 exec, exec, s[12:13]
	v_mov_b32_e32 v27, s16
	s_and_saveexec_b64 s[4:5], s[10:11]
	s_cbranch_execnz .LBB20_101
.LBB20_57:
	s_or_b64 exec, exec, s[4:5]
	v_cmp_eq_u32_e64 s[4:5], v27, v26
	s_and_saveexec_b64 s[10:11], s[4:5]
	s_cbranch_execz .LBB20_59
.LBB20_58:
	v_add_u32_e32 v32, v8, v12
	ds_read_b128 v[26:29], v32
	v_mov_b32_e32 v31, v0
	ds_read_u16 v0, v10
	v_mov_b32_e32 v30, v1
	s_mov_b32 s4, 0xc0c0001
	ds_write_b64 v11, v[30:31]
	s_waitcnt lgkmcnt(2)
	v_mov_b32_e32 v30, v26
	v_mov_b32_e32 v31, v27
	s_waitcnt lgkmcnt(1)
	v_perm_b32 v0, 0, v0, s4
	ds_write_b128 v32, v[28:31]
	ds_write_b16 v10, v0
.LBB20_59:
	s_or_b64 exec, exec, s[10:11]
	v_and_b32_e32 v0, 15, v3
	v_sub_u32_e32 v19, v19, v0
	v_lshl_add_u32 v18, v19, 2, v18
	s_waitcnt lgkmcnt(0)
	s_barrier
	ds_read2_b32 v[0:1], v18 offset1:16
	v_add_u32_e32 v17, v17, v19
	s_waitcnt lgkmcnt(0)
	v_cmp_ge_i32_e64 s[12:13], v0, v1
	v_cmp_lt_i32_e64 s[4:5], v0, v1
	s_and_saveexec_b64 s[10:11], s[4:5]
	s_cbranch_execz .LBB20_61
; %bb.60:
	ds_read_u8 v26, v17
	s_andn2_b64 s[12:13], s[12:13], exec
	s_waitcnt lgkmcnt(0)
	v_and_b32_e32 v26, 1, v26
	v_cmp_eq_u32_e64 s[4:5], 1, v26
	s_xor_b64 s[4:5], s[4:5], -1
	s_and_b64 s[4:5], s[4:5], exec
	s_or_b64 s[12:13], s[12:13], s[4:5]
.LBB20_61:
	s_or_b64 exec, exec, s[10:11]
	s_and_saveexec_b64 s[10:11], s[12:13]
	s_cbranch_execz .LBB20_64
; %bb.62:
	ds_read_u8 v26, v17 offset:16
	s_waitcnt lgkmcnt(0)
	v_cmp_ne_u16_e64 s[4:5], 0, v26
	s_and_b64 exec, exec, s[4:5]
	s_cbranch_execz .LBB20_64
; %bb.63:
	v_lshl_add_u32 v15, v19, 3, v15
	ds_read2_b64 v[28:31], v15 offset1:16
	ds_read_u8 v19, v17
	ds_write2_b32 v18, v1, v0 offset1:16
	ds_write_b8 v17, v26
	s_waitcnt lgkmcnt(3)
	ds_write2_b64 v15, v[30:31], v[28:29] offset1:16
	s_waitcnt lgkmcnt(3)
	ds_write_b8 v17, v19 offset:16
.LBB20_64:
	s_or_b64 exec, exec, s[10:11]
	s_waitcnt lgkmcnt(0)
	s_barrier
	ds_read2_b32 v[0:1], v23 offset1:8
	s_waitcnt lgkmcnt(0)
	v_cmp_ge_i32_e64 s[12:13], v0, v1
	v_cmp_lt_i32_e64 s[4:5], v0, v1
	s_and_saveexec_b64 s[10:11], s[4:5]
	s_cbranch_execz .LBB20_66
; %bb.65:
	ds_read_u8 v15, v24
	s_andn2_b64 s[12:13], s[12:13], exec
	s_waitcnt lgkmcnt(0)
	v_and_b32_e32 v15, 1, v15
	v_cmp_eq_u32_e64 s[4:5], 1, v15
	s_xor_b64 s[4:5], s[4:5], -1
	s_and_b64 s[4:5], s[4:5], exec
	s_or_b64 s[12:13], s[12:13], s[4:5]
.LBB20_66:
	s_or_b64 exec, exec, s[10:11]
	s_and_saveexec_b64 s[10:11], s[12:13]
	s_cbranch_execz .LBB20_69
; %bb.67:
	ds_read_u8 v15, v24 offset:8
	s_waitcnt lgkmcnt(0)
	v_cmp_ne_u16_e64 s[4:5], 0, v15
	s_and_b64 exec, exec, s[4:5]
	s_cbranch_execz .LBB20_69
; %bb.68:
	ds_read2_b64 v[26:29], v25 offset1:8
	ds_read_u8 v17, v24
	ds_write2_b32 v23, v1, v0 offset1:8
	ds_write_b8 v24, v15
	s_waitcnt lgkmcnt(3)
	ds_write2_b64 v25, v[28:29], v[26:27] offset1:8
	s_waitcnt lgkmcnt(3)
	ds_write_b8 v24, v17 offset:8
.LBB20_69:
	s_or_b64 exec, exec, s[10:11]
	s_waitcnt lgkmcnt(0)
	s_barrier
	ds_read2_b32 v[0:1], v20 offset1:4
	s_waitcnt lgkmcnt(0)
	v_cmp_ge_i32_e64 s[12:13], v0, v1
	v_cmp_lt_i32_e64 s[4:5], v0, v1
	s_and_saveexec_b64 s[10:11], s[4:5]
	s_cbranch_execz .LBB20_71
; %bb.70:
	ds_read_u8 v15, v21
	s_andn2_b64 s[12:13], s[12:13], exec
	s_waitcnt lgkmcnt(0)
	v_and_b32_e32 v15, 1, v15
	v_cmp_eq_u32_e64 s[4:5], 1, v15
	s_xor_b64 s[4:5], s[4:5], -1
	s_and_b64 s[4:5], s[4:5], exec
	s_or_b64 s[12:13], s[12:13], s[4:5]
.LBB20_71:
	s_or_b64 exec, exec, s[10:11]
	s_and_saveexec_b64 s[10:11], s[12:13]
	s_cbranch_execz .LBB20_74
; %bb.72:
	ds_read_u8 v15, v21 offset:4
	s_waitcnt lgkmcnt(0)
	v_cmp_ne_u16_e64 s[4:5], 0, v15
	s_and_b64 exec, exec, s[4:5]
	s_cbranch_execz .LBB20_74
; %bb.73:
	ds_read2_b64 v[24:27], v22 offset1:4
	ds_read_u8 v17, v21
	ds_write2_b32 v20, v1, v0 offset1:4
	ds_write_b8 v21, v15
	s_waitcnt lgkmcnt(3)
	ds_write2_b64 v22, v[26:27], v[24:25] offset1:4
	s_waitcnt lgkmcnt(3)
	ds_write_b8 v21, v17 offset:4
.LBB20_74:
	;; [unrolled: 38-line block ×3, first 2 shown]
	s_or_b64 exec, exec, s[10:11]
	s_waitcnt lgkmcnt(0)
	s_barrier
	ds_read_b64 v[0:1], v11
	s_waitcnt lgkmcnt(0)
	v_cmp_ge_i32_e64 s[12:13], v0, v1
	v_cmp_lt_i32_e64 s[4:5], v0, v1
	s_and_saveexec_b64 s[10:11], s[4:5]
	s_cbranch_execz .LBB20_81
; %bb.80:
	ds_read_u8 v13, v10
	s_andn2_b64 s[12:13], s[12:13], exec
	s_waitcnt lgkmcnt(0)
	v_and_b32_e32 v13, 1, v13
	v_cmp_eq_u32_e64 s[4:5], 1, v13
	s_xor_b64 s[4:5], s[4:5], -1
	s_and_b64 s[4:5], s[4:5], exec
	s_or_b64 s[12:13], s[12:13], s[4:5]
.LBB20_81:
	s_or_b64 exec, exec, s[10:11]
	s_and_saveexec_b64 s[10:11], s[12:13]
	s_cbranch_execz .LBB20_84
; %bb.82:
	ds_read_u8 v13, v10 offset:1
	s_waitcnt lgkmcnt(0)
	v_cmp_ne_u16_e64 s[4:5], 0, v13
	s_and_b64 exec, exec, s[4:5]
	s_cbranch_execz .LBB20_84
; %bb.83:
	v_add_u32_e32 v12, v8, v12
	ds_read_b128 v[14:17], v12
	v_mov_b32_e32 v19, v0
	ds_read_u8 v0, v10
	v_mov_b32_e32 v18, v1
	ds_write_b64 v11, v[18:19]
	s_waitcnt lgkmcnt(2)
	v_mov_b32_e32 v18, v14
	v_mov_b32_e32 v19, v15
	s_waitcnt lgkmcnt(1)
	v_lshlrev_b16_e32 v0, 8, v0
	v_or_b32_e32 v0, v13, v0
	ds_write_b128 v12, v[16:19]
	ds_write_b16 v10, v0
.LBB20_84:
	s_or_b64 exec, exec, s[10:11]
	s_waitcnt lgkmcnt(0)
	s_barrier
	s_and_saveexec_b64 s[4:5], vcc
	s_cbranch_execz .LBB20_89
; %bb.85:
	s_and_saveexec_b64 s[4:5], s[0:1]
	s_cbranch_execz .LBB20_87
; %bb.86:
	ds_read_b32 v12, v9
	v_mad_u64_u32 v[0:1], s[0:1], v3, s14, v[4:5]
	v_mov_b32_e32 v1, 0
	v_lshlrev_b64 v[10:11], 2, v[0:1]
	v_mov_b32_e32 v0, s9
	v_add_co_u32_e32 v10, vcc, s8, v10
	v_addc_co_u32_e32 v11, vcc, v0, v11, vcc
	ds_read_b64 v[8:9], v8
	s_waitcnt lgkmcnt(1)
	global_store_dword v[10:11], v12, off
	v_mad_u64_u32 v[10:11], s[0:1], v3, s15, v[2:3]
	v_mov_b32_e32 v11, v1
	v_lshlrev_b64 v[0:1], 3, v[10:11]
	v_mov_b32_e32 v3, s7
	v_add_co_u32_e32 v0, vcc, s6, v0
	v_addc_co_u32_e32 v1, vcc, v3, v1, vcc
	s_waitcnt lgkmcnt(0)
	global_store_dwordx2 v[0:1], v[8:9], off
.LBB20_87:
	s_or_b64 exec, exec, s[4:5]
	s_and_b64 exec, exec, s[2:3]
	s_cbranch_execz .LBB20_89
; %bb.88:
	ds_read_b32 v3, v7
	v_mad_u64_u32 v[0:1], s[0:1], v5, s14, v[4:5]
	v_mov_b32_e32 v1, 0
	v_lshlrev_b64 v[8:9], 2, v[0:1]
	v_mov_b32_e32 v0, s9
	v_add_co_u32_e32 v8, vcc, s8, v8
	v_addc_co_u32_e32 v9, vcc, v0, v9, vcc
	ds_read_b64 v[6:7], v6
	s_waitcnt lgkmcnt(1)
	global_store_dword v[8:9], v3, off
	v_mad_u64_u32 v[2:3], s[0:1], v5, s15, v[2:3]
	v_mov_b32_e32 v3, v1
	v_lshlrev_b64 v[0:1], 3, v[2:3]
	v_mov_b32_e32 v2, s7
	v_add_co_u32_e32 v0, vcc, s6, v0
	v_addc_co_u32_e32 v1, vcc, v2, v1, vcc
	s_waitcnt lgkmcnt(0)
	global_store_dwordx2 v[0:1], v[6:7], off
.LBB20_89:
	s_endpgm
.LBB20_90:
	ds_read_u8 v21, v10
	s_andn2_b64 s[10:11], s[10:11], exec
	s_mov_b32 s16, 1
	s_waitcnt lgkmcnt(0)
	v_and_b32_e32 v21, 1, v21
	v_cmp_eq_u32_e64 s[4:5], 1, v21
	s_xor_b64 s[4:5], s[4:5], -1
	s_and_b64 s[4:5], s[4:5], exec
	s_or_b64 s[10:11], s[10:11], s[4:5]
	s_or_b64 exec, exec, s[12:13]
	v_mov_b32_e32 v21, s16
	s_and_saveexec_b64 s[4:5], s[10:11]
	s_cbranch_execz .LBB20_25
.LBB20_91:
	ds_read_u8 v21, v10 offset:1
	s_waitcnt lgkmcnt(0)
	v_xor_b32_e32 v21, 1, v21
	s_or_b64 exec, exec, s[4:5]
	v_cmp_eq_u32_e64 s[4:5], v21, v20
	s_and_saveexec_b64 s[10:11], s[4:5]
	s_cbranch_execnz .LBB20_26
	s_branch .LBB20_27
.LBB20_92:
	ds_read_u8 v24, v14
	s_andn2_b64 s[10:11], s[10:11], exec
	s_mov_b32 s16, 1
	s_waitcnt lgkmcnt(0)
	v_and_b32_e32 v24, 1, v24
	v_cmp_eq_u32_e64 s[4:5], 1, v24
	s_xor_b64 s[4:5], s[4:5], -1
	s_and_b64 s[4:5], s[4:5], exec
	s_or_b64 s[10:11], s[10:11], s[4:5]
	s_or_b64 exec, exec, s[12:13]
	v_mov_b32_e32 v24, s16
	s_and_saveexec_b64 s[4:5], s[10:11]
	s_cbranch_execz .LBB20_35
.LBB20_93:
	ds_read_u8 v24, v14 offset:2
	s_waitcnt lgkmcnt(0)
	v_xor_b32_e32 v24, 1, v24
	s_or_b64 exec, exec, s[4:5]
	v_cmp_eq_u32_e64 s[4:5], v24, v23
	s_and_saveexec_b64 s[10:11], s[4:5]
	s_cbranch_execnz .LBB20_36
	s_branch .LBB20_37
.LBB20_94:
	ds_read_u8 v24, v10
	s_andn2_b64 s[10:11], s[10:11], exec
	s_mov_b32 s16, 1
	s_waitcnt lgkmcnt(0)
	v_and_b32_e32 v24, 1, v24
	v_cmp_eq_u32_e64 s[4:5], 1, v24
	s_xor_b64 s[4:5], s[4:5], -1
	s_and_b64 s[4:5], s[4:5], exec
	s_or_b64 s[10:11], s[10:11], s[4:5]
	s_or_b64 exec, exec, s[12:13]
	v_mov_b32_e32 v24, s16
	s_and_saveexec_b64 s[4:5], s[10:11]
	s_cbranch_execz .LBB20_39
.LBB20_95:
	ds_read_u8 v24, v10 offset:1
	s_waitcnt lgkmcnt(0)
	v_xor_b32_e32 v24, 1, v24
	s_or_b64 exec, exec, s[4:5]
	v_cmp_eq_u32_e64 s[4:5], v24, v23
	s_and_saveexec_b64 s[10:11], s[4:5]
	s_cbranch_execnz .LBB20_40
	s_branch .LBB20_41
.LBB20_96:
	ds_read_u8 v27, v21
	s_andn2_b64 s[10:11], s[10:11], exec
	s_mov_b32 s16, 1
	s_waitcnt lgkmcnt(0)
	v_and_b32_e32 v27, 1, v27
	v_cmp_eq_u32_e64 s[4:5], 1, v27
	s_xor_b64 s[4:5], s[4:5], -1
	s_and_b64 s[4:5], s[4:5], exec
	s_or_b64 s[10:11], s[10:11], s[4:5]
	s_or_b64 exec, exec, s[12:13]
	v_mov_b32_e32 v27, s16
	s_and_saveexec_b64 s[4:5], s[10:11]
	s_cbranch_execz .LBB20_49
.LBB20_97:
	ds_read_u8 v27, v21 offset:4
	s_waitcnt lgkmcnt(0)
	v_xor_b32_e32 v27, 1, v27
	s_or_b64 exec, exec, s[4:5]
	v_cmp_eq_u32_e64 s[4:5], v27, v26
	s_and_saveexec_b64 s[10:11], s[4:5]
	s_cbranch_execnz .LBB20_50
	s_branch .LBB20_51
.LBB20_98:
	ds_read_u8 v27, v14
	s_andn2_b64 s[10:11], s[10:11], exec
	s_mov_b32 s16, 1
	s_waitcnt lgkmcnt(0)
	v_and_b32_e32 v27, 1, v27
	v_cmp_eq_u32_e64 s[4:5], 1, v27
	s_xor_b64 s[4:5], s[4:5], -1
	s_and_b64 s[4:5], s[4:5], exec
	s_or_b64 s[10:11], s[10:11], s[4:5]
	s_or_b64 exec, exec, s[12:13]
	v_mov_b32_e32 v27, s16
	s_and_saveexec_b64 s[4:5], s[10:11]
	s_cbranch_execz .LBB20_53
.LBB20_99:
	ds_read_u8 v27, v14 offset:2
	s_waitcnt lgkmcnt(0)
	v_xor_b32_e32 v27, 1, v27
	s_or_b64 exec, exec, s[4:5]
	v_cmp_eq_u32_e64 s[4:5], v27, v26
	s_and_saveexec_b64 s[10:11], s[4:5]
	s_cbranch_execnz .LBB20_54
	s_branch .LBB20_55
.LBB20_100:
	ds_read_u8 v27, v10
	s_andn2_b64 s[10:11], s[10:11], exec
	s_mov_b32 s16, 1
	s_waitcnt lgkmcnt(0)
	v_and_b32_e32 v27, 1, v27
	v_cmp_eq_u32_e64 s[4:5], 1, v27
	s_xor_b64 s[4:5], s[4:5], -1
	s_and_b64 s[4:5], s[4:5], exec
	s_or_b64 s[10:11], s[10:11], s[4:5]
	s_or_b64 exec, exec, s[12:13]
	v_mov_b32_e32 v27, s16
	s_and_saveexec_b64 s[4:5], s[10:11]
	s_cbranch_execz .LBB20_57
.LBB20_101:
	ds_read_u8 v27, v10 offset:1
	s_waitcnt lgkmcnt(0)
	v_xor_b32_e32 v27, 1, v27
	s_or_b64 exec, exec, s[4:5]
	v_cmp_eq_u32_e64 s[4:5], v27, v26
	s_and_saveexec_b64 s[10:11], s[4:5]
	s_cbranch_execnz .LBB20_58
	s_branch .LBB20_59
	.section	.rodata,"a",@progbits
	.p2align	6, 0x0
	.amdhsa_kernel _ZN2at6native20bitonicSortKVInPlaceILin1ELin1ELi16ELi16EilNS0_4LTOpIiLb1EEEjEEvNS_4cuda6detail10TensorInfoIT3_T6_EES8_S8_S8_NS6_IT4_S8_EES8_T5_
		.amdhsa_group_segment_fixed_size 6656
		.amdhsa_private_segment_fixed_size 0
		.amdhsa_kernarg_size 712
		.amdhsa_user_sgpr_count 6
		.amdhsa_user_sgpr_private_segment_buffer 1
		.amdhsa_user_sgpr_dispatch_ptr 0
		.amdhsa_user_sgpr_queue_ptr 0
		.amdhsa_user_sgpr_kernarg_segment_ptr 1
		.amdhsa_user_sgpr_dispatch_id 0
		.amdhsa_user_sgpr_flat_scratch_init 0
		.amdhsa_user_sgpr_kernarg_preload_length 0
		.amdhsa_user_sgpr_kernarg_preload_offset 0
		.amdhsa_user_sgpr_private_segment_size 0
		.amdhsa_uses_dynamic_stack 0
		.amdhsa_system_sgpr_private_segment_wavefront_offset 0
		.amdhsa_system_sgpr_workgroup_id_x 1
		.amdhsa_system_sgpr_workgroup_id_y 1
		.amdhsa_system_sgpr_workgroup_id_z 1
		.amdhsa_system_sgpr_workgroup_info 0
		.amdhsa_system_vgpr_workitem_id 1
		.amdhsa_next_free_vgpr 33
		.amdhsa_next_free_sgpr 17
		.amdhsa_accum_offset 36
		.amdhsa_reserve_vcc 1
		.amdhsa_reserve_flat_scratch 0
		.amdhsa_float_round_mode_32 0
		.amdhsa_float_round_mode_16_64 0
		.amdhsa_float_denorm_mode_32 3
		.amdhsa_float_denorm_mode_16_64 3
		.amdhsa_dx10_clamp 1
		.amdhsa_ieee_mode 1
		.amdhsa_fp16_overflow 0
		.amdhsa_tg_split 0
		.amdhsa_exception_fp_ieee_invalid_op 0
		.amdhsa_exception_fp_denorm_src 0
		.amdhsa_exception_fp_ieee_div_zero 0
		.amdhsa_exception_fp_ieee_overflow 0
		.amdhsa_exception_fp_ieee_underflow 0
		.amdhsa_exception_fp_ieee_inexact 0
		.amdhsa_exception_int_div_zero 0
	.end_amdhsa_kernel
	.section	.text._ZN2at6native20bitonicSortKVInPlaceILin1ELin1ELi16ELi16EilNS0_4LTOpIiLb1EEEjEEvNS_4cuda6detail10TensorInfoIT3_T6_EES8_S8_S8_NS6_IT4_S8_EES8_T5_,"axG",@progbits,_ZN2at6native20bitonicSortKVInPlaceILin1ELin1ELi16ELi16EilNS0_4LTOpIiLb1EEEjEEvNS_4cuda6detail10TensorInfoIT3_T6_EES8_S8_S8_NS6_IT4_S8_EES8_T5_,comdat
.Lfunc_end20:
	.size	_ZN2at6native20bitonicSortKVInPlaceILin1ELin1ELi16ELi16EilNS0_4LTOpIiLb1EEEjEEvNS_4cuda6detail10TensorInfoIT3_T6_EES8_S8_S8_NS6_IT4_S8_EES8_T5_, .Lfunc_end20-_ZN2at6native20bitonicSortKVInPlaceILin1ELin1ELi16ELi16EilNS0_4LTOpIiLb1EEEjEEvNS_4cuda6detail10TensorInfoIT3_T6_EES8_S8_S8_NS6_IT4_S8_EES8_T5_
                                        ; -- End function
	.section	.AMDGPU.csdata,"",@progbits
; Kernel info:
; codeLenInByte = 4820
; NumSgprs: 21
; NumVgprs: 33
; NumAgprs: 0
; TotalNumVgprs: 33
; ScratchSize: 0
; MemoryBound: 0
; FloatMode: 240
; IeeeMode: 1
; LDSByteSize: 6656 bytes/workgroup (compile time only)
; SGPRBlocks: 2
; VGPRBlocks: 4
; NumSGPRsForWavesPerEU: 21
; NumVGPRsForWavesPerEU: 33
; AccumOffset: 36
; Occupancy: 8
; WaveLimiterHint : 1
; COMPUTE_PGM_RSRC2:SCRATCH_EN: 0
; COMPUTE_PGM_RSRC2:USER_SGPR: 6
; COMPUTE_PGM_RSRC2:TRAP_HANDLER: 0
; COMPUTE_PGM_RSRC2:TGID_X_EN: 1
; COMPUTE_PGM_RSRC2:TGID_Y_EN: 1
; COMPUTE_PGM_RSRC2:TGID_Z_EN: 1
; COMPUTE_PGM_RSRC2:TIDIG_COMP_CNT: 1
; COMPUTE_PGM_RSRC3_GFX90A:ACCUM_OFFSET: 8
; COMPUTE_PGM_RSRC3_GFX90A:TG_SPLIT: 0
	.section	.text._ZN2at6native20bitonicSortKVInPlaceILin1ELin1ELi16ELi16EilNS0_4GTOpIiLb1EEEjEEvNS_4cuda6detail10TensorInfoIT3_T6_EES8_S8_S8_NS6_IT4_S8_EES8_T5_,"axG",@progbits,_ZN2at6native20bitonicSortKVInPlaceILin1ELin1ELi16ELi16EilNS0_4GTOpIiLb1EEEjEEvNS_4cuda6detail10TensorInfoIT3_T6_EES8_S8_S8_NS6_IT4_S8_EES8_T5_,comdat
	.protected	_ZN2at6native20bitonicSortKVInPlaceILin1ELin1ELi16ELi16EilNS0_4GTOpIiLb1EEEjEEvNS_4cuda6detail10TensorInfoIT3_T6_EES8_S8_S8_NS6_IT4_S8_EES8_T5_ ; -- Begin function _ZN2at6native20bitonicSortKVInPlaceILin1ELin1ELi16ELi16EilNS0_4GTOpIiLb1EEEjEEvNS_4cuda6detail10TensorInfoIT3_T6_EES8_S8_S8_NS6_IT4_S8_EES8_T5_
	.globl	_ZN2at6native20bitonicSortKVInPlaceILin1ELin1ELi16ELi16EilNS0_4GTOpIiLb1EEEjEEvNS_4cuda6detail10TensorInfoIT3_T6_EES8_S8_S8_NS6_IT4_S8_EES8_T5_
	.p2align	8
	.type	_ZN2at6native20bitonicSortKVInPlaceILin1ELin1ELi16ELi16EilNS0_4GTOpIiLb1EEEjEEvNS_4cuda6detail10TensorInfoIT3_T6_EES8_S8_S8_NS6_IT4_S8_EES8_T5_,@function
_ZN2at6native20bitonicSortKVInPlaceILin1ELin1ELi16ELi16EilNS0_4GTOpIiLb1EEEjEEvNS_4cuda6detail10TensorInfoIT3_T6_EES8_S8_S8_NS6_IT4_S8_EES8_T5_: ; @_ZN2at6native20bitonicSortKVInPlaceILin1ELin1ELi16ELi16EilNS0_4GTOpIiLb1EEEjEEvNS_4cuda6detail10TensorInfoIT3_T6_EES8_S8_S8_NS6_IT4_S8_EES8_T5_
; %bb.0:
	s_load_dwordx2 s[2:3], s[4:5], 0x1c8
	s_load_dwordx4 s[12:15], s[4:5], 0xd8
	s_load_dword s9, s[4:5], 0x1d4
	s_add_u32 s0, s4, 0x1c8
	s_addc_u32 s1, s5, 0
	s_waitcnt lgkmcnt(0)
	s_mul_i32 s3, s3, s8
	s_add_i32 s3, s3, s7
	s_mul_i32 s2, s3, s2
	s_add_i32 s3, s2, s6
	s_lshr_b32 s2, s9, 16
	s_mul_i32 s3, s3, s2
	s_cmp_ge_u32 s3, s12
	s_cbranch_scc1 .LBB21_89
; %bb.1:
	s_load_dword s2, s[4:5], 0xd0
	v_bfe_u32 v8, v0, 10, 10
	v_add_u32_e32 v1, s3, v8
	v_mov_b32_e32 v2, 0
	v_mov_b32_e32 v4, v1
	s_waitcnt lgkmcnt(0)
	s_cmp_lt_i32 s2, 2
	s_cbranch_scc1 .LBB21_4
; %bb.2:
	s_add_i32 s6, s2, 1
	s_add_i32 s2, s2, -1
	s_mov_b32 s3, 0
	s_lshl_b64 s[2:3], s[2:3], 2
	s_add_u32 s2, s2, s4
	s_addc_u32 s3, s3, s5
	s_add_u32 s2, s2, 8
	s_addc_u32 s3, s3, 0
	v_mov_b32_e32 v2, 0
	v_mov_b32_e32 v4, v1
.LBB21_3:                               ; =>This Inner Loop Header: Depth=1
	s_load_dword s7, s[2:3], 0x0
	s_load_dword s8, s[2:3], 0x64
	v_mov_b32_e32 v3, v4
	s_add_i32 s6, s6, -1
	s_waitcnt lgkmcnt(0)
	v_cvt_f32_u32_e32 v4, s7
	s_sub_i32 s9, 0, s7
	s_add_u32 s2, s2, -4
	s_addc_u32 s3, s3, -1
	v_rcp_iflag_f32_e32 v4, v4
	s_cmp_gt_u32 s6, 2
	v_mul_f32_e32 v4, 0x4f7ffffe, v4
	v_cvt_u32_f32_e32 v4, v4
	v_mul_lo_u32 v5, s9, v4
	v_mul_hi_u32 v5, v4, v5
	v_add_u32_e32 v4, v4, v5
	v_mul_hi_u32 v4, v3, v4
	v_mul_lo_u32 v5, v4, s7
	v_sub_u32_e32 v5, v3, v5
	v_add_u32_e32 v6, 1, v4
	v_cmp_le_u32_e32 vcc, s7, v5
	v_cndmask_b32_e32 v4, v4, v6, vcc
	v_subrev_u32_e32 v6, s7, v5
	v_cndmask_b32_e32 v5, v5, v6, vcc
	v_add_u32_e32 v6, 1, v4
	v_cmp_le_u32_e32 vcc, s7, v5
	v_cndmask_b32_e32 v4, v4, v6, vcc
	v_mul_lo_u32 v5, v4, s7
	v_sub_u32_e32 v3, v3, v5
	v_mad_u64_u32 v[2:3], s[8:9], s8, v3, v[2:3]
	s_cbranch_scc1 .LBB21_3
.LBB21_4:
	s_load_dword s2, s[4:5], 0x1b8
	v_mov_b32_e32 v6, 0
	v_mov_b32_e32 v3, v1
	s_waitcnt lgkmcnt(0)
	s_cmp_lt_i32 s2, 2
	s_cbranch_scc1 .LBB21_7
; %bb.5:
	s_add_i32 s6, s2, 1
	s_add_i32 s2, s2, -1
	s_mov_b32 s3, 0
	s_lshl_b64 s[2:3], s[2:3], 2
	s_add_u32 s2, s2, s4
	s_addc_u32 s3, s3, s5
	s_add_u32 s2, s2, 0xf0
	s_addc_u32 s3, s3, 0
	v_mov_b32_e32 v6, 0
	v_mov_b32_e32 v3, v1
.LBB21_6:                               ; =>This Inner Loop Header: Depth=1
	s_load_dword s7, s[2:3], 0x0
	s_load_dword s8, s[2:3], 0x64
	v_mov_b32_e32 v5, v3
	s_add_i32 s6, s6, -1
	s_waitcnt lgkmcnt(0)
	v_cvt_f32_u32_e32 v3, s7
	s_sub_i32 s9, 0, s7
	s_add_u32 s2, s2, -4
	s_addc_u32 s3, s3, -1
	v_rcp_iflag_f32_e32 v3, v3
	s_cmp_gt_u32 s6, 2
	v_mul_f32_e32 v3, 0x4f7ffffe, v3
	v_cvt_u32_f32_e32 v3, v3
	v_mul_lo_u32 v7, s9, v3
	v_mul_hi_u32 v7, v3, v7
	v_add_u32_e32 v3, v3, v7
	v_mul_hi_u32 v3, v5, v3
	v_mul_lo_u32 v7, v3, s7
	v_sub_u32_e32 v7, v5, v7
	v_add_u32_e32 v9, 1, v3
	v_cmp_le_u32_e32 vcc, s7, v7
	v_cndmask_b32_e32 v3, v3, v9, vcc
	v_subrev_u32_e32 v9, s7, v7
	v_cndmask_b32_e32 v7, v7, v9, vcc
	v_add_u32_e32 v9, 1, v3
	v_cmp_le_u32_e32 vcc, s7, v7
	v_cndmask_b32_e32 v3, v3, v9, vcc
	v_mul_lo_u32 v7, v3, s7
	v_sub_u32_e32 v5, v5, v7
	v_mad_u64_u32 v[6:7], s[8:9], s8, v5, v[6:7]
	s_cbranch_scc1 .LBB21_6
.LBB21_7:
	s_load_dword s2, s[4:5], 0x6c
	v_cmp_gt_u32_e32 vcc, s12, v1
	v_mov_b32_e32 v10, 0
	s_waitcnt lgkmcnt(0)
	v_mad_u64_u32 v[4:5], s[2:3], s2, v4, v[2:3]
	s_load_dword s15, s[4:5], 0x1c0
	s_load_dword s2, s[4:5], 0x154
	s_load_dwordx2 s[8:9], s[4:5], 0x0
	s_load_dwordx2 s[6:7], s[4:5], 0xe8
	s_load_dword s12, s[0:1], 0xc
	v_mov_b32_e32 v5, 0
	s_waitcnt lgkmcnt(0)
	v_mad_u64_u32 v[2:3], s[2:3], s2, v3, v[6:7]
	v_and_b32_e32 v3, 0x3ff, v0
	v_cmp_gt_u32_e64 s[0:1], s13, v3
	v_pk_mov_b32 v[0:1], 0, 0
	s_and_b64 s[4:5], vcc, s[0:1]
	v_pk_mov_b32 v[6:7], v[0:1], v[0:1] op_sel:[0,1]
	s_and_saveexec_b64 s[10:11], s[4:5]
	s_cbranch_execz .LBB21_9
; %bb.8:
	v_mad_u64_u32 v[6:7], s[2:3], v3, s14, v[4:5]
	v_mov_b32_e32 v7, 0
	v_lshlrev_b64 v[12:13], 2, v[6:7]
	v_mov_b32_e32 v5, s9
	v_add_co_u32_e64 v12, s[2:3], s8, v12
	v_addc_co_u32_e64 v13, s[2:3], v5, v13, s[2:3]
	global_load_dword v5, v[12:13], off
	v_mad_u64_u32 v[12:13], s[2:3], v3, s15, v[2:3]
	v_mov_b32_e32 v13, v7
	v_lshlrev_b64 v[6:7], 3, v[12:13]
	v_mov_b32_e32 v9, s7
	v_add_co_u32_e64 v6, s[2:3], s6, v6
	v_addc_co_u32_e64 v7, s[2:3], v9, v7, s[2:3]
	global_load_dwordx2 v[6:7], v[6:7], off
.LBB21_9:
	s_or_b64 exec, exec, s[10:11]
	v_mov_b32_e32 v9, 0x1000
	v_lshl_add_u32 v18, v8, 7, v9
	v_mov_b32_e32 v9, 0x1800
	v_lshl_add_u32 v17, v8, 5, v9
	v_lshl_add_u32 v9, v3, 2, v18
	s_and_b32 s16, 0xffff, s12
	v_cndmask_b32_e64 v11, 0, 1, s[4:5]
	s_waitcnt vmcnt(1)
	ds_write_b32 v9, v5
	v_add_u32_e32 v5, v17, v3
	ds_write_b8 v5, v11
	v_add_u32_e32 v5, s16, v3
	v_lshlrev_b32_e32 v15, 8, v8
	v_cmp_gt_u32_e64 s[2:3], s13, v5
	v_lshl_add_u32 v8, v3, 3, v15
	s_and_b64 s[10:11], vcc, s[2:3]
	s_waitcnt vmcnt(0)
	ds_write_b64 v8, v[6:7]
	s_and_saveexec_b64 s[12:13], s[10:11]
	s_cbranch_execz .LBB21_11
; %bb.10:
	v_mad_u64_u32 v[0:1], s[4:5], v5, s14, v[4:5]
	v_mov_b32_e32 v1, 0
	v_lshlrev_b64 v[6:7], 2, v[0:1]
	v_mov_b32_e32 v0, s9
	v_add_co_u32_e64 v6, s[4:5], s8, v6
	v_addc_co_u32_e64 v7, s[4:5], v0, v7, s[4:5]
	global_load_dword v10, v[6:7], off
	v_mad_u64_u32 v[6:7], s[4:5], v5, s15, v[2:3]
	v_mov_b32_e32 v7, v1
	v_lshlrev_b64 v[0:1], 3, v[6:7]
	v_mov_b32_e32 v6, s7
	v_add_co_u32_e64 v0, s[4:5], s6, v0
	v_addc_co_u32_e64 v1, s[4:5], v6, v1, s[4:5]
	global_load_dwordx2 v[0:1], v[0:1], off
.LBB21_11:
	s_or_b64 exec, exec, s[12:13]
	v_lshl_add_u32 v6, s16, 3, v8
	v_cndmask_b32_e64 v11, 0, 1, s[10:11]
	s_waitcnt vmcnt(0)
	ds_write_b64 v6, v[0:1]
	v_add_u32_e32 v0, v17, v5
	ds_write_b8 v0, v11
	v_lshlrev_b32_e32 v0, 2, v3
	v_lshl_add_u32 v7, s16, 2, v9
	v_add_u32_e32 v11, v9, v0
	ds_write_b32 v7, v10
	s_waitcnt lgkmcnt(0)
	s_barrier
	ds_read_b64 v[0:1], v11
	v_lshlrev_b32_e32 v19, 1, v3
	s_mov_b32 s16, 1
	v_add_u32_e32 v10, v17, v19
	s_waitcnt lgkmcnt(0)
	v_cmp_le_i32_e64 s[10:11], v0, v1
	v_cmp_gt_i32_e64 s[4:5], v0, v1
	s_and_saveexec_b64 s[12:13], s[4:5]
	s_xor_b64 s[12:13], exec, s[12:13]
	s_cbranch_execz .LBB21_13
; %bb.12:
	ds_read_u8 v12, v10
	s_andn2_b64 s[10:11], s[10:11], exec
	s_waitcnt lgkmcnt(0)
	v_and_b32_e32 v12, 1, v12
	v_cmp_eq_u32_e64 s[4:5], 1, v12
	s_xor_b64 s[4:5], s[4:5], -1
	s_and_b64 s[4:5], s[4:5], exec
	s_or_b64 s[10:11], s[10:11], s[4:5]
.LBB21_13:
	s_or_b64 exec, exec, s[12:13]
	v_mov_b32_e32 v14, s16
	s_and_saveexec_b64 s[4:5], s[10:11]
	s_cbranch_execz .LBB21_15
; %bb.14:
	ds_read_u8 v12, v10 offset:1
	s_waitcnt lgkmcnt(0)
	v_xor_b32_e32 v14, 1, v12
.LBB21_15:
	s_or_b64 exec, exec, s[4:5]
	v_and_b32_e32 v13, 1, v3
	v_lshlrev_b32_e32 v12, 3, v3
	v_cmp_eq_u32_e64 s[4:5], v14, v13
	s_and_saveexec_b64 s[10:11], s[4:5]
	s_cbranch_execz .LBB21_17
; %bb.16:
	v_add_u32_e32 v14, v8, v12
	ds_read_b128 v[20:23], v14
	v_mov_b32_e32 v25, v0
	ds_read_u16 v0, v10
	v_mov_b32_e32 v24, v1
	s_mov_b32 s4, 0xc0c0001
	ds_write_b64 v11, v[24:25]
	s_waitcnt lgkmcnt(2)
	v_mov_b32_e32 v24, v20
	v_mov_b32_e32 v25, v21
	s_waitcnt lgkmcnt(1)
	v_perm_b32 v0, 0, v0, s4
	ds_write_b128 v14, v[22:25]
	ds_write_b16 v10, v0
.LBB21_17:
	s_or_b64 exec, exec, s[10:11]
	v_sub_u32_e32 v16, v19, v13
	v_lshl_add_u32 v13, v16, 2, v18
	s_waitcnt lgkmcnt(0)
	s_barrier
	ds_read2_b32 v[0:1], v13 offset1:2
	s_mov_b64 s[10:11], -1
	v_add_u32_e32 v14, v17, v16
                                        ; implicit-def: $sgpr16
	s_waitcnt lgkmcnt(0)
	v_cmp_gt_i32_e64 s[4:5], v0, v1
	s_and_saveexec_b64 s[12:13], s[4:5]
	s_xor_b64 s[12:13], exec, s[12:13]
	s_cbranch_execz .LBB21_19
; %bb.18:
	ds_read_u8 v20, v14
	s_mov_b32 s16, 1
	s_waitcnt lgkmcnt(0)
	v_and_b32_e32 v20, 1, v20
	v_cmp_eq_u32_e64 s[4:5], 1, v20
	s_xor_b64 s[4:5], s[4:5], -1
	s_orn2_b64 s[10:11], s[4:5], exec
.LBB21_19:
	s_or_b64 exec, exec, s[12:13]
	v_mov_b32_e32 v21, s16
	s_and_saveexec_b64 s[4:5], s[10:11]
	s_cbranch_execz .LBB21_21
; %bb.20:
	ds_read_u8 v20, v14 offset:2
	s_waitcnt lgkmcnt(0)
	v_xor_b32_e32 v21, 1, v20
.LBB21_21:
	s_or_b64 exec, exec, s[4:5]
	v_bfe_u32 v20, v3, 1, 1
	v_lshl_add_u32 v16, v16, 3, v15
	v_cmp_eq_u32_e64 s[4:5], v21, v20
	s_and_saveexec_b64 s[10:11], s[4:5]
	s_cbranch_execz .LBB21_23
; %bb.22:
	ds_read2_b64 v[22:25], v16 offset1:2
	ds_read_u8 v21, v14 offset:2
	ds_read_u8 v26, v14
	ds_write2_b32 v13, v1, v0 offset1:2
	s_waitcnt lgkmcnt(3)
	ds_write2_b64 v16, v[24:25], v[22:23] offset1:2
	s_waitcnt lgkmcnt(3)
	ds_write_b8 v14, v21
	s_waitcnt lgkmcnt(3)
	ds_write_b8 v14, v26 offset:2
.LBB21_23:
	s_or_b64 exec, exec, s[10:11]
	s_waitcnt lgkmcnt(0)
	s_barrier
	ds_read_b64 v[0:1], v11
                                        ; implicit-def: $sgpr16
	s_waitcnt lgkmcnt(0)
	v_cmp_le_i32_e64 s[10:11], v0, v1
	v_cmp_gt_i32_e64 s[4:5], v0, v1
	s_and_saveexec_b64 s[12:13], s[4:5]
	s_cbranch_execnz .LBB21_90
; %bb.24:
	s_or_b64 exec, exec, s[12:13]
	v_mov_b32_e32 v21, s16
	s_and_saveexec_b64 s[4:5], s[10:11]
	s_cbranch_execnz .LBB21_91
.LBB21_25:
	s_or_b64 exec, exec, s[4:5]
	v_cmp_eq_u32_e64 s[4:5], v21, v20
	s_and_saveexec_b64 s[10:11], s[4:5]
	s_cbranch_execz .LBB21_27
.LBB21_26:
	v_add_u32_e32 v26, v8, v12
	ds_read_b128 v[20:23], v26
	v_mov_b32_e32 v25, v0
	ds_read_u16 v0, v10
	v_mov_b32_e32 v24, v1
	s_mov_b32 s4, 0xc0c0001
	ds_write_b64 v11, v[24:25]
	s_waitcnt lgkmcnt(2)
	v_mov_b32_e32 v24, v20
	v_mov_b32_e32 v25, v21
	s_waitcnt lgkmcnt(1)
	v_perm_b32 v0, 0, v0, s4
	ds_write_b128 v26, v[22:25]
	ds_write_b16 v10, v0
.LBB21_27:
	s_or_b64 exec, exec, s[10:11]
	v_and_b32_e32 v0, 3, v3
	v_sub_u32_e32 v22, v19, v0
	v_lshl_add_u32 v20, v22, 2, v18
	s_waitcnt lgkmcnt(0)
	s_barrier
	ds_read2_b32 v[0:1], v20 offset1:4
	v_add_u32_e32 v21, v17, v22
                                        ; implicit-def: $sgpr16
	s_waitcnt lgkmcnt(0)
	v_cmp_le_i32_e64 s[10:11], v0, v1
	v_cmp_gt_i32_e64 s[4:5], v0, v1
	s_and_saveexec_b64 s[12:13], s[4:5]
	s_cbranch_execz .LBB21_29
; %bb.28:
	ds_read_u8 v23, v21
	s_andn2_b64 s[10:11], s[10:11], exec
	s_mov_b32 s16, 1
	s_waitcnt lgkmcnt(0)
	v_and_b32_e32 v23, 1, v23
	v_cmp_eq_u32_e64 s[4:5], 1, v23
	s_xor_b64 s[4:5], s[4:5], -1
	s_and_b64 s[4:5], s[4:5], exec
	s_or_b64 s[10:11], s[10:11], s[4:5]
.LBB21_29:
	s_or_b64 exec, exec, s[12:13]
	v_mov_b32_e32 v24, s16
	s_and_saveexec_b64 s[4:5], s[10:11]
	s_cbranch_execz .LBB21_31
; %bb.30:
	ds_read_u8 v23, v21 offset:4
	s_waitcnt lgkmcnt(0)
	v_xor_b32_e32 v24, 1, v23
.LBB21_31:
	s_or_b64 exec, exec, s[4:5]
	v_bfe_u32 v23, v3, 2, 1
	v_lshl_add_u32 v22, v22, 3, v15
	v_cmp_eq_u32_e64 s[4:5], v24, v23
	s_and_saveexec_b64 s[10:11], s[4:5]
	s_cbranch_execz .LBB21_33
; %bb.32:
	ds_read2_b64 v[24:27], v22 offset1:4
	ds_read_u8 v28, v21 offset:4
	ds_read_u8 v29, v21
	ds_write2_b32 v20, v1, v0 offset1:4
	s_waitcnt lgkmcnt(3)
	ds_write2_b64 v22, v[26:27], v[24:25] offset1:4
	s_waitcnt lgkmcnt(3)
	ds_write_b8 v21, v28
	s_waitcnt lgkmcnt(3)
	ds_write_b8 v21, v29 offset:4
.LBB21_33:
	s_or_b64 exec, exec, s[10:11]
	s_waitcnt lgkmcnt(0)
	s_barrier
	ds_read2_b32 v[0:1], v13 offset1:2
                                        ; implicit-def: $sgpr16
	s_waitcnt lgkmcnt(0)
	v_cmp_le_i32_e64 s[10:11], v0, v1
	v_cmp_gt_i32_e64 s[4:5], v0, v1
	s_and_saveexec_b64 s[12:13], s[4:5]
	s_cbranch_execnz .LBB21_92
; %bb.34:
	s_or_b64 exec, exec, s[12:13]
	v_mov_b32_e32 v24, s16
	s_and_saveexec_b64 s[4:5], s[10:11]
	s_cbranch_execnz .LBB21_93
.LBB21_35:
	s_or_b64 exec, exec, s[4:5]
	v_cmp_eq_u32_e64 s[4:5], v24, v23
	s_and_saveexec_b64 s[10:11], s[4:5]
	s_cbranch_execz .LBB21_37
.LBB21_36:
	ds_read2_b64 v[24:27], v16 offset1:2
	ds_read_u8 v28, v14 offset:2
	ds_read_u8 v29, v14
	ds_write2_b32 v13, v1, v0 offset1:2
	s_waitcnt lgkmcnt(3)
	ds_write2_b64 v16, v[26:27], v[24:25] offset1:2
	s_waitcnt lgkmcnt(3)
	ds_write_b8 v14, v28
	s_waitcnt lgkmcnt(3)
	ds_write_b8 v14, v29 offset:2
.LBB21_37:
	s_or_b64 exec, exec, s[10:11]
	s_waitcnt lgkmcnt(0)
	s_barrier
	ds_read_b64 v[0:1], v11
                                        ; implicit-def: $sgpr16
	s_waitcnt lgkmcnt(0)
	v_cmp_le_i32_e64 s[10:11], v0, v1
	v_cmp_gt_i32_e64 s[4:5], v0, v1
	s_and_saveexec_b64 s[12:13], s[4:5]
	s_cbranch_execnz .LBB21_94
; %bb.38:
	s_or_b64 exec, exec, s[12:13]
	v_mov_b32_e32 v24, s16
	s_and_saveexec_b64 s[4:5], s[10:11]
	s_cbranch_execnz .LBB21_95
.LBB21_39:
	s_or_b64 exec, exec, s[4:5]
	v_cmp_eq_u32_e64 s[4:5], v24, v23
	s_and_saveexec_b64 s[10:11], s[4:5]
	s_cbranch_execz .LBB21_41
.LBB21_40:
	v_add_u32_e32 v23, v8, v12
	ds_read_b128 v[24:27], v23
	v_mov_b32_e32 v29, v0
	ds_read_u16 v0, v10
	v_mov_b32_e32 v28, v1
	s_mov_b32 s4, 0xc0c0001
	ds_write_b64 v11, v[28:29]
	s_waitcnt lgkmcnt(2)
	v_mov_b32_e32 v28, v24
	v_mov_b32_e32 v29, v25
	s_waitcnt lgkmcnt(1)
	v_perm_b32 v0, 0, v0, s4
	ds_write_b128 v23, v[26:29]
	ds_write_b16 v10, v0
.LBB21_41:
	s_or_b64 exec, exec, s[10:11]
	v_and_b32_e32 v0, 7, v3
	v_sub_u32_e32 v25, v19, v0
	v_lshl_add_u32 v23, v25, 2, v18
	s_waitcnt lgkmcnt(0)
	s_barrier
	ds_read2_b32 v[0:1], v23 offset1:8
	v_add_u32_e32 v24, v17, v25
                                        ; implicit-def: $sgpr16
	s_waitcnt lgkmcnt(0)
	v_cmp_le_i32_e64 s[10:11], v0, v1
	v_cmp_gt_i32_e64 s[4:5], v0, v1
	s_and_saveexec_b64 s[12:13], s[4:5]
	s_cbranch_execz .LBB21_43
; %bb.42:
	ds_read_u8 v26, v24
	s_andn2_b64 s[10:11], s[10:11], exec
	s_mov_b32 s16, 1
	s_waitcnt lgkmcnt(0)
	v_and_b32_e32 v26, 1, v26
	v_cmp_eq_u32_e64 s[4:5], 1, v26
	s_xor_b64 s[4:5], s[4:5], -1
	s_and_b64 s[4:5], s[4:5], exec
	s_or_b64 s[10:11], s[10:11], s[4:5]
.LBB21_43:
	s_or_b64 exec, exec, s[12:13]
	v_mov_b32_e32 v27, s16
	s_and_saveexec_b64 s[4:5], s[10:11]
	s_cbranch_execz .LBB21_45
; %bb.44:
	ds_read_u8 v26, v24 offset:8
	s_waitcnt lgkmcnt(0)
	v_xor_b32_e32 v27, 1, v26
.LBB21_45:
	s_or_b64 exec, exec, s[4:5]
	v_bfe_u32 v26, v3, 3, 1
	v_lshl_add_u32 v25, v25, 3, v15
	v_cmp_eq_u32_e64 s[4:5], v27, v26
	s_and_saveexec_b64 s[10:11], s[4:5]
	s_cbranch_execz .LBB21_47
; %bb.46:
	ds_read2_b64 v[28:31], v25 offset1:8
	ds_read_u8 v27, v24 offset:8
	ds_read_u8 v32, v24
	ds_write2_b32 v23, v1, v0 offset1:8
	s_waitcnt lgkmcnt(3)
	ds_write2_b64 v25, v[30:31], v[28:29] offset1:8
	s_waitcnt lgkmcnt(3)
	ds_write_b8 v24, v27
	s_waitcnt lgkmcnt(3)
	ds_write_b8 v24, v32 offset:8
.LBB21_47:
	s_or_b64 exec, exec, s[10:11]
	s_waitcnt lgkmcnt(0)
	s_barrier
	ds_read2_b32 v[0:1], v20 offset1:4
                                        ; implicit-def: $sgpr16
	s_waitcnt lgkmcnt(0)
	v_cmp_le_i32_e64 s[10:11], v0, v1
	v_cmp_gt_i32_e64 s[4:5], v0, v1
	s_and_saveexec_b64 s[12:13], s[4:5]
	s_cbranch_execnz .LBB21_96
; %bb.48:
	s_or_b64 exec, exec, s[12:13]
	v_mov_b32_e32 v27, s16
	s_and_saveexec_b64 s[4:5], s[10:11]
	s_cbranch_execnz .LBB21_97
.LBB21_49:
	s_or_b64 exec, exec, s[4:5]
	v_cmp_eq_u32_e64 s[4:5], v27, v26
	s_and_saveexec_b64 s[10:11], s[4:5]
	s_cbranch_execz .LBB21_51
.LBB21_50:
	ds_read2_b64 v[28:31], v22 offset1:4
	ds_read_u8 v27, v21 offset:4
	ds_read_u8 v32, v21
	ds_write2_b32 v20, v1, v0 offset1:4
	s_waitcnt lgkmcnt(3)
	ds_write2_b64 v22, v[30:31], v[28:29] offset1:4
	s_waitcnt lgkmcnt(3)
	ds_write_b8 v21, v27
	s_waitcnt lgkmcnt(3)
	ds_write_b8 v21, v32 offset:4
.LBB21_51:
	s_or_b64 exec, exec, s[10:11]
	s_waitcnt lgkmcnt(0)
	s_barrier
	ds_read2_b32 v[0:1], v13 offset1:2
                                        ; implicit-def: $sgpr16
	s_waitcnt lgkmcnt(0)
	v_cmp_le_i32_e64 s[10:11], v0, v1
	v_cmp_gt_i32_e64 s[4:5], v0, v1
	s_and_saveexec_b64 s[12:13], s[4:5]
	s_cbranch_execnz .LBB21_98
; %bb.52:
	s_or_b64 exec, exec, s[12:13]
	v_mov_b32_e32 v27, s16
	s_and_saveexec_b64 s[4:5], s[10:11]
	s_cbranch_execnz .LBB21_99
.LBB21_53:
	s_or_b64 exec, exec, s[4:5]
	v_cmp_eq_u32_e64 s[4:5], v27, v26
	s_and_saveexec_b64 s[10:11], s[4:5]
	s_cbranch_execz .LBB21_55
.LBB21_54:
	ds_read2_b64 v[28:31], v16 offset1:2
	ds_read_u8 v27, v14 offset:2
	ds_read_u8 v32, v14
	ds_write2_b32 v13, v1, v0 offset1:2
	s_waitcnt lgkmcnt(3)
	ds_write2_b64 v16, v[30:31], v[28:29] offset1:2
	s_waitcnt lgkmcnt(3)
	ds_write_b8 v14, v27
	s_waitcnt lgkmcnt(3)
	ds_write_b8 v14, v32 offset:2
.LBB21_55:
	s_or_b64 exec, exec, s[10:11]
	s_waitcnt lgkmcnt(0)
	s_barrier
	ds_read_b64 v[0:1], v11
                                        ; implicit-def: $sgpr16
	s_waitcnt lgkmcnt(0)
	v_cmp_le_i32_e64 s[10:11], v0, v1
	v_cmp_gt_i32_e64 s[4:5], v0, v1
	s_and_saveexec_b64 s[12:13], s[4:5]
	s_cbranch_execnz .LBB21_100
; %bb.56:
	s_or_b64 exec, exec, s[12:13]
	v_mov_b32_e32 v27, s16
	s_and_saveexec_b64 s[4:5], s[10:11]
	s_cbranch_execnz .LBB21_101
.LBB21_57:
	s_or_b64 exec, exec, s[4:5]
	v_cmp_eq_u32_e64 s[4:5], v27, v26
	s_and_saveexec_b64 s[10:11], s[4:5]
	s_cbranch_execz .LBB21_59
.LBB21_58:
	v_add_u32_e32 v32, v8, v12
	ds_read_b128 v[26:29], v32
	v_mov_b32_e32 v31, v0
	ds_read_u16 v0, v10
	v_mov_b32_e32 v30, v1
	s_mov_b32 s4, 0xc0c0001
	ds_write_b64 v11, v[30:31]
	s_waitcnt lgkmcnt(2)
	v_mov_b32_e32 v30, v26
	v_mov_b32_e32 v31, v27
	s_waitcnt lgkmcnt(1)
	v_perm_b32 v0, 0, v0, s4
	ds_write_b128 v32, v[28:31]
	ds_write_b16 v10, v0
.LBB21_59:
	s_or_b64 exec, exec, s[10:11]
	v_and_b32_e32 v0, 15, v3
	v_sub_u32_e32 v19, v19, v0
	v_lshl_add_u32 v18, v19, 2, v18
	s_waitcnt lgkmcnt(0)
	s_barrier
	ds_read2_b32 v[0:1], v18 offset1:16
	v_add_u32_e32 v17, v17, v19
	s_waitcnt lgkmcnt(0)
	v_cmp_le_i32_e64 s[12:13], v0, v1
	v_cmp_gt_i32_e64 s[4:5], v0, v1
	s_and_saveexec_b64 s[10:11], s[4:5]
	s_cbranch_execz .LBB21_61
; %bb.60:
	ds_read_u8 v26, v17
	s_andn2_b64 s[12:13], s[12:13], exec
	s_waitcnt lgkmcnt(0)
	v_and_b32_e32 v26, 1, v26
	v_cmp_eq_u32_e64 s[4:5], 1, v26
	s_xor_b64 s[4:5], s[4:5], -1
	s_and_b64 s[4:5], s[4:5], exec
	s_or_b64 s[12:13], s[12:13], s[4:5]
.LBB21_61:
	s_or_b64 exec, exec, s[10:11]
	s_and_saveexec_b64 s[10:11], s[12:13]
	s_cbranch_execz .LBB21_64
; %bb.62:
	ds_read_u8 v26, v17 offset:16
	s_waitcnt lgkmcnt(0)
	v_cmp_ne_u16_e64 s[4:5], 0, v26
	s_and_b64 exec, exec, s[4:5]
	s_cbranch_execz .LBB21_64
; %bb.63:
	v_lshl_add_u32 v15, v19, 3, v15
	ds_read2_b64 v[28:31], v15 offset1:16
	ds_read_u8 v19, v17
	ds_write2_b32 v18, v1, v0 offset1:16
	ds_write_b8 v17, v26
	s_waitcnt lgkmcnt(3)
	ds_write2_b64 v15, v[30:31], v[28:29] offset1:16
	s_waitcnt lgkmcnt(3)
	ds_write_b8 v17, v19 offset:16
.LBB21_64:
	s_or_b64 exec, exec, s[10:11]
	s_waitcnt lgkmcnt(0)
	s_barrier
	ds_read2_b32 v[0:1], v23 offset1:8
	s_waitcnt lgkmcnt(0)
	v_cmp_le_i32_e64 s[12:13], v0, v1
	v_cmp_gt_i32_e64 s[4:5], v0, v1
	s_and_saveexec_b64 s[10:11], s[4:5]
	s_cbranch_execz .LBB21_66
; %bb.65:
	ds_read_u8 v15, v24
	s_andn2_b64 s[12:13], s[12:13], exec
	s_waitcnt lgkmcnt(0)
	v_and_b32_e32 v15, 1, v15
	v_cmp_eq_u32_e64 s[4:5], 1, v15
	s_xor_b64 s[4:5], s[4:5], -1
	s_and_b64 s[4:5], s[4:5], exec
	s_or_b64 s[12:13], s[12:13], s[4:5]
.LBB21_66:
	s_or_b64 exec, exec, s[10:11]
	s_and_saveexec_b64 s[10:11], s[12:13]
	s_cbranch_execz .LBB21_69
; %bb.67:
	ds_read_u8 v15, v24 offset:8
	s_waitcnt lgkmcnt(0)
	v_cmp_ne_u16_e64 s[4:5], 0, v15
	s_and_b64 exec, exec, s[4:5]
	s_cbranch_execz .LBB21_69
; %bb.68:
	ds_read2_b64 v[26:29], v25 offset1:8
	ds_read_u8 v17, v24
	ds_write2_b32 v23, v1, v0 offset1:8
	ds_write_b8 v24, v15
	s_waitcnt lgkmcnt(3)
	ds_write2_b64 v25, v[28:29], v[26:27] offset1:8
	s_waitcnt lgkmcnt(3)
	ds_write_b8 v24, v17 offset:8
.LBB21_69:
	s_or_b64 exec, exec, s[10:11]
	s_waitcnt lgkmcnt(0)
	s_barrier
	ds_read2_b32 v[0:1], v20 offset1:4
	s_waitcnt lgkmcnt(0)
	v_cmp_le_i32_e64 s[12:13], v0, v1
	v_cmp_gt_i32_e64 s[4:5], v0, v1
	s_and_saveexec_b64 s[10:11], s[4:5]
	s_cbranch_execz .LBB21_71
; %bb.70:
	ds_read_u8 v15, v21
	s_andn2_b64 s[12:13], s[12:13], exec
	s_waitcnt lgkmcnt(0)
	v_and_b32_e32 v15, 1, v15
	v_cmp_eq_u32_e64 s[4:5], 1, v15
	s_xor_b64 s[4:5], s[4:5], -1
	s_and_b64 s[4:5], s[4:5], exec
	s_or_b64 s[12:13], s[12:13], s[4:5]
.LBB21_71:
	s_or_b64 exec, exec, s[10:11]
	s_and_saveexec_b64 s[10:11], s[12:13]
	s_cbranch_execz .LBB21_74
; %bb.72:
	ds_read_u8 v15, v21 offset:4
	s_waitcnt lgkmcnt(0)
	v_cmp_ne_u16_e64 s[4:5], 0, v15
	s_and_b64 exec, exec, s[4:5]
	s_cbranch_execz .LBB21_74
; %bb.73:
	ds_read2_b64 v[24:27], v22 offset1:4
	ds_read_u8 v17, v21
	ds_write2_b32 v20, v1, v0 offset1:4
	ds_write_b8 v21, v15
	s_waitcnt lgkmcnt(3)
	ds_write2_b64 v22, v[26:27], v[24:25] offset1:4
	s_waitcnt lgkmcnt(3)
	ds_write_b8 v21, v17 offset:4
.LBB21_74:
	;; [unrolled: 38-line block ×3, first 2 shown]
	s_or_b64 exec, exec, s[10:11]
	s_waitcnt lgkmcnt(0)
	s_barrier
	ds_read_b64 v[0:1], v11
	s_waitcnt lgkmcnt(0)
	v_cmp_le_i32_e64 s[12:13], v0, v1
	v_cmp_gt_i32_e64 s[4:5], v0, v1
	s_and_saveexec_b64 s[10:11], s[4:5]
	s_cbranch_execz .LBB21_81
; %bb.80:
	ds_read_u8 v13, v10
	s_andn2_b64 s[12:13], s[12:13], exec
	s_waitcnt lgkmcnt(0)
	v_and_b32_e32 v13, 1, v13
	v_cmp_eq_u32_e64 s[4:5], 1, v13
	s_xor_b64 s[4:5], s[4:5], -1
	s_and_b64 s[4:5], s[4:5], exec
	s_or_b64 s[12:13], s[12:13], s[4:5]
.LBB21_81:
	s_or_b64 exec, exec, s[10:11]
	s_and_saveexec_b64 s[10:11], s[12:13]
	s_cbranch_execz .LBB21_84
; %bb.82:
	ds_read_u8 v13, v10 offset:1
	s_waitcnt lgkmcnt(0)
	v_cmp_ne_u16_e64 s[4:5], 0, v13
	s_and_b64 exec, exec, s[4:5]
	s_cbranch_execz .LBB21_84
; %bb.83:
	v_add_u32_e32 v12, v8, v12
	ds_read_b128 v[14:17], v12
	v_mov_b32_e32 v19, v0
	ds_read_u8 v0, v10
	v_mov_b32_e32 v18, v1
	ds_write_b64 v11, v[18:19]
	s_waitcnt lgkmcnt(2)
	v_mov_b32_e32 v18, v14
	v_mov_b32_e32 v19, v15
	s_waitcnt lgkmcnt(1)
	v_lshlrev_b16_e32 v0, 8, v0
	v_or_b32_e32 v0, v13, v0
	ds_write_b128 v12, v[16:19]
	ds_write_b16 v10, v0
.LBB21_84:
	s_or_b64 exec, exec, s[10:11]
	s_waitcnt lgkmcnt(0)
	s_barrier
	s_and_saveexec_b64 s[4:5], vcc
	s_cbranch_execz .LBB21_89
; %bb.85:
	s_and_saveexec_b64 s[4:5], s[0:1]
	s_cbranch_execz .LBB21_87
; %bb.86:
	ds_read_b32 v12, v9
	v_mad_u64_u32 v[0:1], s[0:1], v3, s14, v[4:5]
	v_mov_b32_e32 v1, 0
	v_lshlrev_b64 v[10:11], 2, v[0:1]
	v_mov_b32_e32 v0, s9
	v_add_co_u32_e32 v10, vcc, s8, v10
	v_addc_co_u32_e32 v11, vcc, v0, v11, vcc
	ds_read_b64 v[8:9], v8
	s_waitcnt lgkmcnt(1)
	global_store_dword v[10:11], v12, off
	v_mad_u64_u32 v[10:11], s[0:1], v3, s15, v[2:3]
	v_mov_b32_e32 v11, v1
	v_lshlrev_b64 v[0:1], 3, v[10:11]
	v_mov_b32_e32 v3, s7
	v_add_co_u32_e32 v0, vcc, s6, v0
	v_addc_co_u32_e32 v1, vcc, v3, v1, vcc
	s_waitcnt lgkmcnt(0)
	global_store_dwordx2 v[0:1], v[8:9], off
.LBB21_87:
	s_or_b64 exec, exec, s[4:5]
	s_and_b64 exec, exec, s[2:3]
	s_cbranch_execz .LBB21_89
; %bb.88:
	ds_read_b32 v3, v7
	v_mad_u64_u32 v[0:1], s[0:1], v5, s14, v[4:5]
	v_mov_b32_e32 v1, 0
	v_lshlrev_b64 v[8:9], 2, v[0:1]
	v_mov_b32_e32 v0, s9
	v_add_co_u32_e32 v8, vcc, s8, v8
	v_addc_co_u32_e32 v9, vcc, v0, v9, vcc
	ds_read_b64 v[6:7], v6
	s_waitcnt lgkmcnt(1)
	global_store_dword v[8:9], v3, off
	v_mad_u64_u32 v[2:3], s[0:1], v5, s15, v[2:3]
	v_mov_b32_e32 v3, v1
	v_lshlrev_b64 v[0:1], 3, v[2:3]
	v_mov_b32_e32 v2, s7
	v_add_co_u32_e32 v0, vcc, s6, v0
	v_addc_co_u32_e32 v1, vcc, v2, v1, vcc
	s_waitcnt lgkmcnt(0)
	global_store_dwordx2 v[0:1], v[6:7], off
.LBB21_89:
	s_endpgm
.LBB21_90:
	ds_read_u8 v21, v10
	s_andn2_b64 s[10:11], s[10:11], exec
	s_mov_b32 s16, 1
	s_waitcnt lgkmcnt(0)
	v_and_b32_e32 v21, 1, v21
	v_cmp_eq_u32_e64 s[4:5], 1, v21
	s_xor_b64 s[4:5], s[4:5], -1
	s_and_b64 s[4:5], s[4:5], exec
	s_or_b64 s[10:11], s[10:11], s[4:5]
	s_or_b64 exec, exec, s[12:13]
	v_mov_b32_e32 v21, s16
	s_and_saveexec_b64 s[4:5], s[10:11]
	s_cbranch_execz .LBB21_25
.LBB21_91:
	ds_read_u8 v21, v10 offset:1
	s_waitcnt lgkmcnt(0)
	v_xor_b32_e32 v21, 1, v21
	s_or_b64 exec, exec, s[4:5]
	v_cmp_eq_u32_e64 s[4:5], v21, v20
	s_and_saveexec_b64 s[10:11], s[4:5]
	s_cbranch_execnz .LBB21_26
	s_branch .LBB21_27
.LBB21_92:
	ds_read_u8 v24, v14
	s_andn2_b64 s[10:11], s[10:11], exec
	s_mov_b32 s16, 1
	s_waitcnt lgkmcnt(0)
	v_and_b32_e32 v24, 1, v24
	v_cmp_eq_u32_e64 s[4:5], 1, v24
	s_xor_b64 s[4:5], s[4:5], -1
	s_and_b64 s[4:5], s[4:5], exec
	s_or_b64 s[10:11], s[10:11], s[4:5]
	s_or_b64 exec, exec, s[12:13]
	v_mov_b32_e32 v24, s16
	s_and_saveexec_b64 s[4:5], s[10:11]
	s_cbranch_execz .LBB21_35
.LBB21_93:
	ds_read_u8 v24, v14 offset:2
	s_waitcnt lgkmcnt(0)
	v_xor_b32_e32 v24, 1, v24
	s_or_b64 exec, exec, s[4:5]
	v_cmp_eq_u32_e64 s[4:5], v24, v23
	s_and_saveexec_b64 s[10:11], s[4:5]
	s_cbranch_execnz .LBB21_36
	s_branch .LBB21_37
.LBB21_94:
	ds_read_u8 v24, v10
	s_andn2_b64 s[10:11], s[10:11], exec
	s_mov_b32 s16, 1
	s_waitcnt lgkmcnt(0)
	v_and_b32_e32 v24, 1, v24
	v_cmp_eq_u32_e64 s[4:5], 1, v24
	s_xor_b64 s[4:5], s[4:5], -1
	s_and_b64 s[4:5], s[4:5], exec
	s_or_b64 s[10:11], s[10:11], s[4:5]
	s_or_b64 exec, exec, s[12:13]
	v_mov_b32_e32 v24, s16
	s_and_saveexec_b64 s[4:5], s[10:11]
	s_cbranch_execz .LBB21_39
.LBB21_95:
	ds_read_u8 v24, v10 offset:1
	s_waitcnt lgkmcnt(0)
	v_xor_b32_e32 v24, 1, v24
	s_or_b64 exec, exec, s[4:5]
	v_cmp_eq_u32_e64 s[4:5], v24, v23
	s_and_saveexec_b64 s[10:11], s[4:5]
	s_cbranch_execnz .LBB21_40
	s_branch .LBB21_41
.LBB21_96:
	ds_read_u8 v27, v21
	s_andn2_b64 s[10:11], s[10:11], exec
	s_mov_b32 s16, 1
	s_waitcnt lgkmcnt(0)
	v_and_b32_e32 v27, 1, v27
	v_cmp_eq_u32_e64 s[4:5], 1, v27
	s_xor_b64 s[4:5], s[4:5], -1
	s_and_b64 s[4:5], s[4:5], exec
	s_or_b64 s[10:11], s[10:11], s[4:5]
	s_or_b64 exec, exec, s[12:13]
	v_mov_b32_e32 v27, s16
	s_and_saveexec_b64 s[4:5], s[10:11]
	s_cbranch_execz .LBB21_49
.LBB21_97:
	ds_read_u8 v27, v21 offset:4
	s_waitcnt lgkmcnt(0)
	v_xor_b32_e32 v27, 1, v27
	s_or_b64 exec, exec, s[4:5]
	v_cmp_eq_u32_e64 s[4:5], v27, v26
	s_and_saveexec_b64 s[10:11], s[4:5]
	s_cbranch_execnz .LBB21_50
	s_branch .LBB21_51
.LBB21_98:
	ds_read_u8 v27, v14
	s_andn2_b64 s[10:11], s[10:11], exec
	s_mov_b32 s16, 1
	s_waitcnt lgkmcnt(0)
	v_and_b32_e32 v27, 1, v27
	v_cmp_eq_u32_e64 s[4:5], 1, v27
	s_xor_b64 s[4:5], s[4:5], -1
	s_and_b64 s[4:5], s[4:5], exec
	s_or_b64 s[10:11], s[10:11], s[4:5]
	s_or_b64 exec, exec, s[12:13]
	v_mov_b32_e32 v27, s16
	s_and_saveexec_b64 s[4:5], s[10:11]
	s_cbranch_execz .LBB21_53
.LBB21_99:
	ds_read_u8 v27, v14 offset:2
	s_waitcnt lgkmcnt(0)
	v_xor_b32_e32 v27, 1, v27
	s_or_b64 exec, exec, s[4:5]
	v_cmp_eq_u32_e64 s[4:5], v27, v26
	s_and_saveexec_b64 s[10:11], s[4:5]
	s_cbranch_execnz .LBB21_54
	s_branch .LBB21_55
.LBB21_100:
	ds_read_u8 v27, v10
	s_andn2_b64 s[10:11], s[10:11], exec
	s_mov_b32 s16, 1
	s_waitcnt lgkmcnt(0)
	v_and_b32_e32 v27, 1, v27
	v_cmp_eq_u32_e64 s[4:5], 1, v27
	s_xor_b64 s[4:5], s[4:5], -1
	s_and_b64 s[4:5], s[4:5], exec
	s_or_b64 s[10:11], s[10:11], s[4:5]
	s_or_b64 exec, exec, s[12:13]
	v_mov_b32_e32 v27, s16
	s_and_saveexec_b64 s[4:5], s[10:11]
	s_cbranch_execz .LBB21_57
.LBB21_101:
	ds_read_u8 v27, v10 offset:1
	s_waitcnt lgkmcnt(0)
	v_xor_b32_e32 v27, 1, v27
	s_or_b64 exec, exec, s[4:5]
	v_cmp_eq_u32_e64 s[4:5], v27, v26
	s_and_saveexec_b64 s[10:11], s[4:5]
	s_cbranch_execnz .LBB21_58
	s_branch .LBB21_59
	.section	.rodata,"a",@progbits
	.p2align	6, 0x0
	.amdhsa_kernel _ZN2at6native20bitonicSortKVInPlaceILin1ELin1ELi16ELi16EilNS0_4GTOpIiLb1EEEjEEvNS_4cuda6detail10TensorInfoIT3_T6_EES8_S8_S8_NS6_IT4_S8_EES8_T5_
		.amdhsa_group_segment_fixed_size 6656
		.amdhsa_private_segment_fixed_size 0
		.amdhsa_kernarg_size 712
		.amdhsa_user_sgpr_count 6
		.amdhsa_user_sgpr_private_segment_buffer 1
		.amdhsa_user_sgpr_dispatch_ptr 0
		.amdhsa_user_sgpr_queue_ptr 0
		.amdhsa_user_sgpr_kernarg_segment_ptr 1
		.amdhsa_user_sgpr_dispatch_id 0
		.amdhsa_user_sgpr_flat_scratch_init 0
		.amdhsa_user_sgpr_kernarg_preload_length 0
		.amdhsa_user_sgpr_kernarg_preload_offset 0
		.amdhsa_user_sgpr_private_segment_size 0
		.amdhsa_uses_dynamic_stack 0
		.amdhsa_system_sgpr_private_segment_wavefront_offset 0
		.amdhsa_system_sgpr_workgroup_id_x 1
		.amdhsa_system_sgpr_workgroup_id_y 1
		.amdhsa_system_sgpr_workgroup_id_z 1
		.amdhsa_system_sgpr_workgroup_info 0
		.amdhsa_system_vgpr_workitem_id 1
		.amdhsa_next_free_vgpr 33
		.amdhsa_next_free_sgpr 17
		.amdhsa_accum_offset 36
		.amdhsa_reserve_vcc 1
		.amdhsa_reserve_flat_scratch 0
		.amdhsa_float_round_mode_32 0
		.amdhsa_float_round_mode_16_64 0
		.amdhsa_float_denorm_mode_32 3
		.amdhsa_float_denorm_mode_16_64 3
		.amdhsa_dx10_clamp 1
		.amdhsa_ieee_mode 1
		.amdhsa_fp16_overflow 0
		.amdhsa_tg_split 0
		.amdhsa_exception_fp_ieee_invalid_op 0
		.amdhsa_exception_fp_denorm_src 0
		.amdhsa_exception_fp_ieee_div_zero 0
		.amdhsa_exception_fp_ieee_overflow 0
		.amdhsa_exception_fp_ieee_underflow 0
		.amdhsa_exception_fp_ieee_inexact 0
		.amdhsa_exception_int_div_zero 0
	.end_amdhsa_kernel
	.section	.text._ZN2at6native20bitonicSortKVInPlaceILin1ELin1ELi16ELi16EilNS0_4GTOpIiLb1EEEjEEvNS_4cuda6detail10TensorInfoIT3_T6_EES8_S8_S8_NS6_IT4_S8_EES8_T5_,"axG",@progbits,_ZN2at6native20bitonicSortKVInPlaceILin1ELin1ELi16ELi16EilNS0_4GTOpIiLb1EEEjEEvNS_4cuda6detail10TensorInfoIT3_T6_EES8_S8_S8_NS6_IT4_S8_EES8_T5_,comdat
.Lfunc_end21:
	.size	_ZN2at6native20bitonicSortKVInPlaceILin1ELin1ELi16ELi16EilNS0_4GTOpIiLb1EEEjEEvNS_4cuda6detail10TensorInfoIT3_T6_EES8_S8_S8_NS6_IT4_S8_EES8_T5_, .Lfunc_end21-_ZN2at6native20bitonicSortKVInPlaceILin1ELin1ELi16ELi16EilNS0_4GTOpIiLb1EEEjEEvNS_4cuda6detail10TensorInfoIT3_T6_EES8_S8_S8_NS6_IT4_S8_EES8_T5_
                                        ; -- End function
	.section	.AMDGPU.csdata,"",@progbits
; Kernel info:
; codeLenInByte = 4820
; NumSgprs: 21
; NumVgprs: 33
; NumAgprs: 0
; TotalNumVgprs: 33
; ScratchSize: 0
; MemoryBound: 0
; FloatMode: 240
; IeeeMode: 1
; LDSByteSize: 6656 bytes/workgroup (compile time only)
; SGPRBlocks: 2
; VGPRBlocks: 4
; NumSGPRsForWavesPerEU: 21
; NumVGPRsForWavesPerEU: 33
; AccumOffset: 36
; Occupancy: 8
; WaveLimiterHint : 1
; COMPUTE_PGM_RSRC2:SCRATCH_EN: 0
; COMPUTE_PGM_RSRC2:USER_SGPR: 6
; COMPUTE_PGM_RSRC2:TRAP_HANDLER: 0
; COMPUTE_PGM_RSRC2:TGID_X_EN: 1
; COMPUTE_PGM_RSRC2:TGID_Y_EN: 1
; COMPUTE_PGM_RSRC2:TGID_Z_EN: 1
; COMPUTE_PGM_RSRC2:TIDIG_COMP_CNT: 1
; COMPUTE_PGM_RSRC3_GFX90A:ACCUM_OFFSET: 8
; COMPUTE_PGM_RSRC3_GFX90A:TG_SPLIT: 0
	.section	.text._ZN2at6native20bitonicSortKVInPlaceILin1ELin1ELi16ELi16EilNS0_4LTOpIiLb1EEEmEEvNS_4cuda6detail10TensorInfoIT3_T6_EES8_S8_S8_NS6_IT4_S8_EES8_T5_,"axG",@progbits,_ZN2at6native20bitonicSortKVInPlaceILin1ELin1ELi16ELi16EilNS0_4LTOpIiLb1EEEmEEvNS_4cuda6detail10TensorInfoIT3_T6_EES8_S8_S8_NS6_IT4_S8_EES8_T5_,comdat
	.protected	_ZN2at6native20bitonicSortKVInPlaceILin1ELin1ELi16ELi16EilNS0_4LTOpIiLb1EEEmEEvNS_4cuda6detail10TensorInfoIT3_T6_EES8_S8_S8_NS6_IT4_S8_EES8_T5_ ; -- Begin function _ZN2at6native20bitonicSortKVInPlaceILin1ELin1ELi16ELi16EilNS0_4LTOpIiLb1EEEmEEvNS_4cuda6detail10TensorInfoIT3_T6_EES8_S8_S8_NS6_IT4_S8_EES8_T5_
	.globl	_ZN2at6native20bitonicSortKVInPlaceILin1ELin1ELi16ELi16EilNS0_4LTOpIiLb1EEEmEEvNS_4cuda6detail10TensorInfoIT3_T6_EES8_S8_S8_NS6_IT4_S8_EES8_T5_
	.p2align	8
	.type	_ZN2at6native20bitonicSortKVInPlaceILin1ELin1ELi16ELi16EilNS0_4LTOpIiLb1EEEmEEvNS_4cuda6detail10TensorInfoIT3_T6_EES8_S8_S8_NS6_IT4_S8_EES8_T5_,@function
_ZN2at6native20bitonicSortKVInPlaceILin1ELin1ELi16ELi16EilNS0_4LTOpIiLb1EEEmEEvNS_4cuda6detail10TensorInfoIT3_T6_EES8_S8_S8_NS6_IT4_S8_EES8_T5_: ; @_ZN2at6native20bitonicSortKVInPlaceILin1ELin1ELi16ELi16EilNS0_4LTOpIiLb1EEEmEEvNS_4cuda6detail10TensorInfoIT3_T6_EES8_S8_S8_NS6_IT4_S8_EES8_T5_
; %bb.0:
	s_load_dwordx2 s[0:1], s[4:5], 0x368
	s_load_dwordx4 s[12:15], s[4:5], 0x1a0
	s_load_dword s9, s[4:5], 0x374
	s_add_u32 s2, s4, 0x368
	s_addc_u32 s3, s5, 0
	s_waitcnt lgkmcnt(0)
	s_mul_i32 s1, s1, s8
	s_add_i32 s1, s1, s7
	s_mul_i32 s0, s1, s0
	s_add_i32 s0, s0, s6
	s_lshr_b32 s6, s9, 16
	s_mul_hi_u32 s1, s0, s6
	s_mul_i32 s0, s0, s6
	v_pk_mov_b32 v[2:3], s[12:13], s[12:13] op_sel:[0,1]
	v_cmp_ge_u64_e32 vcc, s[0:1], v[2:3]
	s_cbranch_vccnz .LBB22_99
; %bb.1:
	v_mov_b32_e32 v1, s1
	s_load_dwordx2 s[6:7], s[4:5], 0x1b0
	s_load_dword s1, s[4:5], 0x198
	v_bfe_u32 v16, v0, 10, 10
	v_add_co_u32_e32 v4, vcc, s0, v16
	v_addc_co_u32_e32 v5, vcc, 0, v1, vcc
	v_mov_b32_e32 v8, 0
	s_waitcnt lgkmcnt(0)
	s_cmp_lt_i32 s1, 2
	v_pk_mov_b32 v[2:3], 0, 0
	v_pk_mov_b32 v[6:7], v[4:5], v[4:5] op_sel:[0,1]
	s_cbranch_scc1 .LBB22_9
; %bb.2:
	s_add_i32 s18, s1, 1
	s_add_i32 s0, s1, -1
	s_mov_b32 s1, 0
	s_lshl_b64 s[0:1], s[0:1], 3
	s_add_u32 s0, s0, s4
	s_addc_u32 s1, s1, s5
	s_add_u32 s8, s0, 8
	s_addc_u32 s9, s1, 0
	v_pk_mov_b32 v[2:3], 0, 0
	v_pk_mov_b32 v[10:11], v[4:5], v[4:5] op_sel:[0,1]
.LBB22_3:                               ; =>This Inner Loop Header: Depth=1
	s_load_dwordx2 s[10:11], s[8:9], 0x0
                                        ; implicit-def: $vgpr6_vgpr7
	s_waitcnt lgkmcnt(0)
	v_or_b32_e32 v9, s11, v11
	v_cmp_ne_u64_e32 vcc, 0, v[8:9]
	s_and_saveexec_b64 s[0:1], vcc
	s_xor_b64 s[16:17], exec, s[0:1]
	s_cbranch_execz .LBB22_5
; %bb.4:                                ;   in Loop: Header=BB22_3 Depth=1
	v_cvt_f32_u32_e32 v1, s10
	v_cvt_f32_u32_e32 v6, s11
	s_sub_u32 s0, 0, s10
	s_subb_u32 s1, 0, s11
	v_mac_f32_e32 v1, 0x4f800000, v6
	v_rcp_f32_e32 v1, v1
	v_mul_f32_e32 v1, 0x5f7ffffc, v1
	v_mul_f32_e32 v6, 0x2f800000, v1
	v_trunc_f32_e32 v6, v6
	v_mac_f32_e32 v1, 0xcf800000, v6
	v_cvt_u32_f32_e32 v6, v6
	v_cvt_u32_f32_e32 v1, v1
	v_mul_lo_u32 v7, s0, v6
	v_mul_hi_u32 v12, s0, v1
	v_mul_lo_u32 v9, s1, v1
	v_add_u32_e32 v7, v12, v7
	v_mul_lo_u32 v13, s0, v1
	v_add_u32_e32 v7, v7, v9
	v_mul_hi_u32 v12, v1, v13
	v_mul_lo_u32 v14, v1, v7
	v_mul_hi_u32 v9, v1, v7
	v_add_co_u32_e32 v12, vcc, v12, v14
	v_addc_co_u32_e32 v9, vcc, 0, v9, vcc
	v_mul_hi_u32 v15, v6, v13
	v_mul_lo_u32 v13, v6, v13
	v_add_co_u32_e32 v12, vcc, v12, v13
	v_mul_hi_u32 v14, v6, v7
	v_addc_co_u32_e32 v9, vcc, v9, v15, vcc
	v_addc_co_u32_e32 v12, vcc, 0, v14, vcc
	v_mul_lo_u32 v7, v6, v7
	v_add_co_u32_e32 v7, vcc, v9, v7
	v_addc_co_u32_e32 v9, vcc, 0, v12, vcc
	v_add_co_u32_e32 v1, vcc, v1, v7
	v_addc_co_u32_e32 v6, vcc, v6, v9, vcc
	v_mul_lo_u32 v7, s0, v6
	v_mul_hi_u32 v9, s0, v1
	v_add_u32_e32 v7, v9, v7
	v_mul_lo_u32 v9, s1, v1
	v_add_u32_e32 v7, v7, v9
	v_mul_lo_u32 v12, s0, v1
	v_mul_hi_u32 v13, v6, v12
	v_mul_lo_u32 v14, v6, v12
	v_mul_lo_u32 v17, v1, v7
	v_mul_hi_u32 v12, v1, v12
	v_mul_hi_u32 v15, v1, v7
	v_add_co_u32_e32 v12, vcc, v12, v17
	v_addc_co_u32_e32 v15, vcc, 0, v15, vcc
	v_add_co_u32_e32 v12, vcc, v12, v14
	v_mul_hi_u32 v9, v6, v7
	v_addc_co_u32_e32 v12, vcc, v15, v13, vcc
	v_addc_co_u32_e32 v9, vcc, 0, v9, vcc
	v_mul_lo_u32 v7, v6, v7
	v_add_co_u32_e32 v7, vcc, v12, v7
	v_addc_co_u32_e32 v9, vcc, 0, v9, vcc
	v_add_co_u32_e32 v1, vcc, v1, v7
	v_addc_co_u32_e32 v9, vcc, v6, v9, vcc
	v_mad_u64_u32 v[6:7], s[0:1], v10, v9, 0
	v_mul_hi_u32 v12, v10, v1
	v_add_co_u32_e32 v14, vcc, v12, v6
	v_addc_co_u32_e32 v15, vcc, 0, v7, vcc
	v_mad_u64_u32 v[12:13], s[0:1], v11, v1, 0
	v_add_co_u32_e32 v1, vcc, v14, v12
	v_mad_u64_u32 v[6:7], s[0:1], v11, v9, 0
	v_addc_co_u32_e32 v1, vcc, v15, v13, vcc
	v_addc_co_u32_e32 v7, vcc, 0, v7, vcc
	v_add_co_u32_e32 v1, vcc, v1, v6
	v_addc_co_u32_e32 v9, vcc, 0, v7, vcc
	v_mul_lo_u32 v12, s11, v1
	v_mul_lo_u32 v13, s10, v9
	v_mad_u64_u32 v[6:7], s[0:1], s10, v1, 0
	v_add3_u32 v7, v7, v13, v12
	v_sub_u32_e32 v12, v11, v7
	v_mov_b32_e32 v13, s11
	v_sub_co_u32_e32 v6, vcc, v10, v6
	v_subb_co_u32_e64 v12, s[0:1], v12, v13, vcc
	v_subrev_co_u32_e64 v13, s[0:1], s10, v6
	v_subbrev_co_u32_e64 v12, s[0:1], 0, v12, s[0:1]
	v_cmp_le_u32_e64 s[0:1], s11, v12
	v_cndmask_b32_e64 v14, 0, -1, s[0:1]
	v_cmp_le_u32_e64 s[0:1], s10, v13
	v_cndmask_b32_e64 v13, 0, -1, s[0:1]
	v_cmp_eq_u32_e64 s[0:1], s11, v12
	v_cndmask_b32_e64 v12, v14, v13, s[0:1]
	v_add_co_u32_e64 v13, s[0:1], 2, v1
	v_addc_co_u32_e64 v14, s[0:1], 0, v9, s[0:1]
	v_add_co_u32_e64 v15, s[0:1], 1, v1
	v_addc_co_u32_e64 v17, s[0:1], 0, v9, s[0:1]
	v_subb_co_u32_e32 v7, vcc, v11, v7, vcc
	v_cmp_ne_u32_e64 s[0:1], 0, v12
	v_cmp_le_u32_e32 vcc, s11, v7
	v_cndmask_b32_e64 v12, v17, v14, s[0:1]
	v_cndmask_b32_e64 v14, 0, -1, vcc
	v_cmp_le_u32_e32 vcc, s10, v6
	v_cndmask_b32_e64 v6, 0, -1, vcc
	v_cmp_eq_u32_e32 vcc, s11, v7
	v_cndmask_b32_e32 v6, v14, v6, vcc
	v_cmp_ne_u32_e32 vcc, 0, v6
	v_cndmask_b32_e64 v6, v15, v13, s[0:1]
	v_cndmask_b32_e32 v7, v9, v12, vcc
	v_cndmask_b32_e32 v6, v1, v6, vcc
.LBB22_5:                               ;   in Loop: Header=BB22_3 Depth=1
	s_andn2_saveexec_b64 s[0:1], s[16:17]
	s_cbranch_execz .LBB22_7
; %bb.6:                                ;   in Loop: Header=BB22_3 Depth=1
	v_cvt_f32_u32_e32 v1, s10
	s_sub_i32 s16, 0, s10
	v_rcp_iflag_f32_e32 v1, v1
	v_mul_f32_e32 v1, 0x4f7ffffe, v1
	v_cvt_u32_f32_e32 v1, v1
	v_mul_lo_u32 v6, s16, v1
	v_mul_hi_u32 v6, v1, v6
	v_add_u32_e32 v1, v1, v6
	v_mul_hi_u32 v1, v10, v1
	v_mul_lo_u32 v6, v1, s10
	v_sub_u32_e32 v6, v10, v6
	v_add_u32_e32 v7, 1, v1
	v_subrev_u32_e32 v9, s10, v6
	v_cmp_le_u32_e32 vcc, s10, v6
	v_cndmask_b32_e32 v6, v6, v9, vcc
	v_cndmask_b32_e32 v1, v1, v7, vcc
	v_add_u32_e32 v7, 1, v1
	v_cmp_le_u32_e32 vcc, s10, v6
	v_cndmask_b32_e32 v6, v1, v7, vcc
	v_mov_b32_e32 v7, v8
.LBB22_7:                               ;   in Loop: Header=BB22_3 Depth=1
	s_or_b64 exec, exec, s[0:1]
	v_mad_u64_u32 v[12:13], s[0:1], v6, s10, 0
	s_load_dwordx2 s[0:1], s[8:9], 0xc8
	v_mul_lo_u32 v1, v7, s10
	v_mul_lo_u32 v9, v6, s11
	v_add3_u32 v1, v13, v9, v1
	v_sub_co_u32_e32 v9, vcc, v10, v12
	s_add_i32 s18, s18, -1
	v_subb_co_u32_e32 v1, vcc, v11, v1, vcc
	s_add_u32 s8, s8, -8
	s_waitcnt lgkmcnt(0)
	v_mul_lo_u32 v1, s0, v1
	v_mul_lo_u32 v10, s1, v9
	v_mad_u64_u32 v[2:3], s[0:1], s0, v9, v[2:3]
	s_addc_u32 s9, s9, -1
	s_cmp_gt_u32 s18, 2
	v_add3_u32 v3, v10, v3, v1
	s_cbranch_scc0 .LBB22_9
; %bb.8:                                ;   in Loop: Header=BB22_3 Depth=1
	v_pk_mov_b32 v[10:11], v[6:7], v[6:7] op_sel:[0,1]
	s_branch .LBB22_3
.LBB22_9:
	s_load_dword s0, s[4:5], 0x350
	s_load_dwordx2 s[8:9], s[4:5], 0xd0
	v_pk_mov_b32 v[8:9], 0, 0
	v_pk_mov_b32 v[14:15], v[4:5], v[4:5] op_sel:[0,1]
	s_waitcnt lgkmcnt(0)
	s_cmp_lt_i32 s0, 2
	s_cbranch_scc1 .LBB22_17
; %bb.10:
	s_add_i32 s20, s0, 1
	s_add_i32 s0, s0, -1
	s_mov_b32 s1, 0
	s_lshl_b64 s[0:1], s[0:1], 3
	s_add_u32 s0, s0, s4
	s_addc_u32 s1, s1, s5
	s_add_u32 s10, s0, 0x1c0
	s_addc_u32 s11, s1, 0
	v_pk_mov_b32 v[8:9], 0, 0
	v_mov_b32_e32 v10, 0
	v_pk_mov_b32 v[12:13], v[4:5], v[4:5] op_sel:[0,1]
.LBB22_11:                              ; =>This Inner Loop Header: Depth=1
	s_load_dwordx2 s[16:17], s[10:11], 0x0
                                        ; implicit-def: $vgpr14_vgpr15
	s_waitcnt lgkmcnt(0)
	v_or_b32_e32 v11, s17, v13
	v_cmp_ne_u64_e32 vcc, 0, v[10:11]
	s_and_saveexec_b64 s[0:1], vcc
	s_xor_b64 s[18:19], exec, s[0:1]
	s_cbranch_execz .LBB22_13
; %bb.12:                               ;   in Loop: Header=BB22_11 Depth=1
	v_cvt_f32_u32_e32 v1, s16
	v_cvt_f32_u32_e32 v11, s17
	s_sub_u32 s0, 0, s16
	s_subb_u32 s1, 0, s17
	v_mac_f32_e32 v1, 0x4f800000, v11
	v_rcp_f32_e32 v1, v1
	v_mul_f32_e32 v1, 0x5f7ffffc, v1
	v_mul_f32_e32 v11, 0x2f800000, v1
	v_trunc_f32_e32 v11, v11
	v_mac_f32_e32 v1, 0xcf800000, v11
	v_cvt_u32_f32_e32 v11, v11
	v_cvt_u32_f32_e32 v1, v1
	v_mul_lo_u32 v14, s0, v11
	v_mul_hi_u32 v17, s0, v1
	v_mul_lo_u32 v15, s1, v1
	v_add_u32_e32 v14, v17, v14
	v_mul_lo_u32 v18, s0, v1
	v_add_u32_e32 v14, v14, v15
	v_mul_hi_u32 v17, v1, v18
	v_mul_lo_u32 v19, v1, v14
	v_mul_hi_u32 v15, v1, v14
	v_add_co_u32_e32 v17, vcc, v17, v19
	v_addc_co_u32_e32 v15, vcc, 0, v15, vcc
	v_mul_hi_u32 v20, v11, v18
	v_mul_lo_u32 v18, v11, v18
	v_add_co_u32_e32 v17, vcc, v17, v18
	v_mul_hi_u32 v19, v11, v14
	v_addc_co_u32_e32 v15, vcc, v15, v20, vcc
	v_addc_co_u32_e32 v17, vcc, 0, v19, vcc
	v_mul_lo_u32 v14, v11, v14
	v_add_co_u32_e32 v14, vcc, v15, v14
	v_addc_co_u32_e32 v15, vcc, 0, v17, vcc
	v_add_co_u32_e32 v1, vcc, v1, v14
	v_addc_co_u32_e32 v11, vcc, v11, v15, vcc
	v_mul_lo_u32 v14, s0, v11
	v_mul_hi_u32 v15, s0, v1
	v_add_u32_e32 v14, v15, v14
	v_mul_lo_u32 v15, s1, v1
	v_add_u32_e32 v14, v14, v15
	v_mul_lo_u32 v17, s0, v1
	v_mul_hi_u32 v18, v11, v17
	v_mul_lo_u32 v19, v11, v17
	v_mul_lo_u32 v21, v1, v14
	v_mul_hi_u32 v17, v1, v17
	v_mul_hi_u32 v20, v1, v14
	v_add_co_u32_e32 v17, vcc, v17, v21
	v_addc_co_u32_e32 v20, vcc, 0, v20, vcc
	v_add_co_u32_e32 v17, vcc, v17, v19
	v_mul_hi_u32 v15, v11, v14
	v_addc_co_u32_e32 v17, vcc, v20, v18, vcc
	v_addc_co_u32_e32 v15, vcc, 0, v15, vcc
	v_mul_lo_u32 v14, v11, v14
	v_add_co_u32_e32 v14, vcc, v17, v14
	v_addc_co_u32_e32 v15, vcc, 0, v15, vcc
	v_add_co_u32_e32 v1, vcc, v1, v14
	v_addc_co_u32_e32 v11, vcc, v11, v15, vcc
	v_mad_u64_u32 v[14:15], s[0:1], v12, v11, 0
	v_mul_hi_u32 v17, v12, v1
	v_add_co_u32_e32 v17, vcc, v17, v14
	v_addc_co_u32_e32 v20, vcc, 0, v15, vcc
	v_mad_u64_u32 v[18:19], s[0:1], v13, v1, 0
	v_add_co_u32_e32 v1, vcc, v17, v18
	v_mad_u64_u32 v[14:15], s[0:1], v13, v11, 0
	v_addc_co_u32_e32 v1, vcc, v20, v19, vcc
	v_addc_co_u32_e32 v11, vcc, 0, v15, vcc
	v_add_co_u32_e32 v1, vcc, v1, v14
	v_addc_co_u32_e32 v11, vcc, 0, v11, vcc
	v_mul_lo_u32 v17, s17, v1
	v_mul_lo_u32 v18, s16, v11
	v_mad_u64_u32 v[14:15], s[0:1], s16, v1, 0
	v_add3_u32 v15, v15, v18, v17
	v_sub_u32_e32 v17, v13, v15
	v_mov_b32_e32 v18, s17
	v_sub_co_u32_e32 v14, vcc, v12, v14
	v_subb_co_u32_e64 v17, s[0:1], v17, v18, vcc
	v_subrev_co_u32_e64 v18, s[0:1], s16, v14
	v_subbrev_co_u32_e64 v17, s[0:1], 0, v17, s[0:1]
	v_cmp_le_u32_e64 s[0:1], s17, v17
	v_cndmask_b32_e64 v19, 0, -1, s[0:1]
	v_cmp_le_u32_e64 s[0:1], s16, v18
	v_cndmask_b32_e64 v18, 0, -1, s[0:1]
	v_cmp_eq_u32_e64 s[0:1], s17, v17
	v_cndmask_b32_e64 v17, v19, v18, s[0:1]
	v_add_co_u32_e64 v18, s[0:1], 2, v1
	v_addc_co_u32_e64 v19, s[0:1], 0, v11, s[0:1]
	v_add_co_u32_e64 v20, s[0:1], 1, v1
	v_addc_co_u32_e64 v21, s[0:1], 0, v11, s[0:1]
	v_subb_co_u32_e32 v15, vcc, v13, v15, vcc
	v_cmp_ne_u32_e64 s[0:1], 0, v17
	v_cmp_le_u32_e32 vcc, s17, v15
	v_cndmask_b32_e64 v17, v21, v19, s[0:1]
	v_cndmask_b32_e64 v19, 0, -1, vcc
	v_cmp_le_u32_e32 vcc, s16, v14
	v_cndmask_b32_e64 v14, 0, -1, vcc
	v_cmp_eq_u32_e32 vcc, s17, v15
	v_cndmask_b32_e32 v14, v19, v14, vcc
	v_cmp_ne_u32_e32 vcc, 0, v14
	v_cndmask_b32_e32 v15, v11, v17, vcc
	v_cndmask_b32_e64 v11, v20, v18, s[0:1]
	v_cndmask_b32_e32 v14, v1, v11, vcc
.LBB22_13:                              ;   in Loop: Header=BB22_11 Depth=1
	s_andn2_saveexec_b64 s[0:1], s[18:19]
	s_cbranch_execz .LBB22_15
; %bb.14:                               ;   in Loop: Header=BB22_11 Depth=1
	v_cvt_f32_u32_e32 v1, s16
	s_sub_i32 s18, 0, s16
	v_rcp_iflag_f32_e32 v1, v1
	v_mul_f32_e32 v1, 0x4f7ffffe, v1
	v_cvt_u32_f32_e32 v1, v1
	v_mul_lo_u32 v11, s18, v1
	v_mul_hi_u32 v11, v1, v11
	v_add_u32_e32 v1, v1, v11
	v_mul_hi_u32 v1, v12, v1
	v_mul_lo_u32 v11, v1, s16
	v_sub_u32_e32 v11, v12, v11
	v_add_u32_e32 v14, 1, v1
	v_subrev_u32_e32 v15, s16, v11
	v_cmp_le_u32_e32 vcc, s16, v11
	v_cndmask_b32_e32 v11, v11, v15, vcc
	v_cndmask_b32_e32 v1, v1, v14, vcc
	v_add_u32_e32 v14, 1, v1
	v_cmp_le_u32_e32 vcc, s16, v11
	v_cndmask_b32_e32 v14, v1, v14, vcc
	v_mov_b32_e32 v15, v10
.LBB22_15:                              ;   in Loop: Header=BB22_11 Depth=1
	s_or_b64 exec, exec, s[0:1]
	v_mad_u64_u32 v[18:19], s[0:1], v14, s16, 0
	s_load_dwordx2 s[0:1], s[10:11], 0xc8
	v_mul_lo_u32 v1, v15, s16
	v_mul_lo_u32 v11, v14, s17
	v_add3_u32 v1, v19, v11, v1
	v_sub_co_u32_e32 v11, vcc, v12, v18
	s_add_i32 s20, s20, -1
	v_subb_co_u32_e32 v1, vcc, v13, v1, vcc
	s_add_u32 s10, s10, -8
	s_waitcnt lgkmcnt(0)
	v_mul_lo_u32 v1, s0, v1
	v_mul_lo_u32 v12, s1, v11
	v_mad_u64_u32 v[8:9], s[0:1], s0, v11, v[8:9]
	s_addc_u32 s11, s11, -1
	s_cmp_gt_u32 s20, 2
	v_add3_u32 v9, v12, v9, v1
	s_cbranch_scc0 .LBB22_17
; %bb.16:                               ;   in Loop: Header=BB22_11 Depth=1
	v_pk_mov_b32 v[12:13], v[14:15], v[14:15] op_sel:[0,1]
	s_branch .LBB22_11
.LBB22_17:
	v_mul_lo_u32 v1, s9, v6
	v_mul_lo_u32 v10, s8, v7
	v_mad_u64_u32 v[6:7], s[0:1], s8, v6, 0
	s_load_dwordx2 s[8:9], s[4:5], 0x358
	s_load_dwordx2 s[0:1], s[4:5], 0x288
	;; [unrolled: 1-line block ×4, first 2 shown]
	v_add3_u32 v7, v7, v10, v1
	v_cmp_gt_u64_e32 vcc, s[12:13], v[4:5]
	v_lshlrev_b64 v[6:7], 2, v[6:7]
	s_waitcnt lgkmcnt(0)
	v_mul_lo_u32 v1, s1, v14
	v_mul_lo_u32 v10, s0, v15
	v_mad_u64_u32 v[4:5], s[0:1], s0, v14, 0
	v_add3_u32 v5, v5, v10, v1
	v_mov_b32_e32 v1, s11
	v_add_co_u32_e64 v6, s[0:1], s10, v6
	v_addc_co_u32_e64 v1, s[0:1], v1, v7, s[0:1]
	v_lshlrev_b64 v[2:3], 2, v[2:3]
	v_add_co_u32_e64 v10, s[0:1], v6, v2
	v_addc_co_u32_e64 v11, s[0:1], v1, v3, s[0:1]
	v_lshlrev_b64 v[2:3], 3, v[4:5]
	v_mov_b32_e32 v1, s17
	v_add_co_u32_e64 v4, s[0:1], s16, v2
	v_addc_co_u32_e64 v1, s[0:1], v1, v3, s[0:1]
	v_lshlrev_b64 v[2:3], 3, v[8:9]
	s_load_dword s12, s[2:3], 0xc
	v_add_co_u32_e64 v8, s[0:1], v4, v2
	v_addc_co_u32_e64 v9, s[0:1], v1, v3, s[0:1]
	v_mov_b32_e32 v1, 0
	v_and_b32_e32 v2, 0x3ff, v0
	v_mov_b32_e32 v3, v1
	v_cmp_gt_u64_e64 s[0:1], s[14:15], v[2:3]
	v_pk_mov_b32 v[4:5], 0, 0
	s_and_b64 s[4:5], vcc, s[0:1]
	v_mov_b32_e32 v0, 0
	v_pk_mov_b32 v[6:7], v[4:5], v[4:5] op_sel:[0,1]
	s_and_saveexec_b64 s[10:11], s[4:5]
	s_cbranch_execz .LBB22_19
; %bb.18:
	v_mad_u64_u32 v[6:7], s[2:3], v2, s6, 0
	v_mov_b32_e32 v0, v7
	v_mad_u64_u32 v[12:13], s[2:3], v2, s7, v[0:1]
	v_mov_b32_e32 v7, v12
	v_lshlrev_b64 v[6:7], 2, v[6:7]
	v_add_co_u32_e64 v6, s[2:3], v10, v6
	v_addc_co_u32_e64 v7, s[2:3], v11, v7, s[2:3]
	global_load_dword v0, v[6:7], off
	v_mad_u64_u32 v[6:7], s[2:3], v2, s8, 0
	v_mov_b32_e32 v12, v7
	v_mad_u64_u32 v[12:13], s[2:3], v2, s9, v[12:13]
	v_mov_b32_e32 v7, v12
	v_lshlrev_b64 v[6:7], 3, v[6:7]
	v_add_co_u32_e64 v6, s[2:3], v8, v6
	v_addc_co_u32_e64 v7, s[2:3], v9, v7, s[2:3]
	global_load_dwordx2 v[6:7], v[6:7], off
.LBB22_19:
	s_or_b64 exec, exec, s[10:11]
	v_mov_b32_e32 v3, 0x1000
	v_lshl_add_u32 v20, v16, 7, v3
	v_mov_b32_e32 v3, 0x1800
	v_lshl_add_u32 v19, v16, 5, v3
	v_lshl_add_u32 v12, v2, 2, v20
	s_waitcnt lgkmcnt(0)
	s_and_b32 s16, 0xffff, s12
	v_cndmask_b32_e64 v13, 0, 1, s[4:5]
	s_waitcnt vmcnt(1)
	ds_write_b32 v12, v0
	v_add_u32_e32 v0, v19, v2
	ds_write_b8 v0, v13
	v_add_u32_e32 v0, s16, v2
	v_lshlrev_b32_e32 v17, 8, v16
	v_cmp_gt_u64_e64 s[2:3], s[14:15], v[0:1]
	v_lshl_add_u32 v3, v2, 3, v17
	s_and_b64 s[10:11], vcc, s[2:3]
	s_waitcnt vmcnt(0)
	ds_write_b64 v3, v[6:7]
	s_and_saveexec_b64 s[12:13], s[10:11]
	s_cbranch_execz .LBB22_21
; %bb.20:
	v_mad_u64_u32 v[4:5], s[4:5], v0, s6, 0
	v_mov_b32_e32 v6, v5
	v_mad_u64_u32 v[6:7], s[4:5], v0, s7, v[6:7]
	v_mov_b32_e32 v5, v6
	v_lshlrev_b64 v[4:5], 2, v[4:5]
	v_add_co_u32_e64 v4, s[4:5], v10, v4
	v_addc_co_u32_e64 v5, s[4:5], v11, v5, s[4:5]
	global_load_dword v1, v[4:5], off
	v_mad_u64_u32 v[4:5], s[4:5], v0, s8, 0
	v_mov_b32_e32 v6, v5
	v_mad_u64_u32 v[6:7], s[4:5], v0, s9, v[6:7]
	v_mov_b32_e32 v5, v6
	v_lshlrev_b64 v[4:5], 3, v[4:5]
	v_add_co_u32_e64 v4, s[4:5], v8, v4
	v_addc_co_u32_e64 v5, s[4:5], v9, v5, s[4:5]
	global_load_dwordx2 v[4:5], v[4:5], off
.LBB22_21:
	s_or_b64 exec, exec, s[12:13]
	v_lshl_add_u32 v6, s16, 2, v12
	s_waitcnt vmcnt(1)
	ds_write_b32 v6, v1
	v_lshl_add_u32 v1, s16, 3, v3
	v_cndmask_b32_e64 v7, 0, 1, s[10:11]
	s_waitcnt vmcnt(0)
	ds_write_b64 v1, v[4:5]
	v_add_u32_e32 v4, v19, v0
	ds_write_b8 v4, v7
	v_lshlrev_b32_e32 v4, 2, v2
	v_add_u32_e32 v13, v12, v4
	s_waitcnt lgkmcnt(0)
	s_barrier
	ds_read_b64 v[4:5], v13
	v_lshlrev_b32_e32 v21, 1, v2
	s_mov_b32 s14, 1
	v_add_u32_e32 v7, v19, v21
	s_waitcnt lgkmcnt(0)
	v_cmp_ge_i32_e64 s[10:11], v4, v5
	v_cmp_lt_i32_e64 s[4:5], v4, v5
	s_and_saveexec_b64 s[12:13], s[4:5]
	s_xor_b64 s[12:13], exec, s[12:13]
	s_cbranch_execz .LBB22_23
; %bb.22:
	ds_read_u8 v14, v7
	s_andn2_b64 s[10:11], s[10:11], exec
	s_waitcnt lgkmcnt(0)
	v_and_b32_e32 v14, 1, v14
	v_cmp_eq_u32_e64 s[4:5], 1, v14
	s_xor_b64 s[4:5], s[4:5], -1
	s_and_b64 s[4:5], s[4:5], exec
	s_or_b64 s[10:11], s[10:11], s[4:5]
.LBB22_23:
	s_or_b64 exec, exec, s[12:13]
	v_mov_b32_e32 v16, s14
	s_and_saveexec_b64 s[4:5], s[10:11]
	s_cbranch_execz .LBB22_25
; %bb.24:
	ds_read_u8 v14, v7 offset:1
	s_waitcnt lgkmcnt(0)
	v_xor_b32_e32 v16, 1, v14
.LBB22_25:
	s_or_b64 exec, exec, s[4:5]
	v_and_b32_e32 v15, 1, v2
	v_lshlrev_b32_e32 v14, 3, v2
	v_cmp_eq_u32_e64 s[4:5], v16, v15
	s_and_saveexec_b64 s[10:11], s[4:5]
	s_cbranch_execz .LBB22_27
; %bb.26:
	v_add_u32_e32 v16, v3, v14
	ds_read_b128 v[22:25], v16
	v_mov_b32_e32 v27, v4
	ds_read_u16 v4, v7
	v_mov_b32_e32 v26, v5
	s_mov_b32 s4, 0xc0c0001
	ds_write_b64 v13, v[26:27]
	s_waitcnt lgkmcnt(2)
	v_mov_b32_e32 v26, v22
	v_mov_b32_e32 v27, v23
	s_waitcnt lgkmcnt(1)
	v_perm_b32 v4, 0, v4, s4
	ds_write_b128 v16, v[24:27]
	ds_write_b16 v7, v4
.LBB22_27:
	s_or_b64 exec, exec, s[10:11]
	v_sub_u32_e32 v18, v21, v15
	v_lshl_add_u32 v15, v18, 2, v20
	s_waitcnt lgkmcnt(0)
	s_barrier
	ds_read2_b32 v[4:5], v15 offset1:2
	s_mov_b64 s[10:11], -1
	v_add_u32_e32 v16, v19, v18
                                        ; implicit-def: $sgpr14
	s_waitcnt lgkmcnt(0)
	v_cmp_lt_i32_e64 s[4:5], v4, v5
	s_and_saveexec_b64 s[12:13], s[4:5]
	s_xor_b64 s[12:13], exec, s[12:13]
	s_cbranch_execz .LBB22_29
; %bb.28:
	ds_read_u8 v22, v16
	s_mov_b32 s14, 1
	s_waitcnt lgkmcnt(0)
	v_and_b32_e32 v22, 1, v22
	v_cmp_eq_u32_e64 s[4:5], 1, v22
	s_xor_b64 s[4:5], s[4:5], -1
	s_orn2_b64 s[10:11], s[4:5], exec
.LBB22_29:
	s_or_b64 exec, exec, s[12:13]
	v_mov_b32_e32 v23, s14
	s_and_saveexec_b64 s[4:5], s[10:11]
	s_cbranch_execz .LBB22_31
; %bb.30:
	ds_read_u8 v22, v16 offset:2
	s_waitcnt lgkmcnt(0)
	v_xor_b32_e32 v23, 1, v22
.LBB22_31:
	s_or_b64 exec, exec, s[4:5]
	v_bfe_u32 v22, v2, 1, 1
	v_lshl_add_u32 v18, v18, 3, v17
	v_cmp_eq_u32_e64 s[4:5], v23, v22
	s_and_saveexec_b64 s[10:11], s[4:5]
	s_cbranch_execz .LBB22_33
; %bb.32:
	ds_read2_b64 v[24:27], v18 offset1:2
	ds_read_u8 v23, v16 offset:2
	ds_read_u8 v28, v16
	ds_write2_b32 v15, v5, v4 offset1:2
	s_waitcnt lgkmcnt(3)
	ds_write2_b64 v18, v[26:27], v[24:25] offset1:2
	s_waitcnt lgkmcnt(3)
	ds_write_b8 v16, v23
	s_waitcnt lgkmcnt(3)
	ds_write_b8 v16, v28 offset:2
.LBB22_33:
	s_or_b64 exec, exec, s[10:11]
	s_waitcnt lgkmcnt(0)
	s_barrier
	ds_read_b64 v[4:5], v13
                                        ; implicit-def: $sgpr14
	s_waitcnt lgkmcnt(0)
	v_cmp_ge_i32_e64 s[10:11], v4, v5
	v_cmp_lt_i32_e64 s[4:5], v4, v5
	s_and_saveexec_b64 s[12:13], s[4:5]
	s_cbranch_execnz .LBB22_100
; %bb.34:
	s_or_b64 exec, exec, s[12:13]
	v_mov_b32_e32 v23, s14
	s_and_saveexec_b64 s[4:5], s[10:11]
	s_cbranch_execnz .LBB22_101
.LBB22_35:
	s_or_b64 exec, exec, s[4:5]
	v_cmp_eq_u32_e64 s[4:5], v23, v22
	s_and_saveexec_b64 s[10:11], s[4:5]
	s_cbranch_execz .LBB22_37
.LBB22_36:
	v_add_u32_e32 v28, v3, v14
	ds_read_b128 v[22:25], v28
	v_mov_b32_e32 v27, v4
	ds_read_u16 v4, v7
	v_mov_b32_e32 v26, v5
	s_mov_b32 s4, 0xc0c0001
	ds_write_b64 v13, v[26:27]
	s_waitcnt lgkmcnt(2)
	v_mov_b32_e32 v26, v22
	v_mov_b32_e32 v27, v23
	s_waitcnt lgkmcnt(1)
	v_perm_b32 v4, 0, v4, s4
	ds_write_b128 v28, v[24:27]
	ds_write_b16 v7, v4
.LBB22_37:
	s_or_b64 exec, exec, s[10:11]
	v_and_b32_e32 v4, 3, v2
	v_sub_u32_e32 v24, v21, v4
	v_lshl_add_u32 v22, v24, 2, v20
	s_waitcnt lgkmcnt(0)
	s_barrier
	ds_read2_b32 v[4:5], v22 offset1:4
	v_add_u32_e32 v23, v19, v24
                                        ; implicit-def: $sgpr14
	s_waitcnt lgkmcnt(0)
	v_cmp_ge_i32_e64 s[10:11], v4, v5
	v_cmp_lt_i32_e64 s[4:5], v4, v5
	s_and_saveexec_b64 s[12:13], s[4:5]
	s_cbranch_execz .LBB22_39
; %bb.38:
	ds_read_u8 v25, v23
	s_andn2_b64 s[10:11], s[10:11], exec
	s_mov_b32 s14, 1
	s_waitcnt lgkmcnt(0)
	v_and_b32_e32 v25, 1, v25
	v_cmp_eq_u32_e64 s[4:5], 1, v25
	s_xor_b64 s[4:5], s[4:5], -1
	s_and_b64 s[4:5], s[4:5], exec
	s_or_b64 s[10:11], s[10:11], s[4:5]
.LBB22_39:
	s_or_b64 exec, exec, s[12:13]
	v_mov_b32_e32 v26, s14
	s_and_saveexec_b64 s[4:5], s[10:11]
	s_cbranch_execz .LBB22_41
; %bb.40:
	ds_read_u8 v25, v23 offset:4
	s_waitcnt lgkmcnt(0)
	v_xor_b32_e32 v26, 1, v25
.LBB22_41:
	s_or_b64 exec, exec, s[4:5]
	v_bfe_u32 v25, v2, 2, 1
	v_lshl_add_u32 v24, v24, 3, v17
	v_cmp_eq_u32_e64 s[4:5], v26, v25
	s_and_saveexec_b64 s[10:11], s[4:5]
	s_cbranch_execz .LBB22_43
; %bb.42:
	ds_read2_b64 v[26:29], v24 offset1:4
	ds_read_u8 v30, v23 offset:4
	ds_read_u8 v31, v23
	ds_write2_b32 v22, v5, v4 offset1:4
	s_waitcnt lgkmcnt(3)
	ds_write2_b64 v24, v[28:29], v[26:27] offset1:4
	s_waitcnt lgkmcnt(3)
	ds_write_b8 v23, v30
	s_waitcnt lgkmcnt(3)
	ds_write_b8 v23, v31 offset:4
.LBB22_43:
	s_or_b64 exec, exec, s[10:11]
	s_waitcnt lgkmcnt(0)
	s_barrier
	ds_read2_b32 v[4:5], v15 offset1:2
                                        ; implicit-def: $sgpr14
	s_waitcnt lgkmcnt(0)
	v_cmp_ge_i32_e64 s[10:11], v4, v5
	v_cmp_lt_i32_e64 s[4:5], v4, v5
	s_and_saveexec_b64 s[12:13], s[4:5]
	s_cbranch_execnz .LBB22_102
; %bb.44:
	s_or_b64 exec, exec, s[12:13]
	v_mov_b32_e32 v26, s14
	s_and_saveexec_b64 s[4:5], s[10:11]
	s_cbranch_execnz .LBB22_103
.LBB22_45:
	s_or_b64 exec, exec, s[4:5]
	v_cmp_eq_u32_e64 s[4:5], v26, v25
	s_and_saveexec_b64 s[10:11], s[4:5]
	s_cbranch_execz .LBB22_47
.LBB22_46:
	ds_read2_b64 v[26:29], v18 offset1:2
	ds_read_u8 v30, v16 offset:2
	ds_read_u8 v31, v16
	ds_write2_b32 v15, v5, v4 offset1:2
	s_waitcnt lgkmcnt(3)
	ds_write2_b64 v18, v[28:29], v[26:27] offset1:2
	s_waitcnt lgkmcnt(3)
	ds_write_b8 v16, v30
	s_waitcnt lgkmcnt(3)
	ds_write_b8 v16, v31 offset:2
.LBB22_47:
	s_or_b64 exec, exec, s[10:11]
	s_waitcnt lgkmcnt(0)
	s_barrier
	ds_read_b64 v[4:5], v13
                                        ; implicit-def: $sgpr14
	s_waitcnt lgkmcnt(0)
	v_cmp_ge_i32_e64 s[10:11], v4, v5
	v_cmp_lt_i32_e64 s[4:5], v4, v5
	s_and_saveexec_b64 s[12:13], s[4:5]
	s_cbranch_execnz .LBB22_104
; %bb.48:
	s_or_b64 exec, exec, s[12:13]
	v_mov_b32_e32 v26, s14
	s_and_saveexec_b64 s[4:5], s[10:11]
	s_cbranch_execnz .LBB22_105
.LBB22_49:
	s_or_b64 exec, exec, s[4:5]
	v_cmp_eq_u32_e64 s[4:5], v26, v25
	s_and_saveexec_b64 s[10:11], s[4:5]
	s_cbranch_execz .LBB22_51
.LBB22_50:
	v_add_u32_e32 v25, v3, v14
	ds_read_b128 v[26:29], v25
	v_mov_b32_e32 v31, v4
	ds_read_u16 v4, v7
	v_mov_b32_e32 v30, v5
	s_mov_b32 s4, 0xc0c0001
	ds_write_b64 v13, v[30:31]
	s_waitcnt lgkmcnt(2)
	v_mov_b32_e32 v30, v26
	v_mov_b32_e32 v31, v27
	s_waitcnt lgkmcnt(1)
	v_perm_b32 v4, 0, v4, s4
	ds_write_b128 v25, v[28:31]
	ds_write_b16 v7, v4
.LBB22_51:
	s_or_b64 exec, exec, s[10:11]
	v_and_b32_e32 v4, 7, v2
	v_sub_u32_e32 v27, v21, v4
	v_lshl_add_u32 v25, v27, 2, v20
	s_waitcnt lgkmcnt(0)
	s_barrier
	ds_read2_b32 v[4:5], v25 offset1:8
	v_add_u32_e32 v26, v19, v27
                                        ; implicit-def: $sgpr14
	s_waitcnt lgkmcnt(0)
	v_cmp_ge_i32_e64 s[10:11], v4, v5
	v_cmp_lt_i32_e64 s[4:5], v4, v5
	s_and_saveexec_b64 s[12:13], s[4:5]
	s_cbranch_execz .LBB22_53
; %bb.52:
	ds_read_u8 v28, v26
	s_andn2_b64 s[10:11], s[10:11], exec
	s_mov_b32 s14, 1
	s_waitcnt lgkmcnt(0)
	v_and_b32_e32 v28, 1, v28
	v_cmp_eq_u32_e64 s[4:5], 1, v28
	s_xor_b64 s[4:5], s[4:5], -1
	s_and_b64 s[4:5], s[4:5], exec
	s_or_b64 s[10:11], s[10:11], s[4:5]
.LBB22_53:
	s_or_b64 exec, exec, s[12:13]
	v_mov_b32_e32 v29, s14
	s_and_saveexec_b64 s[4:5], s[10:11]
	s_cbranch_execz .LBB22_55
; %bb.54:
	ds_read_u8 v28, v26 offset:8
	s_waitcnt lgkmcnt(0)
	v_xor_b32_e32 v29, 1, v28
.LBB22_55:
	s_or_b64 exec, exec, s[4:5]
	v_bfe_u32 v28, v2, 3, 1
	v_lshl_add_u32 v27, v27, 3, v17
	v_cmp_eq_u32_e64 s[4:5], v29, v28
	s_and_saveexec_b64 s[10:11], s[4:5]
	s_cbranch_execz .LBB22_57
; %bb.56:
	ds_read2_b64 v[30:33], v27 offset1:8
	ds_read_u8 v29, v26 offset:8
	ds_read_u8 v34, v26
	ds_write2_b32 v25, v5, v4 offset1:8
	s_waitcnt lgkmcnt(3)
	ds_write2_b64 v27, v[32:33], v[30:31] offset1:8
	s_waitcnt lgkmcnt(3)
	ds_write_b8 v26, v29
	s_waitcnt lgkmcnt(3)
	ds_write_b8 v26, v34 offset:8
.LBB22_57:
	s_or_b64 exec, exec, s[10:11]
	s_waitcnt lgkmcnt(0)
	s_barrier
	ds_read2_b32 v[4:5], v22 offset1:4
                                        ; implicit-def: $sgpr14
	s_waitcnt lgkmcnt(0)
	v_cmp_ge_i32_e64 s[10:11], v4, v5
	v_cmp_lt_i32_e64 s[4:5], v4, v5
	s_and_saveexec_b64 s[12:13], s[4:5]
	s_cbranch_execnz .LBB22_106
; %bb.58:
	s_or_b64 exec, exec, s[12:13]
	v_mov_b32_e32 v29, s14
	s_and_saveexec_b64 s[4:5], s[10:11]
	s_cbranch_execnz .LBB22_107
.LBB22_59:
	s_or_b64 exec, exec, s[4:5]
	v_cmp_eq_u32_e64 s[4:5], v29, v28
	s_and_saveexec_b64 s[10:11], s[4:5]
	s_cbranch_execz .LBB22_61
.LBB22_60:
	ds_read2_b64 v[30:33], v24 offset1:4
	ds_read_u8 v29, v23 offset:4
	ds_read_u8 v34, v23
	ds_write2_b32 v22, v5, v4 offset1:4
	s_waitcnt lgkmcnt(3)
	ds_write2_b64 v24, v[32:33], v[30:31] offset1:4
	s_waitcnt lgkmcnt(3)
	ds_write_b8 v23, v29
	s_waitcnt lgkmcnt(3)
	ds_write_b8 v23, v34 offset:4
.LBB22_61:
	s_or_b64 exec, exec, s[10:11]
	s_waitcnt lgkmcnt(0)
	s_barrier
	ds_read2_b32 v[4:5], v15 offset1:2
                                        ; implicit-def: $sgpr14
	s_waitcnt lgkmcnt(0)
	v_cmp_ge_i32_e64 s[10:11], v4, v5
	v_cmp_lt_i32_e64 s[4:5], v4, v5
	s_and_saveexec_b64 s[12:13], s[4:5]
	s_cbranch_execnz .LBB22_108
; %bb.62:
	s_or_b64 exec, exec, s[12:13]
	v_mov_b32_e32 v29, s14
	s_and_saveexec_b64 s[4:5], s[10:11]
	s_cbranch_execnz .LBB22_109
.LBB22_63:
	s_or_b64 exec, exec, s[4:5]
	v_cmp_eq_u32_e64 s[4:5], v29, v28
	s_and_saveexec_b64 s[10:11], s[4:5]
	s_cbranch_execz .LBB22_65
.LBB22_64:
	ds_read2_b64 v[30:33], v18 offset1:2
	ds_read_u8 v29, v16 offset:2
	ds_read_u8 v34, v16
	ds_write2_b32 v15, v5, v4 offset1:2
	s_waitcnt lgkmcnt(3)
	ds_write2_b64 v18, v[32:33], v[30:31] offset1:2
	s_waitcnt lgkmcnt(3)
	ds_write_b8 v16, v29
	s_waitcnt lgkmcnt(3)
	ds_write_b8 v16, v34 offset:2
.LBB22_65:
	s_or_b64 exec, exec, s[10:11]
	s_waitcnt lgkmcnt(0)
	s_barrier
	ds_read_b64 v[4:5], v13
                                        ; implicit-def: $sgpr14
	s_waitcnt lgkmcnt(0)
	v_cmp_ge_i32_e64 s[10:11], v4, v5
	v_cmp_lt_i32_e64 s[4:5], v4, v5
	s_and_saveexec_b64 s[12:13], s[4:5]
	s_cbranch_execnz .LBB22_110
; %bb.66:
	s_or_b64 exec, exec, s[12:13]
	v_mov_b32_e32 v29, s14
	s_and_saveexec_b64 s[4:5], s[10:11]
	s_cbranch_execnz .LBB22_111
.LBB22_67:
	s_or_b64 exec, exec, s[4:5]
	v_cmp_eq_u32_e64 s[4:5], v29, v28
	s_and_saveexec_b64 s[10:11], s[4:5]
	s_cbranch_execz .LBB22_69
.LBB22_68:
	v_add_u32_e32 v34, v3, v14
	ds_read_b128 v[28:31], v34
	v_mov_b32_e32 v33, v4
	ds_read_u16 v4, v7
	v_mov_b32_e32 v32, v5
	s_mov_b32 s4, 0xc0c0001
	ds_write_b64 v13, v[32:33]
	s_waitcnt lgkmcnt(2)
	v_mov_b32_e32 v32, v28
	v_mov_b32_e32 v33, v29
	s_waitcnt lgkmcnt(1)
	v_perm_b32 v4, 0, v4, s4
	ds_write_b128 v34, v[30:33]
	ds_write_b16 v7, v4
.LBB22_69:
	s_or_b64 exec, exec, s[10:11]
	v_and_b32_e32 v4, 15, v2
	v_sub_u32_e32 v21, v21, v4
	v_lshl_add_u32 v20, v21, 2, v20
	s_waitcnt lgkmcnt(0)
	s_barrier
	ds_read2_b32 v[4:5], v20 offset1:16
	v_add_u32_e32 v19, v19, v21
	s_waitcnt lgkmcnt(0)
	v_cmp_ge_i32_e64 s[12:13], v4, v5
	v_cmp_lt_i32_e64 s[4:5], v4, v5
	s_and_saveexec_b64 s[10:11], s[4:5]
	s_cbranch_execz .LBB22_71
; %bb.70:
	ds_read_u8 v28, v19
	s_andn2_b64 s[12:13], s[12:13], exec
	s_waitcnt lgkmcnt(0)
	v_and_b32_e32 v28, 1, v28
	v_cmp_eq_u32_e64 s[4:5], 1, v28
	s_xor_b64 s[4:5], s[4:5], -1
	s_and_b64 s[4:5], s[4:5], exec
	s_or_b64 s[12:13], s[12:13], s[4:5]
.LBB22_71:
	s_or_b64 exec, exec, s[10:11]
	s_and_saveexec_b64 s[10:11], s[12:13]
	s_cbranch_execz .LBB22_74
; %bb.72:
	ds_read_u8 v28, v19 offset:16
	s_waitcnt lgkmcnt(0)
	v_cmp_ne_u16_e64 s[4:5], 0, v28
	s_and_b64 exec, exec, s[4:5]
	s_cbranch_execz .LBB22_74
; %bb.73:
	v_lshl_add_u32 v17, v21, 3, v17
	ds_read2_b64 v[30:33], v17 offset1:16
	ds_read_u8 v21, v19
	ds_write2_b32 v20, v5, v4 offset1:16
	ds_write_b8 v19, v28
	s_waitcnt lgkmcnt(3)
	ds_write2_b64 v17, v[32:33], v[30:31] offset1:16
	s_waitcnt lgkmcnt(3)
	ds_write_b8 v19, v21 offset:16
.LBB22_74:
	s_or_b64 exec, exec, s[10:11]
	s_waitcnt lgkmcnt(0)
	s_barrier
	ds_read2_b32 v[4:5], v25 offset1:8
	s_waitcnt lgkmcnt(0)
	v_cmp_ge_i32_e64 s[12:13], v4, v5
	v_cmp_lt_i32_e64 s[4:5], v4, v5
	s_and_saveexec_b64 s[10:11], s[4:5]
	s_cbranch_execz .LBB22_76
; %bb.75:
	ds_read_u8 v17, v26
	s_andn2_b64 s[12:13], s[12:13], exec
	s_waitcnt lgkmcnt(0)
	v_and_b32_e32 v17, 1, v17
	v_cmp_eq_u32_e64 s[4:5], 1, v17
	s_xor_b64 s[4:5], s[4:5], -1
	s_and_b64 s[4:5], s[4:5], exec
	s_or_b64 s[12:13], s[12:13], s[4:5]
.LBB22_76:
	s_or_b64 exec, exec, s[10:11]
	s_and_saveexec_b64 s[10:11], s[12:13]
	s_cbranch_execz .LBB22_79
; %bb.77:
	ds_read_u8 v17, v26 offset:8
	s_waitcnt lgkmcnt(0)
	v_cmp_ne_u16_e64 s[4:5], 0, v17
	s_and_b64 exec, exec, s[4:5]
	s_cbranch_execz .LBB22_79
; %bb.78:
	ds_read2_b64 v[28:31], v27 offset1:8
	ds_read_u8 v19, v26
	ds_write2_b32 v25, v5, v4 offset1:8
	ds_write_b8 v26, v17
	s_waitcnt lgkmcnt(3)
	ds_write2_b64 v27, v[30:31], v[28:29] offset1:8
	s_waitcnt lgkmcnt(3)
	ds_write_b8 v26, v19 offset:8
.LBB22_79:
	s_or_b64 exec, exec, s[10:11]
	s_waitcnt lgkmcnt(0)
	s_barrier
	ds_read2_b32 v[4:5], v22 offset1:4
	s_waitcnt lgkmcnt(0)
	v_cmp_ge_i32_e64 s[12:13], v4, v5
	v_cmp_lt_i32_e64 s[4:5], v4, v5
	s_and_saveexec_b64 s[10:11], s[4:5]
	s_cbranch_execz .LBB22_81
; %bb.80:
	ds_read_u8 v17, v23
	s_andn2_b64 s[12:13], s[12:13], exec
	s_waitcnt lgkmcnt(0)
	v_and_b32_e32 v17, 1, v17
	v_cmp_eq_u32_e64 s[4:5], 1, v17
	s_xor_b64 s[4:5], s[4:5], -1
	s_and_b64 s[4:5], s[4:5], exec
	s_or_b64 s[12:13], s[12:13], s[4:5]
.LBB22_81:
	s_or_b64 exec, exec, s[10:11]
	s_and_saveexec_b64 s[10:11], s[12:13]
	s_cbranch_execz .LBB22_84
; %bb.82:
	ds_read_u8 v17, v23 offset:4
	s_waitcnt lgkmcnt(0)
	v_cmp_ne_u16_e64 s[4:5], 0, v17
	s_and_b64 exec, exec, s[4:5]
	s_cbranch_execz .LBB22_84
; %bb.83:
	ds_read2_b64 v[26:29], v24 offset1:4
	ds_read_u8 v19, v23
	ds_write2_b32 v22, v5, v4 offset1:4
	ds_write_b8 v23, v17
	s_waitcnt lgkmcnt(3)
	ds_write2_b64 v24, v[28:29], v[26:27] offset1:4
	s_waitcnt lgkmcnt(3)
	ds_write_b8 v23, v19 offset:4
.LBB22_84:
	;; [unrolled: 38-line block ×3, first 2 shown]
	s_or_b64 exec, exec, s[10:11]
	s_waitcnt lgkmcnt(0)
	s_barrier
	ds_read_b64 v[4:5], v13
	s_waitcnt lgkmcnt(0)
	v_cmp_ge_i32_e64 s[12:13], v4, v5
	v_cmp_lt_i32_e64 s[4:5], v4, v5
	s_and_saveexec_b64 s[10:11], s[4:5]
	s_cbranch_execz .LBB22_91
; %bb.90:
	ds_read_u8 v15, v7
	s_andn2_b64 s[12:13], s[12:13], exec
	s_waitcnt lgkmcnt(0)
	v_and_b32_e32 v15, 1, v15
	v_cmp_eq_u32_e64 s[4:5], 1, v15
	s_xor_b64 s[4:5], s[4:5], -1
	s_and_b64 s[4:5], s[4:5], exec
	s_or_b64 s[12:13], s[12:13], s[4:5]
.LBB22_91:
	s_or_b64 exec, exec, s[10:11]
	s_and_saveexec_b64 s[10:11], s[12:13]
	s_cbranch_execz .LBB22_94
; %bb.92:
	ds_read_u8 v15, v7 offset:1
	s_waitcnt lgkmcnt(0)
	v_cmp_ne_u16_e64 s[4:5], 0, v15
	s_and_b64 exec, exec, s[4:5]
	s_cbranch_execz .LBB22_94
; %bb.93:
	v_add_u32_e32 v14, v3, v14
	ds_read_b128 v[16:19], v14
	v_mov_b32_e32 v21, v4
	ds_read_u8 v4, v7
	v_mov_b32_e32 v20, v5
	ds_write_b64 v13, v[20:21]
	s_waitcnt lgkmcnt(2)
	v_mov_b32_e32 v20, v16
	v_mov_b32_e32 v21, v17
	s_waitcnt lgkmcnt(1)
	v_lshlrev_b16_e32 v4, 8, v4
	v_or_b32_e32 v4, v15, v4
	ds_write_b128 v14, v[18:21]
	ds_write_b16 v7, v4
.LBB22_94:
	s_or_b64 exec, exec, s[10:11]
	s_waitcnt lgkmcnt(0)
	s_barrier
	s_and_saveexec_b64 s[4:5], vcc
	s_cbranch_execz .LBB22_99
; %bb.95:
	s_and_saveexec_b64 s[4:5], s[0:1]
	s_cbranch_execz .LBB22_97
; %bb.96:
	v_mad_u64_u32 v[4:5], s[0:1], v2, s6, 0
	ds_read_b32 v7, v12
	v_mov_b32_e32 v12, v5
	v_mad_u64_u32 v[12:13], s[0:1], v2, s7, v[12:13]
	v_mov_b32_e32 v5, v12
	v_lshlrev_b64 v[4:5], 2, v[4:5]
	v_add_co_u32_e32 v4, vcc, v10, v4
	v_addc_co_u32_e32 v5, vcc, v11, v5, vcc
	s_waitcnt lgkmcnt(0)
	global_store_dword v[4:5], v7, off
	v_mad_u64_u32 v[4:5], s[0:1], v2, s8, 0
	v_mov_b32_e32 v14, v5
	ds_read_b64 v[12:13], v3
	v_mad_u64_u32 v[2:3], s[0:1], v2, s9, v[14:15]
	v_mov_b32_e32 v5, v2
	v_lshlrev_b64 v[2:3], 3, v[4:5]
	v_add_co_u32_e32 v2, vcc, v8, v2
	v_addc_co_u32_e32 v3, vcc, v9, v3, vcc
	s_waitcnt lgkmcnt(0)
	global_store_dwordx2 v[2:3], v[12:13], off
.LBB22_97:
	s_or_b64 exec, exec, s[4:5]
	s_and_b64 exec, exec, s[2:3]
	s_cbranch_execz .LBB22_99
; %bb.98:
	v_mad_u64_u32 v[2:3], s[0:1], v0, s6, 0
	v_mov_b32_e32 v4, v3
	ds_read_b32 v6, v6
	v_mad_u64_u32 v[4:5], s[0:1], v0, s7, v[4:5]
	v_mov_b32_e32 v3, v4
	ds_read_b64 v[4:5], v1
	v_lshlrev_b64 v[2:3], 2, v[2:3]
	v_add_co_u32_e32 v2, vcc, v10, v2
	v_addc_co_u32_e32 v3, vcc, v11, v3, vcc
	s_waitcnt lgkmcnt(1)
	global_store_dword v[2:3], v6, off
	v_mad_u64_u32 v[2:3], s[0:1], v0, s8, 0
	v_mov_b32_e32 v6, v3
	v_mad_u64_u32 v[0:1], s[0:1], v0, s9, v[6:7]
	v_mov_b32_e32 v3, v0
	v_lshlrev_b64 v[0:1], 3, v[2:3]
	v_add_co_u32_e32 v0, vcc, v8, v0
	v_addc_co_u32_e32 v1, vcc, v9, v1, vcc
	s_waitcnt lgkmcnt(0)
	global_store_dwordx2 v[0:1], v[4:5], off
.LBB22_99:
	s_endpgm
.LBB22_100:
	ds_read_u8 v23, v7
	s_andn2_b64 s[10:11], s[10:11], exec
	s_mov_b32 s14, 1
	s_waitcnt lgkmcnt(0)
	v_and_b32_e32 v23, 1, v23
	v_cmp_eq_u32_e64 s[4:5], 1, v23
	s_xor_b64 s[4:5], s[4:5], -1
	s_and_b64 s[4:5], s[4:5], exec
	s_or_b64 s[10:11], s[10:11], s[4:5]
	s_or_b64 exec, exec, s[12:13]
	v_mov_b32_e32 v23, s14
	s_and_saveexec_b64 s[4:5], s[10:11]
	s_cbranch_execz .LBB22_35
.LBB22_101:
	ds_read_u8 v23, v7 offset:1
	s_waitcnt lgkmcnt(0)
	v_xor_b32_e32 v23, 1, v23
	s_or_b64 exec, exec, s[4:5]
	v_cmp_eq_u32_e64 s[4:5], v23, v22
	s_and_saveexec_b64 s[10:11], s[4:5]
	s_cbranch_execnz .LBB22_36
	s_branch .LBB22_37
.LBB22_102:
	ds_read_u8 v26, v16
	s_andn2_b64 s[10:11], s[10:11], exec
	s_mov_b32 s14, 1
	s_waitcnt lgkmcnt(0)
	v_and_b32_e32 v26, 1, v26
	v_cmp_eq_u32_e64 s[4:5], 1, v26
	s_xor_b64 s[4:5], s[4:5], -1
	s_and_b64 s[4:5], s[4:5], exec
	s_or_b64 s[10:11], s[10:11], s[4:5]
	s_or_b64 exec, exec, s[12:13]
	v_mov_b32_e32 v26, s14
	s_and_saveexec_b64 s[4:5], s[10:11]
	s_cbranch_execz .LBB22_45
.LBB22_103:
	ds_read_u8 v26, v16 offset:2
	s_waitcnt lgkmcnt(0)
	v_xor_b32_e32 v26, 1, v26
	s_or_b64 exec, exec, s[4:5]
	v_cmp_eq_u32_e64 s[4:5], v26, v25
	s_and_saveexec_b64 s[10:11], s[4:5]
	s_cbranch_execnz .LBB22_46
	s_branch .LBB22_47
.LBB22_104:
	ds_read_u8 v26, v7
	s_andn2_b64 s[10:11], s[10:11], exec
	s_mov_b32 s14, 1
	s_waitcnt lgkmcnt(0)
	v_and_b32_e32 v26, 1, v26
	v_cmp_eq_u32_e64 s[4:5], 1, v26
	s_xor_b64 s[4:5], s[4:5], -1
	s_and_b64 s[4:5], s[4:5], exec
	s_or_b64 s[10:11], s[10:11], s[4:5]
	s_or_b64 exec, exec, s[12:13]
	v_mov_b32_e32 v26, s14
	s_and_saveexec_b64 s[4:5], s[10:11]
	s_cbranch_execz .LBB22_49
.LBB22_105:
	ds_read_u8 v26, v7 offset:1
	s_waitcnt lgkmcnt(0)
	v_xor_b32_e32 v26, 1, v26
	s_or_b64 exec, exec, s[4:5]
	v_cmp_eq_u32_e64 s[4:5], v26, v25
	s_and_saveexec_b64 s[10:11], s[4:5]
	s_cbranch_execnz .LBB22_50
	s_branch .LBB22_51
.LBB22_106:
	ds_read_u8 v29, v23
	s_andn2_b64 s[10:11], s[10:11], exec
	s_mov_b32 s14, 1
	s_waitcnt lgkmcnt(0)
	v_and_b32_e32 v29, 1, v29
	v_cmp_eq_u32_e64 s[4:5], 1, v29
	s_xor_b64 s[4:5], s[4:5], -1
	s_and_b64 s[4:5], s[4:5], exec
	s_or_b64 s[10:11], s[10:11], s[4:5]
	s_or_b64 exec, exec, s[12:13]
	v_mov_b32_e32 v29, s14
	s_and_saveexec_b64 s[4:5], s[10:11]
	s_cbranch_execz .LBB22_59
.LBB22_107:
	ds_read_u8 v29, v23 offset:4
	s_waitcnt lgkmcnt(0)
	v_xor_b32_e32 v29, 1, v29
	s_or_b64 exec, exec, s[4:5]
	v_cmp_eq_u32_e64 s[4:5], v29, v28
	s_and_saveexec_b64 s[10:11], s[4:5]
	s_cbranch_execnz .LBB22_60
	s_branch .LBB22_61
.LBB22_108:
	ds_read_u8 v29, v16
	s_andn2_b64 s[10:11], s[10:11], exec
	s_mov_b32 s14, 1
	s_waitcnt lgkmcnt(0)
	v_and_b32_e32 v29, 1, v29
	v_cmp_eq_u32_e64 s[4:5], 1, v29
	s_xor_b64 s[4:5], s[4:5], -1
	s_and_b64 s[4:5], s[4:5], exec
	s_or_b64 s[10:11], s[10:11], s[4:5]
	s_or_b64 exec, exec, s[12:13]
	v_mov_b32_e32 v29, s14
	s_and_saveexec_b64 s[4:5], s[10:11]
	s_cbranch_execz .LBB22_63
.LBB22_109:
	ds_read_u8 v29, v16 offset:2
	s_waitcnt lgkmcnt(0)
	v_xor_b32_e32 v29, 1, v29
	s_or_b64 exec, exec, s[4:5]
	v_cmp_eq_u32_e64 s[4:5], v29, v28
	s_and_saveexec_b64 s[10:11], s[4:5]
	s_cbranch_execnz .LBB22_64
	s_branch .LBB22_65
.LBB22_110:
	ds_read_u8 v29, v7
	s_andn2_b64 s[10:11], s[10:11], exec
	s_mov_b32 s14, 1
	s_waitcnt lgkmcnt(0)
	v_and_b32_e32 v29, 1, v29
	v_cmp_eq_u32_e64 s[4:5], 1, v29
	s_xor_b64 s[4:5], s[4:5], -1
	s_and_b64 s[4:5], s[4:5], exec
	s_or_b64 s[10:11], s[10:11], s[4:5]
	s_or_b64 exec, exec, s[12:13]
	v_mov_b32_e32 v29, s14
	s_and_saveexec_b64 s[4:5], s[10:11]
	s_cbranch_execz .LBB22_67
.LBB22_111:
	ds_read_u8 v29, v7 offset:1
	s_waitcnt lgkmcnt(0)
	v_xor_b32_e32 v29, 1, v29
	s_or_b64 exec, exec, s[4:5]
	v_cmp_eq_u32_e64 s[4:5], v29, v28
	s_and_saveexec_b64 s[10:11], s[4:5]
	s_cbranch_execnz .LBB22_68
	s_branch .LBB22_69
	.section	.rodata,"a",@progbits
	.p2align	6, 0x0
	.amdhsa_kernel _ZN2at6native20bitonicSortKVInPlaceILin1ELin1ELi16ELi16EilNS0_4LTOpIiLb1EEEmEEvNS_4cuda6detail10TensorInfoIT3_T6_EES8_S8_S8_NS6_IT4_S8_EES8_T5_
		.amdhsa_group_segment_fixed_size 6656
		.amdhsa_private_segment_fixed_size 0
		.amdhsa_kernarg_size 1128
		.amdhsa_user_sgpr_count 6
		.amdhsa_user_sgpr_private_segment_buffer 1
		.amdhsa_user_sgpr_dispatch_ptr 0
		.amdhsa_user_sgpr_queue_ptr 0
		.amdhsa_user_sgpr_kernarg_segment_ptr 1
		.amdhsa_user_sgpr_dispatch_id 0
		.amdhsa_user_sgpr_flat_scratch_init 0
		.amdhsa_user_sgpr_kernarg_preload_length 0
		.amdhsa_user_sgpr_kernarg_preload_offset 0
		.amdhsa_user_sgpr_private_segment_size 0
		.amdhsa_uses_dynamic_stack 0
		.amdhsa_system_sgpr_private_segment_wavefront_offset 0
		.amdhsa_system_sgpr_workgroup_id_x 1
		.amdhsa_system_sgpr_workgroup_id_y 1
		.amdhsa_system_sgpr_workgroup_id_z 1
		.amdhsa_system_sgpr_workgroup_info 0
		.amdhsa_system_vgpr_workitem_id 1
		.amdhsa_next_free_vgpr 35
		.amdhsa_next_free_sgpr 21
		.amdhsa_accum_offset 36
		.amdhsa_reserve_vcc 1
		.amdhsa_reserve_flat_scratch 0
		.amdhsa_float_round_mode_32 0
		.amdhsa_float_round_mode_16_64 0
		.amdhsa_float_denorm_mode_32 3
		.amdhsa_float_denorm_mode_16_64 3
		.amdhsa_dx10_clamp 1
		.amdhsa_ieee_mode 1
		.amdhsa_fp16_overflow 0
		.amdhsa_tg_split 0
		.amdhsa_exception_fp_ieee_invalid_op 0
		.amdhsa_exception_fp_denorm_src 0
		.amdhsa_exception_fp_ieee_div_zero 0
		.amdhsa_exception_fp_ieee_overflow 0
		.amdhsa_exception_fp_ieee_underflow 0
		.amdhsa_exception_fp_ieee_inexact 0
		.amdhsa_exception_int_div_zero 0
	.end_amdhsa_kernel
	.section	.text._ZN2at6native20bitonicSortKVInPlaceILin1ELin1ELi16ELi16EilNS0_4LTOpIiLb1EEEmEEvNS_4cuda6detail10TensorInfoIT3_T6_EES8_S8_S8_NS6_IT4_S8_EES8_T5_,"axG",@progbits,_ZN2at6native20bitonicSortKVInPlaceILin1ELin1ELi16ELi16EilNS0_4LTOpIiLb1EEEmEEvNS_4cuda6detail10TensorInfoIT3_T6_EES8_S8_S8_NS6_IT4_S8_EES8_T5_,comdat
.Lfunc_end22:
	.size	_ZN2at6native20bitonicSortKVInPlaceILin1ELin1ELi16ELi16EilNS0_4LTOpIiLb1EEEmEEvNS_4cuda6detail10TensorInfoIT3_T6_EES8_S8_S8_NS6_IT4_S8_EES8_T5_, .Lfunc_end22-_ZN2at6native20bitonicSortKVInPlaceILin1ELin1ELi16ELi16EilNS0_4LTOpIiLb1EEEmEEvNS_4cuda6detail10TensorInfoIT3_T6_EES8_S8_S8_NS6_IT4_S8_EES8_T5_
                                        ; -- End function
	.section	.AMDGPU.csdata,"",@progbits
; Kernel info:
; codeLenInByte = 6528
; NumSgprs: 25
; NumVgprs: 35
; NumAgprs: 0
; TotalNumVgprs: 35
; ScratchSize: 0
; MemoryBound: 0
; FloatMode: 240
; IeeeMode: 1
; LDSByteSize: 6656 bytes/workgroup (compile time only)
; SGPRBlocks: 3
; VGPRBlocks: 4
; NumSGPRsForWavesPerEU: 25
; NumVGPRsForWavesPerEU: 35
; AccumOffset: 36
; Occupancy: 8
; WaveLimiterHint : 1
; COMPUTE_PGM_RSRC2:SCRATCH_EN: 0
; COMPUTE_PGM_RSRC2:USER_SGPR: 6
; COMPUTE_PGM_RSRC2:TRAP_HANDLER: 0
; COMPUTE_PGM_RSRC2:TGID_X_EN: 1
; COMPUTE_PGM_RSRC2:TGID_Y_EN: 1
; COMPUTE_PGM_RSRC2:TGID_Z_EN: 1
; COMPUTE_PGM_RSRC2:TIDIG_COMP_CNT: 1
; COMPUTE_PGM_RSRC3_GFX90A:ACCUM_OFFSET: 8
; COMPUTE_PGM_RSRC3_GFX90A:TG_SPLIT: 0
	.section	.text._ZN2at6native20bitonicSortKVInPlaceILin1ELin1ELi16ELi16EilNS0_4GTOpIiLb1EEEmEEvNS_4cuda6detail10TensorInfoIT3_T6_EES8_S8_S8_NS6_IT4_S8_EES8_T5_,"axG",@progbits,_ZN2at6native20bitonicSortKVInPlaceILin1ELin1ELi16ELi16EilNS0_4GTOpIiLb1EEEmEEvNS_4cuda6detail10TensorInfoIT3_T6_EES8_S8_S8_NS6_IT4_S8_EES8_T5_,comdat
	.protected	_ZN2at6native20bitonicSortKVInPlaceILin1ELin1ELi16ELi16EilNS0_4GTOpIiLb1EEEmEEvNS_4cuda6detail10TensorInfoIT3_T6_EES8_S8_S8_NS6_IT4_S8_EES8_T5_ ; -- Begin function _ZN2at6native20bitonicSortKVInPlaceILin1ELin1ELi16ELi16EilNS0_4GTOpIiLb1EEEmEEvNS_4cuda6detail10TensorInfoIT3_T6_EES8_S8_S8_NS6_IT4_S8_EES8_T5_
	.globl	_ZN2at6native20bitonicSortKVInPlaceILin1ELin1ELi16ELi16EilNS0_4GTOpIiLb1EEEmEEvNS_4cuda6detail10TensorInfoIT3_T6_EES8_S8_S8_NS6_IT4_S8_EES8_T5_
	.p2align	8
	.type	_ZN2at6native20bitonicSortKVInPlaceILin1ELin1ELi16ELi16EilNS0_4GTOpIiLb1EEEmEEvNS_4cuda6detail10TensorInfoIT3_T6_EES8_S8_S8_NS6_IT4_S8_EES8_T5_,@function
_ZN2at6native20bitonicSortKVInPlaceILin1ELin1ELi16ELi16EilNS0_4GTOpIiLb1EEEmEEvNS_4cuda6detail10TensorInfoIT3_T6_EES8_S8_S8_NS6_IT4_S8_EES8_T5_: ; @_ZN2at6native20bitonicSortKVInPlaceILin1ELin1ELi16ELi16EilNS0_4GTOpIiLb1EEEmEEvNS_4cuda6detail10TensorInfoIT3_T6_EES8_S8_S8_NS6_IT4_S8_EES8_T5_
; %bb.0:
	s_load_dwordx2 s[0:1], s[4:5], 0x368
	s_load_dwordx4 s[12:15], s[4:5], 0x1a0
	s_load_dword s9, s[4:5], 0x374
	s_add_u32 s2, s4, 0x368
	s_addc_u32 s3, s5, 0
	s_waitcnt lgkmcnt(0)
	s_mul_i32 s1, s1, s8
	s_add_i32 s1, s1, s7
	s_mul_i32 s0, s1, s0
	s_add_i32 s0, s0, s6
	s_lshr_b32 s6, s9, 16
	s_mul_hi_u32 s1, s0, s6
	s_mul_i32 s0, s0, s6
	v_pk_mov_b32 v[2:3], s[12:13], s[12:13] op_sel:[0,1]
	v_cmp_ge_u64_e32 vcc, s[0:1], v[2:3]
	s_cbranch_vccnz .LBB23_99
; %bb.1:
	v_mov_b32_e32 v1, s1
	s_load_dwordx2 s[6:7], s[4:5], 0x1b0
	s_load_dword s1, s[4:5], 0x198
	v_bfe_u32 v16, v0, 10, 10
	v_add_co_u32_e32 v4, vcc, s0, v16
	v_addc_co_u32_e32 v5, vcc, 0, v1, vcc
	v_mov_b32_e32 v8, 0
	s_waitcnt lgkmcnt(0)
	s_cmp_lt_i32 s1, 2
	v_pk_mov_b32 v[2:3], 0, 0
	v_pk_mov_b32 v[6:7], v[4:5], v[4:5] op_sel:[0,1]
	s_cbranch_scc1 .LBB23_9
; %bb.2:
	s_add_i32 s18, s1, 1
	s_add_i32 s0, s1, -1
	s_mov_b32 s1, 0
	s_lshl_b64 s[0:1], s[0:1], 3
	s_add_u32 s0, s0, s4
	s_addc_u32 s1, s1, s5
	s_add_u32 s8, s0, 8
	s_addc_u32 s9, s1, 0
	v_pk_mov_b32 v[2:3], 0, 0
	v_pk_mov_b32 v[10:11], v[4:5], v[4:5] op_sel:[0,1]
.LBB23_3:                               ; =>This Inner Loop Header: Depth=1
	s_load_dwordx2 s[10:11], s[8:9], 0x0
                                        ; implicit-def: $vgpr6_vgpr7
	s_waitcnt lgkmcnt(0)
	v_or_b32_e32 v9, s11, v11
	v_cmp_ne_u64_e32 vcc, 0, v[8:9]
	s_and_saveexec_b64 s[0:1], vcc
	s_xor_b64 s[16:17], exec, s[0:1]
	s_cbranch_execz .LBB23_5
; %bb.4:                                ;   in Loop: Header=BB23_3 Depth=1
	v_cvt_f32_u32_e32 v1, s10
	v_cvt_f32_u32_e32 v6, s11
	s_sub_u32 s0, 0, s10
	s_subb_u32 s1, 0, s11
	v_mac_f32_e32 v1, 0x4f800000, v6
	v_rcp_f32_e32 v1, v1
	v_mul_f32_e32 v1, 0x5f7ffffc, v1
	v_mul_f32_e32 v6, 0x2f800000, v1
	v_trunc_f32_e32 v6, v6
	v_mac_f32_e32 v1, 0xcf800000, v6
	v_cvt_u32_f32_e32 v6, v6
	v_cvt_u32_f32_e32 v1, v1
	v_mul_lo_u32 v7, s0, v6
	v_mul_hi_u32 v12, s0, v1
	v_mul_lo_u32 v9, s1, v1
	v_add_u32_e32 v7, v12, v7
	v_mul_lo_u32 v13, s0, v1
	v_add_u32_e32 v7, v7, v9
	v_mul_hi_u32 v12, v1, v13
	v_mul_lo_u32 v14, v1, v7
	v_mul_hi_u32 v9, v1, v7
	v_add_co_u32_e32 v12, vcc, v12, v14
	v_addc_co_u32_e32 v9, vcc, 0, v9, vcc
	v_mul_hi_u32 v15, v6, v13
	v_mul_lo_u32 v13, v6, v13
	v_add_co_u32_e32 v12, vcc, v12, v13
	v_mul_hi_u32 v14, v6, v7
	v_addc_co_u32_e32 v9, vcc, v9, v15, vcc
	v_addc_co_u32_e32 v12, vcc, 0, v14, vcc
	v_mul_lo_u32 v7, v6, v7
	v_add_co_u32_e32 v7, vcc, v9, v7
	v_addc_co_u32_e32 v9, vcc, 0, v12, vcc
	v_add_co_u32_e32 v1, vcc, v1, v7
	v_addc_co_u32_e32 v6, vcc, v6, v9, vcc
	v_mul_lo_u32 v7, s0, v6
	v_mul_hi_u32 v9, s0, v1
	v_add_u32_e32 v7, v9, v7
	v_mul_lo_u32 v9, s1, v1
	v_add_u32_e32 v7, v7, v9
	v_mul_lo_u32 v12, s0, v1
	v_mul_hi_u32 v13, v6, v12
	v_mul_lo_u32 v14, v6, v12
	v_mul_lo_u32 v17, v1, v7
	v_mul_hi_u32 v12, v1, v12
	v_mul_hi_u32 v15, v1, v7
	v_add_co_u32_e32 v12, vcc, v12, v17
	v_addc_co_u32_e32 v15, vcc, 0, v15, vcc
	v_add_co_u32_e32 v12, vcc, v12, v14
	v_mul_hi_u32 v9, v6, v7
	v_addc_co_u32_e32 v12, vcc, v15, v13, vcc
	v_addc_co_u32_e32 v9, vcc, 0, v9, vcc
	v_mul_lo_u32 v7, v6, v7
	v_add_co_u32_e32 v7, vcc, v12, v7
	v_addc_co_u32_e32 v9, vcc, 0, v9, vcc
	v_add_co_u32_e32 v1, vcc, v1, v7
	v_addc_co_u32_e32 v9, vcc, v6, v9, vcc
	v_mad_u64_u32 v[6:7], s[0:1], v10, v9, 0
	v_mul_hi_u32 v12, v10, v1
	v_add_co_u32_e32 v14, vcc, v12, v6
	v_addc_co_u32_e32 v15, vcc, 0, v7, vcc
	v_mad_u64_u32 v[12:13], s[0:1], v11, v1, 0
	v_add_co_u32_e32 v1, vcc, v14, v12
	v_mad_u64_u32 v[6:7], s[0:1], v11, v9, 0
	v_addc_co_u32_e32 v1, vcc, v15, v13, vcc
	v_addc_co_u32_e32 v7, vcc, 0, v7, vcc
	v_add_co_u32_e32 v1, vcc, v1, v6
	v_addc_co_u32_e32 v9, vcc, 0, v7, vcc
	v_mul_lo_u32 v12, s11, v1
	v_mul_lo_u32 v13, s10, v9
	v_mad_u64_u32 v[6:7], s[0:1], s10, v1, 0
	v_add3_u32 v7, v7, v13, v12
	v_sub_u32_e32 v12, v11, v7
	v_mov_b32_e32 v13, s11
	v_sub_co_u32_e32 v6, vcc, v10, v6
	v_subb_co_u32_e64 v12, s[0:1], v12, v13, vcc
	v_subrev_co_u32_e64 v13, s[0:1], s10, v6
	v_subbrev_co_u32_e64 v12, s[0:1], 0, v12, s[0:1]
	v_cmp_le_u32_e64 s[0:1], s11, v12
	v_cndmask_b32_e64 v14, 0, -1, s[0:1]
	v_cmp_le_u32_e64 s[0:1], s10, v13
	v_cndmask_b32_e64 v13, 0, -1, s[0:1]
	v_cmp_eq_u32_e64 s[0:1], s11, v12
	v_cndmask_b32_e64 v12, v14, v13, s[0:1]
	v_add_co_u32_e64 v13, s[0:1], 2, v1
	v_addc_co_u32_e64 v14, s[0:1], 0, v9, s[0:1]
	v_add_co_u32_e64 v15, s[0:1], 1, v1
	v_addc_co_u32_e64 v17, s[0:1], 0, v9, s[0:1]
	v_subb_co_u32_e32 v7, vcc, v11, v7, vcc
	v_cmp_ne_u32_e64 s[0:1], 0, v12
	v_cmp_le_u32_e32 vcc, s11, v7
	v_cndmask_b32_e64 v12, v17, v14, s[0:1]
	v_cndmask_b32_e64 v14, 0, -1, vcc
	v_cmp_le_u32_e32 vcc, s10, v6
	v_cndmask_b32_e64 v6, 0, -1, vcc
	v_cmp_eq_u32_e32 vcc, s11, v7
	v_cndmask_b32_e32 v6, v14, v6, vcc
	v_cmp_ne_u32_e32 vcc, 0, v6
	v_cndmask_b32_e64 v6, v15, v13, s[0:1]
	v_cndmask_b32_e32 v7, v9, v12, vcc
	v_cndmask_b32_e32 v6, v1, v6, vcc
.LBB23_5:                               ;   in Loop: Header=BB23_3 Depth=1
	s_andn2_saveexec_b64 s[0:1], s[16:17]
	s_cbranch_execz .LBB23_7
; %bb.6:                                ;   in Loop: Header=BB23_3 Depth=1
	v_cvt_f32_u32_e32 v1, s10
	s_sub_i32 s16, 0, s10
	v_rcp_iflag_f32_e32 v1, v1
	v_mul_f32_e32 v1, 0x4f7ffffe, v1
	v_cvt_u32_f32_e32 v1, v1
	v_mul_lo_u32 v6, s16, v1
	v_mul_hi_u32 v6, v1, v6
	v_add_u32_e32 v1, v1, v6
	v_mul_hi_u32 v1, v10, v1
	v_mul_lo_u32 v6, v1, s10
	v_sub_u32_e32 v6, v10, v6
	v_add_u32_e32 v7, 1, v1
	v_subrev_u32_e32 v9, s10, v6
	v_cmp_le_u32_e32 vcc, s10, v6
	v_cndmask_b32_e32 v6, v6, v9, vcc
	v_cndmask_b32_e32 v1, v1, v7, vcc
	v_add_u32_e32 v7, 1, v1
	v_cmp_le_u32_e32 vcc, s10, v6
	v_cndmask_b32_e32 v6, v1, v7, vcc
	v_mov_b32_e32 v7, v8
.LBB23_7:                               ;   in Loop: Header=BB23_3 Depth=1
	s_or_b64 exec, exec, s[0:1]
	v_mad_u64_u32 v[12:13], s[0:1], v6, s10, 0
	s_load_dwordx2 s[0:1], s[8:9], 0xc8
	v_mul_lo_u32 v1, v7, s10
	v_mul_lo_u32 v9, v6, s11
	v_add3_u32 v1, v13, v9, v1
	v_sub_co_u32_e32 v9, vcc, v10, v12
	s_add_i32 s18, s18, -1
	v_subb_co_u32_e32 v1, vcc, v11, v1, vcc
	s_add_u32 s8, s8, -8
	s_waitcnt lgkmcnt(0)
	v_mul_lo_u32 v1, s0, v1
	v_mul_lo_u32 v10, s1, v9
	v_mad_u64_u32 v[2:3], s[0:1], s0, v9, v[2:3]
	s_addc_u32 s9, s9, -1
	s_cmp_gt_u32 s18, 2
	v_add3_u32 v3, v10, v3, v1
	s_cbranch_scc0 .LBB23_9
; %bb.8:                                ;   in Loop: Header=BB23_3 Depth=1
	v_pk_mov_b32 v[10:11], v[6:7], v[6:7] op_sel:[0,1]
	s_branch .LBB23_3
.LBB23_9:
	s_load_dword s0, s[4:5], 0x350
	s_load_dwordx2 s[8:9], s[4:5], 0xd0
	v_pk_mov_b32 v[8:9], 0, 0
	v_pk_mov_b32 v[14:15], v[4:5], v[4:5] op_sel:[0,1]
	s_waitcnt lgkmcnt(0)
	s_cmp_lt_i32 s0, 2
	s_cbranch_scc1 .LBB23_17
; %bb.10:
	s_add_i32 s20, s0, 1
	s_add_i32 s0, s0, -1
	s_mov_b32 s1, 0
	s_lshl_b64 s[0:1], s[0:1], 3
	s_add_u32 s0, s0, s4
	s_addc_u32 s1, s1, s5
	s_add_u32 s10, s0, 0x1c0
	s_addc_u32 s11, s1, 0
	v_pk_mov_b32 v[8:9], 0, 0
	v_mov_b32_e32 v10, 0
	v_pk_mov_b32 v[12:13], v[4:5], v[4:5] op_sel:[0,1]
.LBB23_11:                              ; =>This Inner Loop Header: Depth=1
	s_load_dwordx2 s[16:17], s[10:11], 0x0
                                        ; implicit-def: $vgpr14_vgpr15
	s_waitcnt lgkmcnt(0)
	v_or_b32_e32 v11, s17, v13
	v_cmp_ne_u64_e32 vcc, 0, v[10:11]
	s_and_saveexec_b64 s[0:1], vcc
	s_xor_b64 s[18:19], exec, s[0:1]
	s_cbranch_execz .LBB23_13
; %bb.12:                               ;   in Loop: Header=BB23_11 Depth=1
	v_cvt_f32_u32_e32 v1, s16
	v_cvt_f32_u32_e32 v11, s17
	s_sub_u32 s0, 0, s16
	s_subb_u32 s1, 0, s17
	v_mac_f32_e32 v1, 0x4f800000, v11
	v_rcp_f32_e32 v1, v1
	v_mul_f32_e32 v1, 0x5f7ffffc, v1
	v_mul_f32_e32 v11, 0x2f800000, v1
	v_trunc_f32_e32 v11, v11
	v_mac_f32_e32 v1, 0xcf800000, v11
	v_cvt_u32_f32_e32 v11, v11
	v_cvt_u32_f32_e32 v1, v1
	v_mul_lo_u32 v14, s0, v11
	v_mul_hi_u32 v17, s0, v1
	v_mul_lo_u32 v15, s1, v1
	v_add_u32_e32 v14, v17, v14
	v_mul_lo_u32 v18, s0, v1
	v_add_u32_e32 v14, v14, v15
	v_mul_hi_u32 v17, v1, v18
	v_mul_lo_u32 v19, v1, v14
	v_mul_hi_u32 v15, v1, v14
	v_add_co_u32_e32 v17, vcc, v17, v19
	v_addc_co_u32_e32 v15, vcc, 0, v15, vcc
	v_mul_hi_u32 v20, v11, v18
	v_mul_lo_u32 v18, v11, v18
	v_add_co_u32_e32 v17, vcc, v17, v18
	v_mul_hi_u32 v19, v11, v14
	v_addc_co_u32_e32 v15, vcc, v15, v20, vcc
	v_addc_co_u32_e32 v17, vcc, 0, v19, vcc
	v_mul_lo_u32 v14, v11, v14
	v_add_co_u32_e32 v14, vcc, v15, v14
	v_addc_co_u32_e32 v15, vcc, 0, v17, vcc
	v_add_co_u32_e32 v1, vcc, v1, v14
	v_addc_co_u32_e32 v11, vcc, v11, v15, vcc
	v_mul_lo_u32 v14, s0, v11
	v_mul_hi_u32 v15, s0, v1
	v_add_u32_e32 v14, v15, v14
	v_mul_lo_u32 v15, s1, v1
	v_add_u32_e32 v14, v14, v15
	v_mul_lo_u32 v17, s0, v1
	v_mul_hi_u32 v18, v11, v17
	v_mul_lo_u32 v19, v11, v17
	v_mul_lo_u32 v21, v1, v14
	v_mul_hi_u32 v17, v1, v17
	v_mul_hi_u32 v20, v1, v14
	v_add_co_u32_e32 v17, vcc, v17, v21
	v_addc_co_u32_e32 v20, vcc, 0, v20, vcc
	v_add_co_u32_e32 v17, vcc, v17, v19
	v_mul_hi_u32 v15, v11, v14
	v_addc_co_u32_e32 v17, vcc, v20, v18, vcc
	v_addc_co_u32_e32 v15, vcc, 0, v15, vcc
	v_mul_lo_u32 v14, v11, v14
	v_add_co_u32_e32 v14, vcc, v17, v14
	v_addc_co_u32_e32 v15, vcc, 0, v15, vcc
	v_add_co_u32_e32 v1, vcc, v1, v14
	v_addc_co_u32_e32 v11, vcc, v11, v15, vcc
	v_mad_u64_u32 v[14:15], s[0:1], v12, v11, 0
	v_mul_hi_u32 v17, v12, v1
	v_add_co_u32_e32 v17, vcc, v17, v14
	v_addc_co_u32_e32 v20, vcc, 0, v15, vcc
	v_mad_u64_u32 v[18:19], s[0:1], v13, v1, 0
	v_add_co_u32_e32 v1, vcc, v17, v18
	v_mad_u64_u32 v[14:15], s[0:1], v13, v11, 0
	v_addc_co_u32_e32 v1, vcc, v20, v19, vcc
	v_addc_co_u32_e32 v11, vcc, 0, v15, vcc
	v_add_co_u32_e32 v1, vcc, v1, v14
	v_addc_co_u32_e32 v11, vcc, 0, v11, vcc
	v_mul_lo_u32 v17, s17, v1
	v_mul_lo_u32 v18, s16, v11
	v_mad_u64_u32 v[14:15], s[0:1], s16, v1, 0
	v_add3_u32 v15, v15, v18, v17
	v_sub_u32_e32 v17, v13, v15
	v_mov_b32_e32 v18, s17
	v_sub_co_u32_e32 v14, vcc, v12, v14
	v_subb_co_u32_e64 v17, s[0:1], v17, v18, vcc
	v_subrev_co_u32_e64 v18, s[0:1], s16, v14
	v_subbrev_co_u32_e64 v17, s[0:1], 0, v17, s[0:1]
	v_cmp_le_u32_e64 s[0:1], s17, v17
	v_cndmask_b32_e64 v19, 0, -1, s[0:1]
	v_cmp_le_u32_e64 s[0:1], s16, v18
	v_cndmask_b32_e64 v18, 0, -1, s[0:1]
	v_cmp_eq_u32_e64 s[0:1], s17, v17
	v_cndmask_b32_e64 v17, v19, v18, s[0:1]
	v_add_co_u32_e64 v18, s[0:1], 2, v1
	v_addc_co_u32_e64 v19, s[0:1], 0, v11, s[0:1]
	v_add_co_u32_e64 v20, s[0:1], 1, v1
	v_addc_co_u32_e64 v21, s[0:1], 0, v11, s[0:1]
	v_subb_co_u32_e32 v15, vcc, v13, v15, vcc
	v_cmp_ne_u32_e64 s[0:1], 0, v17
	v_cmp_le_u32_e32 vcc, s17, v15
	v_cndmask_b32_e64 v17, v21, v19, s[0:1]
	v_cndmask_b32_e64 v19, 0, -1, vcc
	v_cmp_le_u32_e32 vcc, s16, v14
	v_cndmask_b32_e64 v14, 0, -1, vcc
	v_cmp_eq_u32_e32 vcc, s17, v15
	v_cndmask_b32_e32 v14, v19, v14, vcc
	v_cmp_ne_u32_e32 vcc, 0, v14
	v_cndmask_b32_e32 v15, v11, v17, vcc
	v_cndmask_b32_e64 v11, v20, v18, s[0:1]
	v_cndmask_b32_e32 v14, v1, v11, vcc
.LBB23_13:                              ;   in Loop: Header=BB23_11 Depth=1
	s_andn2_saveexec_b64 s[0:1], s[18:19]
	s_cbranch_execz .LBB23_15
; %bb.14:                               ;   in Loop: Header=BB23_11 Depth=1
	v_cvt_f32_u32_e32 v1, s16
	s_sub_i32 s18, 0, s16
	v_rcp_iflag_f32_e32 v1, v1
	v_mul_f32_e32 v1, 0x4f7ffffe, v1
	v_cvt_u32_f32_e32 v1, v1
	v_mul_lo_u32 v11, s18, v1
	v_mul_hi_u32 v11, v1, v11
	v_add_u32_e32 v1, v1, v11
	v_mul_hi_u32 v1, v12, v1
	v_mul_lo_u32 v11, v1, s16
	v_sub_u32_e32 v11, v12, v11
	v_add_u32_e32 v14, 1, v1
	v_subrev_u32_e32 v15, s16, v11
	v_cmp_le_u32_e32 vcc, s16, v11
	v_cndmask_b32_e32 v11, v11, v15, vcc
	v_cndmask_b32_e32 v1, v1, v14, vcc
	v_add_u32_e32 v14, 1, v1
	v_cmp_le_u32_e32 vcc, s16, v11
	v_cndmask_b32_e32 v14, v1, v14, vcc
	v_mov_b32_e32 v15, v10
.LBB23_15:                              ;   in Loop: Header=BB23_11 Depth=1
	s_or_b64 exec, exec, s[0:1]
	v_mad_u64_u32 v[18:19], s[0:1], v14, s16, 0
	s_load_dwordx2 s[0:1], s[10:11], 0xc8
	v_mul_lo_u32 v1, v15, s16
	v_mul_lo_u32 v11, v14, s17
	v_add3_u32 v1, v19, v11, v1
	v_sub_co_u32_e32 v11, vcc, v12, v18
	s_add_i32 s20, s20, -1
	v_subb_co_u32_e32 v1, vcc, v13, v1, vcc
	s_add_u32 s10, s10, -8
	s_waitcnt lgkmcnt(0)
	v_mul_lo_u32 v1, s0, v1
	v_mul_lo_u32 v12, s1, v11
	v_mad_u64_u32 v[8:9], s[0:1], s0, v11, v[8:9]
	s_addc_u32 s11, s11, -1
	s_cmp_gt_u32 s20, 2
	v_add3_u32 v9, v12, v9, v1
	s_cbranch_scc0 .LBB23_17
; %bb.16:                               ;   in Loop: Header=BB23_11 Depth=1
	v_pk_mov_b32 v[12:13], v[14:15], v[14:15] op_sel:[0,1]
	s_branch .LBB23_11
.LBB23_17:
	v_mul_lo_u32 v1, s9, v6
	v_mul_lo_u32 v10, s8, v7
	v_mad_u64_u32 v[6:7], s[0:1], s8, v6, 0
	s_load_dwordx2 s[8:9], s[4:5], 0x358
	s_load_dwordx2 s[0:1], s[4:5], 0x288
	;; [unrolled: 1-line block ×4, first 2 shown]
	v_add3_u32 v7, v7, v10, v1
	v_cmp_gt_u64_e32 vcc, s[12:13], v[4:5]
	v_lshlrev_b64 v[6:7], 2, v[6:7]
	s_waitcnt lgkmcnt(0)
	v_mul_lo_u32 v1, s1, v14
	v_mul_lo_u32 v10, s0, v15
	v_mad_u64_u32 v[4:5], s[0:1], s0, v14, 0
	v_add3_u32 v5, v5, v10, v1
	v_mov_b32_e32 v1, s11
	v_add_co_u32_e64 v6, s[0:1], s10, v6
	v_addc_co_u32_e64 v1, s[0:1], v1, v7, s[0:1]
	v_lshlrev_b64 v[2:3], 2, v[2:3]
	v_add_co_u32_e64 v10, s[0:1], v6, v2
	v_addc_co_u32_e64 v11, s[0:1], v1, v3, s[0:1]
	v_lshlrev_b64 v[2:3], 3, v[4:5]
	v_mov_b32_e32 v1, s17
	v_add_co_u32_e64 v4, s[0:1], s16, v2
	v_addc_co_u32_e64 v1, s[0:1], v1, v3, s[0:1]
	v_lshlrev_b64 v[2:3], 3, v[8:9]
	s_load_dword s12, s[2:3], 0xc
	v_add_co_u32_e64 v8, s[0:1], v4, v2
	v_addc_co_u32_e64 v9, s[0:1], v1, v3, s[0:1]
	v_mov_b32_e32 v1, 0
	v_and_b32_e32 v2, 0x3ff, v0
	v_mov_b32_e32 v3, v1
	v_cmp_gt_u64_e64 s[0:1], s[14:15], v[2:3]
	v_pk_mov_b32 v[4:5], 0, 0
	s_and_b64 s[4:5], vcc, s[0:1]
	v_mov_b32_e32 v0, 0
	v_pk_mov_b32 v[6:7], v[4:5], v[4:5] op_sel:[0,1]
	s_and_saveexec_b64 s[10:11], s[4:5]
	s_cbranch_execz .LBB23_19
; %bb.18:
	v_mad_u64_u32 v[6:7], s[2:3], v2, s6, 0
	v_mov_b32_e32 v0, v7
	v_mad_u64_u32 v[12:13], s[2:3], v2, s7, v[0:1]
	v_mov_b32_e32 v7, v12
	v_lshlrev_b64 v[6:7], 2, v[6:7]
	v_add_co_u32_e64 v6, s[2:3], v10, v6
	v_addc_co_u32_e64 v7, s[2:3], v11, v7, s[2:3]
	global_load_dword v0, v[6:7], off
	v_mad_u64_u32 v[6:7], s[2:3], v2, s8, 0
	v_mov_b32_e32 v12, v7
	v_mad_u64_u32 v[12:13], s[2:3], v2, s9, v[12:13]
	v_mov_b32_e32 v7, v12
	v_lshlrev_b64 v[6:7], 3, v[6:7]
	v_add_co_u32_e64 v6, s[2:3], v8, v6
	v_addc_co_u32_e64 v7, s[2:3], v9, v7, s[2:3]
	global_load_dwordx2 v[6:7], v[6:7], off
.LBB23_19:
	s_or_b64 exec, exec, s[10:11]
	v_mov_b32_e32 v3, 0x1000
	v_lshl_add_u32 v20, v16, 7, v3
	v_mov_b32_e32 v3, 0x1800
	v_lshl_add_u32 v19, v16, 5, v3
	v_lshl_add_u32 v12, v2, 2, v20
	s_waitcnt lgkmcnt(0)
	s_and_b32 s16, 0xffff, s12
	v_cndmask_b32_e64 v13, 0, 1, s[4:5]
	s_waitcnt vmcnt(1)
	ds_write_b32 v12, v0
	v_add_u32_e32 v0, v19, v2
	ds_write_b8 v0, v13
	v_add_u32_e32 v0, s16, v2
	v_lshlrev_b32_e32 v17, 8, v16
	v_cmp_gt_u64_e64 s[2:3], s[14:15], v[0:1]
	v_lshl_add_u32 v3, v2, 3, v17
	s_and_b64 s[10:11], vcc, s[2:3]
	s_waitcnt vmcnt(0)
	ds_write_b64 v3, v[6:7]
	s_and_saveexec_b64 s[12:13], s[10:11]
	s_cbranch_execz .LBB23_21
; %bb.20:
	v_mad_u64_u32 v[4:5], s[4:5], v0, s6, 0
	v_mov_b32_e32 v6, v5
	v_mad_u64_u32 v[6:7], s[4:5], v0, s7, v[6:7]
	v_mov_b32_e32 v5, v6
	v_lshlrev_b64 v[4:5], 2, v[4:5]
	v_add_co_u32_e64 v4, s[4:5], v10, v4
	v_addc_co_u32_e64 v5, s[4:5], v11, v5, s[4:5]
	global_load_dword v1, v[4:5], off
	v_mad_u64_u32 v[4:5], s[4:5], v0, s8, 0
	v_mov_b32_e32 v6, v5
	v_mad_u64_u32 v[6:7], s[4:5], v0, s9, v[6:7]
	v_mov_b32_e32 v5, v6
	v_lshlrev_b64 v[4:5], 3, v[4:5]
	v_add_co_u32_e64 v4, s[4:5], v8, v4
	v_addc_co_u32_e64 v5, s[4:5], v9, v5, s[4:5]
	global_load_dwordx2 v[4:5], v[4:5], off
.LBB23_21:
	s_or_b64 exec, exec, s[12:13]
	v_lshl_add_u32 v6, s16, 2, v12
	s_waitcnt vmcnt(1)
	ds_write_b32 v6, v1
	v_lshl_add_u32 v1, s16, 3, v3
	v_cndmask_b32_e64 v7, 0, 1, s[10:11]
	s_waitcnt vmcnt(0)
	ds_write_b64 v1, v[4:5]
	v_add_u32_e32 v4, v19, v0
	ds_write_b8 v4, v7
	v_lshlrev_b32_e32 v4, 2, v2
	v_add_u32_e32 v13, v12, v4
	s_waitcnt lgkmcnt(0)
	s_barrier
	ds_read_b64 v[4:5], v13
	v_lshlrev_b32_e32 v21, 1, v2
	s_mov_b32 s14, 1
	v_add_u32_e32 v7, v19, v21
	s_waitcnt lgkmcnt(0)
	v_cmp_le_i32_e64 s[10:11], v4, v5
	v_cmp_gt_i32_e64 s[4:5], v4, v5
	s_and_saveexec_b64 s[12:13], s[4:5]
	s_xor_b64 s[12:13], exec, s[12:13]
	s_cbranch_execz .LBB23_23
; %bb.22:
	ds_read_u8 v14, v7
	s_andn2_b64 s[10:11], s[10:11], exec
	s_waitcnt lgkmcnt(0)
	v_and_b32_e32 v14, 1, v14
	v_cmp_eq_u32_e64 s[4:5], 1, v14
	s_xor_b64 s[4:5], s[4:5], -1
	s_and_b64 s[4:5], s[4:5], exec
	s_or_b64 s[10:11], s[10:11], s[4:5]
.LBB23_23:
	s_or_b64 exec, exec, s[12:13]
	v_mov_b32_e32 v16, s14
	s_and_saveexec_b64 s[4:5], s[10:11]
	s_cbranch_execz .LBB23_25
; %bb.24:
	ds_read_u8 v14, v7 offset:1
	s_waitcnt lgkmcnt(0)
	v_xor_b32_e32 v16, 1, v14
.LBB23_25:
	s_or_b64 exec, exec, s[4:5]
	v_and_b32_e32 v15, 1, v2
	v_lshlrev_b32_e32 v14, 3, v2
	v_cmp_eq_u32_e64 s[4:5], v16, v15
	s_and_saveexec_b64 s[10:11], s[4:5]
	s_cbranch_execz .LBB23_27
; %bb.26:
	v_add_u32_e32 v16, v3, v14
	ds_read_b128 v[22:25], v16
	v_mov_b32_e32 v27, v4
	ds_read_u16 v4, v7
	v_mov_b32_e32 v26, v5
	s_mov_b32 s4, 0xc0c0001
	ds_write_b64 v13, v[26:27]
	s_waitcnt lgkmcnt(2)
	v_mov_b32_e32 v26, v22
	v_mov_b32_e32 v27, v23
	s_waitcnt lgkmcnt(1)
	v_perm_b32 v4, 0, v4, s4
	ds_write_b128 v16, v[24:27]
	ds_write_b16 v7, v4
.LBB23_27:
	s_or_b64 exec, exec, s[10:11]
	v_sub_u32_e32 v18, v21, v15
	v_lshl_add_u32 v15, v18, 2, v20
	s_waitcnt lgkmcnt(0)
	s_barrier
	ds_read2_b32 v[4:5], v15 offset1:2
	s_mov_b64 s[10:11], -1
	v_add_u32_e32 v16, v19, v18
                                        ; implicit-def: $sgpr14
	s_waitcnt lgkmcnt(0)
	v_cmp_gt_i32_e64 s[4:5], v4, v5
	s_and_saveexec_b64 s[12:13], s[4:5]
	s_xor_b64 s[12:13], exec, s[12:13]
	s_cbranch_execz .LBB23_29
; %bb.28:
	ds_read_u8 v22, v16
	s_mov_b32 s14, 1
	s_waitcnt lgkmcnt(0)
	v_and_b32_e32 v22, 1, v22
	v_cmp_eq_u32_e64 s[4:5], 1, v22
	s_xor_b64 s[4:5], s[4:5], -1
	s_orn2_b64 s[10:11], s[4:5], exec
.LBB23_29:
	s_or_b64 exec, exec, s[12:13]
	v_mov_b32_e32 v23, s14
	s_and_saveexec_b64 s[4:5], s[10:11]
	s_cbranch_execz .LBB23_31
; %bb.30:
	ds_read_u8 v22, v16 offset:2
	s_waitcnt lgkmcnt(0)
	v_xor_b32_e32 v23, 1, v22
.LBB23_31:
	s_or_b64 exec, exec, s[4:5]
	v_bfe_u32 v22, v2, 1, 1
	v_lshl_add_u32 v18, v18, 3, v17
	v_cmp_eq_u32_e64 s[4:5], v23, v22
	s_and_saveexec_b64 s[10:11], s[4:5]
	s_cbranch_execz .LBB23_33
; %bb.32:
	ds_read2_b64 v[24:27], v18 offset1:2
	ds_read_u8 v23, v16 offset:2
	ds_read_u8 v28, v16
	ds_write2_b32 v15, v5, v4 offset1:2
	s_waitcnt lgkmcnt(3)
	ds_write2_b64 v18, v[26:27], v[24:25] offset1:2
	s_waitcnt lgkmcnt(3)
	ds_write_b8 v16, v23
	s_waitcnt lgkmcnt(3)
	ds_write_b8 v16, v28 offset:2
.LBB23_33:
	s_or_b64 exec, exec, s[10:11]
	s_waitcnt lgkmcnt(0)
	s_barrier
	ds_read_b64 v[4:5], v13
                                        ; implicit-def: $sgpr14
	s_waitcnt lgkmcnt(0)
	v_cmp_le_i32_e64 s[10:11], v4, v5
	v_cmp_gt_i32_e64 s[4:5], v4, v5
	s_and_saveexec_b64 s[12:13], s[4:5]
	s_cbranch_execnz .LBB23_100
; %bb.34:
	s_or_b64 exec, exec, s[12:13]
	v_mov_b32_e32 v23, s14
	s_and_saveexec_b64 s[4:5], s[10:11]
	s_cbranch_execnz .LBB23_101
.LBB23_35:
	s_or_b64 exec, exec, s[4:5]
	v_cmp_eq_u32_e64 s[4:5], v23, v22
	s_and_saveexec_b64 s[10:11], s[4:5]
	s_cbranch_execz .LBB23_37
.LBB23_36:
	v_add_u32_e32 v28, v3, v14
	ds_read_b128 v[22:25], v28
	v_mov_b32_e32 v27, v4
	ds_read_u16 v4, v7
	v_mov_b32_e32 v26, v5
	s_mov_b32 s4, 0xc0c0001
	ds_write_b64 v13, v[26:27]
	s_waitcnt lgkmcnt(2)
	v_mov_b32_e32 v26, v22
	v_mov_b32_e32 v27, v23
	s_waitcnt lgkmcnt(1)
	v_perm_b32 v4, 0, v4, s4
	ds_write_b128 v28, v[24:27]
	ds_write_b16 v7, v4
.LBB23_37:
	s_or_b64 exec, exec, s[10:11]
	v_and_b32_e32 v4, 3, v2
	v_sub_u32_e32 v24, v21, v4
	v_lshl_add_u32 v22, v24, 2, v20
	s_waitcnt lgkmcnt(0)
	s_barrier
	ds_read2_b32 v[4:5], v22 offset1:4
	v_add_u32_e32 v23, v19, v24
                                        ; implicit-def: $sgpr14
	s_waitcnt lgkmcnt(0)
	v_cmp_le_i32_e64 s[10:11], v4, v5
	v_cmp_gt_i32_e64 s[4:5], v4, v5
	s_and_saveexec_b64 s[12:13], s[4:5]
	s_cbranch_execz .LBB23_39
; %bb.38:
	ds_read_u8 v25, v23
	s_andn2_b64 s[10:11], s[10:11], exec
	s_mov_b32 s14, 1
	s_waitcnt lgkmcnt(0)
	v_and_b32_e32 v25, 1, v25
	v_cmp_eq_u32_e64 s[4:5], 1, v25
	s_xor_b64 s[4:5], s[4:5], -1
	s_and_b64 s[4:5], s[4:5], exec
	s_or_b64 s[10:11], s[10:11], s[4:5]
.LBB23_39:
	s_or_b64 exec, exec, s[12:13]
	v_mov_b32_e32 v26, s14
	s_and_saveexec_b64 s[4:5], s[10:11]
	s_cbranch_execz .LBB23_41
; %bb.40:
	ds_read_u8 v25, v23 offset:4
	s_waitcnt lgkmcnt(0)
	v_xor_b32_e32 v26, 1, v25
.LBB23_41:
	s_or_b64 exec, exec, s[4:5]
	v_bfe_u32 v25, v2, 2, 1
	v_lshl_add_u32 v24, v24, 3, v17
	v_cmp_eq_u32_e64 s[4:5], v26, v25
	s_and_saveexec_b64 s[10:11], s[4:5]
	s_cbranch_execz .LBB23_43
; %bb.42:
	ds_read2_b64 v[26:29], v24 offset1:4
	ds_read_u8 v30, v23 offset:4
	ds_read_u8 v31, v23
	ds_write2_b32 v22, v5, v4 offset1:4
	s_waitcnt lgkmcnt(3)
	ds_write2_b64 v24, v[28:29], v[26:27] offset1:4
	s_waitcnt lgkmcnt(3)
	ds_write_b8 v23, v30
	s_waitcnt lgkmcnt(3)
	ds_write_b8 v23, v31 offset:4
.LBB23_43:
	s_or_b64 exec, exec, s[10:11]
	s_waitcnt lgkmcnt(0)
	s_barrier
	ds_read2_b32 v[4:5], v15 offset1:2
                                        ; implicit-def: $sgpr14
	s_waitcnt lgkmcnt(0)
	v_cmp_le_i32_e64 s[10:11], v4, v5
	v_cmp_gt_i32_e64 s[4:5], v4, v5
	s_and_saveexec_b64 s[12:13], s[4:5]
	s_cbranch_execnz .LBB23_102
; %bb.44:
	s_or_b64 exec, exec, s[12:13]
	v_mov_b32_e32 v26, s14
	s_and_saveexec_b64 s[4:5], s[10:11]
	s_cbranch_execnz .LBB23_103
.LBB23_45:
	s_or_b64 exec, exec, s[4:5]
	v_cmp_eq_u32_e64 s[4:5], v26, v25
	s_and_saveexec_b64 s[10:11], s[4:5]
	s_cbranch_execz .LBB23_47
.LBB23_46:
	ds_read2_b64 v[26:29], v18 offset1:2
	ds_read_u8 v30, v16 offset:2
	ds_read_u8 v31, v16
	ds_write2_b32 v15, v5, v4 offset1:2
	s_waitcnt lgkmcnt(3)
	ds_write2_b64 v18, v[28:29], v[26:27] offset1:2
	s_waitcnt lgkmcnt(3)
	ds_write_b8 v16, v30
	s_waitcnt lgkmcnt(3)
	ds_write_b8 v16, v31 offset:2
.LBB23_47:
	s_or_b64 exec, exec, s[10:11]
	s_waitcnt lgkmcnt(0)
	s_barrier
	ds_read_b64 v[4:5], v13
                                        ; implicit-def: $sgpr14
	s_waitcnt lgkmcnt(0)
	v_cmp_le_i32_e64 s[10:11], v4, v5
	v_cmp_gt_i32_e64 s[4:5], v4, v5
	s_and_saveexec_b64 s[12:13], s[4:5]
	s_cbranch_execnz .LBB23_104
; %bb.48:
	s_or_b64 exec, exec, s[12:13]
	v_mov_b32_e32 v26, s14
	s_and_saveexec_b64 s[4:5], s[10:11]
	s_cbranch_execnz .LBB23_105
.LBB23_49:
	s_or_b64 exec, exec, s[4:5]
	v_cmp_eq_u32_e64 s[4:5], v26, v25
	s_and_saveexec_b64 s[10:11], s[4:5]
	s_cbranch_execz .LBB23_51
.LBB23_50:
	v_add_u32_e32 v25, v3, v14
	ds_read_b128 v[26:29], v25
	v_mov_b32_e32 v31, v4
	ds_read_u16 v4, v7
	v_mov_b32_e32 v30, v5
	s_mov_b32 s4, 0xc0c0001
	ds_write_b64 v13, v[30:31]
	s_waitcnt lgkmcnt(2)
	v_mov_b32_e32 v30, v26
	v_mov_b32_e32 v31, v27
	s_waitcnt lgkmcnt(1)
	v_perm_b32 v4, 0, v4, s4
	ds_write_b128 v25, v[28:31]
	ds_write_b16 v7, v4
.LBB23_51:
	s_or_b64 exec, exec, s[10:11]
	v_and_b32_e32 v4, 7, v2
	v_sub_u32_e32 v27, v21, v4
	v_lshl_add_u32 v25, v27, 2, v20
	s_waitcnt lgkmcnt(0)
	s_barrier
	ds_read2_b32 v[4:5], v25 offset1:8
	v_add_u32_e32 v26, v19, v27
                                        ; implicit-def: $sgpr14
	s_waitcnt lgkmcnt(0)
	v_cmp_le_i32_e64 s[10:11], v4, v5
	v_cmp_gt_i32_e64 s[4:5], v4, v5
	s_and_saveexec_b64 s[12:13], s[4:5]
	s_cbranch_execz .LBB23_53
; %bb.52:
	ds_read_u8 v28, v26
	s_andn2_b64 s[10:11], s[10:11], exec
	s_mov_b32 s14, 1
	s_waitcnt lgkmcnt(0)
	v_and_b32_e32 v28, 1, v28
	v_cmp_eq_u32_e64 s[4:5], 1, v28
	s_xor_b64 s[4:5], s[4:5], -1
	s_and_b64 s[4:5], s[4:5], exec
	s_or_b64 s[10:11], s[10:11], s[4:5]
.LBB23_53:
	s_or_b64 exec, exec, s[12:13]
	v_mov_b32_e32 v29, s14
	s_and_saveexec_b64 s[4:5], s[10:11]
	s_cbranch_execz .LBB23_55
; %bb.54:
	ds_read_u8 v28, v26 offset:8
	s_waitcnt lgkmcnt(0)
	v_xor_b32_e32 v29, 1, v28
.LBB23_55:
	s_or_b64 exec, exec, s[4:5]
	v_bfe_u32 v28, v2, 3, 1
	v_lshl_add_u32 v27, v27, 3, v17
	v_cmp_eq_u32_e64 s[4:5], v29, v28
	s_and_saveexec_b64 s[10:11], s[4:5]
	s_cbranch_execz .LBB23_57
; %bb.56:
	ds_read2_b64 v[30:33], v27 offset1:8
	ds_read_u8 v29, v26 offset:8
	ds_read_u8 v34, v26
	ds_write2_b32 v25, v5, v4 offset1:8
	s_waitcnt lgkmcnt(3)
	ds_write2_b64 v27, v[32:33], v[30:31] offset1:8
	s_waitcnt lgkmcnt(3)
	ds_write_b8 v26, v29
	s_waitcnt lgkmcnt(3)
	ds_write_b8 v26, v34 offset:8
.LBB23_57:
	s_or_b64 exec, exec, s[10:11]
	s_waitcnt lgkmcnt(0)
	s_barrier
	ds_read2_b32 v[4:5], v22 offset1:4
                                        ; implicit-def: $sgpr14
	s_waitcnt lgkmcnt(0)
	v_cmp_le_i32_e64 s[10:11], v4, v5
	v_cmp_gt_i32_e64 s[4:5], v4, v5
	s_and_saveexec_b64 s[12:13], s[4:5]
	s_cbranch_execnz .LBB23_106
; %bb.58:
	s_or_b64 exec, exec, s[12:13]
	v_mov_b32_e32 v29, s14
	s_and_saveexec_b64 s[4:5], s[10:11]
	s_cbranch_execnz .LBB23_107
.LBB23_59:
	s_or_b64 exec, exec, s[4:5]
	v_cmp_eq_u32_e64 s[4:5], v29, v28
	s_and_saveexec_b64 s[10:11], s[4:5]
	s_cbranch_execz .LBB23_61
.LBB23_60:
	ds_read2_b64 v[30:33], v24 offset1:4
	ds_read_u8 v29, v23 offset:4
	ds_read_u8 v34, v23
	ds_write2_b32 v22, v5, v4 offset1:4
	s_waitcnt lgkmcnt(3)
	ds_write2_b64 v24, v[32:33], v[30:31] offset1:4
	s_waitcnt lgkmcnt(3)
	ds_write_b8 v23, v29
	s_waitcnt lgkmcnt(3)
	ds_write_b8 v23, v34 offset:4
.LBB23_61:
	s_or_b64 exec, exec, s[10:11]
	s_waitcnt lgkmcnt(0)
	s_barrier
	ds_read2_b32 v[4:5], v15 offset1:2
                                        ; implicit-def: $sgpr14
	s_waitcnt lgkmcnt(0)
	v_cmp_le_i32_e64 s[10:11], v4, v5
	v_cmp_gt_i32_e64 s[4:5], v4, v5
	s_and_saveexec_b64 s[12:13], s[4:5]
	s_cbranch_execnz .LBB23_108
; %bb.62:
	s_or_b64 exec, exec, s[12:13]
	v_mov_b32_e32 v29, s14
	s_and_saveexec_b64 s[4:5], s[10:11]
	s_cbranch_execnz .LBB23_109
.LBB23_63:
	s_or_b64 exec, exec, s[4:5]
	v_cmp_eq_u32_e64 s[4:5], v29, v28
	s_and_saveexec_b64 s[10:11], s[4:5]
	s_cbranch_execz .LBB23_65
.LBB23_64:
	ds_read2_b64 v[30:33], v18 offset1:2
	ds_read_u8 v29, v16 offset:2
	ds_read_u8 v34, v16
	ds_write2_b32 v15, v5, v4 offset1:2
	s_waitcnt lgkmcnt(3)
	ds_write2_b64 v18, v[32:33], v[30:31] offset1:2
	s_waitcnt lgkmcnt(3)
	ds_write_b8 v16, v29
	s_waitcnt lgkmcnt(3)
	ds_write_b8 v16, v34 offset:2
.LBB23_65:
	s_or_b64 exec, exec, s[10:11]
	s_waitcnt lgkmcnt(0)
	s_barrier
	ds_read_b64 v[4:5], v13
                                        ; implicit-def: $sgpr14
	s_waitcnt lgkmcnt(0)
	v_cmp_le_i32_e64 s[10:11], v4, v5
	v_cmp_gt_i32_e64 s[4:5], v4, v5
	s_and_saveexec_b64 s[12:13], s[4:5]
	s_cbranch_execnz .LBB23_110
; %bb.66:
	s_or_b64 exec, exec, s[12:13]
	v_mov_b32_e32 v29, s14
	s_and_saveexec_b64 s[4:5], s[10:11]
	s_cbranch_execnz .LBB23_111
.LBB23_67:
	s_or_b64 exec, exec, s[4:5]
	v_cmp_eq_u32_e64 s[4:5], v29, v28
	s_and_saveexec_b64 s[10:11], s[4:5]
	s_cbranch_execz .LBB23_69
.LBB23_68:
	v_add_u32_e32 v34, v3, v14
	ds_read_b128 v[28:31], v34
	v_mov_b32_e32 v33, v4
	ds_read_u16 v4, v7
	v_mov_b32_e32 v32, v5
	s_mov_b32 s4, 0xc0c0001
	ds_write_b64 v13, v[32:33]
	s_waitcnt lgkmcnt(2)
	v_mov_b32_e32 v32, v28
	v_mov_b32_e32 v33, v29
	s_waitcnt lgkmcnt(1)
	v_perm_b32 v4, 0, v4, s4
	ds_write_b128 v34, v[30:33]
	ds_write_b16 v7, v4
.LBB23_69:
	s_or_b64 exec, exec, s[10:11]
	v_and_b32_e32 v4, 15, v2
	v_sub_u32_e32 v21, v21, v4
	v_lshl_add_u32 v20, v21, 2, v20
	s_waitcnt lgkmcnt(0)
	s_barrier
	ds_read2_b32 v[4:5], v20 offset1:16
	v_add_u32_e32 v19, v19, v21
	s_waitcnt lgkmcnt(0)
	v_cmp_le_i32_e64 s[12:13], v4, v5
	v_cmp_gt_i32_e64 s[4:5], v4, v5
	s_and_saveexec_b64 s[10:11], s[4:5]
	s_cbranch_execz .LBB23_71
; %bb.70:
	ds_read_u8 v28, v19
	s_andn2_b64 s[12:13], s[12:13], exec
	s_waitcnt lgkmcnt(0)
	v_and_b32_e32 v28, 1, v28
	v_cmp_eq_u32_e64 s[4:5], 1, v28
	s_xor_b64 s[4:5], s[4:5], -1
	s_and_b64 s[4:5], s[4:5], exec
	s_or_b64 s[12:13], s[12:13], s[4:5]
.LBB23_71:
	s_or_b64 exec, exec, s[10:11]
	s_and_saveexec_b64 s[10:11], s[12:13]
	s_cbranch_execz .LBB23_74
; %bb.72:
	ds_read_u8 v28, v19 offset:16
	s_waitcnt lgkmcnt(0)
	v_cmp_ne_u16_e64 s[4:5], 0, v28
	s_and_b64 exec, exec, s[4:5]
	s_cbranch_execz .LBB23_74
; %bb.73:
	v_lshl_add_u32 v17, v21, 3, v17
	ds_read2_b64 v[30:33], v17 offset1:16
	ds_read_u8 v21, v19
	ds_write2_b32 v20, v5, v4 offset1:16
	ds_write_b8 v19, v28
	s_waitcnt lgkmcnt(3)
	ds_write2_b64 v17, v[32:33], v[30:31] offset1:16
	s_waitcnt lgkmcnt(3)
	ds_write_b8 v19, v21 offset:16
.LBB23_74:
	s_or_b64 exec, exec, s[10:11]
	s_waitcnt lgkmcnt(0)
	s_barrier
	ds_read2_b32 v[4:5], v25 offset1:8
	s_waitcnt lgkmcnt(0)
	v_cmp_le_i32_e64 s[12:13], v4, v5
	v_cmp_gt_i32_e64 s[4:5], v4, v5
	s_and_saveexec_b64 s[10:11], s[4:5]
	s_cbranch_execz .LBB23_76
; %bb.75:
	ds_read_u8 v17, v26
	s_andn2_b64 s[12:13], s[12:13], exec
	s_waitcnt lgkmcnt(0)
	v_and_b32_e32 v17, 1, v17
	v_cmp_eq_u32_e64 s[4:5], 1, v17
	s_xor_b64 s[4:5], s[4:5], -1
	s_and_b64 s[4:5], s[4:5], exec
	s_or_b64 s[12:13], s[12:13], s[4:5]
.LBB23_76:
	s_or_b64 exec, exec, s[10:11]
	s_and_saveexec_b64 s[10:11], s[12:13]
	s_cbranch_execz .LBB23_79
; %bb.77:
	ds_read_u8 v17, v26 offset:8
	s_waitcnt lgkmcnt(0)
	v_cmp_ne_u16_e64 s[4:5], 0, v17
	s_and_b64 exec, exec, s[4:5]
	s_cbranch_execz .LBB23_79
; %bb.78:
	ds_read2_b64 v[28:31], v27 offset1:8
	ds_read_u8 v19, v26
	ds_write2_b32 v25, v5, v4 offset1:8
	ds_write_b8 v26, v17
	s_waitcnt lgkmcnt(3)
	ds_write2_b64 v27, v[30:31], v[28:29] offset1:8
	s_waitcnt lgkmcnt(3)
	ds_write_b8 v26, v19 offset:8
.LBB23_79:
	s_or_b64 exec, exec, s[10:11]
	s_waitcnt lgkmcnt(0)
	s_barrier
	ds_read2_b32 v[4:5], v22 offset1:4
	s_waitcnt lgkmcnt(0)
	v_cmp_le_i32_e64 s[12:13], v4, v5
	v_cmp_gt_i32_e64 s[4:5], v4, v5
	s_and_saveexec_b64 s[10:11], s[4:5]
	s_cbranch_execz .LBB23_81
; %bb.80:
	ds_read_u8 v17, v23
	s_andn2_b64 s[12:13], s[12:13], exec
	s_waitcnt lgkmcnt(0)
	v_and_b32_e32 v17, 1, v17
	v_cmp_eq_u32_e64 s[4:5], 1, v17
	s_xor_b64 s[4:5], s[4:5], -1
	s_and_b64 s[4:5], s[4:5], exec
	s_or_b64 s[12:13], s[12:13], s[4:5]
.LBB23_81:
	s_or_b64 exec, exec, s[10:11]
	s_and_saveexec_b64 s[10:11], s[12:13]
	s_cbranch_execz .LBB23_84
; %bb.82:
	ds_read_u8 v17, v23 offset:4
	s_waitcnt lgkmcnt(0)
	v_cmp_ne_u16_e64 s[4:5], 0, v17
	s_and_b64 exec, exec, s[4:5]
	s_cbranch_execz .LBB23_84
; %bb.83:
	ds_read2_b64 v[26:29], v24 offset1:4
	ds_read_u8 v19, v23
	ds_write2_b32 v22, v5, v4 offset1:4
	ds_write_b8 v23, v17
	s_waitcnt lgkmcnt(3)
	ds_write2_b64 v24, v[28:29], v[26:27] offset1:4
	s_waitcnt lgkmcnt(3)
	ds_write_b8 v23, v19 offset:4
.LBB23_84:
	s_or_b64 exec, exec, s[10:11]
	s_waitcnt lgkmcnt(0)
	s_barrier
	ds_read2_b32 v[4:5], v15 offset1:2
	s_waitcnt lgkmcnt(0)
	v_cmp_le_i32_e64 s[12:13], v4, v5
	v_cmp_gt_i32_e64 s[4:5], v4, v5
	s_and_saveexec_b64 s[10:11], s[4:5]
	s_cbranch_execz .LBB23_86
; %bb.85:
	ds_read_u8 v17, v16
	s_andn2_b64 s[12:13], s[12:13], exec
	s_waitcnt lgkmcnt(0)
	v_and_b32_e32 v17, 1, v17
	v_cmp_eq_u32_e64 s[4:5], 1, v17
	s_xor_b64 s[4:5], s[4:5], -1
	s_and_b64 s[4:5], s[4:5], exec
	s_or_b64 s[12:13], s[12:13], s[4:5]
.LBB23_86:
	s_or_b64 exec, exec, s[10:11]
	s_and_saveexec_b64 s[10:11], s[12:13]
	s_cbranch_execz .LBB23_89
; %bb.87:
	ds_read_u8 v17, v16 offset:2
	s_waitcnt lgkmcnt(0)
	v_cmp_ne_u16_e64 s[4:5], 0, v17
	s_and_b64 exec, exec, s[4:5]
	s_cbranch_execz .LBB23_89
; %bb.88:
	ds_read2_b64 v[20:23], v18 offset1:2
	ds_read_u8 v19, v16
	ds_write2_b32 v15, v5, v4 offset1:2
	ds_write_b8 v16, v17
	s_waitcnt lgkmcnt(3)
	ds_write2_b64 v18, v[22:23], v[20:21] offset1:2
	s_waitcnt lgkmcnt(3)
	ds_write_b8 v16, v19 offset:2
.LBB23_89:
	s_or_b64 exec, exec, s[10:11]
	s_waitcnt lgkmcnt(0)
	s_barrier
	ds_read_b64 v[4:5], v13
	s_waitcnt lgkmcnt(0)
	v_cmp_le_i32_e64 s[12:13], v4, v5
	v_cmp_gt_i32_e64 s[4:5], v4, v5
	s_and_saveexec_b64 s[10:11], s[4:5]
	s_cbranch_execz .LBB23_91
; %bb.90:
	ds_read_u8 v15, v7
	s_andn2_b64 s[12:13], s[12:13], exec
	s_waitcnt lgkmcnt(0)
	v_and_b32_e32 v15, 1, v15
	v_cmp_eq_u32_e64 s[4:5], 1, v15
	s_xor_b64 s[4:5], s[4:5], -1
	s_and_b64 s[4:5], s[4:5], exec
	s_or_b64 s[12:13], s[12:13], s[4:5]
.LBB23_91:
	s_or_b64 exec, exec, s[10:11]
	s_and_saveexec_b64 s[10:11], s[12:13]
	s_cbranch_execz .LBB23_94
; %bb.92:
	ds_read_u8 v15, v7 offset:1
	s_waitcnt lgkmcnt(0)
	v_cmp_ne_u16_e64 s[4:5], 0, v15
	s_and_b64 exec, exec, s[4:5]
	s_cbranch_execz .LBB23_94
; %bb.93:
	v_add_u32_e32 v14, v3, v14
	ds_read_b128 v[16:19], v14
	v_mov_b32_e32 v21, v4
	ds_read_u8 v4, v7
	v_mov_b32_e32 v20, v5
	ds_write_b64 v13, v[20:21]
	s_waitcnt lgkmcnt(2)
	v_mov_b32_e32 v20, v16
	v_mov_b32_e32 v21, v17
	s_waitcnt lgkmcnt(1)
	v_lshlrev_b16_e32 v4, 8, v4
	v_or_b32_e32 v4, v15, v4
	ds_write_b128 v14, v[18:21]
	ds_write_b16 v7, v4
.LBB23_94:
	s_or_b64 exec, exec, s[10:11]
	s_waitcnt lgkmcnt(0)
	s_barrier
	s_and_saveexec_b64 s[4:5], vcc
	s_cbranch_execz .LBB23_99
; %bb.95:
	s_and_saveexec_b64 s[4:5], s[0:1]
	s_cbranch_execz .LBB23_97
; %bb.96:
	v_mad_u64_u32 v[4:5], s[0:1], v2, s6, 0
	ds_read_b32 v7, v12
	v_mov_b32_e32 v12, v5
	v_mad_u64_u32 v[12:13], s[0:1], v2, s7, v[12:13]
	v_mov_b32_e32 v5, v12
	v_lshlrev_b64 v[4:5], 2, v[4:5]
	v_add_co_u32_e32 v4, vcc, v10, v4
	v_addc_co_u32_e32 v5, vcc, v11, v5, vcc
	s_waitcnt lgkmcnt(0)
	global_store_dword v[4:5], v7, off
	v_mad_u64_u32 v[4:5], s[0:1], v2, s8, 0
	v_mov_b32_e32 v14, v5
	ds_read_b64 v[12:13], v3
	v_mad_u64_u32 v[2:3], s[0:1], v2, s9, v[14:15]
	v_mov_b32_e32 v5, v2
	v_lshlrev_b64 v[2:3], 3, v[4:5]
	v_add_co_u32_e32 v2, vcc, v8, v2
	v_addc_co_u32_e32 v3, vcc, v9, v3, vcc
	s_waitcnt lgkmcnt(0)
	global_store_dwordx2 v[2:3], v[12:13], off
.LBB23_97:
	s_or_b64 exec, exec, s[4:5]
	s_and_b64 exec, exec, s[2:3]
	s_cbranch_execz .LBB23_99
; %bb.98:
	v_mad_u64_u32 v[2:3], s[0:1], v0, s6, 0
	v_mov_b32_e32 v4, v3
	ds_read_b32 v6, v6
	v_mad_u64_u32 v[4:5], s[0:1], v0, s7, v[4:5]
	v_mov_b32_e32 v3, v4
	ds_read_b64 v[4:5], v1
	v_lshlrev_b64 v[2:3], 2, v[2:3]
	v_add_co_u32_e32 v2, vcc, v10, v2
	v_addc_co_u32_e32 v3, vcc, v11, v3, vcc
	s_waitcnt lgkmcnt(1)
	global_store_dword v[2:3], v6, off
	v_mad_u64_u32 v[2:3], s[0:1], v0, s8, 0
	v_mov_b32_e32 v6, v3
	v_mad_u64_u32 v[0:1], s[0:1], v0, s9, v[6:7]
	v_mov_b32_e32 v3, v0
	v_lshlrev_b64 v[0:1], 3, v[2:3]
	v_add_co_u32_e32 v0, vcc, v8, v0
	v_addc_co_u32_e32 v1, vcc, v9, v1, vcc
	s_waitcnt lgkmcnt(0)
	global_store_dwordx2 v[0:1], v[4:5], off
.LBB23_99:
	s_endpgm
.LBB23_100:
	ds_read_u8 v23, v7
	s_andn2_b64 s[10:11], s[10:11], exec
	s_mov_b32 s14, 1
	s_waitcnt lgkmcnt(0)
	v_and_b32_e32 v23, 1, v23
	v_cmp_eq_u32_e64 s[4:5], 1, v23
	s_xor_b64 s[4:5], s[4:5], -1
	s_and_b64 s[4:5], s[4:5], exec
	s_or_b64 s[10:11], s[10:11], s[4:5]
	s_or_b64 exec, exec, s[12:13]
	v_mov_b32_e32 v23, s14
	s_and_saveexec_b64 s[4:5], s[10:11]
	s_cbranch_execz .LBB23_35
.LBB23_101:
	ds_read_u8 v23, v7 offset:1
	s_waitcnt lgkmcnt(0)
	v_xor_b32_e32 v23, 1, v23
	s_or_b64 exec, exec, s[4:5]
	v_cmp_eq_u32_e64 s[4:5], v23, v22
	s_and_saveexec_b64 s[10:11], s[4:5]
	s_cbranch_execnz .LBB23_36
	s_branch .LBB23_37
.LBB23_102:
	ds_read_u8 v26, v16
	s_andn2_b64 s[10:11], s[10:11], exec
	s_mov_b32 s14, 1
	s_waitcnt lgkmcnt(0)
	v_and_b32_e32 v26, 1, v26
	v_cmp_eq_u32_e64 s[4:5], 1, v26
	s_xor_b64 s[4:5], s[4:5], -1
	s_and_b64 s[4:5], s[4:5], exec
	s_or_b64 s[10:11], s[10:11], s[4:5]
	s_or_b64 exec, exec, s[12:13]
	v_mov_b32_e32 v26, s14
	s_and_saveexec_b64 s[4:5], s[10:11]
	s_cbranch_execz .LBB23_45
.LBB23_103:
	ds_read_u8 v26, v16 offset:2
	s_waitcnt lgkmcnt(0)
	v_xor_b32_e32 v26, 1, v26
	s_or_b64 exec, exec, s[4:5]
	v_cmp_eq_u32_e64 s[4:5], v26, v25
	s_and_saveexec_b64 s[10:11], s[4:5]
	s_cbranch_execnz .LBB23_46
	s_branch .LBB23_47
.LBB23_104:
	ds_read_u8 v26, v7
	s_andn2_b64 s[10:11], s[10:11], exec
	s_mov_b32 s14, 1
	s_waitcnt lgkmcnt(0)
	v_and_b32_e32 v26, 1, v26
	v_cmp_eq_u32_e64 s[4:5], 1, v26
	s_xor_b64 s[4:5], s[4:5], -1
	s_and_b64 s[4:5], s[4:5], exec
	s_or_b64 s[10:11], s[10:11], s[4:5]
	s_or_b64 exec, exec, s[12:13]
	v_mov_b32_e32 v26, s14
	s_and_saveexec_b64 s[4:5], s[10:11]
	s_cbranch_execz .LBB23_49
.LBB23_105:
	ds_read_u8 v26, v7 offset:1
	s_waitcnt lgkmcnt(0)
	v_xor_b32_e32 v26, 1, v26
	s_or_b64 exec, exec, s[4:5]
	v_cmp_eq_u32_e64 s[4:5], v26, v25
	s_and_saveexec_b64 s[10:11], s[4:5]
	s_cbranch_execnz .LBB23_50
	s_branch .LBB23_51
.LBB23_106:
	ds_read_u8 v29, v23
	s_andn2_b64 s[10:11], s[10:11], exec
	s_mov_b32 s14, 1
	s_waitcnt lgkmcnt(0)
	v_and_b32_e32 v29, 1, v29
	v_cmp_eq_u32_e64 s[4:5], 1, v29
	s_xor_b64 s[4:5], s[4:5], -1
	s_and_b64 s[4:5], s[4:5], exec
	s_or_b64 s[10:11], s[10:11], s[4:5]
	s_or_b64 exec, exec, s[12:13]
	v_mov_b32_e32 v29, s14
	s_and_saveexec_b64 s[4:5], s[10:11]
	s_cbranch_execz .LBB23_59
.LBB23_107:
	ds_read_u8 v29, v23 offset:4
	s_waitcnt lgkmcnt(0)
	v_xor_b32_e32 v29, 1, v29
	s_or_b64 exec, exec, s[4:5]
	v_cmp_eq_u32_e64 s[4:5], v29, v28
	s_and_saveexec_b64 s[10:11], s[4:5]
	s_cbranch_execnz .LBB23_60
	s_branch .LBB23_61
.LBB23_108:
	ds_read_u8 v29, v16
	s_andn2_b64 s[10:11], s[10:11], exec
	s_mov_b32 s14, 1
	s_waitcnt lgkmcnt(0)
	v_and_b32_e32 v29, 1, v29
	v_cmp_eq_u32_e64 s[4:5], 1, v29
	s_xor_b64 s[4:5], s[4:5], -1
	s_and_b64 s[4:5], s[4:5], exec
	s_or_b64 s[10:11], s[10:11], s[4:5]
	s_or_b64 exec, exec, s[12:13]
	v_mov_b32_e32 v29, s14
	s_and_saveexec_b64 s[4:5], s[10:11]
	s_cbranch_execz .LBB23_63
.LBB23_109:
	ds_read_u8 v29, v16 offset:2
	s_waitcnt lgkmcnt(0)
	v_xor_b32_e32 v29, 1, v29
	s_or_b64 exec, exec, s[4:5]
	v_cmp_eq_u32_e64 s[4:5], v29, v28
	s_and_saveexec_b64 s[10:11], s[4:5]
	s_cbranch_execnz .LBB23_64
	s_branch .LBB23_65
.LBB23_110:
	ds_read_u8 v29, v7
	s_andn2_b64 s[10:11], s[10:11], exec
	s_mov_b32 s14, 1
	s_waitcnt lgkmcnt(0)
	v_and_b32_e32 v29, 1, v29
	v_cmp_eq_u32_e64 s[4:5], 1, v29
	s_xor_b64 s[4:5], s[4:5], -1
	s_and_b64 s[4:5], s[4:5], exec
	s_or_b64 s[10:11], s[10:11], s[4:5]
	s_or_b64 exec, exec, s[12:13]
	v_mov_b32_e32 v29, s14
	s_and_saveexec_b64 s[4:5], s[10:11]
	s_cbranch_execz .LBB23_67
.LBB23_111:
	ds_read_u8 v29, v7 offset:1
	s_waitcnt lgkmcnt(0)
	v_xor_b32_e32 v29, 1, v29
	s_or_b64 exec, exec, s[4:5]
	v_cmp_eq_u32_e64 s[4:5], v29, v28
	s_and_saveexec_b64 s[10:11], s[4:5]
	s_cbranch_execnz .LBB23_68
	s_branch .LBB23_69
	.section	.rodata,"a",@progbits
	.p2align	6, 0x0
	.amdhsa_kernel _ZN2at6native20bitonicSortKVInPlaceILin1ELin1ELi16ELi16EilNS0_4GTOpIiLb1EEEmEEvNS_4cuda6detail10TensorInfoIT3_T6_EES8_S8_S8_NS6_IT4_S8_EES8_T5_
		.amdhsa_group_segment_fixed_size 6656
		.amdhsa_private_segment_fixed_size 0
		.amdhsa_kernarg_size 1128
		.amdhsa_user_sgpr_count 6
		.amdhsa_user_sgpr_private_segment_buffer 1
		.amdhsa_user_sgpr_dispatch_ptr 0
		.amdhsa_user_sgpr_queue_ptr 0
		.amdhsa_user_sgpr_kernarg_segment_ptr 1
		.amdhsa_user_sgpr_dispatch_id 0
		.amdhsa_user_sgpr_flat_scratch_init 0
		.amdhsa_user_sgpr_kernarg_preload_length 0
		.amdhsa_user_sgpr_kernarg_preload_offset 0
		.amdhsa_user_sgpr_private_segment_size 0
		.amdhsa_uses_dynamic_stack 0
		.amdhsa_system_sgpr_private_segment_wavefront_offset 0
		.amdhsa_system_sgpr_workgroup_id_x 1
		.amdhsa_system_sgpr_workgroup_id_y 1
		.amdhsa_system_sgpr_workgroup_id_z 1
		.amdhsa_system_sgpr_workgroup_info 0
		.amdhsa_system_vgpr_workitem_id 1
		.amdhsa_next_free_vgpr 35
		.amdhsa_next_free_sgpr 21
		.amdhsa_accum_offset 36
		.amdhsa_reserve_vcc 1
		.amdhsa_reserve_flat_scratch 0
		.amdhsa_float_round_mode_32 0
		.amdhsa_float_round_mode_16_64 0
		.amdhsa_float_denorm_mode_32 3
		.amdhsa_float_denorm_mode_16_64 3
		.amdhsa_dx10_clamp 1
		.amdhsa_ieee_mode 1
		.amdhsa_fp16_overflow 0
		.amdhsa_tg_split 0
		.amdhsa_exception_fp_ieee_invalid_op 0
		.amdhsa_exception_fp_denorm_src 0
		.amdhsa_exception_fp_ieee_div_zero 0
		.amdhsa_exception_fp_ieee_overflow 0
		.amdhsa_exception_fp_ieee_underflow 0
		.amdhsa_exception_fp_ieee_inexact 0
		.amdhsa_exception_int_div_zero 0
	.end_amdhsa_kernel
	.section	.text._ZN2at6native20bitonicSortKVInPlaceILin1ELin1ELi16ELi16EilNS0_4GTOpIiLb1EEEmEEvNS_4cuda6detail10TensorInfoIT3_T6_EES8_S8_S8_NS6_IT4_S8_EES8_T5_,"axG",@progbits,_ZN2at6native20bitonicSortKVInPlaceILin1ELin1ELi16ELi16EilNS0_4GTOpIiLb1EEEmEEvNS_4cuda6detail10TensorInfoIT3_T6_EES8_S8_S8_NS6_IT4_S8_EES8_T5_,comdat
.Lfunc_end23:
	.size	_ZN2at6native20bitonicSortKVInPlaceILin1ELin1ELi16ELi16EilNS0_4GTOpIiLb1EEEmEEvNS_4cuda6detail10TensorInfoIT3_T6_EES8_S8_S8_NS6_IT4_S8_EES8_T5_, .Lfunc_end23-_ZN2at6native20bitonicSortKVInPlaceILin1ELin1ELi16ELi16EilNS0_4GTOpIiLb1EEEmEEvNS_4cuda6detail10TensorInfoIT3_T6_EES8_S8_S8_NS6_IT4_S8_EES8_T5_
                                        ; -- End function
	.section	.AMDGPU.csdata,"",@progbits
; Kernel info:
; codeLenInByte = 6528
; NumSgprs: 25
; NumVgprs: 35
; NumAgprs: 0
; TotalNumVgprs: 35
; ScratchSize: 0
; MemoryBound: 0
; FloatMode: 240
; IeeeMode: 1
; LDSByteSize: 6656 bytes/workgroup (compile time only)
; SGPRBlocks: 3
; VGPRBlocks: 4
; NumSGPRsForWavesPerEU: 25
; NumVGPRsForWavesPerEU: 35
; AccumOffset: 36
; Occupancy: 8
; WaveLimiterHint : 1
; COMPUTE_PGM_RSRC2:SCRATCH_EN: 0
; COMPUTE_PGM_RSRC2:USER_SGPR: 6
; COMPUTE_PGM_RSRC2:TRAP_HANDLER: 0
; COMPUTE_PGM_RSRC2:TGID_X_EN: 1
; COMPUTE_PGM_RSRC2:TGID_Y_EN: 1
; COMPUTE_PGM_RSRC2:TGID_Z_EN: 1
; COMPUTE_PGM_RSRC2:TIDIG_COMP_CNT: 1
; COMPUTE_PGM_RSRC3_GFX90A:ACCUM_OFFSET: 8
; COMPUTE_PGM_RSRC3_GFX90A:TG_SPLIT: 0
	.section	.text._ZN2at6native20bitonicSortKVInPlaceILin2ELin1ELi16ELi16EllNS0_4LTOpIlLb1EEEjEEvNS_4cuda6detail10TensorInfoIT3_T6_EES8_S8_S8_NS6_IT4_S8_EES8_T5_,"axG",@progbits,_ZN2at6native20bitonicSortKVInPlaceILin2ELin1ELi16ELi16EllNS0_4LTOpIlLb1EEEjEEvNS_4cuda6detail10TensorInfoIT3_T6_EES8_S8_S8_NS6_IT4_S8_EES8_T5_,comdat
	.protected	_ZN2at6native20bitonicSortKVInPlaceILin2ELin1ELi16ELi16EllNS0_4LTOpIlLb1EEEjEEvNS_4cuda6detail10TensorInfoIT3_T6_EES8_S8_S8_NS6_IT4_S8_EES8_T5_ ; -- Begin function _ZN2at6native20bitonicSortKVInPlaceILin2ELin1ELi16ELi16EllNS0_4LTOpIlLb1EEEjEEvNS_4cuda6detail10TensorInfoIT3_T6_EES8_S8_S8_NS6_IT4_S8_EES8_T5_
	.globl	_ZN2at6native20bitonicSortKVInPlaceILin2ELin1ELi16ELi16EllNS0_4LTOpIlLb1EEEjEEvNS_4cuda6detail10TensorInfoIT3_T6_EES8_S8_S8_NS6_IT4_S8_EES8_T5_
	.p2align	8
	.type	_ZN2at6native20bitonicSortKVInPlaceILin2ELin1ELi16ELi16EllNS0_4LTOpIlLb1EEEjEEvNS_4cuda6detail10TensorInfoIT3_T6_EES8_S8_S8_NS6_IT4_S8_EES8_T5_,@function
_ZN2at6native20bitonicSortKVInPlaceILin2ELin1ELi16ELi16EllNS0_4LTOpIlLb1EEEjEEvNS_4cuda6detail10TensorInfoIT3_T6_EES8_S8_S8_NS6_IT4_S8_EES8_T5_: ; @_ZN2at6native20bitonicSortKVInPlaceILin2ELin1ELi16ELi16EllNS0_4LTOpIlLb1EEEjEEvNS_4cuda6detail10TensorInfoIT3_T6_EES8_S8_S8_NS6_IT4_S8_EES8_T5_
; %bb.0:
	s_load_dwordx2 s[2:3], s[4:5], 0x1c8
	s_load_dwordx4 s[12:15], s[4:5], 0xd8
	s_load_dword s9, s[4:5], 0x1d4
	s_add_u32 s0, s4, 0x1c8
	s_addc_u32 s1, s5, 0
	s_waitcnt lgkmcnt(0)
	s_mul_i32 s3, s3, s8
	s_add_i32 s3, s3, s7
	s_mul_i32 s2, s3, s2
	s_add_i32 s8, s2, s6
	s_lshr_b32 s2, s9, 16
	s_mul_i32 s8, s8, s2
	s_cmp_ge_u32 s8, s12
	s_cbranch_scc1 .LBB24_86
; %bb.1:
	s_load_dwordx2 s[6:7], s[4:5], 0x0
	s_load_dword s9, s[4:5], 0x1b8
	s_add_u32 s2, s4, 0xe8
	v_bfe_u32 v7, v0, 10, 10
	s_addc_u32 s3, s5, 0
	v_add_u32_e32 v1, s8, v7
	s_waitcnt lgkmcnt(0)
	s_cmp_lt_i32 s9, 2
	v_mov_b32_e32 v2, 0
	v_mov_b32_e32 v4, v1
	s_cbranch_scc1 .LBB24_4
; %bb.2:
	s_add_i32 s10, s9, 1
	s_add_i32 s8, s9, -1
	s_mov_b32 s9, 0
	s_lshl_b64 s[8:9], s[8:9], 2
	s_add_u32 s8, s8, s2
	s_addc_u32 s9, s9, s3
	s_add_u32 s8, s8, 8
	s_addc_u32 s9, s9, 0
	v_mov_b32_e32 v2, 0
	v_mov_b32_e32 v4, v1
.LBB24_3:                               ; =>This Inner Loop Header: Depth=1
	s_load_dword s11, s[8:9], 0x0
	s_load_dword s15, s[8:9], 0x64
	v_mov_b32_e32 v3, v4
	s_add_i32 s10, s10, -1
	s_waitcnt lgkmcnt(0)
	v_cvt_f32_u32_e32 v4, s11
	s_sub_i32 s16, 0, s11
	s_add_u32 s8, s8, -4
	s_addc_u32 s9, s9, -1
	v_rcp_iflag_f32_e32 v4, v4
	s_cmp_gt_u32 s10, 2
	v_mul_f32_e32 v4, 0x4f7ffffe, v4
	v_cvt_u32_f32_e32 v4, v4
	v_mul_lo_u32 v5, s16, v4
	v_mul_hi_u32 v5, v4, v5
	v_add_u32_e32 v4, v4, v5
	v_mul_hi_u32 v4, v3, v4
	v_mul_lo_u32 v5, v4, s11
	v_sub_u32_e32 v5, v3, v5
	v_add_u32_e32 v6, 1, v4
	v_cmp_le_u32_e32 vcc, s11, v5
	v_cndmask_b32_e32 v4, v4, v6, vcc
	v_subrev_u32_e32 v6, s11, v5
	v_cndmask_b32_e32 v5, v5, v6, vcc
	v_add_u32_e32 v6, 1, v4
	v_cmp_le_u32_e32 vcc, s11, v5
	v_cndmask_b32_e32 v4, v4, v6, vcc
	v_mul_lo_u32 v5, v4, s11
	v_sub_u32_e32 v3, v3, v5
	v_mad_u64_u32 v[2:3], s[16:17], s15, v3, v[2:3]
	s_cbranch_scc1 .LBB24_3
.LBB24_4:
	s_load_dword s8, s[4:5], 0x6c
	s_load_dword s15, s[4:5], 0x1c0
	;; [unrolled: 1-line block ×3, first 2 shown]
	v_cmp_gt_u32_e32 vcc, s12, v1
	s_load_dword s12, s[0:1], 0xc
	s_waitcnt lgkmcnt(0)
	v_mul_lo_u32 v6, s8, v1
	s_load_dwordx2 s[8:9], s[2:3], 0x0
	v_mad_u64_u32 v[4:5], s[2:3], s10, v4, v[2:3]
	v_and_b32_e32 v5, 0x3ff, v0
	v_cmp_gt_u32_e64 s[0:1], s13, v5
	v_pk_mov_b32 v[0:1], 0, 0
	s_and_b64 s[4:5], vcc, s[0:1]
	v_pk_mov_b32 v[2:3], v[0:1], v[0:1] op_sel:[0,1]
	v_pk_mov_b32 v[8:9], v[0:1], v[0:1] op_sel:[0,1]
	s_and_saveexec_b64 s[10:11], s[4:5]
	s_cbranch_execz .LBB24_6
; %bb.5:
	v_mad_u64_u32 v[8:9], s[2:3], v5, s14, v[6:7]
	v_mov_b32_e32 v9, 0
	v_lshlrev_b64 v[2:3], 3, v[8:9]
	v_mov_b32_e32 v8, s7
	v_add_co_u32_e64 v2, s[2:3], s6, v2
	v_addc_co_u32_e64 v3, s[2:3], v8, v3, s[2:3]
	v_mad_u64_u32 v[10:11], s[2:3], v5, s15, v[4:5]
	v_mov_b32_e32 v11, v9
	v_lshlrev_b64 v[8:9], 3, v[10:11]
	s_waitcnt lgkmcnt(0)
	v_mov_b32_e32 v10, s9
	v_add_co_u32_e64 v8, s[2:3], s8, v8
	v_addc_co_u32_e64 v9, s[2:3], v10, v9, s[2:3]
	global_load_dwordx2 v[2:3], v[2:3], off
	s_nop 0
	global_load_dwordx2 v[8:9], v[8:9], off
.LBB24_6:
	s_or_b64 exec, exec, s[10:11]
	s_and_b32 s16, 0xffff, s12
	v_lshlrev_b32_e32 v19, 8, v7
	v_mov_b32_e32 v10, 0x2000
	v_lshlrev_b32_e32 v12, 3, v5
	v_lshl_add_u32 v18, v7, 5, v10
	v_add_u32_e32 v11, v19, v12
	v_add_u32_e32 v7, s16, v5
	v_cndmask_b32_e64 v13, 0, 1, s[4:5]
	v_add_u32_e32 v15, 0x1000, v19
	s_waitcnt vmcnt(1)
	ds_write_b64 v11, v[2:3]
	v_add_u32_e32 v2, v18, v5
	v_cmp_gt_u32_e64 s[2:3], s13, v7
	v_add_u32_e32 v10, v15, v12
	ds_write_b8 v2, v13
	s_and_b64 s[10:11], vcc, s[2:3]
	v_pk_mov_b32 v[2:3], v[0:1], v[0:1] op_sel:[0,1]
	s_waitcnt vmcnt(0)
	ds_write_b64 v10, v[8:9]
	s_and_saveexec_b64 s[12:13], s[10:11]
	s_cbranch_execz .LBB24_8
; %bb.7:
	v_mad_u64_u32 v[2:3], s[4:5], v7, s14, v[6:7]
	v_mov_b32_e32 v3, 0
	v_lshlrev_b64 v[0:1], 3, v[2:3]
	v_mov_b32_e32 v2, s7
	v_add_co_u32_e64 v0, s[4:5], s6, v0
	v_addc_co_u32_e64 v1, s[4:5], v2, v1, s[4:5]
	v_mad_u64_u32 v[8:9], s[4:5], v7, s15, v[4:5]
	v_mov_b32_e32 v9, v3
	v_lshlrev_b64 v[2:3], 3, v[8:9]
	s_waitcnt lgkmcnt(0)
	v_mov_b32_e32 v8, s9
	v_add_co_u32_e64 v2, s[4:5], s8, v2
	v_addc_co_u32_e64 v3, s[4:5], v8, v3, s[4:5]
	global_load_dwordx2 v[0:1], v[0:1], off
	s_nop 0
	global_load_dwordx2 v[2:3], v[2:3], off
.LBB24_8:
	s_or_b64 exec, exec, s[12:13]
	s_lshl_b32 s4, s16, 3
	v_add_u32_e32 v9, s4, v11
	v_cndmask_b32_e64 v13, 0, 1, s[10:11]
	s_waitcnt vmcnt(1)
	ds_write_b64 v9, v[0:1]
	v_add_u32_e32 v0, v18, v7
	v_add_u32_e32 v8, s4, v10
	ds_write_b8 v0, v13
	v_add_u32_e32 v13, v11, v12
	s_waitcnt vmcnt(0)
	ds_write_b64 v8, v[2:3]
	s_waitcnt lgkmcnt(0)
	s_barrier
	ds_read_b128 v[0:3], v13
	v_lshlrev_b32_e32 v21, 1, v5
	s_mov_b32 s16, 1
	v_add_u32_e32 v14, v18, v21
	s_waitcnt lgkmcnt(0)
	v_cmp_ge_i64_e64 s[10:11], v[0:1], v[2:3]
	v_cmp_lt_i64_e64 s[4:5], v[0:1], v[2:3]
	s_and_saveexec_b64 s[12:13], s[4:5]
	s_xor_b64 s[12:13], exec, s[12:13]
	s_cbranch_execz .LBB24_10
; %bb.9:
	ds_read_u8 v16, v14
	s_andn2_b64 s[10:11], s[10:11], exec
	s_waitcnt lgkmcnt(0)
	v_and_b32_e32 v16, 1, v16
	v_cmp_eq_u32_e64 s[4:5], 1, v16
	s_xor_b64 s[4:5], s[4:5], -1
	s_and_b64 s[4:5], s[4:5], exec
	s_or_b64 s[10:11], s[10:11], s[4:5]
.LBB24_10:
	s_or_b64 exec, exec, s[12:13]
	v_mov_b32_e32 v17, s16
	s_and_saveexec_b64 s[4:5], s[10:11]
	s_cbranch_execz .LBB24_12
; %bb.11:
	ds_read_u8 v16, v14 offset:1
	s_waitcnt lgkmcnt(0)
	v_xor_b32_e32 v17, 1, v16
.LBB24_12:
	s_or_b64 exec, exec, s[4:5]
	v_and_b32_e32 v16, 1, v5
	v_cmp_eq_u32_e64 s[4:5], v17, v16
	s_and_saveexec_b64 s[10:11], s[4:5]
	s_cbranch_execz .LBB24_14
; %bb.13:
	v_add_u32_e32 v17, v10, v12
	ds_read_b128 v[26:29], v17
	ds_read_u16 v20, v14
	v_mov_b32_e32 v22, v2
	v_mov_b32_e32 v23, v3
	v_mov_b32_e32 v24, v0
	v_mov_b32_e32 v25, v1
	s_waitcnt lgkmcnt(1)
	v_mov_b32_e32 v0, v28
	v_mov_b32_e32 v1, v29
	;; [unrolled: 1-line block ×4, first 2 shown]
	s_mov_b32 s4, 0xc0c0001
	ds_write_b128 v17, v[0:3]
	s_waitcnt lgkmcnt(1)
	v_perm_b32 v0, 0, v20, s4
	ds_write_b128 v13, v[22:25]
	ds_write_b16 v14, v0
.LBB24_14:
	s_or_b64 exec, exec, s[10:11]
	v_sub_u32_e32 v20, v21, v16
	v_lshl_add_u32 v16, v20, 3, v19
	s_waitcnt lgkmcnt(0)
	s_barrier
	ds_read2_b64 v[0:3], v16 offset1:2
	s_mov_b64 s[10:11], -1
	v_add_u32_e32 v17, v18, v20
                                        ; implicit-def: $sgpr16
	s_waitcnt lgkmcnt(0)
	v_cmp_lt_i64_e64 s[4:5], v[0:1], v[2:3]
	s_and_saveexec_b64 s[12:13], s[4:5]
	s_xor_b64 s[12:13], exec, s[12:13]
	s_cbranch_execz .LBB24_16
; %bb.15:
	ds_read_u8 v22, v17
	s_mov_b32 s16, 1
	s_waitcnt lgkmcnt(0)
	v_and_b32_e32 v22, 1, v22
	v_cmp_eq_u32_e64 s[4:5], 1, v22
	s_xor_b64 s[4:5], s[4:5], -1
	s_orn2_b64 s[10:11], s[4:5], exec
.LBB24_16:
	s_or_b64 exec, exec, s[12:13]
	v_mov_b32_e32 v23, s16
	s_and_saveexec_b64 s[4:5], s[10:11]
	s_cbranch_execz .LBB24_18
; %bb.17:
	ds_read_u8 v22, v17 offset:2
	s_waitcnt lgkmcnt(0)
	v_xor_b32_e32 v23, 1, v22
.LBB24_18:
	s_or_b64 exec, exec, s[4:5]
	v_bfe_u32 v22, v5, 1, 1
	v_lshl_add_u32 v20, v20, 3, v15
	v_cmp_eq_u32_e64 s[4:5], v23, v22
	s_and_saveexec_b64 s[10:11], s[4:5]
	s_cbranch_execz .LBB24_20
; %bb.19:
	ds_read2_b64 v[24:27], v20 offset1:2
	ds_read_u8 v23, v17 offset:2
	ds_read_u8 v28, v17
	ds_write2_b64 v16, v[2:3], v[0:1] offset1:2
	s_waitcnt lgkmcnt(3)
	ds_write2_b64 v20, v[26:27], v[24:25] offset1:2
	s_waitcnt lgkmcnt(3)
	ds_write_b8 v17, v23
	s_waitcnt lgkmcnt(3)
	ds_write_b8 v17, v28 offset:2
.LBB24_20:
	s_or_b64 exec, exec, s[10:11]
	s_waitcnt lgkmcnt(0)
	s_barrier
	ds_read_b128 v[0:3], v13
                                        ; implicit-def: $sgpr16
	s_waitcnt lgkmcnt(0)
	v_cmp_ge_i64_e64 s[10:11], v[0:1], v[2:3]
	v_cmp_lt_i64_e64 s[4:5], v[0:1], v[2:3]
	s_and_saveexec_b64 s[12:13], s[4:5]
	s_cbranch_execnz .LBB24_87
; %bb.21:
	s_or_b64 exec, exec, s[12:13]
	v_mov_b32_e32 v23, s16
	s_and_saveexec_b64 s[4:5], s[10:11]
	s_cbranch_execnz .LBB24_88
.LBB24_22:
	s_or_b64 exec, exec, s[4:5]
	v_cmp_eq_u32_e64 s[4:5], v23, v22
	s_and_saveexec_b64 s[10:11], s[4:5]
	s_cbranch_execz .LBB24_24
.LBB24_23:
	v_add_u32_e32 v30, v10, v12
	v_mov_b32_e32 v22, v2
	v_mov_b32_e32 v23, v3
	ds_read_b128 v[26:29], v30
	v_mov_b32_e32 v24, v0
	v_mov_b32_e32 v25, v1
	ds_write_b128 v13, v[22:25]
	ds_read_u16 v22, v14
	s_waitcnt lgkmcnt(2)
	v_mov_b32_e32 v0, v28
	v_mov_b32_e32 v1, v29
	;; [unrolled: 1-line block ×4, first 2 shown]
	s_mov_b32 s4, 0xc0c0001
	ds_write_b128 v30, v[0:3]
	s_waitcnt lgkmcnt(1)
	v_perm_b32 v0, 0, v22, s4
	ds_write_b16 v14, v0
.LBB24_24:
	s_or_b64 exec, exec, s[10:11]
	v_and_b32_e32 v0, 3, v5
	v_sub_u32_e32 v24, v21, v0
	v_lshl_add_u32 v22, v24, 3, v19
	s_waitcnt lgkmcnt(0)
	s_barrier
	ds_read2_b64 v[0:3], v22 offset1:4
	v_add_u32_e32 v23, v18, v24
                                        ; implicit-def: $sgpr16
	s_waitcnt lgkmcnt(0)
	v_cmp_ge_i64_e64 s[10:11], v[0:1], v[2:3]
	v_cmp_lt_i64_e64 s[4:5], v[0:1], v[2:3]
	s_and_saveexec_b64 s[12:13], s[4:5]
	s_cbranch_execz .LBB24_26
; %bb.25:
	ds_read_u8 v25, v23
	s_andn2_b64 s[10:11], s[10:11], exec
	s_mov_b32 s16, 1
	s_waitcnt lgkmcnt(0)
	v_and_b32_e32 v25, 1, v25
	v_cmp_eq_u32_e64 s[4:5], 1, v25
	s_xor_b64 s[4:5], s[4:5], -1
	s_and_b64 s[4:5], s[4:5], exec
	s_or_b64 s[10:11], s[10:11], s[4:5]
.LBB24_26:
	s_or_b64 exec, exec, s[12:13]
	v_mov_b32_e32 v26, s16
	s_and_saveexec_b64 s[4:5], s[10:11]
	s_cbranch_execz .LBB24_28
; %bb.27:
	ds_read_u8 v25, v23 offset:4
	s_waitcnt lgkmcnt(0)
	v_xor_b32_e32 v26, 1, v25
.LBB24_28:
	s_or_b64 exec, exec, s[4:5]
	v_bfe_u32 v25, v5, 2, 1
	v_lshl_add_u32 v24, v24, 3, v15
	v_cmp_eq_u32_e64 s[4:5], v26, v25
	s_and_saveexec_b64 s[10:11], s[4:5]
	s_cbranch_execz .LBB24_30
; %bb.29:
	ds_read2_b64 v[26:29], v24 offset1:4
	ds_read_u8 v30, v23 offset:4
	ds_read_u8 v31, v23
	ds_write2_b64 v22, v[2:3], v[0:1] offset1:4
	s_waitcnt lgkmcnt(3)
	ds_write2_b64 v24, v[28:29], v[26:27] offset1:4
	s_waitcnt lgkmcnt(3)
	ds_write_b8 v23, v30
	s_waitcnt lgkmcnt(3)
	ds_write_b8 v23, v31 offset:4
.LBB24_30:
	s_or_b64 exec, exec, s[10:11]
	s_waitcnt lgkmcnt(0)
	s_barrier
	ds_read2_b64 v[0:3], v16 offset1:2
                                        ; implicit-def: $sgpr16
	s_waitcnt lgkmcnt(0)
	v_cmp_ge_i64_e64 s[10:11], v[0:1], v[2:3]
	v_cmp_lt_i64_e64 s[4:5], v[0:1], v[2:3]
	s_and_saveexec_b64 s[12:13], s[4:5]
	s_cbranch_execnz .LBB24_89
; %bb.31:
	s_or_b64 exec, exec, s[12:13]
	v_mov_b32_e32 v26, s16
	s_and_saveexec_b64 s[4:5], s[10:11]
	s_cbranch_execnz .LBB24_90
.LBB24_32:
	s_or_b64 exec, exec, s[4:5]
	v_cmp_eq_u32_e64 s[4:5], v26, v25
	s_and_saveexec_b64 s[10:11], s[4:5]
	s_cbranch_execz .LBB24_34
.LBB24_33:
	ds_read2_b64 v[26:29], v20 offset1:2
	ds_read_u8 v30, v17 offset:2
	ds_read_u8 v31, v17
	ds_write2_b64 v16, v[2:3], v[0:1] offset1:2
	s_waitcnt lgkmcnt(3)
	ds_write2_b64 v20, v[28:29], v[26:27] offset1:2
	s_waitcnt lgkmcnt(3)
	ds_write_b8 v17, v30
	s_waitcnt lgkmcnt(3)
	ds_write_b8 v17, v31 offset:2
.LBB24_34:
	s_or_b64 exec, exec, s[10:11]
	s_waitcnt lgkmcnt(0)
	s_barrier
	ds_read_b128 v[0:3], v13
                                        ; implicit-def: $sgpr16
	s_waitcnt lgkmcnt(0)
	v_cmp_ge_i64_e64 s[10:11], v[0:1], v[2:3]
	v_cmp_lt_i64_e64 s[4:5], v[0:1], v[2:3]
	s_and_saveexec_b64 s[12:13], s[4:5]
	s_cbranch_execnz .LBB24_91
; %bb.35:
	s_or_b64 exec, exec, s[12:13]
	v_mov_b32_e32 v26, s16
	s_and_saveexec_b64 s[4:5], s[10:11]
	s_cbranch_execnz .LBB24_92
.LBB24_36:
	s_or_b64 exec, exec, s[4:5]
	v_cmp_eq_u32_e64 s[4:5], v26, v25
	s_and_saveexec_b64 s[10:11], s[4:5]
	s_cbranch_execz .LBB24_38
.LBB24_37:
	v_add_u32_e32 v25, v10, v12
	v_mov_b32_e32 v26, v2
	v_mov_b32_e32 v27, v3
	ds_read_b128 v[30:33], v25
	v_mov_b32_e32 v28, v0
	v_mov_b32_e32 v29, v1
	ds_write_b128 v13, v[26:29]
	ds_read_u16 v26, v14
	s_waitcnt lgkmcnt(2)
	v_mov_b32_e32 v0, v32
	v_mov_b32_e32 v1, v33
	;; [unrolled: 1-line block ×4, first 2 shown]
	s_mov_b32 s4, 0xc0c0001
	ds_write_b128 v25, v[0:3]
	s_waitcnt lgkmcnt(1)
	v_perm_b32 v0, 0, v26, s4
	ds_write_b16 v14, v0
.LBB24_38:
	s_or_b64 exec, exec, s[10:11]
	v_and_b32_e32 v0, 7, v5
	v_sub_u32_e32 v27, v21, v0
	v_lshl_add_u32 v25, v27, 3, v19
	s_waitcnt lgkmcnt(0)
	s_barrier
	ds_read2_b64 v[0:3], v25 offset1:8
	v_add_u32_e32 v26, v18, v27
                                        ; implicit-def: $sgpr16
	s_waitcnt lgkmcnt(0)
	v_cmp_ge_i64_e64 s[10:11], v[0:1], v[2:3]
	v_cmp_lt_i64_e64 s[4:5], v[0:1], v[2:3]
	s_and_saveexec_b64 s[12:13], s[4:5]
	s_cbranch_execz .LBB24_40
; %bb.39:
	ds_read_u8 v28, v26
	s_andn2_b64 s[10:11], s[10:11], exec
	s_mov_b32 s16, 1
	s_waitcnt lgkmcnt(0)
	v_and_b32_e32 v28, 1, v28
	v_cmp_eq_u32_e64 s[4:5], 1, v28
	s_xor_b64 s[4:5], s[4:5], -1
	s_and_b64 s[4:5], s[4:5], exec
	s_or_b64 s[10:11], s[10:11], s[4:5]
.LBB24_40:
	s_or_b64 exec, exec, s[12:13]
	v_mov_b32_e32 v29, s16
	s_and_saveexec_b64 s[4:5], s[10:11]
	s_cbranch_execz .LBB24_42
; %bb.41:
	ds_read_u8 v28, v26 offset:8
	s_waitcnt lgkmcnt(0)
	v_xor_b32_e32 v29, 1, v28
.LBB24_42:
	s_or_b64 exec, exec, s[4:5]
	v_bfe_u32 v28, v5, 3, 1
	v_lshl_add_u32 v27, v27, 3, v15
	v_cmp_eq_u32_e64 s[4:5], v29, v28
	s_and_saveexec_b64 s[10:11], s[4:5]
	s_cbranch_execz .LBB24_44
; %bb.43:
	ds_read2_b64 v[30:33], v27 offset1:8
	ds_read_u8 v29, v26 offset:8
	ds_read_u8 v34, v26
	ds_write2_b64 v25, v[2:3], v[0:1] offset1:8
	s_waitcnt lgkmcnt(3)
	ds_write2_b64 v27, v[32:33], v[30:31] offset1:8
	s_waitcnt lgkmcnt(3)
	ds_write_b8 v26, v29
	s_waitcnt lgkmcnt(3)
	ds_write_b8 v26, v34 offset:8
.LBB24_44:
	s_or_b64 exec, exec, s[10:11]
	s_waitcnt lgkmcnt(0)
	s_barrier
	ds_read2_b64 v[0:3], v22 offset1:4
                                        ; implicit-def: $sgpr16
	s_waitcnt lgkmcnt(0)
	v_cmp_ge_i64_e64 s[10:11], v[0:1], v[2:3]
	v_cmp_lt_i64_e64 s[4:5], v[0:1], v[2:3]
	s_and_saveexec_b64 s[12:13], s[4:5]
	s_cbranch_execnz .LBB24_93
; %bb.45:
	s_or_b64 exec, exec, s[12:13]
	v_mov_b32_e32 v29, s16
	s_and_saveexec_b64 s[4:5], s[10:11]
	s_cbranch_execnz .LBB24_94
.LBB24_46:
	s_or_b64 exec, exec, s[4:5]
	v_cmp_eq_u32_e64 s[4:5], v29, v28
	s_and_saveexec_b64 s[10:11], s[4:5]
	s_cbranch_execz .LBB24_48
.LBB24_47:
	ds_read2_b64 v[30:33], v24 offset1:4
	ds_read_u8 v29, v23 offset:4
	ds_read_u8 v34, v23
	ds_write2_b64 v22, v[2:3], v[0:1] offset1:4
	s_waitcnt lgkmcnt(3)
	ds_write2_b64 v24, v[32:33], v[30:31] offset1:4
	s_waitcnt lgkmcnt(3)
	ds_write_b8 v23, v29
	s_waitcnt lgkmcnt(3)
	ds_write_b8 v23, v34 offset:4
.LBB24_48:
	s_or_b64 exec, exec, s[10:11]
	s_waitcnt lgkmcnt(0)
	s_barrier
	ds_read2_b64 v[0:3], v16 offset1:2
                                        ; implicit-def: $sgpr16
	s_waitcnt lgkmcnt(0)
	v_cmp_ge_i64_e64 s[10:11], v[0:1], v[2:3]
	v_cmp_lt_i64_e64 s[4:5], v[0:1], v[2:3]
	s_and_saveexec_b64 s[12:13], s[4:5]
	s_cbranch_execnz .LBB24_95
; %bb.49:
	s_or_b64 exec, exec, s[12:13]
	v_mov_b32_e32 v29, s16
	s_and_saveexec_b64 s[4:5], s[10:11]
	s_cbranch_execnz .LBB24_96
.LBB24_50:
	s_or_b64 exec, exec, s[4:5]
	v_cmp_eq_u32_e64 s[4:5], v29, v28
	s_and_saveexec_b64 s[10:11], s[4:5]
	s_cbranch_execz .LBB24_52
.LBB24_51:
	ds_read2_b64 v[30:33], v20 offset1:2
	ds_read_u8 v29, v17 offset:2
	ds_read_u8 v34, v17
	ds_write2_b64 v16, v[2:3], v[0:1] offset1:2
	s_waitcnt lgkmcnt(3)
	ds_write2_b64 v20, v[32:33], v[30:31] offset1:2
	s_waitcnt lgkmcnt(3)
	ds_write_b8 v17, v29
	s_waitcnt lgkmcnt(3)
	ds_write_b8 v17, v34 offset:2
.LBB24_52:
	s_or_b64 exec, exec, s[10:11]
	s_waitcnt lgkmcnt(0)
	s_barrier
	ds_read_b128 v[0:3], v13
                                        ; implicit-def: $sgpr16
	s_waitcnt lgkmcnt(0)
	v_cmp_ge_i64_e64 s[10:11], v[0:1], v[2:3]
	v_cmp_lt_i64_e64 s[4:5], v[0:1], v[2:3]
	s_and_saveexec_b64 s[12:13], s[4:5]
	s_cbranch_execnz .LBB24_97
; %bb.53:
	s_or_b64 exec, exec, s[12:13]
	v_mov_b32_e32 v29, s16
	s_and_saveexec_b64 s[4:5], s[10:11]
	s_cbranch_execnz .LBB24_98
.LBB24_54:
	s_or_b64 exec, exec, s[4:5]
	v_cmp_eq_u32_e64 s[4:5], v29, v28
	s_and_saveexec_b64 s[10:11], s[4:5]
	s_cbranch_execz .LBB24_56
.LBB24_55:
	v_add_u32_e32 v36, v10, v12
	v_mov_b32_e32 v28, v2
	v_mov_b32_e32 v29, v3
	ds_read_b128 v[32:35], v36
	v_mov_b32_e32 v30, v0
	v_mov_b32_e32 v31, v1
	ds_write_b128 v13, v[28:31]
	ds_read_u16 v28, v14
	s_waitcnt lgkmcnt(2)
	v_mov_b32_e32 v0, v34
	v_mov_b32_e32 v1, v35
	v_mov_b32_e32 v2, v32
	v_mov_b32_e32 v3, v33
	s_mov_b32 s4, 0xc0c0001
	ds_write_b128 v36, v[0:3]
	s_waitcnt lgkmcnt(1)
	v_perm_b32 v0, 0, v28, s4
	ds_write_b16 v14, v0
.LBB24_56:
	s_or_b64 exec, exec, s[10:11]
	v_and_b32_e32 v0, 15, v5
	v_sub_u32_e32 v21, v21, v0
	v_lshl_add_u32 v19, v21, 3, v19
	s_waitcnt lgkmcnt(0)
	s_barrier
	ds_read2_b64 v[0:3], v19 offset1:16
	v_add_u32_e32 v18, v18, v21
	s_waitcnt lgkmcnt(0)
	v_cmp_ge_i64_e64 s[12:13], v[0:1], v[2:3]
	v_cmp_lt_i64_e64 s[4:5], v[0:1], v[2:3]
	s_and_saveexec_b64 s[10:11], s[4:5]
	s_cbranch_execz .LBB24_58
; %bb.57:
	ds_read_u8 v28, v18
	s_andn2_b64 s[12:13], s[12:13], exec
	s_waitcnt lgkmcnt(0)
	v_and_b32_e32 v28, 1, v28
	v_cmp_eq_u32_e64 s[4:5], 1, v28
	s_xor_b64 s[4:5], s[4:5], -1
	s_and_b64 s[4:5], s[4:5], exec
	s_or_b64 s[12:13], s[12:13], s[4:5]
.LBB24_58:
	s_or_b64 exec, exec, s[10:11]
	s_and_saveexec_b64 s[10:11], s[12:13]
	s_cbranch_execz .LBB24_61
; %bb.59:
	ds_read_u8 v28, v18 offset:16
	s_waitcnt lgkmcnt(0)
	v_cmp_ne_u16_e64 s[4:5], 0, v28
	s_and_b64 exec, exec, s[4:5]
	s_cbranch_execz .LBB24_61
; %bb.60:
	v_lshl_add_u32 v15, v21, 3, v15
	ds_read2_b64 v[30:33], v15 offset1:16
	ds_read_u8 v21, v18
	ds_write2_b64 v19, v[2:3], v[0:1] offset1:16
	ds_write_b8 v18, v28
	s_waitcnt lgkmcnt(3)
	ds_write2_b64 v15, v[32:33], v[30:31] offset1:16
	s_waitcnt lgkmcnt(3)
	ds_write_b8 v18, v21 offset:16
.LBB24_61:
	s_or_b64 exec, exec, s[10:11]
	s_waitcnt lgkmcnt(0)
	s_barrier
	ds_read2_b64 v[0:3], v25 offset1:8
	s_waitcnt lgkmcnt(0)
	v_cmp_ge_i64_e64 s[12:13], v[0:1], v[2:3]
	v_cmp_lt_i64_e64 s[4:5], v[0:1], v[2:3]
	s_and_saveexec_b64 s[10:11], s[4:5]
	s_cbranch_execz .LBB24_63
; %bb.62:
	ds_read_u8 v15, v26
	s_andn2_b64 s[12:13], s[12:13], exec
	s_waitcnt lgkmcnt(0)
	v_and_b32_e32 v15, 1, v15
	v_cmp_eq_u32_e64 s[4:5], 1, v15
	s_xor_b64 s[4:5], s[4:5], -1
	s_and_b64 s[4:5], s[4:5], exec
	s_or_b64 s[12:13], s[12:13], s[4:5]
.LBB24_63:
	s_or_b64 exec, exec, s[10:11]
	s_and_saveexec_b64 s[10:11], s[12:13]
	s_cbranch_execz .LBB24_66
; %bb.64:
	ds_read_u8 v15, v26 offset:8
	s_waitcnt lgkmcnt(0)
	v_cmp_ne_u16_e64 s[4:5], 0, v15
	s_and_b64 exec, exec, s[4:5]
	s_cbranch_execz .LBB24_66
; %bb.65:
	ds_read2_b64 v[28:31], v27 offset1:8
	ds_read_u8 v18, v26
	ds_write2_b64 v25, v[2:3], v[0:1] offset1:8
	ds_write_b8 v26, v15
	s_waitcnt lgkmcnt(3)
	ds_write2_b64 v27, v[30:31], v[28:29] offset1:8
	s_waitcnt lgkmcnt(3)
	ds_write_b8 v26, v18 offset:8
.LBB24_66:
	s_or_b64 exec, exec, s[10:11]
	s_waitcnt lgkmcnt(0)
	s_barrier
	ds_read2_b64 v[0:3], v22 offset1:4
	s_waitcnt lgkmcnt(0)
	v_cmp_ge_i64_e64 s[12:13], v[0:1], v[2:3]
	v_cmp_lt_i64_e64 s[4:5], v[0:1], v[2:3]
	s_and_saveexec_b64 s[10:11], s[4:5]
	s_cbranch_execz .LBB24_68
; %bb.67:
	ds_read_u8 v15, v23
	s_andn2_b64 s[12:13], s[12:13], exec
	s_waitcnt lgkmcnt(0)
	v_and_b32_e32 v15, 1, v15
	v_cmp_eq_u32_e64 s[4:5], 1, v15
	s_xor_b64 s[4:5], s[4:5], -1
	s_and_b64 s[4:5], s[4:5], exec
	s_or_b64 s[12:13], s[12:13], s[4:5]
.LBB24_68:
	s_or_b64 exec, exec, s[10:11]
	s_and_saveexec_b64 s[10:11], s[12:13]
	s_cbranch_execz .LBB24_71
; %bb.69:
	ds_read_u8 v15, v23 offset:4
	s_waitcnt lgkmcnt(0)
	v_cmp_ne_u16_e64 s[4:5], 0, v15
	s_and_b64 exec, exec, s[4:5]
	s_cbranch_execz .LBB24_71
; %bb.70:
	ds_read2_b64 v[26:29], v24 offset1:4
	ds_read_u8 v18, v23
	ds_write2_b64 v22, v[2:3], v[0:1] offset1:4
	ds_write_b8 v23, v15
	s_waitcnt lgkmcnt(3)
	ds_write2_b64 v24, v[28:29], v[26:27] offset1:4
	s_waitcnt lgkmcnt(3)
	ds_write_b8 v23, v18 offset:4
.LBB24_71:
	;; [unrolled: 38-line block ×3, first 2 shown]
	s_or_b64 exec, exec, s[10:11]
	s_waitcnt lgkmcnt(0)
	s_barrier
	ds_read_b128 v[0:3], v13
	s_waitcnt lgkmcnt(0)
	v_cmp_ge_i64_e64 s[12:13], v[0:1], v[2:3]
	v_cmp_lt_i64_e64 s[4:5], v[0:1], v[2:3]
	s_and_saveexec_b64 s[10:11], s[4:5]
	s_cbranch_execz .LBB24_78
; %bb.77:
	ds_read_u8 v15, v14
	s_andn2_b64 s[12:13], s[12:13], exec
	s_waitcnt lgkmcnt(0)
	v_and_b32_e32 v15, 1, v15
	v_cmp_eq_u32_e64 s[4:5], 1, v15
	s_xor_b64 s[4:5], s[4:5], -1
	s_and_b64 s[4:5], s[4:5], exec
	s_or_b64 s[12:13], s[12:13], s[4:5]
.LBB24_78:
	s_or_b64 exec, exec, s[10:11]
	s_and_saveexec_b64 s[10:11], s[12:13]
	s_cbranch_execz .LBB24_81
; %bb.79:
	ds_read_u8 v15, v14 offset:1
	s_waitcnt lgkmcnt(0)
	v_cmp_ne_u16_e64 s[4:5], 0, v15
	s_and_b64 exec, exec, s[4:5]
	s_cbranch_execz .LBB24_81
; %bb.80:
	v_add_u32_e32 v12, v10, v12
	v_mov_b32_e32 v16, v2
	v_mov_b32_e32 v17, v3
	ds_read_b128 v[20:23], v12
	v_mov_b32_e32 v18, v0
	v_mov_b32_e32 v19, v1
	ds_write_b128 v13, v[16:19]
	ds_read_u8 v13, v14
	s_waitcnt lgkmcnt(2)
	v_mov_b32_e32 v0, v22
	v_mov_b32_e32 v1, v23
	;; [unrolled: 1-line block ×4, first 2 shown]
	ds_write_b128 v12, v[0:3]
	s_waitcnt lgkmcnt(1)
	v_lshlrev_b16_e32 v0, 8, v13
	v_or_b32_e32 v0, v15, v0
	ds_write_b16 v14, v0
.LBB24_81:
	s_or_b64 exec, exec, s[10:11]
	s_waitcnt lgkmcnt(0)
	s_barrier
	s_and_saveexec_b64 s[4:5], vcc
	s_cbranch_execz .LBB24_86
; %bb.82:
	s_and_saveexec_b64 s[4:5], s[0:1]
	s_cbranch_execz .LBB24_84
; %bb.83:
	ds_read_b64 v[0:1], v11
	v_mad_u64_u32 v[2:3], s[0:1], v5, s14, v[6:7]
	v_mov_b32_e32 v3, 0
	v_lshlrev_b64 v[12:13], 3, v[2:3]
	v_mov_b32_e32 v2, s7
	v_add_co_u32_e32 v12, vcc, s6, v12
	v_addc_co_u32_e32 v13, vcc, v2, v13, vcc
	ds_read_b64 v[10:11], v10
	s_waitcnt lgkmcnt(1)
	global_store_dwordx2 v[12:13], v[0:1], off
	v_mad_u64_u32 v[0:1], s[0:1], v5, s15, v[4:5]
	v_mov_b32_e32 v1, v3
	v_lshlrev_b64 v[0:1], 3, v[0:1]
	v_mov_b32_e32 v2, s9
	v_add_co_u32_e32 v0, vcc, s8, v0
	v_addc_co_u32_e32 v1, vcc, v2, v1, vcc
	s_waitcnt lgkmcnt(0)
	global_store_dwordx2 v[0:1], v[10:11], off
.LBB24_84:
	s_or_b64 exec, exec, s[4:5]
	s_and_b64 exec, exec, s[2:3]
	s_cbranch_execz .LBB24_86
; %bb.85:
	ds_read_b64 v[0:1], v9
	v_mad_u64_u32 v[2:3], s[0:1], v7, s14, v[6:7]
	v_mov_b32_e32 v3, 0
	v_lshlrev_b64 v[10:11], 3, v[2:3]
	v_mov_b32_e32 v2, s7
	v_add_co_u32_e32 v10, vcc, s6, v10
	v_addc_co_u32_e32 v11, vcc, v2, v11, vcc
	ds_read_b64 v[8:9], v8
	s_waitcnt lgkmcnt(1)
	global_store_dwordx2 v[10:11], v[0:1], off
	v_mad_u64_u32 v[0:1], s[0:1], v7, s15, v[4:5]
	v_mov_b32_e32 v1, v3
	v_lshlrev_b64 v[0:1], 3, v[0:1]
	v_mov_b32_e32 v2, s9
	v_add_co_u32_e32 v0, vcc, s8, v0
	v_addc_co_u32_e32 v1, vcc, v2, v1, vcc
	s_waitcnt lgkmcnt(0)
	global_store_dwordx2 v[0:1], v[8:9], off
.LBB24_86:
	s_endpgm
.LBB24_87:
	ds_read_u8 v23, v14
	s_andn2_b64 s[10:11], s[10:11], exec
	s_mov_b32 s16, 1
	s_waitcnt lgkmcnt(0)
	v_and_b32_e32 v23, 1, v23
	v_cmp_eq_u32_e64 s[4:5], 1, v23
	s_xor_b64 s[4:5], s[4:5], -1
	s_and_b64 s[4:5], s[4:5], exec
	s_or_b64 s[10:11], s[10:11], s[4:5]
	s_or_b64 exec, exec, s[12:13]
	v_mov_b32_e32 v23, s16
	s_and_saveexec_b64 s[4:5], s[10:11]
	s_cbranch_execz .LBB24_22
.LBB24_88:
	ds_read_u8 v23, v14 offset:1
	s_waitcnt lgkmcnt(0)
	v_xor_b32_e32 v23, 1, v23
	s_or_b64 exec, exec, s[4:5]
	v_cmp_eq_u32_e64 s[4:5], v23, v22
	s_and_saveexec_b64 s[10:11], s[4:5]
	s_cbranch_execnz .LBB24_23
	s_branch .LBB24_24
.LBB24_89:
	ds_read_u8 v26, v17
	s_andn2_b64 s[10:11], s[10:11], exec
	s_mov_b32 s16, 1
	s_waitcnt lgkmcnt(0)
	v_and_b32_e32 v26, 1, v26
	v_cmp_eq_u32_e64 s[4:5], 1, v26
	s_xor_b64 s[4:5], s[4:5], -1
	s_and_b64 s[4:5], s[4:5], exec
	s_or_b64 s[10:11], s[10:11], s[4:5]
	s_or_b64 exec, exec, s[12:13]
	v_mov_b32_e32 v26, s16
	s_and_saveexec_b64 s[4:5], s[10:11]
	s_cbranch_execz .LBB24_32
.LBB24_90:
	ds_read_u8 v26, v17 offset:2
	s_waitcnt lgkmcnt(0)
	v_xor_b32_e32 v26, 1, v26
	s_or_b64 exec, exec, s[4:5]
	v_cmp_eq_u32_e64 s[4:5], v26, v25
	s_and_saveexec_b64 s[10:11], s[4:5]
	s_cbranch_execnz .LBB24_33
	s_branch .LBB24_34
.LBB24_91:
	ds_read_u8 v26, v14
	s_andn2_b64 s[10:11], s[10:11], exec
	s_mov_b32 s16, 1
	s_waitcnt lgkmcnt(0)
	v_and_b32_e32 v26, 1, v26
	v_cmp_eq_u32_e64 s[4:5], 1, v26
	s_xor_b64 s[4:5], s[4:5], -1
	s_and_b64 s[4:5], s[4:5], exec
	s_or_b64 s[10:11], s[10:11], s[4:5]
	s_or_b64 exec, exec, s[12:13]
	v_mov_b32_e32 v26, s16
	s_and_saveexec_b64 s[4:5], s[10:11]
	s_cbranch_execz .LBB24_36
.LBB24_92:
	ds_read_u8 v26, v14 offset:1
	s_waitcnt lgkmcnt(0)
	v_xor_b32_e32 v26, 1, v26
	s_or_b64 exec, exec, s[4:5]
	v_cmp_eq_u32_e64 s[4:5], v26, v25
	s_and_saveexec_b64 s[10:11], s[4:5]
	s_cbranch_execnz .LBB24_37
	s_branch .LBB24_38
.LBB24_93:
	ds_read_u8 v29, v23
	s_andn2_b64 s[10:11], s[10:11], exec
	s_mov_b32 s16, 1
	s_waitcnt lgkmcnt(0)
	v_and_b32_e32 v29, 1, v29
	v_cmp_eq_u32_e64 s[4:5], 1, v29
	s_xor_b64 s[4:5], s[4:5], -1
	s_and_b64 s[4:5], s[4:5], exec
	s_or_b64 s[10:11], s[10:11], s[4:5]
	s_or_b64 exec, exec, s[12:13]
	v_mov_b32_e32 v29, s16
	s_and_saveexec_b64 s[4:5], s[10:11]
	s_cbranch_execz .LBB24_46
.LBB24_94:
	ds_read_u8 v29, v23 offset:4
	s_waitcnt lgkmcnt(0)
	v_xor_b32_e32 v29, 1, v29
	s_or_b64 exec, exec, s[4:5]
	v_cmp_eq_u32_e64 s[4:5], v29, v28
	s_and_saveexec_b64 s[10:11], s[4:5]
	s_cbranch_execnz .LBB24_47
	s_branch .LBB24_48
.LBB24_95:
	ds_read_u8 v29, v17
	s_andn2_b64 s[10:11], s[10:11], exec
	s_mov_b32 s16, 1
	s_waitcnt lgkmcnt(0)
	v_and_b32_e32 v29, 1, v29
	v_cmp_eq_u32_e64 s[4:5], 1, v29
	s_xor_b64 s[4:5], s[4:5], -1
	s_and_b64 s[4:5], s[4:5], exec
	s_or_b64 s[10:11], s[10:11], s[4:5]
	s_or_b64 exec, exec, s[12:13]
	v_mov_b32_e32 v29, s16
	s_and_saveexec_b64 s[4:5], s[10:11]
	s_cbranch_execz .LBB24_50
.LBB24_96:
	ds_read_u8 v29, v17 offset:2
	s_waitcnt lgkmcnt(0)
	v_xor_b32_e32 v29, 1, v29
	s_or_b64 exec, exec, s[4:5]
	v_cmp_eq_u32_e64 s[4:5], v29, v28
	s_and_saveexec_b64 s[10:11], s[4:5]
	s_cbranch_execnz .LBB24_51
	s_branch .LBB24_52
.LBB24_97:
	ds_read_u8 v29, v14
	s_andn2_b64 s[10:11], s[10:11], exec
	s_mov_b32 s16, 1
	s_waitcnt lgkmcnt(0)
	v_and_b32_e32 v29, 1, v29
	v_cmp_eq_u32_e64 s[4:5], 1, v29
	s_xor_b64 s[4:5], s[4:5], -1
	s_and_b64 s[4:5], s[4:5], exec
	s_or_b64 s[10:11], s[10:11], s[4:5]
	s_or_b64 exec, exec, s[12:13]
	v_mov_b32_e32 v29, s16
	s_and_saveexec_b64 s[4:5], s[10:11]
	s_cbranch_execz .LBB24_54
.LBB24_98:
	ds_read_u8 v29, v14 offset:1
	s_waitcnt lgkmcnt(0)
	v_xor_b32_e32 v29, 1, v29
	s_or_b64 exec, exec, s[4:5]
	v_cmp_eq_u32_e64 s[4:5], v29, v28
	s_and_saveexec_b64 s[10:11], s[4:5]
	s_cbranch_execnz .LBB24_55
	s_branch .LBB24_56
	.section	.rodata,"a",@progbits
	.p2align	6, 0x0
	.amdhsa_kernel _ZN2at6native20bitonicSortKVInPlaceILin2ELin1ELi16ELi16EllNS0_4LTOpIlLb1EEEjEEvNS_4cuda6detail10TensorInfoIT3_T6_EES8_S8_S8_NS6_IT4_S8_EES8_T5_
		.amdhsa_group_segment_fixed_size 8704
		.amdhsa_private_segment_fixed_size 0
		.amdhsa_kernarg_size 712
		.amdhsa_user_sgpr_count 6
		.amdhsa_user_sgpr_private_segment_buffer 1
		.amdhsa_user_sgpr_dispatch_ptr 0
		.amdhsa_user_sgpr_queue_ptr 0
		.amdhsa_user_sgpr_kernarg_segment_ptr 1
		.amdhsa_user_sgpr_dispatch_id 0
		.amdhsa_user_sgpr_flat_scratch_init 0
		.amdhsa_user_sgpr_kernarg_preload_length 0
		.amdhsa_user_sgpr_kernarg_preload_offset 0
		.amdhsa_user_sgpr_private_segment_size 0
		.amdhsa_uses_dynamic_stack 0
		.amdhsa_system_sgpr_private_segment_wavefront_offset 0
		.amdhsa_system_sgpr_workgroup_id_x 1
		.amdhsa_system_sgpr_workgroup_id_y 1
		.amdhsa_system_sgpr_workgroup_id_z 1
		.amdhsa_system_sgpr_workgroup_info 0
		.amdhsa_system_vgpr_workitem_id 1
		.amdhsa_next_free_vgpr 37
		.amdhsa_next_free_sgpr 18
		.amdhsa_accum_offset 40
		.amdhsa_reserve_vcc 1
		.amdhsa_reserve_flat_scratch 0
		.amdhsa_float_round_mode_32 0
		.amdhsa_float_round_mode_16_64 0
		.amdhsa_float_denorm_mode_32 3
		.amdhsa_float_denorm_mode_16_64 3
		.amdhsa_dx10_clamp 1
		.amdhsa_ieee_mode 1
		.amdhsa_fp16_overflow 0
		.amdhsa_tg_split 0
		.amdhsa_exception_fp_ieee_invalid_op 0
		.amdhsa_exception_fp_denorm_src 0
		.amdhsa_exception_fp_ieee_div_zero 0
		.amdhsa_exception_fp_ieee_overflow 0
		.amdhsa_exception_fp_ieee_underflow 0
		.amdhsa_exception_fp_ieee_inexact 0
		.amdhsa_exception_int_div_zero 0
	.end_amdhsa_kernel
	.section	.text._ZN2at6native20bitonicSortKVInPlaceILin2ELin1ELi16ELi16EllNS0_4LTOpIlLb1EEEjEEvNS_4cuda6detail10TensorInfoIT3_T6_EES8_S8_S8_NS6_IT4_S8_EES8_T5_,"axG",@progbits,_ZN2at6native20bitonicSortKVInPlaceILin2ELin1ELi16ELi16EllNS0_4LTOpIlLb1EEEjEEvNS_4cuda6detail10TensorInfoIT3_T6_EES8_S8_S8_NS6_IT4_S8_EES8_T5_,comdat
.Lfunc_end24:
	.size	_ZN2at6native20bitonicSortKVInPlaceILin2ELin1ELi16ELi16EllNS0_4LTOpIlLb1EEEjEEvNS_4cuda6detail10TensorInfoIT3_T6_EES8_S8_S8_NS6_IT4_S8_EES8_T5_, .Lfunc_end24-_ZN2at6native20bitonicSortKVInPlaceILin2ELin1ELi16ELi16EllNS0_4LTOpIlLb1EEEjEEvNS_4cuda6detail10TensorInfoIT3_T6_EES8_S8_S8_NS6_IT4_S8_EES8_T5_
                                        ; -- End function
	.section	.AMDGPU.csdata,"",@progbits
; Kernel info:
; codeLenInByte = 4680
; NumSgprs: 22
; NumVgprs: 37
; NumAgprs: 0
; TotalNumVgprs: 37
; ScratchSize: 0
; MemoryBound: 0
; FloatMode: 240
; IeeeMode: 1
; LDSByteSize: 8704 bytes/workgroup (compile time only)
; SGPRBlocks: 2
; VGPRBlocks: 4
; NumSGPRsForWavesPerEU: 22
; NumVGPRsForWavesPerEU: 37
; AccumOffset: 40
; Occupancy: 7
; WaveLimiterHint : 1
; COMPUTE_PGM_RSRC2:SCRATCH_EN: 0
; COMPUTE_PGM_RSRC2:USER_SGPR: 6
; COMPUTE_PGM_RSRC2:TRAP_HANDLER: 0
; COMPUTE_PGM_RSRC2:TGID_X_EN: 1
; COMPUTE_PGM_RSRC2:TGID_Y_EN: 1
; COMPUTE_PGM_RSRC2:TGID_Z_EN: 1
; COMPUTE_PGM_RSRC2:TIDIG_COMP_CNT: 1
; COMPUTE_PGM_RSRC3_GFX90A:ACCUM_OFFSET: 9
; COMPUTE_PGM_RSRC3_GFX90A:TG_SPLIT: 0
	.section	.text._ZN2at6native20bitonicSortKVInPlaceILin2ELin1ELi16ELi16EllNS0_4GTOpIlLb1EEEjEEvNS_4cuda6detail10TensorInfoIT3_T6_EES8_S8_S8_NS6_IT4_S8_EES8_T5_,"axG",@progbits,_ZN2at6native20bitonicSortKVInPlaceILin2ELin1ELi16ELi16EllNS0_4GTOpIlLb1EEEjEEvNS_4cuda6detail10TensorInfoIT3_T6_EES8_S8_S8_NS6_IT4_S8_EES8_T5_,comdat
	.protected	_ZN2at6native20bitonicSortKVInPlaceILin2ELin1ELi16ELi16EllNS0_4GTOpIlLb1EEEjEEvNS_4cuda6detail10TensorInfoIT3_T6_EES8_S8_S8_NS6_IT4_S8_EES8_T5_ ; -- Begin function _ZN2at6native20bitonicSortKVInPlaceILin2ELin1ELi16ELi16EllNS0_4GTOpIlLb1EEEjEEvNS_4cuda6detail10TensorInfoIT3_T6_EES8_S8_S8_NS6_IT4_S8_EES8_T5_
	.globl	_ZN2at6native20bitonicSortKVInPlaceILin2ELin1ELi16ELi16EllNS0_4GTOpIlLb1EEEjEEvNS_4cuda6detail10TensorInfoIT3_T6_EES8_S8_S8_NS6_IT4_S8_EES8_T5_
	.p2align	8
	.type	_ZN2at6native20bitonicSortKVInPlaceILin2ELin1ELi16ELi16EllNS0_4GTOpIlLb1EEEjEEvNS_4cuda6detail10TensorInfoIT3_T6_EES8_S8_S8_NS6_IT4_S8_EES8_T5_,@function
_ZN2at6native20bitonicSortKVInPlaceILin2ELin1ELi16ELi16EllNS0_4GTOpIlLb1EEEjEEvNS_4cuda6detail10TensorInfoIT3_T6_EES8_S8_S8_NS6_IT4_S8_EES8_T5_: ; @_ZN2at6native20bitonicSortKVInPlaceILin2ELin1ELi16ELi16EllNS0_4GTOpIlLb1EEEjEEvNS_4cuda6detail10TensorInfoIT3_T6_EES8_S8_S8_NS6_IT4_S8_EES8_T5_
; %bb.0:
	s_load_dwordx2 s[2:3], s[4:5], 0x1c8
	s_load_dwordx4 s[12:15], s[4:5], 0xd8
	s_load_dword s9, s[4:5], 0x1d4
	s_add_u32 s0, s4, 0x1c8
	s_addc_u32 s1, s5, 0
	s_waitcnt lgkmcnt(0)
	s_mul_i32 s3, s3, s8
	s_add_i32 s3, s3, s7
	s_mul_i32 s2, s3, s2
	s_add_i32 s8, s2, s6
	s_lshr_b32 s2, s9, 16
	s_mul_i32 s8, s8, s2
	s_cmp_ge_u32 s8, s12
	s_cbranch_scc1 .LBB25_86
; %bb.1:
	s_load_dwordx2 s[6:7], s[4:5], 0x0
	s_load_dword s9, s[4:5], 0x1b8
	s_add_u32 s2, s4, 0xe8
	v_bfe_u32 v7, v0, 10, 10
	s_addc_u32 s3, s5, 0
	v_add_u32_e32 v1, s8, v7
	s_waitcnt lgkmcnt(0)
	s_cmp_lt_i32 s9, 2
	v_mov_b32_e32 v2, 0
	v_mov_b32_e32 v4, v1
	s_cbranch_scc1 .LBB25_4
; %bb.2:
	s_add_i32 s10, s9, 1
	s_add_i32 s8, s9, -1
	s_mov_b32 s9, 0
	s_lshl_b64 s[8:9], s[8:9], 2
	s_add_u32 s8, s8, s2
	s_addc_u32 s9, s9, s3
	s_add_u32 s8, s8, 8
	s_addc_u32 s9, s9, 0
	v_mov_b32_e32 v2, 0
	v_mov_b32_e32 v4, v1
.LBB25_3:                               ; =>This Inner Loop Header: Depth=1
	s_load_dword s11, s[8:9], 0x0
	s_load_dword s15, s[8:9], 0x64
	v_mov_b32_e32 v3, v4
	s_add_i32 s10, s10, -1
	s_waitcnt lgkmcnt(0)
	v_cvt_f32_u32_e32 v4, s11
	s_sub_i32 s16, 0, s11
	s_add_u32 s8, s8, -4
	s_addc_u32 s9, s9, -1
	v_rcp_iflag_f32_e32 v4, v4
	s_cmp_gt_u32 s10, 2
	v_mul_f32_e32 v4, 0x4f7ffffe, v4
	v_cvt_u32_f32_e32 v4, v4
	v_mul_lo_u32 v5, s16, v4
	v_mul_hi_u32 v5, v4, v5
	v_add_u32_e32 v4, v4, v5
	v_mul_hi_u32 v4, v3, v4
	v_mul_lo_u32 v5, v4, s11
	v_sub_u32_e32 v5, v3, v5
	v_add_u32_e32 v6, 1, v4
	v_cmp_le_u32_e32 vcc, s11, v5
	v_cndmask_b32_e32 v4, v4, v6, vcc
	v_subrev_u32_e32 v6, s11, v5
	v_cndmask_b32_e32 v5, v5, v6, vcc
	v_add_u32_e32 v6, 1, v4
	v_cmp_le_u32_e32 vcc, s11, v5
	v_cndmask_b32_e32 v4, v4, v6, vcc
	v_mul_lo_u32 v5, v4, s11
	v_sub_u32_e32 v3, v3, v5
	v_mad_u64_u32 v[2:3], s[16:17], s15, v3, v[2:3]
	s_cbranch_scc1 .LBB25_3
.LBB25_4:
	s_load_dword s8, s[4:5], 0x6c
	s_load_dword s15, s[4:5], 0x1c0
	;; [unrolled: 1-line block ×3, first 2 shown]
	v_cmp_gt_u32_e32 vcc, s12, v1
	s_load_dword s12, s[0:1], 0xc
	s_waitcnt lgkmcnt(0)
	v_mul_lo_u32 v6, s8, v1
	s_load_dwordx2 s[8:9], s[2:3], 0x0
	v_mad_u64_u32 v[4:5], s[2:3], s10, v4, v[2:3]
	v_and_b32_e32 v5, 0x3ff, v0
	v_cmp_gt_u32_e64 s[0:1], s13, v5
	v_pk_mov_b32 v[0:1], 0, 0
	s_and_b64 s[4:5], vcc, s[0:1]
	v_pk_mov_b32 v[2:3], v[0:1], v[0:1] op_sel:[0,1]
	v_pk_mov_b32 v[8:9], v[0:1], v[0:1] op_sel:[0,1]
	s_and_saveexec_b64 s[10:11], s[4:5]
	s_cbranch_execz .LBB25_6
; %bb.5:
	v_mad_u64_u32 v[8:9], s[2:3], v5, s14, v[6:7]
	v_mov_b32_e32 v9, 0
	v_lshlrev_b64 v[2:3], 3, v[8:9]
	v_mov_b32_e32 v8, s7
	v_add_co_u32_e64 v2, s[2:3], s6, v2
	v_addc_co_u32_e64 v3, s[2:3], v8, v3, s[2:3]
	v_mad_u64_u32 v[10:11], s[2:3], v5, s15, v[4:5]
	v_mov_b32_e32 v11, v9
	v_lshlrev_b64 v[8:9], 3, v[10:11]
	s_waitcnt lgkmcnt(0)
	v_mov_b32_e32 v10, s9
	v_add_co_u32_e64 v8, s[2:3], s8, v8
	v_addc_co_u32_e64 v9, s[2:3], v10, v9, s[2:3]
	global_load_dwordx2 v[2:3], v[2:3], off
	s_nop 0
	global_load_dwordx2 v[8:9], v[8:9], off
.LBB25_6:
	s_or_b64 exec, exec, s[10:11]
	s_and_b32 s16, 0xffff, s12
	v_lshlrev_b32_e32 v19, 8, v7
	v_mov_b32_e32 v10, 0x2000
	v_lshlrev_b32_e32 v12, 3, v5
	v_lshl_add_u32 v18, v7, 5, v10
	v_add_u32_e32 v11, v19, v12
	v_add_u32_e32 v7, s16, v5
	v_cndmask_b32_e64 v13, 0, 1, s[4:5]
	v_add_u32_e32 v15, 0x1000, v19
	s_waitcnt vmcnt(1)
	ds_write_b64 v11, v[2:3]
	v_add_u32_e32 v2, v18, v5
	v_cmp_gt_u32_e64 s[2:3], s13, v7
	v_add_u32_e32 v10, v15, v12
	ds_write_b8 v2, v13
	s_and_b64 s[10:11], vcc, s[2:3]
	v_pk_mov_b32 v[2:3], v[0:1], v[0:1] op_sel:[0,1]
	s_waitcnt vmcnt(0)
	ds_write_b64 v10, v[8:9]
	s_and_saveexec_b64 s[12:13], s[10:11]
	s_cbranch_execz .LBB25_8
; %bb.7:
	v_mad_u64_u32 v[2:3], s[4:5], v7, s14, v[6:7]
	v_mov_b32_e32 v3, 0
	v_lshlrev_b64 v[0:1], 3, v[2:3]
	v_mov_b32_e32 v2, s7
	v_add_co_u32_e64 v0, s[4:5], s6, v0
	v_addc_co_u32_e64 v1, s[4:5], v2, v1, s[4:5]
	v_mad_u64_u32 v[8:9], s[4:5], v7, s15, v[4:5]
	v_mov_b32_e32 v9, v3
	v_lshlrev_b64 v[2:3], 3, v[8:9]
	s_waitcnt lgkmcnt(0)
	v_mov_b32_e32 v8, s9
	v_add_co_u32_e64 v2, s[4:5], s8, v2
	v_addc_co_u32_e64 v3, s[4:5], v8, v3, s[4:5]
	global_load_dwordx2 v[0:1], v[0:1], off
	s_nop 0
	global_load_dwordx2 v[2:3], v[2:3], off
.LBB25_8:
	s_or_b64 exec, exec, s[12:13]
	s_lshl_b32 s4, s16, 3
	v_add_u32_e32 v9, s4, v11
	v_cndmask_b32_e64 v13, 0, 1, s[10:11]
	s_waitcnt vmcnt(1)
	ds_write_b64 v9, v[0:1]
	v_add_u32_e32 v0, v18, v7
	v_add_u32_e32 v8, s4, v10
	ds_write_b8 v0, v13
	v_add_u32_e32 v13, v11, v12
	s_waitcnt vmcnt(0)
	ds_write_b64 v8, v[2:3]
	s_waitcnt lgkmcnt(0)
	s_barrier
	ds_read_b128 v[0:3], v13
	v_lshlrev_b32_e32 v21, 1, v5
	s_mov_b32 s16, 1
	v_add_u32_e32 v14, v18, v21
	s_waitcnt lgkmcnt(0)
	v_cmp_le_i64_e64 s[10:11], v[0:1], v[2:3]
	v_cmp_gt_i64_e64 s[4:5], v[0:1], v[2:3]
	s_and_saveexec_b64 s[12:13], s[4:5]
	s_xor_b64 s[12:13], exec, s[12:13]
	s_cbranch_execz .LBB25_10
; %bb.9:
	ds_read_u8 v16, v14
	s_andn2_b64 s[10:11], s[10:11], exec
	s_waitcnt lgkmcnt(0)
	v_and_b32_e32 v16, 1, v16
	v_cmp_eq_u32_e64 s[4:5], 1, v16
	s_xor_b64 s[4:5], s[4:5], -1
	s_and_b64 s[4:5], s[4:5], exec
	s_or_b64 s[10:11], s[10:11], s[4:5]
.LBB25_10:
	s_or_b64 exec, exec, s[12:13]
	v_mov_b32_e32 v17, s16
	s_and_saveexec_b64 s[4:5], s[10:11]
	s_cbranch_execz .LBB25_12
; %bb.11:
	ds_read_u8 v16, v14 offset:1
	s_waitcnt lgkmcnt(0)
	v_xor_b32_e32 v17, 1, v16
.LBB25_12:
	s_or_b64 exec, exec, s[4:5]
	v_and_b32_e32 v16, 1, v5
	v_cmp_eq_u32_e64 s[4:5], v17, v16
	s_and_saveexec_b64 s[10:11], s[4:5]
	s_cbranch_execz .LBB25_14
; %bb.13:
	v_add_u32_e32 v17, v10, v12
	ds_read_b128 v[26:29], v17
	ds_read_u16 v20, v14
	v_mov_b32_e32 v22, v2
	v_mov_b32_e32 v23, v3
	;; [unrolled: 1-line block ×4, first 2 shown]
	s_waitcnt lgkmcnt(1)
	v_mov_b32_e32 v0, v28
	v_mov_b32_e32 v1, v29
	;; [unrolled: 1-line block ×4, first 2 shown]
	s_mov_b32 s4, 0xc0c0001
	ds_write_b128 v17, v[0:3]
	s_waitcnt lgkmcnt(1)
	v_perm_b32 v0, 0, v20, s4
	ds_write_b128 v13, v[22:25]
	ds_write_b16 v14, v0
.LBB25_14:
	s_or_b64 exec, exec, s[10:11]
	v_sub_u32_e32 v20, v21, v16
	v_lshl_add_u32 v16, v20, 3, v19
	s_waitcnt lgkmcnt(0)
	s_barrier
	ds_read2_b64 v[0:3], v16 offset1:2
	s_mov_b64 s[10:11], -1
	v_add_u32_e32 v17, v18, v20
                                        ; implicit-def: $sgpr16
	s_waitcnt lgkmcnt(0)
	v_cmp_gt_i64_e64 s[4:5], v[0:1], v[2:3]
	s_and_saveexec_b64 s[12:13], s[4:5]
	s_xor_b64 s[12:13], exec, s[12:13]
	s_cbranch_execz .LBB25_16
; %bb.15:
	ds_read_u8 v22, v17
	s_mov_b32 s16, 1
	s_waitcnt lgkmcnt(0)
	v_and_b32_e32 v22, 1, v22
	v_cmp_eq_u32_e64 s[4:5], 1, v22
	s_xor_b64 s[4:5], s[4:5], -1
	s_orn2_b64 s[10:11], s[4:5], exec
.LBB25_16:
	s_or_b64 exec, exec, s[12:13]
	v_mov_b32_e32 v23, s16
	s_and_saveexec_b64 s[4:5], s[10:11]
	s_cbranch_execz .LBB25_18
; %bb.17:
	ds_read_u8 v22, v17 offset:2
	s_waitcnt lgkmcnt(0)
	v_xor_b32_e32 v23, 1, v22
.LBB25_18:
	s_or_b64 exec, exec, s[4:5]
	v_bfe_u32 v22, v5, 1, 1
	v_lshl_add_u32 v20, v20, 3, v15
	v_cmp_eq_u32_e64 s[4:5], v23, v22
	s_and_saveexec_b64 s[10:11], s[4:5]
	s_cbranch_execz .LBB25_20
; %bb.19:
	ds_read2_b64 v[24:27], v20 offset1:2
	ds_read_u8 v23, v17 offset:2
	ds_read_u8 v28, v17
	ds_write2_b64 v16, v[2:3], v[0:1] offset1:2
	s_waitcnt lgkmcnt(3)
	ds_write2_b64 v20, v[26:27], v[24:25] offset1:2
	s_waitcnt lgkmcnt(3)
	ds_write_b8 v17, v23
	s_waitcnt lgkmcnt(3)
	ds_write_b8 v17, v28 offset:2
.LBB25_20:
	s_or_b64 exec, exec, s[10:11]
	s_waitcnt lgkmcnt(0)
	s_barrier
	ds_read_b128 v[0:3], v13
                                        ; implicit-def: $sgpr16
	s_waitcnt lgkmcnt(0)
	v_cmp_le_i64_e64 s[10:11], v[0:1], v[2:3]
	v_cmp_gt_i64_e64 s[4:5], v[0:1], v[2:3]
	s_and_saveexec_b64 s[12:13], s[4:5]
	s_cbranch_execnz .LBB25_87
; %bb.21:
	s_or_b64 exec, exec, s[12:13]
	v_mov_b32_e32 v23, s16
	s_and_saveexec_b64 s[4:5], s[10:11]
	s_cbranch_execnz .LBB25_88
.LBB25_22:
	s_or_b64 exec, exec, s[4:5]
	v_cmp_eq_u32_e64 s[4:5], v23, v22
	s_and_saveexec_b64 s[10:11], s[4:5]
	s_cbranch_execz .LBB25_24
.LBB25_23:
	v_add_u32_e32 v30, v10, v12
	v_mov_b32_e32 v22, v2
	v_mov_b32_e32 v23, v3
	ds_read_b128 v[26:29], v30
	v_mov_b32_e32 v24, v0
	v_mov_b32_e32 v25, v1
	ds_write_b128 v13, v[22:25]
	ds_read_u16 v22, v14
	s_waitcnt lgkmcnt(2)
	v_mov_b32_e32 v0, v28
	v_mov_b32_e32 v1, v29
	;; [unrolled: 1-line block ×4, first 2 shown]
	s_mov_b32 s4, 0xc0c0001
	ds_write_b128 v30, v[0:3]
	s_waitcnt lgkmcnt(1)
	v_perm_b32 v0, 0, v22, s4
	ds_write_b16 v14, v0
.LBB25_24:
	s_or_b64 exec, exec, s[10:11]
	v_and_b32_e32 v0, 3, v5
	v_sub_u32_e32 v24, v21, v0
	v_lshl_add_u32 v22, v24, 3, v19
	s_waitcnt lgkmcnt(0)
	s_barrier
	ds_read2_b64 v[0:3], v22 offset1:4
	v_add_u32_e32 v23, v18, v24
                                        ; implicit-def: $sgpr16
	s_waitcnt lgkmcnt(0)
	v_cmp_le_i64_e64 s[10:11], v[0:1], v[2:3]
	v_cmp_gt_i64_e64 s[4:5], v[0:1], v[2:3]
	s_and_saveexec_b64 s[12:13], s[4:5]
	s_cbranch_execz .LBB25_26
; %bb.25:
	ds_read_u8 v25, v23
	s_andn2_b64 s[10:11], s[10:11], exec
	s_mov_b32 s16, 1
	s_waitcnt lgkmcnt(0)
	v_and_b32_e32 v25, 1, v25
	v_cmp_eq_u32_e64 s[4:5], 1, v25
	s_xor_b64 s[4:5], s[4:5], -1
	s_and_b64 s[4:5], s[4:5], exec
	s_or_b64 s[10:11], s[10:11], s[4:5]
.LBB25_26:
	s_or_b64 exec, exec, s[12:13]
	v_mov_b32_e32 v26, s16
	s_and_saveexec_b64 s[4:5], s[10:11]
	s_cbranch_execz .LBB25_28
; %bb.27:
	ds_read_u8 v25, v23 offset:4
	s_waitcnt lgkmcnt(0)
	v_xor_b32_e32 v26, 1, v25
.LBB25_28:
	s_or_b64 exec, exec, s[4:5]
	v_bfe_u32 v25, v5, 2, 1
	v_lshl_add_u32 v24, v24, 3, v15
	v_cmp_eq_u32_e64 s[4:5], v26, v25
	s_and_saveexec_b64 s[10:11], s[4:5]
	s_cbranch_execz .LBB25_30
; %bb.29:
	ds_read2_b64 v[26:29], v24 offset1:4
	ds_read_u8 v30, v23 offset:4
	ds_read_u8 v31, v23
	ds_write2_b64 v22, v[2:3], v[0:1] offset1:4
	s_waitcnt lgkmcnt(3)
	ds_write2_b64 v24, v[28:29], v[26:27] offset1:4
	s_waitcnt lgkmcnt(3)
	ds_write_b8 v23, v30
	s_waitcnt lgkmcnt(3)
	ds_write_b8 v23, v31 offset:4
.LBB25_30:
	s_or_b64 exec, exec, s[10:11]
	s_waitcnt lgkmcnt(0)
	s_barrier
	ds_read2_b64 v[0:3], v16 offset1:2
                                        ; implicit-def: $sgpr16
	s_waitcnt lgkmcnt(0)
	v_cmp_le_i64_e64 s[10:11], v[0:1], v[2:3]
	v_cmp_gt_i64_e64 s[4:5], v[0:1], v[2:3]
	s_and_saveexec_b64 s[12:13], s[4:5]
	s_cbranch_execnz .LBB25_89
; %bb.31:
	s_or_b64 exec, exec, s[12:13]
	v_mov_b32_e32 v26, s16
	s_and_saveexec_b64 s[4:5], s[10:11]
	s_cbranch_execnz .LBB25_90
.LBB25_32:
	s_or_b64 exec, exec, s[4:5]
	v_cmp_eq_u32_e64 s[4:5], v26, v25
	s_and_saveexec_b64 s[10:11], s[4:5]
	s_cbranch_execz .LBB25_34
.LBB25_33:
	ds_read2_b64 v[26:29], v20 offset1:2
	ds_read_u8 v30, v17 offset:2
	ds_read_u8 v31, v17
	ds_write2_b64 v16, v[2:3], v[0:1] offset1:2
	s_waitcnt lgkmcnt(3)
	ds_write2_b64 v20, v[28:29], v[26:27] offset1:2
	s_waitcnt lgkmcnt(3)
	ds_write_b8 v17, v30
	s_waitcnt lgkmcnt(3)
	ds_write_b8 v17, v31 offset:2
.LBB25_34:
	s_or_b64 exec, exec, s[10:11]
	s_waitcnt lgkmcnt(0)
	s_barrier
	ds_read_b128 v[0:3], v13
                                        ; implicit-def: $sgpr16
	s_waitcnt lgkmcnt(0)
	v_cmp_le_i64_e64 s[10:11], v[0:1], v[2:3]
	v_cmp_gt_i64_e64 s[4:5], v[0:1], v[2:3]
	s_and_saveexec_b64 s[12:13], s[4:5]
	s_cbranch_execnz .LBB25_91
; %bb.35:
	s_or_b64 exec, exec, s[12:13]
	v_mov_b32_e32 v26, s16
	s_and_saveexec_b64 s[4:5], s[10:11]
	s_cbranch_execnz .LBB25_92
.LBB25_36:
	s_or_b64 exec, exec, s[4:5]
	v_cmp_eq_u32_e64 s[4:5], v26, v25
	s_and_saveexec_b64 s[10:11], s[4:5]
	s_cbranch_execz .LBB25_38
.LBB25_37:
	v_add_u32_e32 v25, v10, v12
	v_mov_b32_e32 v26, v2
	v_mov_b32_e32 v27, v3
	ds_read_b128 v[30:33], v25
	v_mov_b32_e32 v28, v0
	v_mov_b32_e32 v29, v1
	ds_write_b128 v13, v[26:29]
	ds_read_u16 v26, v14
	s_waitcnt lgkmcnt(2)
	v_mov_b32_e32 v0, v32
	v_mov_b32_e32 v1, v33
	;; [unrolled: 1-line block ×4, first 2 shown]
	s_mov_b32 s4, 0xc0c0001
	ds_write_b128 v25, v[0:3]
	s_waitcnt lgkmcnt(1)
	v_perm_b32 v0, 0, v26, s4
	ds_write_b16 v14, v0
.LBB25_38:
	s_or_b64 exec, exec, s[10:11]
	v_and_b32_e32 v0, 7, v5
	v_sub_u32_e32 v27, v21, v0
	v_lshl_add_u32 v25, v27, 3, v19
	s_waitcnt lgkmcnt(0)
	s_barrier
	ds_read2_b64 v[0:3], v25 offset1:8
	v_add_u32_e32 v26, v18, v27
                                        ; implicit-def: $sgpr16
	s_waitcnt lgkmcnt(0)
	v_cmp_le_i64_e64 s[10:11], v[0:1], v[2:3]
	v_cmp_gt_i64_e64 s[4:5], v[0:1], v[2:3]
	s_and_saveexec_b64 s[12:13], s[4:5]
	s_cbranch_execz .LBB25_40
; %bb.39:
	ds_read_u8 v28, v26
	s_andn2_b64 s[10:11], s[10:11], exec
	s_mov_b32 s16, 1
	s_waitcnt lgkmcnt(0)
	v_and_b32_e32 v28, 1, v28
	v_cmp_eq_u32_e64 s[4:5], 1, v28
	s_xor_b64 s[4:5], s[4:5], -1
	s_and_b64 s[4:5], s[4:5], exec
	s_or_b64 s[10:11], s[10:11], s[4:5]
.LBB25_40:
	s_or_b64 exec, exec, s[12:13]
	v_mov_b32_e32 v29, s16
	s_and_saveexec_b64 s[4:5], s[10:11]
	s_cbranch_execz .LBB25_42
; %bb.41:
	ds_read_u8 v28, v26 offset:8
	s_waitcnt lgkmcnt(0)
	v_xor_b32_e32 v29, 1, v28
.LBB25_42:
	s_or_b64 exec, exec, s[4:5]
	v_bfe_u32 v28, v5, 3, 1
	v_lshl_add_u32 v27, v27, 3, v15
	v_cmp_eq_u32_e64 s[4:5], v29, v28
	s_and_saveexec_b64 s[10:11], s[4:5]
	s_cbranch_execz .LBB25_44
; %bb.43:
	ds_read2_b64 v[30:33], v27 offset1:8
	ds_read_u8 v29, v26 offset:8
	ds_read_u8 v34, v26
	ds_write2_b64 v25, v[2:3], v[0:1] offset1:8
	s_waitcnt lgkmcnt(3)
	ds_write2_b64 v27, v[32:33], v[30:31] offset1:8
	s_waitcnt lgkmcnt(3)
	ds_write_b8 v26, v29
	s_waitcnt lgkmcnt(3)
	ds_write_b8 v26, v34 offset:8
.LBB25_44:
	s_or_b64 exec, exec, s[10:11]
	s_waitcnt lgkmcnt(0)
	s_barrier
	ds_read2_b64 v[0:3], v22 offset1:4
                                        ; implicit-def: $sgpr16
	s_waitcnt lgkmcnt(0)
	v_cmp_le_i64_e64 s[10:11], v[0:1], v[2:3]
	v_cmp_gt_i64_e64 s[4:5], v[0:1], v[2:3]
	s_and_saveexec_b64 s[12:13], s[4:5]
	s_cbranch_execnz .LBB25_93
; %bb.45:
	s_or_b64 exec, exec, s[12:13]
	v_mov_b32_e32 v29, s16
	s_and_saveexec_b64 s[4:5], s[10:11]
	s_cbranch_execnz .LBB25_94
.LBB25_46:
	s_or_b64 exec, exec, s[4:5]
	v_cmp_eq_u32_e64 s[4:5], v29, v28
	s_and_saveexec_b64 s[10:11], s[4:5]
	s_cbranch_execz .LBB25_48
.LBB25_47:
	ds_read2_b64 v[30:33], v24 offset1:4
	ds_read_u8 v29, v23 offset:4
	ds_read_u8 v34, v23
	ds_write2_b64 v22, v[2:3], v[0:1] offset1:4
	s_waitcnt lgkmcnt(3)
	ds_write2_b64 v24, v[32:33], v[30:31] offset1:4
	s_waitcnt lgkmcnt(3)
	ds_write_b8 v23, v29
	s_waitcnt lgkmcnt(3)
	ds_write_b8 v23, v34 offset:4
.LBB25_48:
	s_or_b64 exec, exec, s[10:11]
	s_waitcnt lgkmcnt(0)
	s_barrier
	ds_read2_b64 v[0:3], v16 offset1:2
                                        ; implicit-def: $sgpr16
	s_waitcnt lgkmcnt(0)
	v_cmp_le_i64_e64 s[10:11], v[0:1], v[2:3]
	v_cmp_gt_i64_e64 s[4:5], v[0:1], v[2:3]
	s_and_saveexec_b64 s[12:13], s[4:5]
	s_cbranch_execnz .LBB25_95
; %bb.49:
	s_or_b64 exec, exec, s[12:13]
	v_mov_b32_e32 v29, s16
	s_and_saveexec_b64 s[4:5], s[10:11]
	s_cbranch_execnz .LBB25_96
.LBB25_50:
	s_or_b64 exec, exec, s[4:5]
	v_cmp_eq_u32_e64 s[4:5], v29, v28
	s_and_saveexec_b64 s[10:11], s[4:5]
	s_cbranch_execz .LBB25_52
.LBB25_51:
	ds_read2_b64 v[30:33], v20 offset1:2
	ds_read_u8 v29, v17 offset:2
	ds_read_u8 v34, v17
	ds_write2_b64 v16, v[2:3], v[0:1] offset1:2
	s_waitcnt lgkmcnt(3)
	ds_write2_b64 v20, v[32:33], v[30:31] offset1:2
	s_waitcnt lgkmcnt(3)
	ds_write_b8 v17, v29
	s_waitcnt lgkmcnt(3)
	ds_write_b8 v17, v34 offset:2
.LBB25_52:
	s_or_b64 exec, exec, s[10:11]
	s_waitcnt lgkmcnt(0)
	s_barrier
	ds_read_b128 v[0:3], v13
                                        ; implicit-def: $sgpr16
	s_waitcnt lgkmcnt(0)
	v_cmp_le_i64_e64 s[10:11], v[0:1], v[2:3]
	v_cmp_gt_i64_e64 s[4:5], v[0:1], v[2:3]
	s_and_saveexec_b64 s[12:13], s[4:5]
	s_cbranch_execnz .LBB25_97
; %bb.53:
	s_or_b64 exec, exec, s[12:13]
	v_mov_b32_e32 v29, s16
	s_and_saveexec_b64 s[4:5], s[10:11]
	s_cbranch_execnz .LBB25_98
.LBB25_54:
	s_or_b64 exec, exec, s[4:5]
	v_cmp_eq_u32_e64 s[4:5], v29, v28
	s_and_saveexec_b64 s[10:11], s[4:5]
	s_cbranch_execz .LBB25_56
.LBB25_55:
	v_add_u32_e32 v36, v10, v12
	v_mov_b32_e32 v28, v2
	v_mov_b32_e32 v29, v3
	ds_read_b128 v[32:35], v36
	v_mov_b32_e32 v30, v0
	v_mov_b32_e32 v31, v1
	ds_write_b128 v13, v[28:31]
	ds_read_u16 v28, v14
	s_waitcnt lgkmcnt(2)
	v_mov_b32_e32 v0, v34
	v_mov_b32_e32 v1, v35
	v_mov_b32_e32 v2, v32
	v_mov_b32_e32 v3, v33
	s_mov_b32 s4, 0xc0c0001
	ds_write_b128 v36, v[0:3]
	s_waitcnt lgkmcnt(1)
	v_perm_b32 v0, 0, v28, s4
	ds_write_b16 v14, v0
.LBB25_56:
	s_or_b64 exec, exec, s[10:11]
	v_and_b32_e32 v0, 15, v5
	v_sub_u32_e32 v21, v21, v0
	v_lshl_add_u32 v19, v21, 3, v19
	s_waitcnt lgkmcnt(0)
	s_barrier
	ds_read2_b64 v[0:3], v19 offset1:16
	v_add_u32_e32 v18, v18, v21
	s_waitcnt lgkmcnt(0)
	v_cmp_le_i64_e64 s[12:13], v[0:1], v[2:3]
	v_cmp_gt_i64_e64 s[4:5], v[0:1], v[2:3]
	s_and_saveexec_b64 s[10:11], s[4:5]
	s_cbranch_execz .LBB25_58
; %bb.57:
	ds_read_u8 v28, v18
	s_andn2_b64 s[12:13], s[12:13], exec
	s_waitcnt lgkmcnt(0)
	v_and_b32_e32 v28, 1, v28
	v_cmp_eq_u32_e64 s[4:5], 1, v28
	s_xor_b64 s[4:5], s[4:5], -1
	s_and_b64 s[4:5], s[4:5], exec
	s_or_b64 s[12:13], s[12:13], s[4:5]
.LBB25_58:
	s_or_b64 exec, exec, s[10:11]
	s_and_saveexec_b64 s[10:11], s[12:13]
	s_cbranch_execz .LBB25_61
; %bb.59:
	ds_read_u8 v28, v18 offset:16
	s_waitcnt lgkmcnt(0)
	v_cmp_ne_u16_e64 s[4:5], 0, v28
	s_and_b64 exec, exec, s[4:5]
	s_cbranch_execz .LBB25_61
; %bb.60:
	v_lshl_add_u32 v15, v21, 3, v15
	ds_read2_b64 v[30:33], v15 offset1:16
	ds_read_u8 v21, v18
	ds_write2_b64 v19, v[2:3], v[0:1] offset1:16
	ds_write_b8 v18, v28
	s_waitcnt lgkmcnt(3)
	ds_write2_b64 v15, v[32:33], v[30:31] offset1:16
	s_waitcnt lgkmcnt(3)
	ds_write_b8 v18, v21 offset:16
.LBB25_61:
	s_or_b64 exec, exec, s[10:11]
	s_waitcnt lgkmcnt(0)
	s_barrier
	ds_read2_b64 v[0:3], v25 offset1:8
	s_waitcnt lgkmcnt(0)
	v_cmp_le_i64_e64 s[12:13], v[0:1], v[2:3]
	v_cmp_gt_i64_e64 s[4:5], v[0:1], v[2:3]
	s_and_saveexec_b64 s[10:11], s[4:5]
	s_cbranch_execz .LBB25_63
; %bb.62:
	ds_read_u8 v15, v26
	s_andn2_b64 s[12:13], s[12:13], exec
	s_waitcnt lgkmcnt(0)
	v_and_b32_e32 v15, 1, v15
	v_cmp_eq_u32_e64 s[4:5], 1, v15
	s_xor_b64 s[4:5], s[4:5], -1
	s_and_b64 s[4:5], s[4:5], exec
	s_or_b64 s[12:13], s[12:13], s[4:5]
.LBB25_63:
	s_or_b64 exec, exec, s[10:11]
	s_and_saveexec_b64 s[10:11], s[12:13]
	s_cbranch_execz .LBB25_66
; %bb.64:
	ds_read_u8 v15, v26 offset:8
	s_waitcnt lgkmcnt(0)
	v_cmp_ne_u16_e64 s[4:5], 0, v15
	s_and_b64 exec, exec, s[4:5]
	s_cbranch_execz .LBB25_66
; %bb.65:
	ds_read2_b64 v[28:31], v27 offset1:8
	ds_read_u8 v18, v26
	ds_write2_b64 v25, v[2:3], v[0:1] offset1:8
	ds_write_b8 v26, v15
	s_waitcnt lgkmcnt(3)
	ds_write2_b64 v27, v[30:31], v[28:29] offset1:8
	s_waitcnt lgkmcnt(3)
	ds_write_b8 v26, v18 offset:8
.LBB25_66:
	s_or_b64 exec, exec, s[10:11]
	s_waitcnt lgkmcnt(0)
	s_barrier
	ds_read2_b64 v[0:3], v22 offset1:4
	s_waitcnt lgkmcnt(0)
	v_cmp_le_i64_e64 s[12:13], v[0:1], v[2:3]
	v_cmp_gt_i64_e64 s[4:5], v[0:1], v[2:3]
	s_and_saveexec_b64 s[10:11], s[4:5]
	s_cbranch_execz .LBB25_68
; %bb.67:
	ds_read_u8 v15, v23
	s_andn2_b64 s[12:13], s[12:13], exec
	s_waitcnt lgkmcnt(0)
	v_and_b32_e32 v15, 1, v15
	v_cmp_eq_u32_e64 s[4:5], 1, v15
	s_xor_b64 s[4:5], s[4:5], -1
	s_and_b64 s[4:5], s[4:5], exec
	s_or_b64 s[12:13], s[12:13], s[4:5]
.LBB25_68:
	s_or_b64 exec, exec, s[10:11]
	s_and_saveexec_b64 s[10:11], s[12:13]
	s_cbranch_execz .LBB25_71
; %bb.69:
	ds_read_u8 v15, v23 offset:4
	s_waitcnt lgkmcnt(0)
	v_cmp_ne_u16_e64 s[4:5], 0, v15
	s_and_b64 exec, exec, s[4:5]
	s_cbranch_execz .LBB25_71
; %bb.70:
	ds_read2_b64 v[26:29], v24 offset1:4
	ds_read_u8 v18, v23
	ds_write2_b64 v22, v[2:3], v[0:1] offset1:4
	ds_write_b8 v23, v15
	s_waitcnt lgkmcnt(3)
	ds_write2_b64 v24, v[28:29], v[26:27] offset1:4
	s_waitcnt lgkmcnt(3)
	ds_write_b8 v23, v18 offset:4
.LBB25_71:
	;; [unrolled: 38-line block ×3, first 2 shown]
	s_or_b64 exec, exec, s[10:11]
	s_waitcnt lgkmcnt(0)
	s_barrier
	ds_read_b128 v[0:3], v13
	s_waitcnt lgkmcnt(0)
	v_cmp_le_i64_e64 s[12:13], v[0:1], v[2:3]
	v_cmp_gt_i64_e64 s[4:5], v[0:1], v[2:3]
	s_and_saveexec_b64 s[10:11], s[4:5]
	s_cbranch_execz .LBB25_78
; %bb.77:
	ds_read_u8 v15, v14
	s_andn2_b64 s[12:13], s[12:13], exec
	s_waitcnt lgkmcnt(0)
	v_and_b32_e32 v15, 1, v15
	v_cmp_eq_u32_e64 s[4:5], 1, v15
	s_xor_b64 s[4:5], s[4:5], -1
	s_and_b64 s[4:5], s[4:5], exec
	s_or_b64 s[12:13], s[12:13], s[4:5]
.LBB25_78:
	s_or_b64 exec, exec, s[10:11]
	s_and_saveexec_b64 s[10:11], s[12:13]
	s_cbranch_execz .LBB25_81
; %bb.79:
	ds_read_u8 v15, v14 offset:1
	s_waitcnt lgkmcnt(0)
	v_cmp_ne_u16_e64 s[4:5], 0, v15
	s_and_b64 exec, exec, s[4:5]
	s_cbranch_execz .LBB25_81
; %bb.80:
	v_add_u32_e32 v12, v10, v12
	v_mov_b32_e32 v16, v2
	v_mov_b32_e32 v17, v3
	ds_read_b128 v[20:23], v12
	v_mov_b32_e32 v18, v0
	v_mov_b32_e32 v19, v1
	ds_write_b128 v13, v[16:19]
	ds_read_u8 v13, v14
	s_waitcnt lgkmcnt(2)
	v_mov_b32_e32 v0, v22
	v_mov_b32_e32 v1, v23
	;; [unrolled: 1-line block ×4, first 2 shown]
	ds_write_b128 v12, v[0:3]
	s_waitcnt lgkmcnt(1)
	v_lshlrev_b16_e32 v0, 8, v13
	v_or_b32_e32 v0, v15, v0
	ds_write_b16 v14, v0
.LBB25_81:
	s_or_b64 exec, exec, s[10:11]
	s_waitcnt lgkmcnt(0)
	s_barrier
	s_and_saveexec_b64 s[4:5], vcc
	s_cbranch_execz .LBB25_86
; %bb.82:
	s_and_saveexec_b64 s[4:5], s[0:1]
	s_cbranch_execz .LBB25_84
; %bb.83:
	ds_read_b64 v[0:1], v11
	v_mad_u64_u32 v[2:3], s[0:1], v5, s14, v[6:7]
	v_mov_b32_e32 v3, 0
	v_lshlrev_b64 v[12:13], 3, v[2:3]
	v_mov_b32_e32 v2, s7
	v_add_co_u32_e32 v12, vcc, s6, v12
	v_addc_co_u32_e32 v13, vcc, v2, v13, vcc
	ds_read_b64 v[10:11], v10
	s_waitcnt lgkmcnt(1)
	global_store_dwordx2 v[12:13], v[0:1], off
	v_mad_u64_u32 v[0:1], s[0:1], v5, s15, v[4:5]
	v_mov_b32_e32 v1, v3
	v_lshlrev_b64 v[0:1], 3, v[0:1]
	v_mov_b32_e32 v2, s9
	v_add_co_u32_e32 v0, vcc, s8, v0
	v_addc_co_u32_e32 v1, vcc, v2, v1, vcc
	s_waitcnt lgkmcnt(0)
	global_store_dwordx2 v[0:1], v[10:11], off
.LBB25_84:
	s_or_b64 exec, exec, s[4:5]
	s_and_b64 exec, exec, s[2:3]
	s_cbranch_execz .LBB25_86
; %bb.85:
	ds_read_b64 v[0:1], v9
	v_mad_u64_u32 v[2:3], s[0:1], v7, s14, v[6:7]
	v_mov_b32_e32 v3, 0
	v_lshlrev_b64 v[10:11], 3, v[2:3]
	v_mov_b32_e32 v2, s7
	v_add_co_u32_e32 v10, vcc, s6, v10
	v_addc_co_u32_e32 v11, vcc, v2, v11, vcc
	ds_read_b64 v[8:9], v8
	s_waitcnt lgkmcnt(1)
	global_store_dwordx2 v[10:11], v[0:1], off
	v_mad_u64_u32 v[0:1], s[0:1], v7, s15, v[4:5]
	v_mov_b32_e32 v1, v3
	v_lshlrev_b64 v[0:1], 3, v[0:1]
	v_mov_b32_e32 v2, s9
	v_add_co_u32_e32 v0, vcc, s8, v0
	v_addc_co_u32_e32 v1, vcc, v2, v1, vcc
	s_waitcnt lgkmcnt(0)
	global_store_dwordx2 v[0:1], v[8:9], off
.LBB25_86:
	s_endpgm
.LBB25_87:
	ds_read_u8 v23, v14
	s_andn2_b64 s[10:11], s[10:11], exec
	s_mov_b32 s16, 1
	s_waitcnt lgkmcnt(0)
	v_and_b32_e32 v23, 1, v23
	v_cmp_eq_u32_e64 s[4:5], 1, v23
	s_xor_b64 s[4:5], s[4:5], -1
	s_and_b64 s[4:5], s[4:5], exec
	s_or_b64 s[10:11], s[10:11], s[4:5]
	s_or_b64 exec, exec, s[12:13]
	v_mov_b32_e32 v23, s16
	s_and_saveexec_b64 s[4:5], s[10:11]
	s_cbranch_execz .LBB25_22
.LBB25_88:
	ds_read_u8 v23, v14 offset:1
	s_waitcnt lgkmcnt(0)
	v_xor_b32_e32 v23, 1, v23
	s_or_b64 exec, exec, s[4:5]
	v_cmp_eq_u32_e64 s[4:5], v23, v22
	s_and_saveexec_b64 s[10:11], s[4:5]
	s_cbranch_execnz .LBB25_23
	s_branch .LBB25_24
.LBB25_89:
	ds_read_u8 v26, v17
	s_andn2_b64 s[10:11], s[10:11], exec
	s_mov_b32 s16, 1
	s_waitcnt lgkmcnt(0)
	v_and_b32_e32 v26, 1, v26
	v_cmp_eq_u32_e64 s[4:5], 1, v26
	s_xor_b64 s[4:5], s[4:5], -1
	s_and_b64 s[4:5], s[4:5], exec
	s_or_b64 s[10:11], s[10:11], s[4:5]
	s_or_b64 exec, exec, s[12:13]
	v_mov_b32_e32 v26, s16
	s_and_saveexec_b64 s[4:5], s[10:11]
	s_cbranch_execz .LBB25_32
.LBB25_90:
	ds_read_u8 v26, v17 offset:2
	s_waitcnt lgkmcnt(0)
	v_xor_b32_e32 v26, 1, v26
	s_or_b64 exec, exec, s[4:5]
	v_cmp_eq_u32_e64 s[4:5], v26, v25
	s_and_saveexec_b64 s[10:11], s[4:5]
	s_cbranch_execnz .LBB25_33
	s_branch .LBB25_34
.LBB25_91:
	ds_read_u8 v26, v14
	s_andn2_b64 s[10:11], s[10:11], exec
	s_mov_b32 s16, 1
	s_waitcnt lgkmcnt(0)
	v_and_b32_e32 v26, 1, v26
	v_cmp_eq_u32_e64 s[4:5], 1, v26
	s_xor_b64 s[4:5], s[4:5], -1
	s_and_b64 s[4:5], s[4:5], exec
	s_or_b64 s[10:11], s[10:11], s[4:5]
	s_or_b64 exec, exec, s[12:13]
	v_mov_b32_e32 v26, s16
	s_and_saveexec_b64 s[4:5], s[10:11]
	s_cbranch_execz .LBB25_36
.LBB25_92:
	ds_read_u8 v26, v14 offset:1
	s_waitcnt lgkmcnt(0)
	v_xor_b32_e32 v26, 1, v26
	s_or_b64 exec, exec, s[4:5]
	v_cmp_eq_u32_e64 s[4:5], v26, v25
	s_and_saveexec_b64 s[10:11], s[4:5]
	s_cbranch_execnz .LBB25_37
	s_branch .LBB25_38
.LBB25_93:
	ds_read_u8 v29, v23
	s_andn2_b64 s[10:11], s[10:11], exec
	s_mov_b32 s16, 1
	s_waitcnt lgkmcnt(0)
	v_and_b32_e32 v29, 1, v29
	v_cmp_eq_u32_e64 s[4:5], 1, v29
	s_xor_b64 s[4:5], s[4:5], -1
	s_and_b64 s[4:5], s[4:5], exec
	s_or_b64 s[10:11], s[10:11], s[4:5]
	s_or_b64 exec, exec, s[12:13]
	v_mov_b32_e32 v29, s16
	s_and_saveexec_b64 s[4:5], s[10:11]
	s_cbranch_execz .LBB25_46
.LBB25_94:
	ds_read_u8 v29, v23 offset:4
	s_waitcnt lgkmcnt(0)
	v_xor_b32_e32 v29, 1, v29
	s_or_b64 exec, exec, s[4:5]
	v_cmp_eq_u32_e64 s[4:5], v29, v28
	s_and_saveexec_b64 s[10:11], s[4:5]
	s_cbranch_execnz .LBB25_47
	s_branch .LBB25_48
.LBB25_95:
	ds_read_u8 v29, v17
	s_andn2_b64 s[10:11], s[10:11], exec
	s_mov_b32 s16, 1
	s_waitcnt lgkmcnt(0)
	v_and_b32_e32 v29, 1, v29
	v_cmp_eq_u32_e64 s[4:5], 1, v29
	s_xor_b64 s[4:5], s[4:5], -1
	s_and_b64 s[4:5], s[4:5], exec
	s_or_b64 s[10:11], s[10:11], s[4:5]
	s_or_b64 exec, exec, s[12:13]
	v_mov_b32_e32 v29, s16
	s_and_saveexec_b64 s[4:5], s[10:11]
	s_cbranch_execz .LBB25_50
.LBB25_96:
	ds_read_u8 v29, v17 offset:2
	s_waitcnt lgkmcnt(0)
	v_xor_b32_e32 v29, 1, v29
	s_or_b64 exec, exec, s[4:5]
	v_cmp_eq_u32_e64 s[4:5], v29, v28
	s_and_saveexec_b64 s[10:11], s[4:5]
	s_cbranch_execnz .LBB25_51
	s_branch .LBB25_52
.LBB25_97:
	ds_read_u8 v29, v14
	s_andn2_b64 s[10:11], s[10:11], exec
	s_mov_b32 s16, 1
	s_waitcnt lgkmcnt(0)
	v_and_b32_e32 v29, 1, v29
	v_cmp_eq_u32_e64 s[4:5], 1, v29
	s_xor_b64 s[4:5], s[4:5], -1
	s_and_b64 s[4:5], s[4:5], exec
	s_or_b64 s[10:11], s[10:11], s[4:5]
	s_or_b64 exec, exec, s[12:13]
	v_mov_b32_e32 v29, s16
	s_and_saveexec_b64 s[4:5], s[10:11]
	s_cbranch_execz .LBB25_54
.LBB25_98:
	ds_read_u8 v29, v14 offset:1
	s_waitcnt lgkmcnt(0)
	v_xor_b32_e32 v29, 1, v29
	s_or_b64 exec, exec, s[4:5]
	v_cmp_eq_u32_e64 s[4:5], v29, v28
	s_and_saveexec_b64 s[10:11], s[4:5]
	s_cbranch_execnz .LBB25_55
	s_branch .LBB25_56
	.section	.rodata,"a",@progbits
	.p2align	6, 0x0
	.amdhsa_kernel _ZN2at6native20bitonicSortKVInPlaceILin2ELin1ELi16ELi16EllNS0_4GTOpIlLb1EEEjEEvNS_4cuda6detail10TensorInfoIT3_T6_EES8_S8_S8_NS6_IT4_S8_EES8_T5_
		.amdhsa_group_segment_fixed_size 8704
		.amdhsa_private_segment_fixed_size 0
		.amdhsa_kernarg_size 712
		.amdhsa_user_sgpr_count 6
		.amdhsa_user_sgpr_private_segment_buffer 1
		.amdhsa_user_sgpr_dispatch_ptr 0
		.amdhsa_user_sgpr_queue_ptr 0
		.amdhsa_user_sgpr_kernarg_segment_ptr 1
		.amdhsa_user_sgpr_dispatch_id 0
		.amdhsa_user_sgpr_flat_scratch_init 0
		.amdhsa_user_sgpr_kernarg_preload_length 0
		.amdhsa_user_sgpr_kernarg_preload_offset 0
		.amdhsa_user_sgpr_private_segment_size 0
		.amdhsa_uses_dynamic_stack 0
		.amdhsa_system_sgpr_private_segment_wavefront_offset 0
		.amdhsa_system_sgpr_workgroup_id_x 1
		.amdhsa_system_sgpr_workgroup_id_y 1
		.amdhsa_system_sgpr_workgroup_id_z 1
		.amdhsa_system_sgpr_workgroup_info 0
		.amdhsa_system_vgpr_workitem_id 1
		.amdhsa_next_free_vgpr 37
		.amdhsa_next_free_sgpr 18
		.amdhsa_accum_offset 40
		.amdhsa_reserve_vcc 1
		.amdhsa_reserve_flat_scratch 0
		.amdhsa_float_round_mode_32 0
		.amdhsa_float_round_mode_16_64 0
		.amdhsa_float_denorm_mode_32 3
		.amdhsa_float_denorm_mode_16_64 3
		.amdhsa_dx10_clamp 1
		.amdhsa_ieee_mode 1
		.amdhsa_fp16_overflow 0
		.amdhsa_tg_split 0
		.amdhsa_exception_fp_ieee_invalid_op 0
		.amdhsa_exception_fp_denorm_src 0
		.amdhsa_exception_fp_ieee_div_zero 0
		.amdhsa_exception_fp_ieee_overflow 0
		.amdhsa_exception_fp_ieee_underflow 0
		.amdhsa_exception_fp_ieee_inexact 0
		.amdhsa_exception_int_div_zero 0
	.end_amdhsa_kernel
	.section	.text._ZN2at6native20bitonicSortKVInPlaceILin2ELin1ELi16ELi16EllNS0_4GTOpIlLb1EEEjEEvNS_4cuda6detail10TensorInfoIT3_T6_EES8_S8_S8_NS6_IT4_S8_EES8_T5_,"axG",@progbits,_ZN2at6native20bitonicSortKVInPlaceILin2ELin1ELi16ELi16EllNS0_4GTOpIlLb1EEEjEEvNS_4cuda6detail10TensorInfoIT3_T6_EES8_S8_S8_NS6_IT4_S8_EES8_T5_,comdat
.Lfunc_end25:
	.size	_ZN2at6native20bitonicSortKVInPlaceILin2ELin1ELi16ELi16EllNS0_4GTOpIlLb1EEEjEEvNS_4cuda6detail10TensorInfoIT3_T6_EES8_S8_S8_NS6_IT4_S8_EES8_T5_, .Lfunc_end25-_ZN2at6native20bitonicSortKVInPlaceILin2ELin1ELi16ELi16EllNS0_4GTOpIlLb1EEEjEEvNS_4cuda6detail10TensorInfoIT3_T6_EES8_S8_S8_NS6_IT4_S8_EES8_T5_
                                        ; -- End function
	.section	.AMDGPU.csdata,"",@progbits
; Kernel info:
; codeLenInByte = 4680
; NumSgprs: 22
; NumVgprs: 37
; NumAgprs: 0
; TotalNumVgprs: 37
; ScratchSize: 0
; MemoryBound: 0
; FloatMode: 240
; IeeeMode: 1
; LDSByteSize: 8704 bytes/workgroup (compile time only)
; SGPRBlocks: 2
; VGPRBlocks: 4
; NumSGPRsForWavesPerEU: 22
; NumVGPRsForWavesPerEU: 37
; AccumOffset: 40
; Occupancy: 7
; WaveLimiterHint : 1
; COMPUTE_PGM_RSRC2:SCRATCH_EN: 0
; COMPUTE_PGM_RSRC2:USER_SGPR: 6
; COMPUTE_PGM_RSRC2:TRAP_HANDLER: 0
; COMPUTE_PGM_RSRC2:TGID_X_EN: 1
; COMPUTE_PGM_RSRC2:TGID_Y_EN: 1
; COMPUTE_PGM_RSRC2:TGID_Z_EN: 1
; COMPUTE_PGM_RSRC2:TIDIG_COMP_CNT: 1
; COMPUTE_PGM_RSRC3_GFX90A:ACCUM_OFFSET: 9
; COMPUTE_PGM_RSRC3_GFX90A:TG_SPLIT: 0
	.section	.text._ZN2at6native20bitonicSortKVInPlaceILi2ELin1ELi16ELi16EllNS0_4LTOpIlLb1EEEjEEvNS_4cuda6detail10TensorInfoIT3_T6_EES8_S8_S8_NS6_IT4_S8_EES8_T5_,"axG",@progbits,_ZN2at6native20bitonicSortKVInPlaceILi2ELin1ELi16ELi16EllNS0_4LTOpIlLb1EEEjEEvNS_4cuda6detail10TensorInfoIT3_T6_EES8_S8_S8_NS6_IT4_S8_EES8_T5_,comdat
	.protected	_ZN2at6native20bitonicSortKVInPlaceILi2ELin1ELi16ELi16EllNS0_4LTOpIlLb1EEEjEEvNS_4cuda6detail10TensorInfoIT3_T6_EES8_S8_S8_NS6_IT4_S8_EES8_T5_ ; -- Begin function _ZN2at6native20bitonicSortKVInPlaceILi2ELin1ELi16ELi16EllNS0_4LTOpIlLb1EEEjEEvNS_4cuda6detail10TensorInfoIT3_T6_EES8_S8_S8_NS6_IT4_S8_EES8_T5_
	.globl	_ZN2at6native20bitonicSortKVInPlaceILi2ELin1ELi16ELi16EllNS0_4LTOpIlLb1EEEjEEvNS_4cuda6detail10TensorInfoIT3_T6_EES8_S8_S8_NS6_IT4_S8_EES8_T5_
	.p2align	8
	.type	_ZN2at6native20bitonicSortKVInPlaceILi2ELin1ELi16ELi16EllNS0_4LTOpIlLb1EEEjEEvNS_4cuda6detail10TensorInfoIT3_T6_EES8_S8_S8_NS6_IT4_S8_EES8_T5_,@function
_ZN2at6native20bitonicSortKVInPlaceILi2ELin1ELi16ELi16EllNS0_4LTOpIlLb1EEEjEEvNS_4cuda6detail10TensorInfoIT3_T6_EES8_S8_S8_NS6_IT4_S8_EES8_T5_: ; @_ZN2at6native20bitonicSortKVInPlaceILi2ELin1ELi16ELi16EllNS0_4LTOpIlLb1EEEjEEvNS_4cuda6detail10TensorInfoIT3_T6_EES8_S8_S8_NS6_IT4_S8_EES8_T5_
; %bb.0:
	s_load_dwordx2 s[0:1], s[4:5], 0x1c8
	s_load_dwordx4 s[12:15], s[4:5], 0xd8
	s_load_dword s9, s[4:5], 0x1d4
	s_add_u32 s2, s4, 0x1c8
	s_addc_u32 s3, s5, 0
	s_waitcnt lgkmcnt(0)
	s_mul_i32 s1, s1, s8
	s_add_i32 s1, s1, s7
	s_mul_i32 s0, s1, s0
	s_add_i32 s0, s0, s6
	s_lshr_b32 s1, s9, 16
	s_mul_i32 s0, s0, s1
	s_cmp_ge_u32 s0, s12
	s_cbranch_scc1 .LBB26_86
; %bb.1:
	s_load_dword s15, s[4:5], 0xc
	s_load_dwordx2 s[8:9], s[4:5], 0x6c
	s_load_dword s17, s[4:5], 0x1b8
	s_add_u32 s10, s4, 0xe8
	v_bfe_u32 v10, v0, 10, 10
	s_waitcnt lgkmcnt(0)
	v_cvt_f32_u32_e32 v1, s15
	s_addc_u32 s11, s5, 0
	s_load_dwordx2 s[6:7], s[4:5], 0x0
	s_mov_b32 s1, 0
	v_rcp_iflag_f32_e32 v1, v1
	v_mov_b32_e32 v2, 0
	v_mul_f32_e32 v1, 0x4f7ffffe, v1
	v_cvt_u32_f32_e32 v3, v1
	v_add_u32_e32 v1, s0, v10
	s_sub_i32 s0, 0, s15
	s_cmp_lt_i32 s17, 2
	v_mul_lo_u32 v4, s0, v3
	v_mul_hi_u32 v4, v3, v4
	v_add_u32_e32 v3, v3, v4
	v_mad_u64_u32 v[4:5], s[18:19], v1, v3, 0
	v_mov_b32_e32 v4, v1
	s_cbranch_scc1 .LBB26_4
; %bb.2:
	s_add_i32 s0, s17, -1
	s_add_i32 s16, s17, 1
	s_lshl_b64 s[0:1], s[0:1], 2
	s_add_u32 s0, s0, s10
	s_addc_u32 s1, s1, s11
	s_add_u32 s0, s0, 8
	s_addc_u32 s1, s1, 0
	v_mov_b32_e32 v2, 0
	v_mov_b32_e32 v4, v1
.LBB26_3:                               ; =>This Inner Loop Header: Depth=1
	s_load_dword s17, s[0:1], 0x0
	s_load_dword s18, s[0:1], 0x64
	v_mov_b32_e32 v3, v4
	s_add_i32 s16, s16, -1
	s_waitcnt lgkmcnt(0)
	v_cvt_f32_u32_e32 v4, s17
	s_sub_i32 s19, 0, s17
	s_add_u32 s0, s0, -4
	s_addc_u32 s1, s1, -1
	v_rcp_iflag_f32_e32 v4, v4
	s_cmp_gt_u32 s16, 2
	v_mul_f32_e32 v4, 0x4f7ffffe, v4
	v_cvt_u32_f32_e32 v4, v4
	v_mul_lo_u32 v6, s19, v4
	v_mul_hi_u32 v6, v4, v6
	v_add_u32_e32 v4, v4, v6
	v_mul_hi_u32 v4, v3, v4
	v_mul_lo_u32 v6, v4, s17
	v_sub_u32_e32 v6, v3, v6
	v_add_u32_e32 v7, 1, v4
	v_cmp_le_u32_e32 vcc, s17, v6
	v_cndmask_b32_e32 v4, v4, v7, vcc
	v_subrev_u32_e32 v7, s17, v6
	v_cndmask_b32_e32 v6, v6, v7, vcc
	v_add_u32_e32 v7, 1, v4
	v_cmp_le_u32_e32 vcc, s17, v6
	v_cndmask_b32_e32 v4, v4, v7, vcc
	v_mul_lo_u32 v6, v4, s17
	v_sub_u32_e32 v3, v3, v6
	v_mad_u64_u32 v[2:3], s[18:19], s18, v3, v[2:3]
	s_cbranch_scc1 .LBB26_3
.LBB26_4:
	v_mul_lo_u32 v3, v5, s15
	v_sub_u32_e32 v3, v1, v3
	v_add_u32_e32 v6, 1, v5
	v_cmp_le_u32_e64 s[0:1], s15, v3
	v_cndmask_b32_e64 v5, v5, v6, s[0:1]
	v_subrev_u32_e32 v6, s15, v3
	v_cndmask_b32_e64 v3, v3, v6, s[0:1]
	v_add_u32_e32 v6, 1, v5
	v_cmp_le_u32_e64 s[0:1], s15, v3
	v_cndmask_b32_e64 v3, v5, v6, s[0:1]
	v_cmp_gt_u32_e32 vcc, s12, v1
	v_mul_lo_u32 v5, v3, s15
	s_load_dword s15, s[4:5], 0x1c0
	s_load_dword s12, s[10:11], 0x6c
	v_sub_u32_e32 v1, v1, v5
	v_mul_lo_u32 v6, v1, s9
	v_mad_u64_u32 v[6:7], s[0:1], v3, s8, v[6:7]
	s_load_dwordx2 s[8:9], s[10:11], 0x0
	s_waitcnt lgkmcnt(0)
	v_mad_u64_u32 v[4:5], s[0:1], s12, v4, v[2:3]
	s_load_dword s12, s[2:3], 0xc
	v_and_b32_e32 v5, 0x3ff, v0
	v_cmp_gt_u32_e64 s[0:1], s13, v5
	v_pk_mov_b32 v[0:1], 0, 0
	s_and_b64 s[4:5], vcc, s[0:1]
	v_pk_mov_b32 v[2:3], v[0:1], v[0:1] op_sel:[0,1]
	v_pk_mov_b32 v[8:9], v[0:1], v[0:1] op_sel:[0,1]
	s_and_saveexec_b64 s[10:11], s[4:5]
	s_cbranch_execz .LBB26_6
; %bb.5:
	v_mad_u64_u32 v[8:9], s[2:3], v5, s14, v[6:7]
	v_mov_b32_e32 v9, 0
	v_lshlrev_b64 v[2:3], 3, v[8:9]
	v_mov_b32_e32 v7, s7
	v_add_co_u32_e64 v2, s[2:3], s6, v2
	v_addc_co_u32_e64 v3, s[2:3], v7, v3, s[2:3]
	v_mad_u64_u32 v[12:13], s[2:3], v5, s15, v[4:5]
	v_mov_b32_e32 v13, v9
	v_lshlrev_b64 v[8:9], 3, v[12:13]
	v_mov_b32_e32 v7, s9
	v_add_co_u32_e64 v8, s[2:3], s8, v8
	v_addc_co_u32_e64 v9, s[2:3], v7, v9, s[2:3]
	global_load_dwordx2 v[2:3], v[2:3], off
	s_nop 0
	global_load_dwordx2 v[8:9], v[8:9], off
.LBB26_6:
	s_or_b64 exec, exec, s[10:11]
	v_lshlrev_b32_e32 v19, 8, v10
	v_mov_b32_e32 v11, 0x2000
	v_lshlrev_b32_e32 v12, 3, v5
	v_lshl_add_u32 v18, v10, 5, v11
	v_add_u32_e32 v11, v19, v12
	s_waitcnt lgkmcnt(0)
	s_and_b32 s16, 0xffff, s12
	v_cndmask_b32_e64 v7, 0, 1, s[4:5]
	s_waitcnt vmcnt(1)
	ds_write_b64 v11, v[2:3]
	v_add_u32_e32 v2, v18, v5
	ds_write_b8 v2, v7
	v_add_u32_e32 v7, s16, v5
	v_add_u32_e32 v15, 0x1000, v19
	v_cmp_gt_u32_e64 s[2:3], s13, v7
	v_add_u32_e32 v10, v15, v12
	s_and_b64 s[10:11], vcc, s[2:3]
	v_pk_mov_b32 v[2:3], v[0:1], v[0:1] op_sel:[0,1]
	s_waitcnt vmcnt(0)
	ds_write_b64 v10, v[8:9]
	s_and_saveexec_b64 s[12:13], s[10:11]
	s_cbranch_execz .LBB26_8
; %bb.7:
	v_mad_u64_u32 v[2:3], s[4:5], v7, s14, v[6:7]
	v_mov_b32_e32 v3, 0
	v_lshlrev_b64 v[0:1], 3, v[2:3]
	v_mov_b32_e32 v2, s7
	v_add_co_u32_e64 v0, s[4:5], s6, v0
	v_addc_co_u32_e64 v1, s[4:5], v2, v1, s[4:5]
	v_mad_u64_u32 v[8:9], s[4:5], v7, s15, v[4:5]
	v_mov_b32_e32 v9, v3
	v_lshlrev_b64 v[2:3], 3, v[8:9]
	v_mov_b32_e32 v8, s9
	v_add_co_u32_e64 v2, s[4:5], s8, v2
	v_addc_co_u32_e64 v3, s[4:5], v8, v3, s[4:5]
	global_load_dwordx2 v[0:1], v[0:1], off
	s_nop 0
	global_load_dwordx2 v[2:3], v[2:3], off
.LBB26_8:
	s_or_b64 exec, exec, s[12:13]
	s_lshl_b32 s4, s16, 3
	v_add_u32_e32 v9, s4, v11
	v_cndmask_b32_e64 v13, 0, 1, s[10:11]
	s_waitcnt vmcnt(1)
	ds_write_b64 v9, v[0:1]
	v_add_u32_e32 v0, v18, v7
	v_add_u32_e32 v8, s4, v10
	ds_write_b8 v0, v13
	v_add_u32_e32 v13, v11, v12
	s_waitcnt vmcnt(0)
	ds_write_b64 v8, v[2:3]
	s_waitcnt lgkmcnt(0)
	s_barrier
	ds_read_b128 v[0:3], v13
	v_lshlrev_b32_e32 v21, 1, v5
	s_mov_b32 s16, 1
	v_add_u32_e32 v14, v18, v21
	s_waitcnt lgkmcnt(0)
	v_cmp_ge_i64_e64 s[10:11], v[0:1], v[2:3]
	v_cmp_lt_i64_e64 s[4:5], v[0:1], v[2:3]
	s_and_saveexec_b64 s[12:13], s[4:5]
	s_xor_b64 s[12:13], exec, s[12:13]
	s_cbranch_execz .LBB26_10
; %bb.9:
	ds_read_u8 v16, v14
	s_andn2_b64 s[10:11], s[10:11], exec
	s_waitcnt lgkmcnt(0)
	v_and_b32_e32 v16, 1, v16
	v_cmp_eq_u32_e64 s[4:5], 1, v16
	s_xor_b64 s[4:5], s[4:5], -1
	s_and_b64 s[4:5], s[4:5], exec
	s_or_b64 s[10:11], s[10:11], s[4:5]
.LBB26_10:
	s_or_b64 exec, exec, s[12:13]
	v_mov_b32_e32 v17, s16
	s_and_saveexec_b64 s[4:5], s[10:11]
	s_cbranch_execz .LBB26_12
; %bb.11:
	ds_read_u8 v16, v14 offset:1
	s_waitcnt lgkmcnt(0)
	v_xor_b32_e32 v17, 1, v16
.LBB26_12:
	s_or_b64 exec, exec, s[4:5]
	v_and_b32_e32 v16, 1, v5
	v_cmp_eq_u32_e64 s[4:5], v17, v16
	s_and_saveexec_b64 s[10:11], s[4:5]
	s_cbranch_execz .LBB26_14
; %bb.13:
	v_add_u32_e32 v17, v10, v12
	ds_read_b128 v[26:29], v17
	ds_read_u16 v20, v14
	v_mov_b32_e32 v22, v2
	v_mov_b32_e32 v23, v3
	;; [unrolled: 1-line block ×4, first 2 shown]
	s_waitcnt lgkmcnt(1)
	v_mov_b32_e32 v0, v28
	v_mov_b32_e32 v1, v29
	v_mov_b32_e32 v2, v26
	v_mov_b32_e32 v3, v27
	s_mov_b32 s4, 0xc0c0001
	ds_write_b128 v17, v[0:3]
	s_waitcnt lgkmcnt(1)
	v_perm_b32 v0, 0, v20, s4
	ds_write_b128 v13, v[22:25]
	ds_write_b16 v14, v0
.LBB26_14:
	s_or_b64 exec, exec, s[10:11]
	v_sub_u32_e32 v20, v21, v16
	v_lshl_add_u32 v16, v20, 3, v19
	s_waitcnt lgkmcnt(0)
	s_barrier
	ds_read2_b64 v[0:3], v16 offset1:2
	s_mov_b64 s[10:11], -1
	v_add_u32_e32 v17, v18, v20
                                        ; implicit-def: $sgpr16
	s_waitcnt lgkmcnt(0)
	v_cmp_lt_i64_e64 s[4:5], v[0:1], v[2:3]
	s_and_saveexec_b64 s[12:13], s[4:5]
	s_xor_b64 s[12:13], exec, s[12:13]
	s_cbranch_execz .LBB26_16
; %bb.15:
	ds_read_u8 v22, v17
	s_mov_b32 s16, 1
	s_waitcnt lgkmcnt(0)
	v_and_b32_e32 v22, 1, v22
	v_cmp_eq_u32_e64 s[4:5], 1, v22
	s_xor_b64 s[4:5], s[4:5], -1
	s_orn2_b64 s[10:11], s[4:5], exec
.LBB26_16:
	s_or_b64 exec, exec, s[12:13]
	v_mov_b32_e32 v23, s16
	s_and_saveexec_b64 s[4:5], s[10:11]
	s_cbranch_execz .LBB26_18
; %bb.17:
	ds_read_u8 v22, v17 offset:2
	s_waitcnt lgkmcnt(0)
	v_xor_b32_e32 v23, 1, v22
.LBB26_18:
	s_or_b64 exec, exec, s[4:5]
	v_bfe_u32 v22, v5, 1, 1
	v_lshl_add_u32 v20, v20, 3, v15
	v_cmp_eq_u32_e64 s[4:5], v23, v22
	s_and_saveexec_b64 s[10:11], s[4:5]
	s_cbranch_execz .LBB26_20
; %bb.19:
	ds_read2_b64 v[24:27], v20 offset1:2
	ds_read_u8 v23, v17 offset:2
	ds_read_u8 v28, v17
	ds_write2_b64 v16, v[2:3], v[0:1] offset1:2
	s_waitcnt lgkmcnt(3)
	ds_write2_b64 v20, v[26:27], v[24:25] offset1:2
	s_waitcnt lgkmcnt(3)
	ds_write_b8 v17, v23
	s_waitcnt lgkmcnt(3)
	ds_write_b8 v17, v28 offset:2
.LBB26_20:
	s_or_b64 exec, exec, s[10:11]
	s_waitcnt lgkmcnt(0)
	s_barrier
	ds_read_b128 v[0:3], v13
                                        ; implicit-def: $sgpr16
	s_waitcnt lgkmcnt(0)
	v_cmp_ge_i64_e64 s[10:11], v[0:1], v[2:3]
	v_cmp_lt_i64_e64 s[4:5], v[0:1], v[2:3]
	s_and_saveexec_b64 s[12:13], s[4:5]
	s_cbranch_execnz .LBB26_87
; %bb.21:
	s_or_b64 exec, exec, s[12:13]
	v_mov_b32_e32 v23, s16
	s_and_saveexec_b64 s[4:5], s[10:11]
	s_cbranch_execnz .LBB26_88
.LBB26_22:
	s_or_b64 exec, exec, s[4:5]
	v_cmp_eq_u32_e64 s[4:5], v23, v22
	s_and_saveexec_b64 s[10:11], s[4:5]
	s_cbranch_execz .LBB26_24
.LBB26_23:
	v_add_u32_e32 v30, v10, v12
	v_mov_b32_e32 v22, v2
	v_mov_b32_e32 v23, v3
	ds_read_b128 v[26:29], v30
	v_mov_b32_e32 v24, v0
	v_mov_b32_e32 v25, v1
	ds_write_b128 v13, v[22:25]
	ds_read_u16 v22, v14
	s_waitcnt lgkmcnt(2)
	v_mov_b32_e32 v0, v28
	v_mov_b32_e32 v1, v29
	;; [unrolled: 1-line block ×4, first 2 shown]
	s_mov_b32 s4, 0xc0c0001
	ds_write_b128 v30, v[0:3]
	s_waitcnt lgkmcnt(1)
	v_perm_b32 v0, 0, v22, s4
	ds_write_b16 v14, v0
.LBB26_24:
	s_or_b64 exec, exec, s[10:11]
	v_and_b32_e32 v0, 3, v5
	v_sub_u32_e32 v24, v21, v0
	v_lshl_add_u32 v22, v24, 3, v19
	s_waitcnt lgkmcnt(0)
	s_barrier
	ds_read2_b64 v[0:3], v22 offset1:4
	v_add_u32_e32 v23, v18, v24
                                        ; implicit-def: $sgpr16
	s_waitcnt lgkmcnt(0)
	v_cmp_ge_i64_e64 s[10:11], v[0:1], v[2:3]
	v_cmp_lt_i64_e64 s[4:5], v[0:1], v[2:3]
	s_and_saveexec_b64 s[12:13], s[4:5]
	s_cbranch_execz .LBB26_26
; %bb.25:
	ds_read_u8 v25, v23
	s_andn2_b64 s[10:11], s[10:11], exec
	s_mov_b32 s16, 1
	s_waitcnt lgkmcnt(0)
	v_and_b32_e32 v25, 1, v25
	v_cmp_eq_u32_e64 s[4:5], 1, v25
	s_xor_b64 s[4:5], s[4:5], -1
	s_and_b64 s[4:5], s[4:5], exec
	s_or_b64 s[10:11], s[10:11], s[4:5]
.LBB26_26:
	s_or_b64 exec, exec, s[12:13]
	v_mov_b32_e32 v26, s16
	s_and_saveexec_b64 s[4:5], s[10:11]
	s_cbranch_execz .LBB26_28
; %bb.27:
	ds_read_u8 v25, v23 offset:4
	s_waitcnt lgkmcnt(0)
	v_xor_b32_e32 v26, 1, v25
.LBB26_28:
	s_or_b64 exec, exec, s[4:5]
	v_bfe_u32 v25, v5, 2, 1
	v_lshl_add_u32 v24, v24, 3, v15
	v_cmp_eq_u32_e64 s[4:5], v26, v25
	s_and_saveexec_b64 s[10:11], s[4:5]
	s_cbranch_execz .LBB26_30
; %bb.29:
	ds_read2_b64 v[26:29], v24 offset1:4
	ds_read_u8 v30, v23 offset:4
	ds_read_u8 v31, v23
	ds_write2_b64 v22, v[2:3], v[0:1] offset1:4
	s_waitcnt lgkmcnt(3)
	ds_write2_b64 v24, v[28:29], v[26:27] offset1:4
	s_waitcnt lgkmcnt(3)
	ds_write_b8 v23, v30
	s_waitcnt lgkmcnt(3)
	ds_write_b8 v23, v31 offset:4
.LBB26_30:
	s_or_b64 exec, exec, s[10:11]
	s_waitcnt lgkmcnt(0)
	s_barrier
	ds_read2_b64 v[0:3], v16 offset1:2
                                        ; implicit-def: $sgpr16
	s_waitcnt lgkmcnt(0)
	v_cmp_ge_i64_e64 s[10:11], v[0:1], v[2:3]
	v_cmp_lt_i64_e64 s[4:5], v[0:1], v[2:3]
	s_and_saveexec_b64 s[12:13], s[4:5]
	s_cbranch_execnz .LBB26_89
; %bb.31:
	s_or_b64 exec, exec, s[12:13]
	v_mov_b32_e32 v26, s16
	s_and_saveexec_b64 s[4:5], s[10:11]
	s_cbranch_execnz .LBB26_90
.LBB26_32:
	s_or_b64 exec, exec, s[4:5]
	v_cmp_eq_u32_e64 s[4:5], v26, v25
	s_and_saveexec_b64 s[10:11], s[4:5]
	s_cbranch_execz .LBB26_34
.LBB26_33:
	ds_read2_b64 v[26:29], v20 offset1:2
	ds_read_u8 v30, v17 offset:2
	ds_read_u8 v31, v17
	ds_write2_b64 v16, v[2:3], v[0:1] offset1:2
	s_waitcnt lgkmcnt(3)
	ds_write2_b64 v20, v[28:29], v[26:27] offset1:2
	s_waitcnt lgkmcnt(3)
	ds_write_b8 v17, v30
	s_waitcnt lgkmcnt(3)
	ds_write_b8 v17, v31 offset:2
.LBB26_34:
	s_or_b64 exec, exec, s[10:11]
	s_waitcnt lgkmcnt(0)
	s_barrier
	ds_read_b128 v[0:3], v13
                                        ; implicit-def: $sgpr16
	s_waitcnt lgkmcnt(0)
	v_cmp_ge_i64_e64 s[10:11], v[0:1], v[2:3]
	v_cmp_lt_i64_e64 s[4:5], v[0:1], v[2:3]
	s_and_saveexec_b64 s[12:13], s[4:5]
	s_cbranch_execnz .LBB26_91
; %bb.35:
	s_or_b64 exec, exec, s[12:13]
	v_mov_b32_e32 v26, s16
	s_and_saveexec_b64 s[4:5], s[10:11]
	s_cbranch_execnz .LBB26_92
.LBB26_36:
	s_or_b64 exec, exec, s[4:5]
	v_cmp_eq_u32_e64 s[4:5], v26, v25
	s_and_saveexec_b64 s[10:11], s[4:5]
	s_cbranch_execz .LBB26_38
.LBB26_37:
	v_add_u32_e32 v25, v10, v12
	v_mov_b32_e32 v26, v2
	v_mov_b32_e32 v27, v3
	ds_read_b128 v[30:33], v25
	v_mov_b32_e32 v28, v0
	v_mov_b32_e32 v29, v1
	ds_write_b128 v13, v[26:29]
	ds_read_u16 v26, v14
	s_waitcnt lgkmcnt(2)
	v_mov_b32_e32 v0, v32
	v_mov_b32_e32 v1, v33
	;; [unrolled: 1-line block ×4, first 2 shown]
	s_mov_b32 s4, 0xc0c0001
	ds_write_b128 v25, v[0:3]
	s_waitcnt lgkmcnt(1)
	v_perm_b32 v0, 0, v26, s4
	ds_write_b16 v14, v0
.LBB26_38:
	s_or_b64 exec, exec, s[10:11]
	v_and_b32_e32 v0, 7, v5
	v_sub_u32_e32 v27, v21, v0
	v_lshl_add_u32 v25, v27, 3, v19
	s_waitcnt lgkmcnt(0)
	s_barrier
	ds_read2_b64 v[0:3], v25 offset1:8
	v_add_u32_e32 v26, v18, v27
                                        ; implicit-def: $sgpr16
	s_waitcnt lgkmcnt(0)
	v_cmp_ge_i64_e64 s[10:11], v[0:1], v[2:3]
	v_cmp_lt_i64_e64 s[4:5], v[0:1], v[2:3]
	s_and_saveexec_b64 s[12:13], s[4:5]
	s_cbranch_execz .LBB26_40
; %bb.39:
	ds_read_u8 v28, v26
	s_andn2_b64 s[10:11], s[10:11], exec
	s_mov_b32 s16, 1
	s_waitcnt lgkmcnt(0)
	v_and_b32_e32 v28, 1, v28
	v_cmp_eq_u32_e64 s[4:5], 1, v28
	s_xor_b64 s[4:5], s[4:5], -1
	s_and_b64 s[4:5], s[4:5], exec
	s_or_b64 s[10:11], s[10:11], s[4:5]
.LBB26_40:
	s_or_b64 exec, exec, s[12:13]
	v_mov_b32_e32 v29, s16
	s_and_saveexec_b64 s[4:5], s[10:11]
	s_cbranch_execz .LBB26_42
; %bb.41:
	ds_read_u8 v28, v26 offset:8
	s_waitcnt lgkmcnt(0)
	v_xor_b32_e32 v29, 1, v28
.LBB26_42:
	s_or_b64 exec, exec, s[4:5]
	v_bfe_u32 v28, v5, 3, 1
	v_lshl_add_u32 v27, v27, 3, v15
	v_cmp_eq_u32_e64 s[4:5], v29, v28
	s_and_saveexec_b64 s[10:11], s[4:5]
	s_cbranch_execz .LBB26_44
; %bb.43:
	ds_read2_b64 v[30:33], v27 offset1:8
	ds_read_u8 v29, v26 offset:8
	ds_read_u8 v34, v26
	ds_write2_b64 v25, v[2:3], v[0:1] offset1:8
	s_waitcnt lgkmcnt(3)
	ds_write2_b64 v27, v[32:33], v[30:31] offset1:8
	s_waitcnt lgkmcnt(3)
	ds_write_b8 v26, v29
	s_waitcnt lgkmcnt(3)
	ds_write_b8 v26, v34 offset:8
.LBB26_44:
	s_or_b64 exec, exec, s[10:11]
	s_waitcnt lgkmcnt(0)
	s_barrier
	ds_read2_b64 v[0:3], v22 offset1:4
                                        ; implicit-def: $sgpr16
	s_waitcnt lgkmcnt(0)
	v_cmp_ge_i64_e64 s[10:11], v[0:1], v[2:3]
	v_cmp_lt_i64_e64 s[4:5], v[0:1], v[2:3]
	s_and_saveexec_b64 s[12:13], s[4:5]
	s_cbranch_execnz .LBB26_93
; %bb.45:
	s_or_b64 exec, exec, s[12:13]
	v_mov_b32_e32 v29, s16
	s_and_saveexec_b64 s[4:5], s[10:11]
	s_cbranch_execnz .LBB26_94
.LBB26_46:
	s_or_b64 exec, exec, s[4:5]
	v_cmp_eq_u32_e64 s[4:5], v29, v28
	s_and_saveexec_b64 s[10:11], s[4:5]
	s_cbranch_execz .LBB26_48
.LBB26_47:
	ds_read2_b64 v[30:33], v24 offset1:4
	ds_read_u8 v29, v23 offset:4
	ds_read_u8 v34, v23
	ds_write2_b64 v22, v[2:3], v[0:1] offset1:4
	s_waitcnt lgkmcnt(3)
	ds_write2_b64 v24, v[32:33], v[30:31] offset1:4
	s_waitcnt lgkmcnt(3)
	ds_write_b8 v23, v29
	s_waitcnt lgkmcnt(3)
	ds_write_b8 v23, v34 offset:4
.LBB26_48:
	s_or_b64 exec, exec, s[10:11]
	s_waitcnt lgkmcnt(0)
	s_barrier
	ds_read2_b64 v[0:3], v16 offset1:2
                                        ; implicit-def: $sgpr16
	s_waitcnt lgkmcnt(0)
	v_cmp_ge_i64_e64 s[10:11], v[0:1], v[2:3]
	v_cmp_lt_i64_e64 s[4:5], v[0:1], v[2:3]
	s_and_saveexec_b64 s[12:13], s[4:5]
	s_cbranch_execnz .LBB26_95
; %bb.49:
	s_or_b64 exec, exec, s[12:13]
	v_mov_b32_e32 v29, s16
	s_and_saveexec_b64 s[4:5], s[10:11]
	s_cbranch_execnz .LBB26_96
.LBB26_50:
	s_or_b64 exec, exec, s[4:5]
	v_cmp_eq_u32_e64 s[4:5], v29, v28
	s_and_saveexec_b64 s[10:11], s[4:5]
	s_cbranch_execz .LBB26_52
.LBB26_51:
	ds_read2_b64 v[30:33], v20 offset1:2
	ds_read_u8 v29, v17 offset:2
	ds_read_u8 v34, v17
	ds_write2_b64 v16, v[2:3], v[0:1] offset1:2
	s_waitcnt lgkmcnt(3)
	ds_write2_b64 v20, v[32:33], v[30:31] offset1:2
	s_waitcnt lgkmcnt(3)
	ds_write_b8 v17, v29
	s_waitcnt lgkmcnt(3)
	ds_write_b8 v17, v34 offset:2
.LBB26_52:
	s_or_b64 exec, exec, s[10:11]
	s_waitcnt lgkmcnt(0)
	s_barrier
	ds_read_b128 v[0:3], v13
                                        ; implicit-def: $sgpr16
	s_waitcnt lgkmcnt(0)
	v_cmp_ge_i64_e64 s[10:11], v[0:1], v[2:3]
	v_cmp_lt_i64_e64 s[4:5], v[0:1], v[2:3]
	s_and_saveexec_b64 s[12:13], s[4:5]
	s_cbranch_execnz .LBB26_97
; %bb.53:
	s_or_b64 exec, exec, s[12:13]
	v_mov_b32_e32 v29, s16
	s_and_saveexec_b64 s[4:5], s[10:11]
	s_cbranch_execnz .LBB26_98
.LBB26_54:
	s_or_b64 exec, exec, s[4:5]
	v_cmp_eq_u32_e64 s[4:5], v29, v28
	s_and_saveexec_b64 s[10:11], s[4:5]
	s_cbranch_execz .LBB26_56
.LBB26_55:
	v_add_u32_e32 v36, v10, v12
	v_mov_b32_e32 v28, v2
	v_mov_b32_e32 v29, v3
	ds_read_b128 v[32:35], v36
	v_mov_b32_e32 v30, v0
	v_mov_b32_e32 v31, v1
	ds_write_b128 v13, v[28:31]
	ds_read_u16 v28, v14
	s_waitcnt lgkmcnt(2)
	v_mov_b32_e32 v0, v34
	v_mov_b32_e32 v1, v35
	;; [unrolled: 1-line block ×4, first 2 shown]
	s_mov_b32 s4, 0xc0c0001
	ds_write_b128 v36, v[0:3]
	s_waitcnt lgkmcnt(1)
	v_perm_b32 v0, 0, v28, s4
	ds_write_b16 v14, v0
.LBB26_56:
	s_or_b64 exec, exec, s[10:11]
	v_and_b32_e32 v0, 15, v5
	v_sub_u32_e32 v21, v21, v0
	v_lshl_add_u32 v19, v21, 3, v19
	s_waitcnt lgkmcnt(0)
	s_barrier
	ds_read2_b64 v[0:3], v19 offset1:16
	v_add_u32_e32 v18, v18, v21
	s_waitcnt lgkmcnt(0)
	v_cmp_ge_i64_e64 s[12:13], v[0:1], v[2:3]
	v_cmp_lt_i64_e64 s[4:5], v[0:1], v[2:3]
	s_and_saveexec_b64 s[10:11], s[4:5]
	s_cbranch_execz .LBB26_58
; %bb.57:
	ds_read_u8 v28, v18
	s_andn2_b64 s[12:13], s[12:13], exec
	s_waitcnt lgkmcnt(0)
	v_and_b32_e32 v28, 1, v28
	v_cmp_eq_u32_e64 s[4:5], 1, v28
	s_xor_b64 s[4:5], s[4:5], -1
	s_and_b64 s[4:5], s[4:5], exec
	s_or_b64 s[12:13], s[12:13], s[4:5]
.LBB26_58:
	s_or_b64 exec, exec, s[10:11]
	s_and_saveexec_b64 s[10:11], s[12:13]
	s_cbranch_execz .LBB26_61
; %bb.59:
	ds_read_u8 v28, v18 offset:16
	s_waitcnt lgkmcnt(0)
	v_cmp_ne_u16_e64 s[4:5], 0, v28
	s_and_b64 exec, exec, s[4:5]
	s_cbranch_execz .LBB26_61
; %bb.60:
	v_lshl_add_u32 v15, v21, 3, v15
	ds_read2_b64 v[30:33], v15 offset1:16
	ds_read_u8 v21, v18
	ds_write2_b64 v19, v[2:3], v[0:1] offset1:16
	ds_write_b8 v18, v28
	s_waitcnt lgkmcnt(3)
	ds_write2_b64 v15, v[32:33], v[30:31] offset1:16
	s_waitcnt lgkmcnt(3)
	ds_write_b8 v18, v21 offset:16
.LBB26_61:
	s_or_b64 exec, exec, s[10:11]
	s_waitcnt lgkmcnt(0)
	s_barrier
	ds_read2_b64 v[0:3], v25 offset1:8
	s_waitcnt lgkmcnt(0)
	v_cmp_ge_i64_e64 s[12:13], v[0:1], v[2:3]
	v_cmp_lt_i64_e64 s[4:5], v[0:1], v[2:3]
	s_and_saveexec_b64 s[10:11], s[4:5]
	s_cbranch_execz .LBB26_63
; %bb.62:
	ds_read_u8 v15, v26
	s_andn2_b64 s[12:13], s[12:13], exec
	s_waitcnt lgkmcnt(0)
	v_and_b32_e32 v15, 1, v15
	v_cmp_eq_u32_e64 s[4:5], 1, v15
	s_xor_b64 s[4:5], s[4:5], -1
	s_and_b64 s[4:5], s[4:5], exec
	s_or_b64 s[12:13], s[12:13], s[4:5]
.LBB26_63:
	s_or_b64 exec, exec, s[10:11]
	s_and_saveexec_b64 s[10:11], s[12:13]
	s_cbranch_execz .LBB26_66
; %bb.64:
	ds_read_u8 v15, v26 offset:8
	s_waitcnt lgkmcnt(0)
	v_cmp_ne_u16_e64 s[4:5], 0, v15
	s_and_b64 exec, exec, s[4:5]
	s_cbranch_execz .LBB26_66
; %bb.65:
	ds_read2_b64 v[28:31], v27 offset1:8
	ds_read_u8 v18, v26
	ds_write2_b64 v25, v[2:3], v[0:1] offset1:8
	ds_write_b8 v26, v15
	s_waitcnt lgkmcnt(3)
	ds_write2_b64 v27, v[30:31], v[28:29] offset1:8
	s_waitcnt lgkmcnt(3)
	ds_write_b8 v26, v18 offset:8
.LBB26_66:
	s_or_b64 exec, exec, s[10:11]
	s_waitcnt lgkmcnt(0)
	s_barrier
	ds_read2_b64 v[0:3], v22 offset1:4
	s_waitcnt lgkmcnt(0)
	v_cmp_ge_i64_e64 s[12:13], v[0:1], v[2:3]
	v_cmp_lt_i64_e64 s[4:5], v[0:1], v[2:3]
	s_and_saveexec_b64 s[10:11], s[4:5]
	s_cbranch_execz .LBB26_68
; %bb.67:
	ds_read_u8 v15, v23
	s_andn2_b64 s[12:13], s[12:13], exec
	s_waitcnt lgkmcnt(0)
	v_and_b32_e32 v15, 1, v15
	v_cmp_eq_u32_e64 s[4:5], 1, v15
	s_xor_b64 s[4:5], s[4:5], -1
	s_and_b64 s[4:5], s[4:5], exec
	s_or_b64 s[12:13], s[12:13], s[4:5]
.LBB26_68:
	s_or_b64 exec, exec, s[10:11]
	s_and_saveexec_b64 s[10:11], s[12:13]
	s_cbranch_execz .LBB26_71
; %bb.69:
	ds_read_u8 v15, v23 offset:4
	s_waitcnt lgkmcnt(0)
	v_cmp_ne_u16_e64 s[4:5], 0, v15
	s_and_b64 exec, exec, s[4:5]
	s_cbranch_execz .LBB26_71
; %bb.70:
	ds_read2_b64 v[26:29], v24 offset1:4
	ds_read_u8 v18, v23
	ds_write2_b64 v22, v[2:3], v[0:1] offset1:4
	ds_write_b8 v23, v15
	s_waitcnt lgkmcnt(3)
	ds_write2_b64 v24, v[28:29], v[26:27] offset1:4
	s_waitcnt lgkmcnt(3)
	ds_write_b8 v23, v18 offset:4
.LBB26_71:
	;; [unrolled: 38-line block ×3, first 2 shown]
	s_or_b64 exec, exec, s[10:11]
	s_waitcnt lgkmcnt(0)
	s_barrier
	ds_read_b128 v[0:3], v13
	s_waitcnt lgkmcnt(0)
	v_cmp_ge_i64_e64 s[12:13], v[0:1], v[2:3]
	v_cmp_lt_i64_e64 s[4:5], v[0:1], v[2:3]
	s_and_saveexec_b64 s[10:11], s[4:5]
	s_cbranch_execz .LBB26_78
; %bb.77:
	ds_read_u8 v15, v14
	s_andn2_b64 s[12:13], s[12:13], exec
	s_waitcnt lgkmcnt(0)
	v_and_b32_e32 v15, 1, v15
	v_cmp_eq_u32_e64 s[4:5], 1, v15
	s_xor_b64 s[4:5], s[4:5], -1
	s_and_b64 s[4:5], s[4:5], exec
	s_or_b64 s[12:13], s[12:13], s[4:5]
.LBB26_78:
	s_or_b64 exec, exec, s[10:11]
	s_and_saveexec_b64 s[10:11], s[12:13]
	s_cbranch_execz .LBB26_81
; %bb.79:
	ds_read_u8 v15, v14 offset:1
	s_waitcnt lgkmcnt(0)
	v_cmp_ne_u16_e64 s[4:5], 0, v15
	s_and_b64 exec, exec, s[4:5]
	s_cbranch_execz .LBB26_81
; %bb.80:
	v_add_u32_e32 v12, v10, v12
	v_mov_b32_e32 v16, v2
	v_mov_b32_e32 v17, v3
	ds_read_b128 v[20:23], v12
	v_mov_b32_e32 v18, v0
	v_mov_b32_e32 v19, v1
	ds_write_b128 v13, v[16:19]
	ds_read_u8 v13, v14
	s_waitcnt lgkmcnt(2)
	v_mov_b32_e32 v0, v22
	v_mov_b32_e32 v1, v23
	;; [unrolled: 1-line block ×4, first 2 shown]
	ds_write_b128 v12, v[0:3]
	s_waitcnt lgkmcnt(1)
	v_lshlrev_b16_e32 v0, 8, v13
	v_or_b32_e32 v0, v15, v0
	ds_write_b16 v14, v0
.LBB26_81:
	s_or_b64 exec, exec, s[10:11]
	s_waitcnt lgkmcnt(0)
	s_barrier
	s_and_saveexec_b64 s[4:5], vcc
	s_cbranch_execz .LBB26_86
; %bb.82:
	s_and_saveexec_b64 s[4:5], s[0:1]
	s_cbranch_execz .LBB26_84
; %bb.83:
	ds_read_b64 v[0:1], v11
	v_mad_u64_u32 v[2:3], s[0:1], v5, s14, v[6:7]
	v_mov_b32_e32 v3, 0
	v_lshlrev_b64 v[12:13], 3, v[2:3]
	v_mov_b32_e32 v2, s7
	v_add_co_u32_e32 v12, vcc, s6, v12
	v_addc_co_u32_e32 v13, vcc, v2, v13, vcc
	ds_read_b64 v[10:11], v10
	s_waitcnt lgkmcnt(1)
	global_store_dwordx2 v[12:13], v[0:1], off
	v_mad_u64_u32 v[0:1], s[0:1], v5, s15, v[4:5]
	v_mov_b32_e32 v1, v3
	v_lshlrev_b64 v[0:1], 3, v[0:1]
	v_mov_b32_e32 v2, s9
	v_add_co_u32_e32 v0, vcc, s8, v0
	v_addc_co_u32_e32 v1, vcc, v2, v1, vcc
	s_waitcnt lgkmcnt(0)
	global_store_dwordx2 v[0:1], v[10:11], off
.LBB26_84:
	s_or_b64 exec, exec, s[4:5]
	s_and_b64 exec, exec, s[2:3]
	s_cbranch_execz .LBB26_86
; %bb.85:
	ds_read_b64 v[0:1], v9
	v_mad_u64_u32 v[2:3], s[0:1], v7, s14, v[6:7]
	v_mov_b32_e32 v3, 0
	v_lshlrev_b64 v[10:11], 3, v[2:3]
	v_mov_b32_e32 v2, s7
	v_add_co_u32_e32 v10, vcc, s6, v10
	v_addc_co_u32_e32 v11, vcc, v2, v11, vcc
	ds_read_b64 v[8:9], v8
	s_waitcnt lgkmcnt(1)
	global_store_dwordx2 v[10:11], v[0:1], off
	v_mad_u64_u32 v[0:1], s[0:1], v7, s15, v[4:5]
	v_mov_b32_e32 v1, v3
	v_lshlrev_b64 v[0:1], 3, v[0:1]
	v_mov_b32_e32 v2, s9
	v_add_co_u32_e32 v0, vcc, s8, v0
	v_addc_co_u32_e32 v1, vcc, v2, v1, vcc
	s_waitcnt lgkmcnt(0)
	global_store_dwordx2 v[0:1], v[8:9], off
.LBB26_86:
	s_endpgm
.LBB26_87:
	ds_read_u8 v23, v14
	s_andn2_b64 s[10:11], s[10:11], exec
	s_mov_b32 s16, 1
	s_waitcnt lgkmcnt(0)
	v_and_b32_e32 v23, 1, v23
	v_cmp_eq_u32_e64 s[4:5], 1, v23
	s_xor_b64 s[4:5], s[4:5], -1
	s_and_b64 s[4:5], s[4:5], exec
	s_or_b64 s[10:11], s[10:11], s[4:5]
	s_or_b64 exec, exec, s[12:13]
	v_mov_b32_e32 v23, s16
	s_and_saveexec_b64 s[4:5], s[10:11]
	s_cbranch_execz .LBB26_22
.LBB26_88:
	ds_read_u8 v23, v14 offset:1
	s_waitcnt lgkmcnt(0)
	v_xor_b32_e32 v23, 1, v23
	s_or_b64 exec, exec, s[4:5]
	v_cmp_eq_u32_e64 s[4:5], v23, v22
	s_and_saveexec_b64 s[10:11], s[4:5]
	s_cbranch_execnz .LBB26_23
	s_branch .LBB26_24
.LBB26_89:
	ds_read_u8 v26, v17
	s_andn2_b64 s[10:11], s[10:11], exec
	s_mov_b32 s16, 1
	s_waitcnt lgkmcnt(0)
	v_and_b32_e32 v26, 1, v26
	v_cmp_eq_u32_e64 s[4:5], 1, v26
	s_xor_b64 s[4:5], s[4:5], -1
	s_and_b64 s[4:5], s[4:5], exec
	s_or_b64 s[10:11], s[10:11], s[4:5]
	s_or_b64 exec, exec, s[12:13]
	v_mov_b32_e32 v26, s16
	s_and_saveexec_b64 s[4:5], s[10:11]
	s_cbranch_execz .LBB26_32
.LBB26_90:
	ds_read_u8 v26, v17 offset:2
	s_waitcnt lgkmcnt(0)
	v_xor_b32_e32 v26, 1, v26
	s_or_b64 exec, exec, s[4:5]
	v_cmp_eq_u32_e64 s[4:5], v26, v25
	s_and_saveexec_b64 s[10:11], s[4:5]
	s_cbranch_execnz .LBB26_33
	s_branch .LBB26_34
.LBB26_91:
	ds_read_u8 v26, v14
	s_andn2_b64 s[10:11], s[10:11], exec
	s_mov_b32 s16, 1
	s_waitcnt lgkmcnt(0)
	v_and_b32_e32 v26, 1, v26
	v_cmp_eq_u32_e64 s[4:5], 1, v26
	s_xor_b64 s[4:5], s[4:5], -1
	s_and_b64 s[4:5], s[4:5], exec
	s_or_b64 s[10:11], s[10:11], s[4:5]
	s_or_b64 exec, exec, s[12:13]
	v_mov_b32_e32 v26, s16
	s_and_saveexec_b64 s[4:5], s[10:11]
	s_cbranch_execz .LBB26_36
.LBB26_92:
	ds_read_u8 v26, v14 offset:1
	s_waitcnt lgkmcnt(0)
	v_xor_b32_e32 v26, 1, v26
	s_or_b64 exec, exec, s[4:5]
	v_cmp_eq_u32_e64 s[4:5], v26, v25
	s_and_saveexec_b64 s[10:11], s[4:5]
	s_cbranch_execnz .LBB26_37
	s_branch .LBB26_38
.LBB26_93:
	ds_read_u8 v29, v23
	s_andn2_b64 s[10:11], s[10:11], exec
	s_mov_b32 s16, 1
	s_waitcnt lgkmcnt(0)
	v_and_b32_e32 v29, 1, v29
	v_cmp_eq_u32_e64 s[4:5], 1, v29
	s_xor_b64 s[4:5], s[4:5], -1
	s_and_b64 s[4:5], s[4:5], exec
	s_or_b64 s[10:11], s[10:11], s[4:5]
	s_or_b64 exec, exec, s[12:13]
	v_mov_b32_e32 v29, s16
	s_and_saveexec_b64 s[4:5], s[10:11]
	s_cbranch_execz .LBB26_46
.LBB26_94:
	ds_read_u8 v29, v23 offset:4
	s_waitcnt lgkmcnt(0)
	v_xor_b32_e32 v29, 1, v29
	s_or_b64 exec, exec, s[4:5]
	v_cmp_eq_u32_e64 s[4:5], v29, v28
	s_and_saveexec_b64 s[10:11], s[4:5]
	s_cbranch_execnz .LBB26_47
	s_branch .LBB26_48
.LBB26_95:
	ds_read_u8 v29, v17
	s_andn2_b64 s[10:11], s[10:11], exec
	s_mov_b32 s16, 1
	s_waitcnt lgkmcnt(0)
	v_and_b32_e32 v29, 1, v29
	v_cmp_eq_u32_e64 s[4:5], 1, v29
	s_xor_b64 s[4:5], s[4:5], -1
	s_and_b64 s[4:5], s[4:5], exec
	s_or_b64 s[10:11], s[10:11], s[4:5]
	s_or_b64 exec, exec, s[12:13]
	v_mov_b32_e32 v29, s16
	s_and_saveexec_b64 s[4:5], s[10:11]
	s_cbranch_execz .LBB26_50
.LBB26_96:
	ds_read_u8 v29, v17 offset:2
	s_waitcnt lgkmcnt(0)
	v_xor_b32_e32 v29, 1, v29
	s_or_b64 exec, exec, s[4:5]
	v_cmp_eq_u32_e64 s[4:5], v29, v28
	s_and_saveexec_b64 s[10:11], s[4:5]
	s_cbranch_execnz .LBB26_51
	s_branch .LBB26_52
.LBB26_97:
	ds_read_u8 v29, v14
	s_andn2_b64 s[10:11], s[10:11], exec
	s_mov_b32 s16, 1
	s_waitcnt lgkmcnt(0)
	v_and_b32_e32 v29, 1, v29
	v_cmp_eq_u32_e64 s[4:5], 1, v29
	s_xor_b64 s[4:5], s[4:5], -1
	s_and_b64 s[4:5], s[4:5], exec
	s_or_b64 s[10:11], s[10:11], s[4:5]
	s_or_b64 exec, exec, s[12:13]
	v_mov_b32_e32 v29, s16
	s_and_saveexec_b64 s[4:5], s[10:11]
	s_cbranch_execz .LBB26_54
.LBB26_98:
	ds_read_u8 v29, v14 offset:1
	s_waitcnt lgkmcnt(0)
	v_xor_b32_e32 v29, 1, v29
	s_or_b64 exec, exec, s[4:5]
	v_cmp_eq_u32_e64 s[4:5], v29, v28
	s_and_saveexec_b64 s[10:11], s[4:5]
	s_cbranch_execnz .LBB26_55
	s_branch .LBB26_56
	.section	.rodata,"a",@progbits
	.p2align	6, 0x0
	.amdhsa_kernel _ZN2at6native20bitonicSortKVInPlaceILi2ELin1ELi16ELi16EllNS0_4LTOpIlLb1EEEjEEvNS_4cuda6detail10TensorInfoIT3_T6_EES8_S8_S8_NS6_IT4_S8_EES8_T5_
		.amdhsa_group_segment_fixed_size 8704
		.amdhsa_private_segment_fixed_size 0
		.amdhsa_kernarg_size 712
		.amdhsa_user_sgpr_count 6
		.amdhsa_user_sgpr_private_segment_buffer 1
		.amdhsa_user_sgpr_dispatch_ptr 0
		.amdhsa_user_sgpr_queue_ptr 0
		.amdhsa_user_sgpr_kernarg_segment_ptr 1
		.amdhsa_user_sgpr_dispatch_id 0
		.amdhsa_user_sgpr_flat_scratch_init 0
		.amdhsa_user_sgpr_kernarg_preload_length 0
		.amdhsa_user_sgpr_kernarg_preload_offset 0
		.amdhsa_user_sgpr_private_segment_size 0
		.amdhsa_uses_dynamic_stack 0
		.amdhsa_system_sgpr_private_segment_wavefront_offset 0
		.amdhsa_system_sgpr_workgroup_id_x 1
		.amdhsa_system_sgpr_workgroup_id_y 1
		.amdhsa_system_sgpr_workgroup_id_z 1
		.amdhsa_system_sgpr_workgroup_info 0
		.amdhsa_system_vgpr_workitem_id 1
		.amdhsa_next_free_vgpr 37
		.amdhsa_next_free_sgpr 20
		.amdhsa_accum_offset 40
		.amdhsa_reserve_vcc 1
		.amdhsa_reserve_flat_scratch 0
		.amdhsa_float_round_mode_32 0
		.amdhsa_float_round_mode_16_64 0
		.amdhsa_float_denorm_mode_32 3
		.amdhsa_float_denorm_mode_16_64 3
		.amdhsa_dx10_clamp 1
		.amdhsa_ieee_mode 1
		.amdhsa_fp16_overflow 0
		.amdhsa_tg_split 0
		.amdhsa_exception_fp_ieee_invalid_op 0
		.amdhsa_exception_fp_denorm_src 0
		.amdhsa_exception_fp_ieee_div_zero 0
		.amdhsa_exception_fp_ieee_overflow 0
		.amdhsa_exception_fp_ieee_underflow 0
		.amdhsa_exception_fp_ieee_inexact 0
		.amdhsa_exception_int_div_zero 0
	.end_amdhsa_kernel
	.section	.text._ZN2at6native20bitonicSortKVInPlaceILi2ELin1ELi16ELi16EllNS0_4LTOpIlLb1EEEjEEvNS_4cuda6detail10TensorInfoIT3_T6_EES8_S8_S8_NS6_IT4_S8_EES8_T5_,"axG",@progbits,_ZN2at6native20bitonicSortKVInPlaceILi2ELin1ELi16ELi16EllNS0_4LTOpIlLb1EEEjEEvNS_4cuda6detail10TensorInfoIT3_T6_EES8_S8_S8_NS6_IT4_S8_EES8_T5_,comdat
.Lfunc_end26:
	.size	_ZN2at6native20bitonicSortKVInPlaceILi2ELin1ELi16ELi16EllNS0_4LTOpIlLb1EEEjEEvNS_4cuda6detail10TensorInfoIT3_T6_EES8_S8_S8_NS6_IT4_S8_EES8_T5_, .Lfunc_end26-_ZN2at6native20bitonicSortKVInPlaceILi2ELin1ELi16ELi16EllNS0_4LTOpIlLb1EEEjEEvNS_4cuda6detail10TensorInfoIT3_T6_EES8_S8_S8_NS6_IT4_S8_EES8_T5_
                                        ; -- End function
	.section	.AMDGPU.csdata,"",@progbits
; Kernel info:
; codeLenInByte = 4820
; NumSgprs: 24
; NumVgprs: 37
; NumAgprs: 0
; TotalNumVgprs: 37
; ScratchSize: 0
; MemoryBound: 0
; FloatMode: 240
; IeeeMode: 1
; LDSByteSize: 8704 bytes/workgroup (compile time only)
; SGPRBlocks: 2
; VGPRBlocks: 4
; NumSGPRsForWavesPerEU: 24
; NumVGPRsForWavesPerEU: 37
; AccumOffset: 40
; Occupancy: 7
; WaveLimiterHint : 1
; COMPUTE_PGM_RSRC2:SCRATCH_EN: 0
; COMPUTE_PGM_RSRC2:USER_SGPR: 6
; COMPUTE_PGM_RSRC2:TRAP_HANDLER: 0
; COMPUTE_PGM_RSRC2:TGID_X_EN: 1
; COMPUTE_PGM_RSRC2:TGID_Y_EN: 1
; COMPUTE_PGM_RSRC2:TGID_Z_EN: 1
; COMPUTE_PGM_RSRC2:TIDIG_COMP_CNT: 1
; COMPUTE_PGM_RSRC3_GFX90A:ACCUM_OFFSET: 9
; COMPUTE_PGM_RSRC3_GFX90A:TG_SPLIT: 0
	.section	.text._ZN2at6native20bitonicSortKVInPlaceILi2ELin1ELi16ELi16EllNS0_4GTOpIlLb1EEEjEEvNS_4cuda6detail10TensorInfoIT3_T6_EES8_S8_S8_NS6_IT4_S8_EES8_T5_,"axG",@progbits,_ZN2at6native20bitonicSortKVInPlaceILi2ELin1ELi16ELi16EllNS0_4GTOpIlLb1EEEjEEvNS_4cuda6detail10TensorInfoIT3_T6_EES8_S8_S8_NS6_IT4_S8_EES8_T5_,comdat
	.protected	_ZN2at6native20bitonicSortKVInPlaceILi2ELin1ELi16ELi16EllNS0_4GTOpIlLb1EEEjEEvNS_4cuda6detail10TensorInfoIT3_T6_EES8_S8_S8_NS6_IT4_S8_EES8_T5_ ; -- Begin function _ZN2at6native20bitonicSortKVInPlaceILi2ELin1ELi16ELi16EllNS0_4GTOpIlLb1EEEjEEvNS_4cuda6detail10TensorInfoIT3_T6_EES8_S8_S8_NS6_IT4_S8_EES8_T5_
	.globl	_ZN2at6native20bitonicSortKVInPlaceILi2ELin1ELi16ELi16EllNS0_4GTOpIlLb1EEEjEEvNS_4cuda6detail10TensorInfoIT3_T6_EES8_S8_S8_NS6_IT4_S8_EES8_T5_
	.p2align	8
	.type	_ZN2at6native20bitonicSortKVInPlaceILi2ELin1ELi16ELi16EllNS0_4GTOpIlLb1EEEjEEvNS_4cuda6detail10TensorInfoIT3_T6_EES8_S8_S8_NS6_IT4_S8_EES8_T5_,@function
_ZN2at6native20bitonicSortKVInPlaceILi2ELin1ELi16ELi16EllNS0_4GTOpIlLb1EEEjEEvNS_4cuda6detail10TensorInfoIT3_T6_EES8_S8_S8_NS6_IT4_S8_EES8_T5_: ; @_ZN2at6native20bitonicSortKVInPlaceILi2ELin1ELi16ELi16EllNS0_4GTOpIlLb1EEEjEEvNS_4cuda6detail10TensorInfoIT3_T6_EES8_S8_S8_NS6_IT4_S8_EES8_T5_
; %bb.0:
	s_load_dwordx2 s[0:1], s[4:5], 0x1c8
	s_load_dwordx4 s[12:15], s[4:5], 0xd8
	s_load_dword s9, s[4:5], 0x1d4
	s_add_u32 s2, s4, 0x1c8
	s_addc_u32 s3, s5, 0
	s_waitcnt lgkmcnt(0)
	s_mul_i32 s1, s1, s8
	s_add_i32 s1, s1, s7
	s_mul_i32 s0, s1, s0
	s_add_i32 s0, s0, s6
	s_lshr_b32 s1, s9, 16
	s_mul_i32 s0, s0, s1
	s_cmp_ge_u32 s0, s12
	s_cbranch_scc1 .LBB27_86
; %bb.1:
	s_load_dword s15, s[4:5], 0xc
	s_load_dwordx2 s[8:9], s[4:5], 0x6c
	s_load_dword s17, s[4:5], 0x1b8
	s_add_u32 s10, s4, 0xe8
	v_bfe_u32 v10, v0, 10, 10
	s_waitcnt lgkmcnt(0)
	v_cvt_f32_u32_e32 v1, s15
	s_addc_u32 s11, s5, 0
	s_load_dwordx2 s[6:7], s[4:5], 0x0
	s_mov_b32 s1, 0
	v_rcp_iflag_f32_e32 v1, v1
	v_mov_b32_e32 v2, 0
	v_mul_f32_e32 v1, 0x4f7ffffe, v1
	v_cvt_u32_f32_e32 v3, v1
	v_add_u32_e32 v1, s0, v10
	s_sub_i32 s0, 0, s15
	s_cmp_lt_i32 s17, 2
	v_mul_lo_u32 v4, s0, v3
	v_mul_hi_u32 v4, v3, v4
	v_add_u32_e32 v3, v3, v4
	v_mad_u64_u32 v[4:5], s[18:19], v1, v3, 0
	v_mov_b32_e32 v4, v1
	s_cbranch_scc1 .LBB27_4
; %bb.2:
	s_add_i32 s0, s17, -1
	s_add_i32 s16, s17, 1
	s_lshl_b64 s[0:1], s[0:1], 2
	s_add_u32 s0, s0, s10
	s_addc_u32 s1, s1, s11
	s_add_u32 s0, s0, 8
	s_addc_u32 s1, s1, 0
	v_mov_b32_e32 v2, 0
	v_mov_b32_e32 v4, v1
.LBB27_3:                               ; =>This Inner Loop Header: Depth=1
	s_load_dword s17, s[0:1], 0x0
	s_load_dword s18, s[0:1], 0x64
	v_mov_b32_e32 v3, v4
	s_add_i32 s16, s16, -1
	s_waitcnt lgkmcnt(0)
	v_cvt_f32_u32_e32 v4, s17
	s_sub_i32 s19, 0, s17
	s_add_u32 s0, s0, -4
	s_addc_u32 s1, s1, -1
	v_rcp_iflag_f32_e32 v4, v4
	s_cmp_gt_u32 s16, 2
	v_mul_f32_e32 v4, 0x4f7ffffe, v4
	v_cvt_u32_f32_e32 v4, v4
	v_mul_lo_u32 v6, s19, v4
	v_mul_hi_u32 v6, v4, v6
	v_add_u32_e32 v4, v4, v6
	v_mul_hi_u32 v4, v3, v4
	v_mul_lo_u32 v6, v4, s17
	v_sub_u32_e32 v6, v3, v6
	v_add_u32_e32 v7, 1, v4
	v_cmp_le_u32_e32 vcc, s17, v6
	v_cndmask_b32_e32 v4, v4, v7, vcc
	v_subrev_u32_e32 v7, s17, v6
	v_cndmask_b32_e32 v6, v6, v7, vcc
	v_add_u32_e32 v7, 1, v4
	v_cmp_le_u32_e32 vcc, s17, v6
	v_cndmask_b32_e32 v4, v4, v7, vcc
	v_mul_lo_u32 v6, v4, s17
	v_sub_u32_e32 v3, v3, v6
	v_mad_u64_u32 v[2:3], s[18:19], s18, v3, v[2:3]
	s_cbranch_scc1 .LBB27_3
.LBB27_4:
	v_mul_lo_u32 v3, v5, s15
	v_sub_u32_e32 v3, v1, v3
	v_add_u32_e32 v6, 1, v5
	v_cmp_le_u32_e64 s[0:1], s15, v3
	v_cndmask_b32_e64 v5, v5, v6, s[0:1]
	v_subrev_u32_e32 v6, s15, v3
	v_cndmask_b32_e64 v3, v3, v6, s[0:1]
	v_add_u32_e32 v6, 1, v5
	v_cmp_le_u32_e64 s[0:1], s15, v3
	v_cndmask_b32_e64 v3, v5, v6, s[0:1]
	v_cmp_gt_u32_e32 vcc, s12, v1
	v_mul_lo_u32 v5, v3, s15
	s_load_dword s15, s[4:5], 0x1c0
	s_load_dword s12, s[10:11], 0x6c
	v_sub_u32_e32 v1, v1, v5
	v_mul_lo_u32 v6, v1, s9
	v_mad_u64_u32 v[6:7], s[0:1], v3, s8, v[6:7]
	s_load_dwordx2 s[8:9], s[10:11], 0x0
	s_waitcnt lgkmcnt(0)
	v_mad_u64_u32 v[4:5], s[0:1], s12, v4, v[2:3]
	s_load_dword s12, s[2:3], 0xc
	v_and_b32_e32 v5, 0x3ff, v0
	v_cmp_gt_u32_e64 s[0:1], s13, v5
	v_pk_mov_b32 v[0:1], 0, 0
	s_and_b64 s[4:5], vcc, s[0:1]
	v_pk_mov_b32 v[2:3], v[0:1], v[0:1] op_sel:[0,1]
	v_pk_mov_b32 v[8:9], v[0:1], v[0:1] op_sel:[0,1]
	s_and_saveexec_b64 s[10:11], s[4:5]
	s_cbranch_execz .LBB27_6
; %bb.5:
	v_mad_u64_u32 v[8:9], s[2:3], v5, s14, v[6:7]
	v_mov_b32_e32 v9, 0
	v_lshlrev_b64 v[2:3], 3, v[8:9]
	v_mov_b32_e32 v7, s7
	v_add_co_u32_e64 v2, s[2:3], s6, v2
	v_addc_co_u32_e64 v3, s[2:3], v7, v3, s[2:3]
	v_mad_u64_u32 v[12:13], s[2:3], v5, s15, v[4:5]
	v_mov_b32_e32 v13, v9
	v_lshlrev_b64 v[8:9], 3, v[12:13]
	v_mov_b32_e32 v7, s9
	v_add_co_u32_e64 v8, s[2:3], s8, v8
	v_addc_co_u32_e64 v9, s[2:3], v7, v9, s[2:3]
	global_load_dwordx2 v[2:3], v[2:3], off
	s_nop 0
	global_load_dwordx2 v[8:9], v[8:9], off
.LBB27_6:
	s_or_b64 exec, exec, s[10:11]
	v_lshlrev_b32_e32 v19, 8, v10
	v_mov_b32_e32 v11, 0x2000
	v_lshlrev_b32_e32 v12, 3, v5
	v_lshl_add_u32 v18, v10, 5, v11
	v_add_u32_e32 v11, v19, v12
	s_waitcnt lgkmcnt(0)
	s_and_b32 s16, 0xffff, s12
	v_cndmask_b32_e64 v7, 0, 1, s[4:5]
	s_waitcnt vmcnt(1)
	ds_write_b64 v11, v[2:3]
	v_add_u32_e32 v2, v18, v5
	ds_write_b8 v2, v7
	v_add_u32_e32 v7, s16, v5
	v_add_u32_e32 v15, 0x1000, v19
	v_cmp_gt_u32_e64 s[2:3], s13, v7
	v_add_u32_e32 v10, v15, v12
	s_and_b64 s[10:11], vcc, s[2:3]
	v_pk_mov_b32 v[2:3], v[0:1], v[0:1] op_sel:[0,1]
	s_waitcnt vmcnt(0)
	ds_write_b64 v10, v[8:9]
	s_and_saveexec_b64 s[12:13], s[10:11]
	s_cbranch_execz .LBB27_8
; %bb.7:
	v_mad_u64_u32 v[2:3], s[4:5], v7, s14, v[6:7]
	v_mov_b32_e32 v3, 0
	v_lshlrev_b64 v[0:1], 3, v[2:3]
	v_mov_b32_e32 v2, s7
	v_add_co_u32_e64 v0, s[4:5], s6, v0
	v_addc_co_u32_e64 v1, s[4:5], v2, v1, s[4:5]
	v_mad_u64_u32 v[8:9], s[4:5], v7, s15, v[4:5]
	v_mov_b32_e32 v9, v3
	v_lshlrev_b64 v[2:3], 3, v[8:9]
	v_mov_b32_e32 v8, s9
	v_add_co_u32_e64 v2, s[4:5], s8, v2
	v_addc_co_u32_e64 v3, s[4:5], v8, v3, s[4:5]
	global_load_dwordx2 v[0:1], v[0:1], off
	s_nop 0
	global_load_dwordx2 v[2:3], v[2:3], off
.LBB27_8:
	s_or_b64 exec, exec, s[12:13]
	s_lshl_b32 s4, s16, 3
	v_add_u32_e32 v9, s4, v11
	v_cndmask_b32_e64 v13, 0, 1, s[10:11]
	s_waitcnt vmcnt(1)
	ds_write_b64 v9, v[0:1]
	v_add_u32_e32 v0, v18, v7
	v_add_u32_e32 v8, s4, v10
	ds_write_b8 v0, v13
	v_add_u32_e32 v13, v11, v12
	s_waitcnt vmcnt(0)
	ds_write_b64 v8, v[2:3]
	s_waitcnt lgkmcnt(0)
	s_barrier
	ds_read_b128 v[0:3], v13
	v_lshlrev_b32_e32 v21, 1, v5
	s_mov_b32 s16, 1
	v_add_u32_e32 v14, v18, v21
	s_waitcnt lgkmcnt(0)
	v_cmp_le_i64_e64 s[10:11], v[0:1], v[2:3]
	v_cmp_gt_i64_e64 s[4:5], v[0:1], v[2:3]
	s_and_saveexec_b64 s[12:13], s[4:5]
	s_xor_b64 s[12:13], exec, s[12:13]
	s_cbranch_execz .LBB27_10
; %bb.9:
	ds_read_u8 v16, v14
	s_andn2_b64 s[10:11], s[10:11], exec
	s_waitcnt lgkmcnt(0)
	v_and_b32_e32 v16, 1, v16
	v_cmp_eq_u32_e64 s[4:5], 1, v16
	s_xor_b64 s[4:5], s[4:5], -1
	s_and_b64 s[4:5], s[4:5], exec
	s_or_b64 s[10:11], s[10:11], s[4:5]
.LBB27_10:
	s_or_b64 exec, exec, s[12:13]
	v_mov_b32_e32 v17, s16
	s_and_saveexec_b64 s[4:5], s[10:11]
	s_cbranch_execz .LBB27_12
; %bb.11:
	ds_read_u8 v16, v14 offset:1
	s_waitcnt lgkmcnt(0)
	v_xor_b32_e32 v17, 1, v16
.LBB27_12:
	s_or_b64 exec, exec, s[4:5]
	v_and_b32_e32 v16, 1, v5
	v_cmp_eq_u32_e64 s[4:5], v17, v16
	s_and_saveexec_b64 s[10:11], s[4:5]
	s_cbranch_execz .LBB27_14
; %bb.13:
	v_add_u32_e32 v17, v10, v12
	ds_read_b128 v[26:29], v17
	ds_read_u16 v20, v14
	v_mov_b32_e32 v22, v2
	v_mov_b32_e32 v23, v3
	;; [unrolled: 1-line block ×4, first 2 shown]
	s_waitcnt lgkmcnt(1)
	v_mov_b32_e32 v0, v28
	v_mov_b32_e32 v1, v29
	;; [unrolled: 1-line block ×4, first 2 shown]
	s_mov_b32 s4, 0xc0c0001
	ds_write_b128 v17, v[0:3]
	s_waitcnt lgkmcnt(1)
	v_perm_b32 v0, 0, v20, s4
	ds_write_b128 v13, v[22:25]
	ds_write_b16 v14, v0
.LBB27_14:
	s_or_b64 exec, exec, s[10:11]
	v_sub_u32_e32 v20, v21, v16
	v_lshl_add_u32 v16, v20, 3, v19
	s_waitcnt lgkmcnt(0)
	s_barrier
	ds_read2_b64 v[0:3], v16 offset1:2
	s_mov_b64 s[10:11], -1
	v_add_u32_e32 v17, v18, v20
                                        ; implicit-def: $sgpr16
	s_waitcnt lgkmcnt(0)
	v_cmp_gt_i64_e64 s[4:5], v[0:1], v[2:3]
	s_and_saveexec_b64 s[12:13], s[4:5]
	s_xor_b64 s[12:13], exec, s[12:13]
	s_cbranch_execz .LBB27_16
; %bb.15:
	ds_read_u8 v22, v17
	s_mov_b32 s16, 1
	s_waitcnt lgkmcnt(0)
	v_and_b32_e32 v22, 1, v22
	v_cmp_eq_u32_e64 s[4:5], 1, v22
	s_xor_b64 s[4:5], s[4:5], -1
	s_orn2_b64 s[10:11], s[4:5], exec
.LBB27_16:
	s_or_b64 exec, exec, s[12:13]
	v_mov_b32_e32 v23, s16
	s_and_saveexec_b64 s[4:5], s[10:11]
	s_cbranch_execz .LBB27_18
; %bb.17:
	ds_read_u8 v22, v17 offset:2
	s_waitcnt lgkmcnt(0)
	v_xor_b32_e32 v23, 1, v22
.LBB27_18:
	s_or_b64 exec, exec, s[4:5]
	v_bfe_u32 v22, v5, 1, 1
	v_lshl_add_u32 v20, v20, 3, v15
	v_cmp_eq_u32_e64 s[4:5], v23, v22
	s_and_saveexec_b64 s[10:11], s[4:5]
	s_cbranch_execz .LBB27_20
; %bb.19:
	ds_read2_b64 v[24:27], v20 offset1:2
	ds_read_u8 v23, v17 offset:2
	ds_read_u8 v28, v17
	ds_write2_b64 v16, v[2:3], v[0:1] offset1:2
	s_waitcnt lgkmcnt(3)
	ds_write2_b64 v20, v[26:27], v[24:25] offset1:2
	s_waitcnt lgkmcnt(3)
	ds_write_b8 v17, v23
	s_waitcnt lgkmcnt(3)
	ds_write_b8 v17, v28 offset:2
.LBB27_20:
	s_or_b64 exec, exec, s[10:11]
	s_waitcnt lgkmcnt(0)
	s_barrier
	ds_read_b128 v[0:3], v13
                                        ; implicit-def: $sgpr16
	s_waitcnt lgkmcnt(0)
	v_cmp_le_i64_e64 s[10:11], v[0:1], v[2:3]
	v_cmp_gt_i64_e64 s[4:5], v[0:1], v[2:3]
	s_and_saveexec_b64 s[12:13], s[4:5]
	s_cbranch_execnz .LBB27_87
; %bb.21:
	s_or_b64 exec, exec, s[12:13]
	v_mov_b32_e32 v23, s16
	s_and_saveexec_b64 s[4:5], s[10:11]
	s_cbranch_execnz .LBB27_88
.LBB27_22:
	s_or_b64 exec, exec, s[4:5]
	v_cmp_eq_u32_e64 s[4:5], v23, v22
	s_and_saveexec_b64 s[10:11], s[4:5]
	s_cbranch_execz .LBB27_24
.LBB27_23:
	v_add_u32_e32 v30, v10, v12
	v_mov_b32_e32 v22, v2
	v_mov_b32_e32 v23, v3
	ds_read_b128 v[26:29], v30
	v_mov_b32_e32 v24, v0
	v_mov_b32_e32 v25, v1
	ds_write_b128 v13, v[22:25]
	ds_read_u16 v22, v14
	s_waitcnt lgkmcnt(2)
	v_mov_b32_e32 v0, v28
	v_mov_b32_e32 v1, v29
	v_mov_b32_e32 v2, v26
	v_mov_b32_e32 v3, v27
	s_mov_b32 s4, 0xc0c0001
	ds_write_b128 v30, v[0:3]
	s_waitcnt lgkmcnt(1)
	v_perm_b32 v0, 0, v22, s4
	ds_write_b16 v14, v0
.LBB27_24:
	s_or_b64 exec, exec, s[10:11]
	v_and_b32_e32 v0, 3, v5
	v_sub_u32_e32 v24, v21, v0
	v_lshl_add_u32 v22, v24, 3, v19
	s_waitcnt lgkmcnt(0)
	s_barrier
	ds_read2_b64 v[0:3], v22 offset1:4
	v_add_u32_e32 v23, v18, v24
                                        ; implicit-def: $sgpr16
	s_waitcnt lgkmcnt(0)
	v_cmp_le_i64_e64 s[10:11], v[0:1], v[2:3]
	v_cmp_gt_i64_e64 s[4:5], v[0:1], v[2:3]
	s_and_saveexec_b64 s[12:13], s[4:5]
	s_cbranch_execz .LBB27_26
; %bb.25:
	ds_read_u8 v25, v23
	s_andn2_b64 s[10:11], s[10:11], exec
	s_mov_b32 s16, 1
	s_waitcnt lgkmcnt(0)
	v_and_b32_e32 v25, 1, v25
	v_cmp_eq_u32_e64 s[4:5], 1, v25
	s_xor_b64 s[4:5], s[4:5], -1
	s_and_b64 s[4:5], s[4:5], exec
	s_or_b64 s[10:11], s[10:11], s[4:5]
.LBB27_26:
	s_or_b64 exec, exec, s[12:13]
	v_mov_b32_e32 v26, s16
	s_and_saveexec_b64 s[4:5], s[10:11]
	s_cbranch_execz .LBB27_28
; %bb.27:
	ds_read_u8 v25, v23 offset:4
	s_waitcnt lgkmcnt(0)
	v_xor_b32_e32 v26, 1, v25
.LBB27_28:
	s_or_b64 exec, exec, s[4:5]
	v_bfe_u32 v25, v5, 2, 1
	v_lshl_add_u32 v24, v24, 3, v15
	v_cmp_eq_u32_e64 s[4:5], v26, v25
	s_and_saveexec_b64 s[10:11], s[4:5]
	s_cbranch_execz .LBB27_30
; %bb.29:
	ds_read2_b64 v[26:29], v24 offset1:4
	ds_read_u8 v30, v23 offset:4
	ds_read_u8 v31, v23
	ds_write2_b64 v22, v[2:3], v[0:1] offset1:4
	s_waitcnt lgkmcnt(3)
	ds_write2_b64 v24, v[28:29], v[26:27] offset1:4
	s_waitcnt lgkmcnt(3)
	ds_write_b8 v23, v30
	s_waitcnt lgkmcnt(3)
	ds_write_b8 v23, v31 offset:4
.LBB27_30:
	s_or_b64 exec, exec, s[10:11]
	s_waitcnt lgkmcnt(0)
	s_barrier
	ds_read2_b64 v[0:3], v16 offset1:2
                                        ; implicit-def: $sgpr16
	s_waitcnt lgkmcnt(0)
	v_cmp_le_i64_e64 s[10:11], v[0:1], v[2:3]
	v_cmp_gt_i64_e64 s[4:5], v[0:1], v[2:3]
	s_and_saveexec_b64 s[12:13], s[4:5]
	s_cbranch_execnz .LBB27_89
; %bb.31:
	s_or_b64 exec, exec, s[12:13]
	v_mov_b32_e32 v26, s16
	s_and_saveexec_b64 s[4:5], s[10:11]
	s_cbranch_execnz .LBB27_90
.LBB27_32:
	s_or_b64 exec, exec, s[4:5]
	v_cmp_eq_u32_e64 s[4:5], v26, v25
	s_and_saveexec_b64 s[10:11], s[4:5]
	s_cbranch_execz .LBB27_34
.LBB27_33:
	ds_read2_b64 v[26:29], v20 offset1:2
	ds_read_u8 v30, v17 offset:2
	ds_read_u8 v31, v17
	ds_write2_b64 v16, v[2:3], v[0:1] offset1:2
	s_waitcnt lgkmcnt(3)
	ds_write2_b64 v20, v[28:29], v[26:27] offset1:2
	s_waitcnt lgkmcnt(3)
	ds_write_b8 v17, v30
	s_waitcnt lgkmcnt(3)
	ds_write_b8 v17, v31 offset:2
.LBB27_34:
	s_or_b64 exec, exec, s[10:11]
	s_waitcnt lgkmcnt(0)
	s_barrier
	ds_read_b128 v[0:3], v13
                                        ; implicit-def: $sgpr16
	s_waitcnt lgkmcnt(0)
	v_cmp_le_i64_e64 s[10:11], v[0:1], v[2:3]
	v_cmp_gt_i64_e64 s[4:5], v[0:1], v[2:3]
	s_and_saveexec_b64 s[12:13], s[4:5]
	s_cbranch_execnz .LBB27_91
; %bb.35:
	s_or_b64 exec, exec, s[12:13]
	v_mov_b32_e32 v26, s16
	s_and_saveexec_b64 s[4:5], s[10:11]
	s_cbranch_execnz .LBB27_92
.LBB27_36:
	s_or_b64 exec, exec, s[4:5]
	v_cmp_eq_u32_e64 s[4:5], v26, v25
	s_and_saveexec_b64 s[10:11], s[4:5]
	s_cbranch_execz .LBB27_38
.LBB27_37:
	v_add_u32_e32 v25, v10, v12
	v_mov_b32_e32 v26, v2
	v_mov_b32_e32 v27, v3
	ds_read_b128 v[30:33], v25
	v_mov_b32_e32 v28, v0
	v_mov_b32_e32 v29, v1
	ds_write_b128 v13, v[26:29]
	ds_read_u16 v26, v14
	s_waitcnt lgkmcnt(2)
	v_mov_b32_e32 v0, v32
	v_mov_b32_e32 v1, v33
	;; [unrolled: 1-line block ×4, first 2 shown]
	s_mov_b32 s4, 0xc0c0001
	ds_write_b128 v25, v[0:3]
	s_waitcnt lgkmcnt(1)
	v_perm_b32 v0, 0, v26, s4
	ds_write_b16 v14, v0
.LBB27_38:
	s_or_b64 exec, exec, s[10:11]
	v_and_b32_e32 v0, 7, v5
	v_sub_u32_e32 v27, v21, v0
	v_lshl_add_u32 v25, v27, 3, v19
	s_waitcnt lgkmcnt(0)
	s_barrier
	ds_read2_b64 v[0:3], v25 offset1:8
	v_add_u32_e32 v26, v18, v27
                                        ; implicit-def: $sgpr16
	s_waitcnt lgkmcnt(0)
	v_cmp_le_i64_e64 s[10:11], v[0:1], v[2:3]
	v_cmp_gt_i64_e64 s[4:5], v[0:1], v[2:3]
	s_and_saveexec_b64 s[12:13], s[4:5]
	s_cbranch_execz .LBB27_40
; %bb.39:
	ds_read_u8 v28, v26
	s_andn2_b64 s[10:11], s[10:11], exec
	s_mov_b32 s16, 1
	s_waitcnt lgkmcnt(0)
	v_and_b32_e32 v28, 1, v28
	v_cmp_eq_u32_e64 s[4:5], 1, v28
	s_xor_b64 s[4:5], s[4:5], -1
	s_and_b64 s[4:5], s[4:5], exec
	s_or_b64 s[10:11], s[10:11], s[4:5]
.LBB27_40:
	s_or_b64 exec, exec, s[12:13]
	v_mov_b32_e32 v29, s16
	s_and_saveexec_b64 s[4:5], s[10:11]
	s_cbranch_execz .LBB27_42
; %bb.41:
	ds_read_u8 v28, v26 offset:8
	s_waitcnt lgkmcnt(0)
	v_xor_b32_e32 v29, 1, v28
.LBB27_42:
	s_or_b64 exec, exec, s[4:5]
	v_bfe_u32 v28, v5, 3, 1
	v_lshl_add_u32 v27, v27, 3, v15
	v_cmp_eq_u32_e64 s[4:5], v29, v28
	s_and_saveexec_b64 s[10:11], s[4:5]
	s_cbranch_execz .LBB27_44
; %bb.43:
	ds_read2_b64 v[30:33], v27 offset1:8
	ds_read_u8 v29, v26 offset:8
	ds_read_u8 v34, v26
	ds_write2_b64 v25, v[2:3], v[0:1] offset1:8
	s_waitcnt lgkmcnt(3)
	ds_write2_b64 v27, v[32:33], v[30:31] offset1:8
	s_waitcnt lgkmcnt(3)
	ds_write_b8 v26, v29
	s_waitcnt lgkmcnt(3)
	ds_write_b8 v26, v34 offset:8
.LBB27_44:
	s_or_b64 exec, exec, s[10:11]
	s_waitcnt lgkmcnt(0)
	s_barrier
	ds_read2_b64 v[0:3], v22 offset1:4
                                        ; implicit-def: $sgpr16
	s_waitcnt lgkmcnt(0)
	v_cmp_le_i64_e64 s[10:11], v[0:1], v[2:3]
	v_cmp_gt_i64_e64 s[4:5], v[0:1], v[2:3]
	s_and_saveexec_b64 s[12:13], s[4:5]
	s_cbranch_execnz .LBB27_93
; %bb.45:
	s_or_b64 exec, exec, s[12:13]
	v_mov_b32_e32 v29, s16
	s_and_saveexec_b64 s[4:5], s[10:11]
	s_cbranch_execnz .LBB27_94
.LBB27_46:
	s_or_b64 exec, exec, s[4:5]
	v_cmp_eq_u32_e64 s[4:5], v29, v28
	s_and_saveexec_b64 s[10:11], s[4:5]
	s_cbranch_execz .LBB27_48
.LBB27_47:
	ds_read2_b64 v[30:33], v24 offset1:4
	ds_read_u8 v29, v23 offset:4
	ds_read_u8 v34, v23
	ds_write2_b64 v22, v[2:3], v[0:1] offset1:4
	s_waitcnt lgkmcnt(3)
	ds_write2_b64 v24, v[32:33], v[30:31] offset1:4
	s_waitcnt lgkmcnt(3)
	ds_write_b8 v23, v29
	s_waitcnt lgkmcnt(3)
	ds_write_b8 v23, v34 offset:4
.LBB27_48:
	s_or_b64 exec, exec, s[10:11]
	s_waitcnt lgkmcnt(0)
	s_barrier
	ds_read2_b64 v[0:3], v16 offset1:2
                                        ; implicit-def: $sgpr16
	s_waitcnt lgkmcnt(0)
	v_cmp_le_i64_e64 s[10:11], v[0:1], v[2:3]
	v_cmp_gt_i64_e64 s[4:5], v[0:1], v[2:3]
	s_and_saveexec_b64 s[12:13], s[4:5]
	s_cbranch_execnz .LBB27_95
; %bb.49:
	s_or_b64 exec, exec, s[12:13]
	v_mov_b32_e32 v29, s16
	s_and_saveexec_b64 s[4:5], s[10:11]
	s_cbranch_execnz .LBB27_96
.LBB27_50:
	s_or_b64 exec, exec, s[4:5]
	v_cmp_eq_u32_e64 s[4:5], v29, v28
	s_and_saveexec_b64 s[10:11], s[4:5]
	s_cbranch_execz .LBB27_52
.LBB27_51:
	ds_read2_b64 v[30:33], v20 offset1:2
	ds_read_u8 v29, v17 offset:2
	ds_read_u8 v34, v17
	ds_write2_b64 v16, v[2:3], v[0:1] offset1:2
	s_waitcnt lgkmcnt(3)
	ds_write2_b64 v20, v[32:33], v[30:31] offset1:2
	s_waitcnt lgkmcnt(3)
	ds_write_b8 v17, v29
	s_waitcnt lgkmcnt(3)
	ds_write_b8 v17, v34 offset:2
.LBB27_52:
	s_or_b64 exec, exec, s[10:11]
	s_waitcnt lgkmcnt(0)
	s_barrier
	ds_read_b128 v[0:3], v13
                                        ; implicit-def: $sgpr16
	s_waitcnt lgkmcnt(0)
	v_cmp_le_i64_e64 s[10:11], v[0:1], v[2:3]
	v_cmp_gt_i64_e64 s[4:5], v[0:1], v[2:3]
	s_and_saveexec_b64 s[12:13], s[4:5]
	s_cbranch_execnz .LBB27_97
; %bb.53:
	s_or_b64 exec, exec, s[12:13]
	v_mov_b32_e32 v29, s16
	s_and_saveexec_b64 s[4:5], s[10:11]
	s_cbranch_execnz .LBB27_98
.LBB27_54:
	s_or_b64 exec, exec, s[4:5]
	v_cmp_eq_u32_e64 s[4:5], v29, v28
	s_and_saveexec_b64 s[10:11], s[4:5]
	s_cbranch_execz .LBB27_56
.LBB27_55:
	v_add_u32_e32 v36, v10, v12
	v_mov_b32_e32 v28, v2
	v_mov_b32_e32 v29, v3
	ds_read_b128 v[32:35], v36
	v_mov_b32_e32 v30, v0
	v_mov_b32_e32 v31, v1
	ds_write_b128 v13, v[28:31]
	ds_read_u16 v28, v14
	s_waitcnt lgkmcnt(2)
	v_mov_b32_e32 v0, v34
	v_mov_b32_e32 v1, v35
	;; [unrolled: 1-line block ×4, first 2 shown]
	s_mov_b32 s4, 0xc0c0001
	ds_write_b128 v36, v[0:3]
	s_waitcnt lgkmcnt(1)
	v_perm_b32 v0, 0, v28, s4
	ds_write_b16 v14, v0
.LBB27_56:
	s_or_b64 exec, exec, s[10:11]
	v_and_b32_e32 v0, 15, v5
	v_sub_u32_e32 v21, v21, v0
	v_lshl_add_u32 v19, v21, 3, v19
	s_waitcnt lgkmcnt(0)
	s_barrier
	ds_read2_b64 v[0:3], v19 offset1:16
	v_add_u32_e32 v18, v18, v21
	s_waitcnt lgkmcnt(0)
	v_cmp_le_i64_e64 s[12:13], v[0:1], v[2:3]
	v_cmp_gt_i64_e64 s[4:5], v[0:1], v[2:3]
	s_and_saveexec_b64 s[10:11], s[4:5]
	s_cbranch_execz .LBB27_58
; %bb.57:
	ds_read_u8 v28, v18
	s_andn2_b64 s[12:13], s[12:13], exec
	s_waitcnt lgkmcnt(0)
	v_and_b32_e32 v28, 1, v28
	v_cmp_eq_u32_e64 s[4:5], 1, v28
	s_xor_b64 s[4:5], s[4:5], -1
	s_and_b64 s[4:5], s[4:5], exec
	s_or_b64 s[12:13], s[12:13], s[4:5]
.LBB27_58:
	s_or_b64 exec, exec, s[10:11]
	s_and_saveexec_b64 s[10:11], s[12:13]
	s_cbranch_execz .LBB27_61
; %bb.59:
	ds_read_u8 v28, v18 offset:16
	s_waitcnt lgkmcnt(0)
	v_cmp_ne_u16_e64 s[4:5], 0, v28
	s_and_b64 exec, exec, s[4:5]
	s_cbranch_execz .LBB27_61
; %bb.60:
	v_lshl_add_u32 v15, v21, 3, v15
	ds_read2_b64 v[30:33], v15 offset1:16
	ds_read_u8 v21, v18
	ds_write2_b64 v19, v[2:3], v[0:1] offset1:16
	ds_write_b8 v18, v28
	s_waitcnt lgkmcnt(3)
	ds_write2_b64 v15, v[32:33], v[30:31] offset1:16
	s_waitcnt lgkmcnt(3)
	ds_write_b8 v18, v21 offset:16
.LBB27_61:
	s_or_b64 exec, exec, s[10:11]
	s_waitcnt lgkmcnt(0)
	s_barrier
	ds_read2_b64 v[0:3], v25 offset1:8
	s_waitcnt lgkmcnt(0)
	v_cmp_le_i64_e64 s[12:13], v[0:1], v[2:3]
	v_cmp_gt_i64_e64 s[4:5], v[0:1], v[2:3]
	s_and_saveexec_b64 s[10:11], s[4:5]
	s_cbranch_execz .LBB27_63
; %bb.62:
	ds_read_u8 v15, v26
	s_andn2_b64 s[12:13], s[12:13], exec
	s_waitcnt lgkmcnt(0)
	v_and_b32_e32 v15, 1, v15
	v_cmp_eq_u32_e64 s[4:5], 1, v15
	s_xor_b64 s[4:5], s[4:5], -1
	s_and_b64 s[4:5], s[4:5], exec
	s_or_b64 s[12:13], s[12:13], s[4:5]
.LBB27_63:
	s_or_b64 exec, exec, s[10:11]
	s_and_saveexec_b64 s[10:11], s[12:13]
	s_cbranch_execz .LBB27_66
; %bb.64:
	ds_read_u8 v15, v26 offset:8
	s_waitcnt lgkmcnt(0)
	v_cmp_ne_u16_e64 s[4:5], 0, v15
	s_and_b64 exec, exec, s[4:5]
	s_cbranch_execz .LBB27_66
; %bb.65:
	ds_read2_b64 v[28:31], v27 offset1:8
	ds_read_u8 v18, v26
	ds_write2_b64 v25, v[2:3], v[0:1] offset1:8
	ds_write_b8 v26, v15
	s_waitcnt lgkmcnt(3)
	ds_write2_b64 v27, v[30:31], v[28:29] offset1:8
	s_waitcnt lgkmcnt(3)
	ds_write_b8 v26, v18 offset:8
.LBB27_66:
	s_or_b64 exec, exec, s[10:11]
	s_waitcnt lgkmcnt(0)
	s_barrier
	ds_read2_b64 v[0:3], v22 offset1:4
	s_waitcnt lgkmcnt(0)
	v_cmp_le_i64_e64 s[12:13], v[0:1], v[2:3]
	v_cmp_gt_i64_e64 s[4:5], v[0:1], v[2:3]
	s_and_saveexec_b64 s[10:11], s[4:5]
	s_cbranch_execz .LBB27_68
; %bb.67:
	ds_read_u8 v15, v23
	s_andn2_b64 s[12:13], s[12:13], exec
	s_waitcnt lgkmcnt(0)
	v_and_b32_e32 v15, 1, v15
	v_cmp_eq_u32_e64 s[4:5], 1, v15
	s_xor_b64 s[4:5], s[4:5], -1
	s_and_b64 s[4:5], s[4:5], exec
	s_or_b64 s[12:13], s[12:13], s[4:5]
.LBB27_68:
	s_or_b64 exec, exec, s[10:11]
	s_and_saveexec_b64 s[10:11], s[12:13]
	s_cbranch_execz .LBB27_71
; %bb.69:
	ds_read_u8 v15, v23 offset:4
	s_waitcnt lgkmcnt(0)
	v_cmp_ne_u16_e64 s[4:5], 0, v15
	s_and_b64 exec, exec, s[4:5]
	s_cbranch_execz .LBB27_71
; %bb.70:
	ds_read2_b64 v[26:29], v24 offset1:4
	ds_read_u8 v18, v23
	ds_write2_b64 v22, v[2:3], v[0:1] offset1:4
	ds_write_b8 v23, v15
	s_waitcnt lgkmcnt(3)
	ds_write2_b64 v24, v[28:29], v[26:27] offset1:4
	s_waitcnt lgkmcnt(3)
	ds_write_b8 v23, v18 offset:4
.LBB27_71:
	;; [unrolled: 38-line block ×3, first 2 shown]
	s_or_b64 exec, exec, s[10:11]
	s_waitcnt lgkmcnt(0)
	s_barrier
	ds_read_b128 v[0:3], v13
	s_waitcnt lgkmcnt(0)
	v_cmp_le_i64_e64 s[12:13], v[0:1], v[2:3]
	v_cmp_gt_i64_e64 s[4:5], v[0:1], v[2:3]
	s_and_saveexec_b64 s[10:11], s[4:5]
	s_cbranch_execz .LBB27_78
; %bb.77:
	ds_read_u8 v15, v14
	s_andn2_b64 s[12:13], s[12:13], exec
	s_waitcnt lgkmcnt(0)
	v_and_b32_e32 v15, 1, v15
	v_cmp_eq_u32_e64 s[4:5], 1, v15
	s_xor_b64 s[4:5], s[4:5], -1
	s_and_b64 s[4:5], s[4:5], exec
	s_or_b64 s[12:13], s[12:13], s[4:5]
.LBB27_78:
	s_or_b64 exec, exec, s[10:11]
	s_and_saveexec_b64 s[10:11], s[12:13]
	s_cbranch_execz .LBB27_81
; %bb.79:
	ds_read_u8 v15, v14 offset:1
	s_waitcnt lgkmcnt(0)
	v_cmp_ne_u16_e64 s[4:5], 0, v15
	s_and_b64 exec, exec, s[4:5]
	s_cbranch_execz .LBB27_81
; %bb.80:
	v_add_u32_e32 v12, v10, v12
	v_mov_b32_e32 v16, v2
	v_mov_b32_e32 v17, v3
	ds_read_b128 v[20:23], v12
	v_mov_b32_e32 v18, v0
	v_mov_b32_e32 v19, v1
	ds_write_b128 v13, v[16:19]
	ds_read_u8 v13, v14
	s_waitcnt lgkmcnt(2)
	v_mov_b32_e32 v0, v22
	v_mov_b32_e32 v1, v23
	;; [unrolled: 1-line block ×4, first 2 shown]
	ds_write_b128 v12, v[0:3]
	s_waitcnt lgkmcnt(1)
	v_lshlrev_b16_e32 v0, 8, v13
	v_or_b32_e32 v0, v15, v0
	ds_write_b16 v14, v0
.LBB27_81:
	s_or_b64 exec, exec, s[10:11]
	s_waitcnt lgkmcnt(0)
	s_barrier
	s_and_saveexec_b64 s[4:5], vcc
	s_cbranch_execz .LBB27_86
; %bb.82:
	s_and_saveexec_b64 s[4:5], s[0:1]
	s_cbranch_execz .LBB27_84
; %bb.83:
	ds_read_b64 v[0:1], v11
	v_mad_u64_u32 v[2:3], s[0:1], v5, s14, v[6:7]
	v_mov_b32_e32 v3, 0
	v_lshlrev_b64 v[12:13], 3, v[2:3]
	v_mov_b32_e32 v2, s7
	v_add_co_u32_e32 v12, vcc, s6, v12
	v_addc_co_u32_e32 v13, vcc, v2, v13, vcc
	ds_read_b64 v[10:11], v10
	s_waitcnt lgkmcnt(1)
	global_store_dwordx2 v[12:13], v[0:1], off
	v_mad_u64_u32 v[0:1], s[0:1], v5, s15, v[4:5]
	v_mov_b32_e32 v1, v3
	v_lshlrev_b64 v[0:1], 3, v[0:1]
	v_mov_b32_e32 v2, s9
	v_add_co_u32_e32 v0, vcc, s8, v0
	v_addc_co_u32_e32 v1, vcc, v2, v1, vcc
	s_waitcnt lgkmcnt(0)
	global_store_dwordx2 v[0:1], v[10:11], off
.LBB27_84:
	s_or_b64 exec, exec, s[4:5]
	s_and_b64 exec, exec, s[2:3]
	s_cbranch_execz .LBB27_86
; %bb.85:
	ds_read_b64 v[0:1], v9
	v_mad_u64_u32 v[2:3], s[0:1], v7, s14, v[6:7]
	v_mov_b32_e32 v3, 0
	v_lshlrev_b64 v[10:11], 3, v[2:3]
	v_mov_b32_e32 v2, s7
	v_add_co_u32_e32 v10, vcc, s6, v10
	v_addc_co_u32_e32 v11, vcc, v2, v11, vcc
	ds_read_b64 v[8:9], v8
	s_waitcnt lgkmcnt(1)
	global_store_dwordx2 v[10:11], v[0:1], off
	v_mad_u64_u32 v[0:1], s[0:1], v7, s15, v[4:5]
	v_mov_b32_e32 v1, v3
	v_lshlrev_b64 v[0:1], 3, v[0:1]
	v_mov_b32_e32 v2, s9
	v_add_co_u32_e32 v0, vcc, s8, v0
	v_addc_co_u32_e32 v1, vcc, v2, v1, vcc
	s_waitcnt lgkmcnt(0)
	global_store_dwordx2 v[0:1], v[8:9], off
.LBB27_86:
	s_endpgm
.LBB27_87:
	ds_read_u8 v23, v14
	s_andn2_b64 s[10:11], s[10:11], exec
	s_mov_b32 s16, 1
	s_waitcnt lgkmcnt(0)
	v_and_b32_e32 v23, 1, v23
	v_cmp_eq_u32_e64 s[4:5], 1, v23
	s_xor_b64 s[4:5], s[4:5], -1
	s_and_b64 s[4:5], s[4:5], exec
	s_or_b64 s[10:11], s[10:11], s[4:5]
	s_or_b64 exec, exec, s[12:13]
	v_mov_b32_e32 v23, s16
	s_and_saveexec_b64 s[4:5], s[10:11]
	s_cbranch_execz .LBB27_22
.LBB27_88:
	ds_read_u8 v23, v14 offset:1
	s_waitcnt lgkmcnt(0)
	v_xor_b32_e32 v23, 1, v23
	s_or_b64 exec, exec, s[4:5]
	v_cmp_eq_u32_e64 s[4:5], v23, v22
	s_and_saveexec_b64 s[10:11], s[4:5]
	s_cbranch_execnz .LBB27_23
	s_branch .LBB27_24
.LBB27_89:
	ds_read_u8 v26, v17
	s_andn2_b64 s[10:11], s[10:11], exec
	s_mov_b32 s16, 1
	s_waitcnt lgkmcnt(0)
	v_and_b32_e32 v26, 1, v26
	v_cmp_eq_u32_e64 s[4:5], 1, v26
	s_xor_b64 s[4:5], s[4:5], -1
	s_and_b64 s[4:5], s[4:5], exec
	s_or_b64 s[10:11], s[10:11], s[4:5]
	s_or_b64 exec, exec, s[12:13]
	v_mov_b32_e32 v26, s16
	s_and_saveexec_b64 s[4:5], s[10:11]
	s_cbranch_execz .LBB27_32
.LBB27_90:
	ds_read_u8 v26, v17 offset:2
	s_waitcnt lgkmcnt(0)
	v_xor_b32_e32 v26, 1, v26
	s_or_b64 exec, exec, s[4:5]
	v_cmp_eq_u32_e64 s[4:5], v26, v25
	s_and_saveexec_b64 s[10:11], s[4:5]
	s_cbranch_execnz .LBB27_33
	s_branch .LBB27_34
.LBB27_91:
	ds_read_u8 v26, v14
	s_andn2_b64 s[10:11], s[10:11], exec
	s_mov_b32 s16, 1
	s_waitcnt lgkmcnt(0)
	v_and_b32_e32 v26, 1, v26
	v_cmp_eq_u32_e64 s[4:5], 1, v26
	s_xor_b64 s[4:5], s[4:5], -1
	s_and_b64 s[4:5], s[4:5], exec
	s_or_b64 s[10:11], s[10:11], s[4:5]
	s_or_b64 exec, exec, s[12:13]
	v_mov_b32_e32 v26, s16
	s_and_saveexec_b64 s[4:5], s[10:11]
	s_cbranch_execz .LBB27_36
.LBB27_92:
	ds_read_u8 v26, v14 offset:1
	s_waitcnt lgkmcnt(0)
	v_xor_b32_e32 v26, 1, v26
	s_or_b64 exec, exec, s[4:5]
	v_cmp_eq_u32_e64 s[4:5], v26, v25
	s_and_saveexec_b64 s[10:11], s[4:5]
	s_cbranch_execnz .LBB27_37
	s_branch .LBB27_38
.LBB27_93:
	ds_read_u8 v29, v23
	s_andn2_b64 s[10:11], s[10:11], exec
	s_mov_b32 s16, 1
	s_waitcnt lgkmcnt(0)
	v_and_b32_e32 v29, 1, v29
	v_cmp_eq_u32_e64 s[4:5], 1, v29
	s_xor_b64 s[4:5], s[4:5], -1
	s_and_b64 s[4:5], s[4:5], exec
	s_or_b64 s[10:11], s[10:11], s[4:5]
	s_or_b64 exec, exec, s[12:13]
	v_mov_b32_e32 v29, s16
	s_and_saveexec_b64 s[4:5], s[10:11]
	s_cbranch_execz .LBB27_46
.LBB27_94:
	ds_read_u8 v29, v23 offset:4
	s_waitcnt lgkmcnt(0)
	v_xor_b32_e32 v29, 1, v29
	s_or_b64 exec, exec, s[4:5]
	v_cmp_eq_u32_e64 s[4:5], v29, v28
	s_and_saveexec_b64 s[10:11], s[4:5]
	s_cbranch_execnz .LBB27_47
	s_branch .LBB27_48
.LBB27_95:
	ds_read_u8 v29, v17
	s_andn2_b64 s[10:11], s[10:11], exec
	s_mov_b32 s16, 1
	s_waitcnt lgkmcnt(0)
	v_and_b32_e32 v29, 1, v29
	v_cmp_eq_u32_e64 s[4:5], 1, v29
	s_xor_b64 s[4:5], s[4:5], -1
	s_and_b64 s[4:5], s[4:5], exec
	s_or_b64 s[10:11], s[10:11], s[4:5]
	s_or_b64 exec, exec, s[12:13]
	v_mov_b32_e32 v29, s16
	s_and_saveexec_b64 s[4:5], s[10:11]
	s_cbranch_execz .LBB27_50
.LBB27_96:
	ds_read_u8 v29, v17 offset:2
	s_waitcnt lgkmcnt(0)
	v_xor_b32_e32 v29, 1, v29
	s_or_b64 exec, exec, s[4:5]
	v_cmp_eq_u32_e64 s[4:5], v29, v28
	s_and_saveexec_b64 s[10:11], s[4:5]
	s_cbranch_execnz .LBB27_51
	s_branch .LBB27_52
.LBB27_97:
	ds_read_u8 v29, v14
	s_andn2_b64 s[10:11], s[10:11], exec
	s_mov_b32 s16, 1
	s_waitcnt lgkmcnt(0)
	v_and_b32_e32 v29, 1, v29
	v_cmp_eq_u32_e64 s[4:5], 1, v29
	s_xor_b64 s[4:5], s[4:5], -1
	s_and_b64 s[4:5], s[4:5], exec
	s_or_b64 s[10:11], s[10:11], s[4:5]
	s_or_b64 exec, exec, s[12:13]
	v_mov_b32_e32 v29, s16
	s_and_saveexec_b64 s[4:5], s[10:11]
	s_cbranch_execz .LBB27_54
.LBB27_98:
	ds_read_u8 v29, v14 offset:1
	s_waitcnt lgkmcnt(0)
	v_xor_b32_e32 v29, 1, v29
	s_or_b64 exec, exec, s[4:5]
	v_cmp_eq_u32_e64 s[4:5], v29, v28
	s_and_saveexec_b64 s[10:11], s[4:5]
	s_cbranch_execnz .LBB27_55
	s_branch .LBB27_56
	.section	.rodata,"a",@progbits
	.p2align	6, 0x0
	.amdhsa_kernel _ZN2at6native20bitonicSortKVInPlaceILi2ELin1ELi16ELi16EllNS0_4GTOpIlLb1EEEjEEvNS_4cuda6detail10TensorInfoIT3_T6_EES8_S8_S8_NS6_IT4_S8_EES8_T5_
		.amdhsa_group_segment_fixed_size 8704
		.amdhsa_private_segment_fixed_size 0
		.amdhsa_kernarg_size 712
		.amdhsa_user_sgpr_count 6
		.amdhsa_user_sgpr_private_segment_buffer 1
		.amdhsa_user_sgpr_dispatch_ptr 0
		.amdhsa_user_sgpr_queue_ptr 0
		.amdhsa_user_sgpr_kernarg_segment_ptr 1
		.amdhsa_user_sgpr_dispatch_id 0
		.amdhsa_user_sgpr_flat_scratch_init 0
		.amdhsa_user_sgpr_kernarg_preload_length 0
		.amdhsa_user_sgpr_kernarg_preload_offset 0
		.amdhsa_user_sgpr_private_segment_size 0
		.amdhsa_uses_dynamic_stack 0
		.amdhsa_system_sgpr_private_segment_wavefront_offset 0
		.amdhsa_system_sgpr_workgroup_id_x 1
		.amdhsa_system_sgpr_workgroup_id_y 1
		.amdhsa_system_sgpr_workgroup_id_z 1
		.amdhsa_system_sgpr_workgroup_info 0
		.amdhsa_system_vgpr_workitem_id 1
		.amdhsa_next_free_vgpr 37
		.amdhsa_next_free_sgpr 20
		.amdhsa_accum_offset 40
		.amdhsa_reserve_vcc 1
		.amdhsa_reserve_flat_scratch 0
		.amdhsa_float_round_mode_32 0
		.amdhsa_float_round_mode_16_64 0
		.amdhsa_float_denorm_mode_32 3
		.amdhsa_float_denorm_mode_16_64 3
		.amdhsa_dx10_clamp 1
		.amdhsa_ieee_mode 1
		.amdhsa_fp16_overflow 0
		.amdhsa_tg_split 0
		.amdhsa_exception_fp_ieee_invalid_op 0
		.amdhsa_exception_fp_denorm_src 0
		.amdhsa_exception_fp_ieee_div_zero 0
		.amdhsa_exception_fp_ieee_overflow 0
		.amdhsa_exception_fp_ieee_underflow 0
		.amdhsa_exception_fp_ieee_inexact 0
		.amdhsa_exception_int_div_zero 0
	.end_amdhsa_kernel
	.section	.text._ZN2at6native20bitonicSortKVInPlaceILi2ELin1ELi16ELi16EllNS0_4GTOpIlLb1EEEjEEvNS_4cuda6detail10TensorInfoIT3_T6_EES8_S8_S8_NS6_IT4_S8_EES8_T5_,"axG",@progbits,_ZN2at6native20bitonicSortKVInPlaceILi2ELin1ELi16ELi16EllNS0_4GTOpIlLb1EEEjEEvNS_4cuda6detail10TensorInfoIT3_T6_EES8_S8_S8_NS6_IT4_S8_EES8_T5_,comdat
.Lfunc_end27:
	.size	_ZN2at6native20bitonicSortKVInPlaceILi2ELin1ELi16ELi16EllNS0_4GTOpIlLb1EEEjEEvNS_4cuda6detail10TensorInfoIT3_T6_EES8_S8_S8_NS6_IT4_S8_EES8_T5_, .Lfunc_end27-_ZN2at6native20bitonicSortKVInPlaceILi2ELin1ELi16ELi16EllNS0_4GTOpIlLb1EEEjEEvNS_4cuda6detail10TensorInfoIT3_T6_EES8_S8_S8_NS6_IT4_S8_EES8_T5_
                                        ; -- End function
	.section	.AMDGPU.csdata,"",@progbits
; Kernel info:
; codeLenInByte = 4820
; NumSgprs: 24
; NumVgprs: 37
; NumAgprs: 0
; TotalNumVgprs: 37
; ScratchSize: 0
; MemoryBound: 0
; FloatMode: 240
; IeeeMode: 1
; LDSByteSize: 8704 bytes/workgroup (compile time only)
; SGPRBlocks: 2
; VGPRBlocks: 4
; NumSGPRsForWavesPerEU: 24
; NumVGPRsForWavesPerEU: 37
; AccumOffset: 40
; Occupancy: 7
; WaveLimiterHint : 1
; COMPUTE_PGM_RSRC2:SCRATCH_EN: 0
; COMPUTE_PGM_RSRC2:USER_SGPR: 6
; COMPUTE_PGM_RSRC2:TRAP_HANDLER: 0
; COMPUTE_PGM_RSRC2:TGID_X_EN: 1
; COMPUTE_PGM_RSRC2:TGID_Y_EN: 1
; COMPUTE_PGM_RSRC2:TGID_Z_EN: 1
; COMPUTE_PGM_RSRC2:TIDIG_COMP_CNT: 1
; COMPUTE_PGM_RSRC3_GFX90A:ACCUM_OFFSET: 9
; COMPUTE_PGM_RSRC3_GFX90A:TG_SPLIT: 0
	.section	.text._ZN2at6native20bitonicSortKVInPlaceILin1ELin1ELi16ELi16EllNS0_4LTOpIlLb1EEEjEEvNS_4cuda6detail10TensorInfoIT3_T6_EES8_S8_S8_NS6_IT4_S8_EES8_T5_,"axG",@progbits,_ZN2at6native20bitonicSortKVInPlaceILin1ELin1ELi16ELi16EllNS0_4LTOpIlLb1EEEjEEvNS_4cuda6detail10TensorInfoIT3_T6_EES8_S8_S8_NS6_IT4_S8_EES8_T5_,comdat
	.protected	_ZN2at6native20bitonicSortKVInPlaceILin1ELin1ELi16ELi16EllNS0_4LTOpIlLb1EEEjEEvNS_4cuda6detail10TensorInfoIT3_T6_EES8_S8_S8_NS6_IT4_S8_EES8_T5_ ; -- Begin function _ZN2at6native20bitonicSortKVInPlaceILin1ELin1ELi16ELi16EllNS0_4LTOpIlLb1EEEjEEvNS_4cuda6detail10TensorInfoIT3_T6_EES8_S8_S8_NS6_IT4_S8_EES8_T5_
	.globl	_ZN2at6native20bitonicSortKVInPlaceILin1ELin1ELi16ELi16EllNS0_4LTOpIlLb1EEEjEEvNS_4cuda6detail10TensorInfoIT3_T6_EES8_S8_S8_NS6_IT4_S8_EES8_T5_
	.p2align	8
	.type	_ZN2at6native20bitonicSortKVInPlaceILin1ELin1ELi16ELi16EllNS0_4LTOpIlLb1EEEjEEvNS_4cuda6detail10TensorInfoIT3_T6_EES8_S8_S8_NS6_IT4_S8_EES8_T5_,@function
_ZN2at6native20bitonicSortKVInPlaceILin1ELin1ELi16ELi16EllNS0_4LTOpIlLb1EEEjEEvNS_4cuda6detail10TensorInfoIT3_T6_EES8_S8_S8_NS6_IT4_S8_EES8_T5_: ; @_ZN2at6native20bitonicSortKVInPlaceILin1ELin1ELi16ELi16EllNS0_4LTOpIlLb1EEEjEEvNS_4cuda6detail10TensorInfoIT3_T6_EES8_S8_S8_NS6_IT4_S8_EES8_T5_
; %bb.0:
	s_load_dwordx2 s[2:3], s[4:5], 0x1c8
	s_load_dwordx4 s[12:15], s[4:5], 0xd8
	s_load_dword s9, s[4:5], 0x1d4
	s_add_u32 s0, s4, 0x1c8
	s_addc_u32 s1, s5, 0
	s_waitcnt lgkmcnt(0)
	s_mul_i32 s3, s3, s8
	s_add_i32 s3, s3, s7
	s_mul_i32 s2, s3, s2
	s_add_i32 s3, s2, s6
	s_lshr_b32 s2, s9, 16
	s_mul_i32 s3, s3, s2
	s_cmp_ge_u32 s3, s12
	s_cbranch_scc1 .LBB28_89
; %bb.1:
	s_load_dword s2, s[4:5], 0xd0
	v_bfe_u32 v10, v0, 10, 10
	v_add_u32_e32 v1, s3, v10
	v_mov_b32_e32 v2, 0
	v_mov_b32_e32 v6, v1
	s_waitcnt lgkmcnt(0)
	s_cmp_lt_i32 s2, 2
	s_cbranch_scc1 .LBB28_4
; %bb.2:
	s_add_i32 s6, s2, 1
	s_add_i32 s2, s2, -1
	s_mov_b32 s3, 0
	s_lshl_b64 s[2:3], s[2:3], 2
	s_add_u32 s2, s2, s4
	s_addc_u32 s3, s3, s5
	s_add_u32 s2, s2, 8
	s_addc_u32 s3, s3, 0
	v_mov_b32_e32 v2, 0
	v_mov_b32_e32 v6, v1
.LBB28_3:                               ; =>This Inner Loop Header: Depth=1
	s_load_dword s7, s[2:3], 0x0
	s_load_dword s8, s[2:3], 0x64
	v_mov_b32_e32 v3, v6
	s_add_i32 s6, s6, -1
	s_waitcnt lgkmcnt(0)
	v_cvt_f32_u32_e32 v4, s7
	s_sub_i32 s9, 0, s7
	s_add_u32 s2, s2, -4
	s_addc_u32 s3, s3, -1
	v_rcp_iflag_f32_e32 v4, v4
	s_cmp_gt_u32 s6, 2
	v_mul_f32_e32 v4, 0x4f7ffffe, v4
	v_cvt_u32_f32_e32 v4, v4
	v_mul_lo_u32 v5, s9, v4
	v_mul_hi_u32 v5, v4, v5
	v_add_u32_e32 v4, v4, v5
	v_mul_hi_u32 v4, v3, v4
	v_mul_lo_u32 v5, v4, s7
	v_sub_u32_e32 v5, v3, v5
	v_add_u32_e32 v6, 1, v4
	v_cmp_le_u32_e32 vcc, s7, v5
	v_cndmask_b32_e32 v4, v4, v6, vcc
	v_subrev_u32_e32 v6, s7, v5
	v_cndmask_b32_e32 v5, v5, v6, vcc
	v_add_u32_e32 v6, 1, v4
	v_cmp_le_u32_e32 vcc, s7, v5
	v_cndmask_b32_e32 v6, v4, v6, vcc
	v_mul_lo_u32 v4, v6, s7
	v_sub_u32_e32 v3, v3, v4
	v_mad_u64_u32 v[2:3], s[8:9], s8, v3, v[2:3]
	s_cbranch_scc1 .LBB28_3
.LBB28_4:
	s_load_dword s2, s[4:5], 0x1b8
	v_mov_b32_e32 v4, 0
	v_mov_b32_e32 v3, v1
	s_waitcnt lgkmcnt(0)
	s_cmp_lt_i32 s2, 2
	s_cbranch_scc1 .LBB28_7
; %bb.5:
	s_add_i32 s6, s2, 1
	s_add_i32 s2, s2, -1
	s_mov_b32 s3, 0
	s_lshl_b64 s[2:3], s[2:3], 2
	s_add_u32 s2, s2, s4
	s_addc_u32 s3, s3, s5
	s_add_u32 s2, s2, 0xf0
	s_addc_u32 s3, s3, 0
	v_mov_b32_e32 v4, 0
	v_mov_b32_e32 v3, v1
.LBB28_6:                               ; =>This Inner Loop Header: Depth=1
	s_load_dword s7, s[2:3], 0x0
	s_load_dword s8, s[2:3], 0x64
	v_mov_b32_e32 v5, v3
	s_add_i32 s6, s6, -1
	s_waitcnt lgkmcnt(0)
	v_cvt_f32_u32_e32 v3, s7
	s_sub_i32 s9, 0, s7
	s_add_u32 s2, s2, -4
	s_addc_u32 s3, s3, -1
	v_rcp_iflag_f32_e32 v3, v3
	s_cmp_gt_u32 s6, 2
	v_mul_f32_e32 v3, 0x4f7ffffe, v3
	v_cvt_u32_f32_e32 v3, v3
	v_mul_lo_u32 v7, s9, v3
	v_mul_hi_u32 v7, v3, v7
	v_add_u32_e32 v3, v3, v7
	v_mul_hi_u32 v3, v5, v3
	v_mul_lo_u32 v7, v3, s7
	v_sub_u32_e32 v7, v5, v7
	v_add_u32_e32 v8, 1, v3
	v_cmp_le_u32_e32 vcc, s7, v7
	v_cndmask_b32_e32 v3, v3, v8, vcc
	v_subrev_u32_e32 v8, s7, v7
	v_cndmask_b32_e32 v7, v7, v8, vcc
	v_add_u32_e32 v8, 1, v3
	v_cmp_le_u32_e32 vcc, s7, v7
	v_cndmask_b32_e32 v3, v3, v8, vcc
	v_mul_lo_u32 v7, v3, s7
	v_sub_u32_e32 v5, v5, v7
	v_mad_u64_u32 v[4:5], s[8:9], s8, v5, v[4:5]
	s_cbranch_scc1 .LBB28_6
.LBB28_7:
	s_load_dword s2, s[4:5], 0x6c
	v_cmp_gt_u32_e32 vcc, s12, v1
	s_waitcnt lgkmcnt(0)
	v_mad_u64_u32 v[6:7], s[2:3], s2, v6, v[2:3]
	s_load_dword s15, s[4:5], 0x1c0
	s_load_dword s2, s[4:5], 0x154
	s_load_dwordx2 s[8:9], s[4:5], 0x0
	s_load_dwordx2 s[6:7], s[4:5], 0xe8
	s_load_dword s12, s[0:1], 0xc
	s_waitcnt lgkmcnt(0)
	v_mad_u64_u32 v[4:5], s[2:3], s2, v3, v[4:5]
	v_and_b32_e32 v5, 0x3ff, v0
	v_cmp_gt_u32_e64 s[0:1], s13, v5
	v_pk_mov_b32 v[0:1], 0, 0
	s_and_b64 s[4:5], vcc, s[0:1]
	v_pk_mov_b32 v[2:3], v[0:1], v[0:1] op_sel:[0,1]
	v_pk_mov_b32 v[8:9], v[0:1], v[0:1] op_sel:[0,1]
	s_and_saveexec_b64 s[10:11], s[4:5]
	s_cbranch_execz .LBB28_9
; %bb.8:
	v_mad_u64_u32 v[8:9], s[2:3], v5, s14, v[6:7]
	v_mov_b32_e32 v9, 0
	v_lshlrev_b64 v[2:3], 3, v[8:9]
	v_mov_b32_e32 v7, s9
	v_add_co_u32_e64 v2, s[2:3], s8, v2
	v_addc_co_u32_e64 v3, s[2:3], v7, v3, s[2:3]
	v_mad_u64_u32 v[12:13], s[2:3], v5, s15, v[4:5]
	v_mov_b32_e32 v13, v9
	v_lshlrev_b64 v[8:9], 3, v[12:13]
	v_mov_b32_e32 v7, s7
	v_add_co_u32_e64 v8, s[2:3], s6, v8
	v_addc_co_u32_e64 v9, s[2:3], v7, v9, s[2:3]
	global_load_dwordx2 v[2:3], v[2:3], off
	s_nop 0
	global_load_dwordx2 v[8:9], v[8:9], off
.LBB28_9:
	s_or_b64 exec, exec, s[10:11]
	v_lshlrev_b32_e32 v19, 8, v10
	v_mov_b32_e32 v11, 0x2000
	v_lshlrev_b32_e32 v12, 3, v5
	v_lshl_add_u32 v18, v10, 5, v11
	v_add_u32_e32 v11, v19, v12
	s_and_b32 s16, 0xffff, s12
	v_cndmask_b32_e64 v7, 0, 1, s[4:5]
	s_waitcnt vmcnt(1)
	ds_write_b64 v11, v[2:3]
	v_add_u32_e32 v2, v18, v5
	ds_write_b8 v2, v7
	v_add_u32_e32 v7, s16, v5
	v_add_u32_e32 v15, 0x1000, v19
	v_cmp_gt_u32_e64 s[2:3], s13, v7
	v_add_u32_e32 v10, v15, v12
	s_and_b64 s[10:11], vcc, s[2:3]
	v_pk_mov_b32 v[2:3], v[0:1], v[0:1] op_sel:[0,1]
	s_waitcnt vmcnt(0)
	ds_write_b64 v10, v[8:9]
	s_and_saveexec_b64 s[12:13], s[10:11]
	s_cbranch_execz .LBB28_11
; %bb.10:
	v_mad_u64_u32 v[2:3], s[4:5], v7, s14, v[6:7]
	v_mov_b32_e32 v3, 0
	v_lshlrev_b64 v[0:1], 3, v[2:3]
	v_mov_b32_e32 v2, s9
	v_add_co_u32_e64 v0, s[4:5], s8, v0
	v_addc_co_u32_e64 v1, s[4:5], v2, v1, s[4:5]
	v_mad_u64_u32 v[8:9], s[4:5], v7, s15, v[4:5]
	v_mov_b32_e32 v9, v3
	v_lshlrev_b64 v[2:3], 3, v[8:9]
	v_mov_b32_e32 v8, s7
	v_add_co_u32_e64 v2, s[4:5], s6, v2
	v_addc_co_u32_e64 v3, s[4:5], v8, v3, s[4:5]
	global_load_dwordx2 v[0:1], v[0:1], off
	s_nop 0
	global_load_dwordx2 v[2:3], v[2:3], off
.LBB28_11:
	s_or_b64 exec, exec, s[12:13]
	s_lshl_b32 s4, s16, 3
	v_add_u32_e32 v9, s4, v11
	v_cndmask_b32_e64 v13, 0, 1, s[10:11]
	s_waitcnt vmcnt(1)
	ds_write_b64 v9, v[0:1]
	v_add_u32_e32 v0, v18, v7
	v_add_u32_e32 v8, s4, v10
	ds_write_b8 v0, v13
	v_add_u32_e32 v13, v11, v12
	s_waitcnt vmcnt(0)
	ds_write_b64 v8, v[2:3]
	s_waitcnt lgkmcnt(0)
	s_barrier
	ds_read_b128 v[0:3], v13
	v_lshlrev_b32_e32 v21, 1, v5
	s_mov_b32 s16, 1
	v_add_u32_e32 v14, v18, v21
	s_waitcnt lgkmcnt(0)
	v_cmp_ge_i64_e64 s[10:11], v[0:1], v[2:3]
	v_cmp_lt_i64_e64 s[4:5], v[0:1], v[2:3]
	s_and_saveexec_b64 s[12:13], s[4:5]
	s_xor_b64 s[12:13], exec, s[12:13]
	s_cbranch_execz .LBB28_13
; %bb.12:
	ds_read_u8 v16, v14
	s_andn2_b64 s[10:11], s[10:11], exec
	s_waitcnt lgkmcnt(0)
	v_and_b32_e32 v16, 1, v16
	v_cmp_eq_u32_e64 s[4:5], 1, v16
	s_xor_b64 s[4:5], s[4:5], -1
	s_and_b64 s[4:5], s[4:5], exec
	s_or_b64 s[10:11], s[10:11], s[4:5]
.LBB28_13:
	s_or_b64 exec, exec, s[12:13]
	v_mov_b32_e32 v17, s16
	s_and_saveexec_b64 s[4:5], s[10:11]
	s_cbranch_execz .LBB28_15
; %bb.14:
	ds_read_u8 v16, v14 offset:1
	s_waitcnt lgkmcnt(0)
	v_xor_b32_e32 v17, 1, v16
.LBB28_15:
	s_or_b64 exec, exec, s[4:5]
	v_and_b32_e32 v16, 1, v5
	v_cmp_eq_u32_e64 s[4:5], v17, v16
	s_and_saveexec_b64 s[10:11], s[4:5]
	s_cbranch_execz .LBB28_17
; %bb.16:
	v_add_u32_e32 v17, v10, v12
	ds_read_b128 v[26:29], v17
	ds_read_u16 v20, v14
	v_mov_b32_e32 v22, v2
	v_mov_b32_e32 v23, v3
	;; [unrolled: 1-line block ×4, first 2 shown]
	s_waitcnt lgkmcnt(1)
	v_mov_b32_e32 v0, v28
	v_mov_b32_e32 v1, v29
	;; [unrolled: 1-line block ×4, first 2 shown]
	s_mov_b32 s4, 0xc0c0001
	ds_write_b128 v17, v[0:3]
	s_waitcnt lgkmcnt(1)
	v_perm_b32 v0, 0, v20, s4
	ds_write_b128 v13, v[22:25]
	ds_write_b16 v14, v0
.LBB28_17:
	s_or_b64 exec, exec, s[10:11]
	v_sub_u32_e32 v20, v21, v16
	v_lshl_add_u32 v16, v20, 3, v19
	s_waitcnt lgkmcnt(0)
	s_barrier
	ds_read2_b64 v[0:3], v16 offset1:2
	s_mov_b64 s[10:11], -1
	v_add_u32_e32 v17, v18, v20
                                        ; implicit-def: $sgpr16
	s_waitcnt lgkmcnt(0)
	v_cmp_lt_i64_e64 s[4:5], v[0:1], v[2:3]
	s_and_saveexec_b64 s[12:13], s[4:5]
	s_xor_b64 s[12:13], exec, s[12:13]
	s_cbranch_execz .LBB28_19
; %bb.18:
	ds_read_u8 v22, v17
	s_mov_b32 s16, 1
	s_waitcnt lgkmcnt(0)
	v_and_b32_e32 v22, 1, v22
	v_cmp_eq_u32_e64 s[4:5], 1, v22
	s_xor_b64 s[4:5], s[4:5], -1
	s_orn2_b64 s[10:11], s[4:5], exec
.LBB28_19:
	s_or_b64 exec, exec, s[12:13]
	v_mov_b32_e32 v23, s16
	s_and_saveexec_b64 s[4:5], s[10:11]
	s_cbranch_execz .LBB28_21
; %bb.20:
	ds_read_u8 v22, v17 offset:2
	s_waitcnt lgkmcnt(0)
	v_xor_b32_e32 v23, 1, v22
.LBB28_21:
	s_or_b64 exec, exec, s[4:5]
	v_bfe_u32 v22, v5, 1, 1
	v_lshl_add_u32 v20, v20, 3, v15
	v_cmp_eq_u32_e64 s[4:5], v23, v22
	s_and_saveexec_b64 s[10:11], s[4:5]
	s_cbranch_execz .LBB28_23
; %bb.22:
	ds_read2_b64 v[24:27], v20 offset1:2
	ds_read_u8 v23, v17 offset:2
	ds_read_u8 v28, v17
	ds_write2_b64 v16, v[2:3], v[0:1] offset1:2
	s_waitcnt lgkmcnt(3)
	ds_write2_b64 v20, v[26:27], v[24:25] offset1:2
	s_waitcnt lgkmcnt(3)
	ds_write_b8 v17, v23
	s_waitcnt lgkmcnt(3)
	ds_write_b8 v17, v28 offset:2
.LBB28_23:
	s_or_b64 exec, exec, s[10:11]
	s_waitcnt lgkmcnt(0)
	s_barrier
	ds_read_b128 v[0:3], v13
                                        ; implicit-def: $sgpr16
	s_waitcnt lgkmcnt(0)
	v_cmp_ge_i64_e64 s[10:11], v[0:1], v[2:3]
	v_cmp_lt_i64_e64 s[4:5], v[0:1], v[2:3]
	s_and_saveexec_b64 s[12:13], s[4:5]
	s_cbranch_execnz .LBB28_90
; %bb.24:
	s_or_b64 exec, exec, s[12:13]
	v_mov_b32_e32 v23, s16
	s_and_saveexec_b64 s[4:5], s[10:11]
	s_cbranch_execnz .LBB28_91
.LBB28_25:
	s_or_b64 exec, exec, s[4:5]
	v_cmp_eq_u32_e64 s[4:5], v23, v22
	s_and_saveexec_b64 s[10:11], s[4:5]
	s_cbranch_execz .LBB28_27
.LBB28_26:
	v_add_u32_e32 v30, v10, v12
	v_mov_b32_e32 v22, v2
	v_mov_b32_e32 v23, v3
	ds_read_b128 v[26:29], v30
	v_mov_b32_e32 v24, v0
	v_mov_b32_e32 v25, v1
	ds_write_b128 v13, v[22:25]
	ds_read_u16 v22, v14
	s_waitcnt lgkmcnt(2)
	v_mov_b32_e32 v0, v28
	v_mov_b32_e32 v1, v29
	;; [unrolled: 1-line block ×4, first 2 shown]
	s_mov_b32 s4, 0xc0c0001
	ds_write_b128 v30, v[0:3]
	s_waitcnt lgkmcnt(1)
	v_perm_b32 v0, 0, v22, s4
	ds_write_b16 v14, v0
.LBB28_27:
	s_or_b64 exec, exec, s[10:11]
	v_and_b32_e32 v0, 3, v5
	v_sub_u32_e32 v24, v21, v0
	v_lshl_add_u32 v22, v24, 3, v19
	s_waitcnt lgkmcnt(0)
	s_barrier
	ds_read2_b64 v[0:3], v22 offset1:4
	v_add_u32_e32 v23, v18, v24
                                        ; implicit-def: $sgpr16
	s_waitcnt lgkmcnt(0)
	v_cmp_ge_i64_e64 s[10:11], v[0:1], v[2:3]
	v_cmp_lt_i64_e64 s[4:5], v[0:1], v[2:3]
	s_and_saveexec_b64 s[12:13], s[4:5]
	s_cbranch_execz .LBB28_29
; %bb.28:
	ds_read_u8 v25, v23
	s_andn2_b64 s[10:11], s[10:11], exec
	s_mov_b32 s16, 1
	s_waitcnt lgkmcnt(0)
	v_and_b32_e32 v25, 1, v25
	v_cmp_eq_u32_e64 s[4:5], 1, v25
	s_xor_b64 s[4:5], s[4:5], -1
	s_and_b64 s[4:5], s[4:5], exec
	s_or_b64 s[10:11], s[10:11], s[4:5]
.LBB28_29:
	s_or_b64 exec, exec, s[12:13]
	v_mov_b32_e32 v26, s16
	s_and_saveexec_b64 s[4:5], s[10:11]
	s_cbranch_execz .LBB28_31
; %bb.30:
	ds_read_u8 v25, v23 offset:4
	s_waitcnt lgkmcnt(0)
	v_xor_b32_e32 v26, 1, v25
.LBB28_31:
	s_or_b64 exec, exec, s[4:5]
	v_bfe_u32 v25, v5, 2, 1
	v_lshl_add_u32 v24, v24, 3, v15
	v_cmp_eq_u32_e64 s[4:5], v26, v25
	s_and_saveexec_b64 s[10:11], s[4:5]
	s_cbranch_execz .LBB28_33
; %bb.32:
	ds_read2_b64 v[26:29], v24 offset1:4
	ds_read_u8 v30, v23 offset:4
	ds_read_u8 v31, v23
	ds_write2_b64 v22, v[2:3], v[0:1] offset1:4
	s_waitcnt lgkmcnt(3)
	ds_write2_b64 v24, v[28:29], v[26:27] offset1:4
	s_waitcnt lgkmcnt(3)
	ds_write_b8 v23, v30
	s_waitcnt lgkmcnt(3)
	ds_write_b8 v23, v31 offset:4
.LBB28_33:
	s_or_b64 exec, exec, s[10:11]
	s_waitcnt lgkmcnt(0)
	s_barrier
	ds_read2_b64 v[0:3], v16 offset1:2
                                        ; implicit-def: $sgpr16
	s_waitcnt lgkmcnt(0)
	v_cmp_ge_i64_e64 s[10:11], v[0:1], v[2:3]
	v_cmp_lt_i64_e64 s[4:5], v[0:1], v[2:3]
	s_and_saveexec_b64 s[12:13], s[4:5]
	s_cbranch_execnz .LBB28_92
; %bb.34:
	s_or_b64 exec, exec, s[12:13]
	v_mov_b32_e32 v26, s16
	s_and_saveexec_b64 s[4:5], s[10:11]
	s_cbranch_execnz .LBB28_93
.LBB28_35:
	s_or_b64 exec, exec, s[4:5]
	v_cmp_eq_u32_e64 s[4:5], v26, v25
	s_and_saveexec_b64 s[10:11], s[4:5]
	s_cbranch_execz .LBB28_37
.LBB28_36:
	ds_read2_b64 v[26:29], v20 offset1:2
	ds_read_u8 v30, v17 offset:2
	ds_read_u8 v31, v17
	ds_write2_b64 v16, v[2:3], v[0:1] offset1:2
	s_waitcnt lgkmcnt(3)
	ds_write2_b64 v20, v[28:29], v[26:27] offset1:2
	s_waitcnt lgkmcnt(3)
	ds_write_b8 v17, v30
	s_waitcnt lgkmcnt(3)
	ds_write_b8 v17, v31 offset:2
.LBB28_37:
	s_or_b64 exec, exec, s[10:11]
	s_waitcnt lgkmcnt(0)
	s_barrier
	ds_read_b128 v[0:3], v13
                                        ; implicit-def: $sgpr16
	s_waitcnt lgkmcnt(0)
	v_cmp_ge_i64_e64 s[10:11], v[0:1], v[2:3]
	v_cmp_lt_i64_e64 s[4:5], v[0:1], v[2:3]
	s_and_saveexec_b64 s[12:13], s[4:5]
	s_cbranch_execnz .LBB28_94
; %bb.38:
	s_or_b64 exec, exec, s[12:13]
	v_mov_b32_e32 v26, s16
	s_and_saveexec_b64 s[4:5], s[10:11]
	s_cbranch_execnz .LBB28_95
.LBB28_39:
	s_or_b64 exec, exec, s[4:5]
	v_cmp_eq_u32_e64 s[4:5], v26, v25
	s_and_saveexec_b64 s[10:11], s[4:5]
	s_cbranch_execz .LBB28_41
.LBB28_40:
	v_add_u32_e32 v25, v10, v12
	v_mov_b32_e32 v26, v2
	v_mov_b32_e32 v27, v3
	ds_read_b128 v[30:33], v25
	v_mov_b32_e32 v28, v0
	v_mov_b32_e32 v29, v1
	ds_write_b128 v13, v[26:29]
	ds_read_u16 v26, v14
	s_waitcnt lgkmcnt(2)
	v_mov_b32_e32 v0, v32
	v_mov_b32_e32 v1, v33
	;; [unrolled: 1-line block ×4, first 2 shown]
	s_mov_b32 s4, 0xc0c0001
	ds_write_b128 v25, v[0:3]
	s_waitcnt lgkmcnt(1)
	v_perm_b32 v0, 0, v26, s4
	ds_write_b16 v14, v0
.LBB28_41:
	s_or_b64 exec, exec, s[10:11]
	v_and_b32_e32 v0, 7, v5
	v_sub_u32_e32 v27, v21, v0
	v_lshl_add_u32 v25, v27, 3, v19
	s_waitcnt lgkmcnt(0)
	s_barrier
	ds_read2_b64 v[0:3], v25 offset1:8
	v_add_u32_e32 v26, v18, v27
                                        ; implicit-def: $sgpr16
	s_waitcnt lgkmcnt(0)
	v_cmp_ge_i64_e64 s[10:11], v[0:1], v[2:3]
	v_cmp_lt_i64_e64 s[4:5], v[0:1], v[2:3]
	s_and_saveexec_b64 s[12:13], s[4:5]
	s_cbranch_execz .LBB28_43
; %bb.42:
	ds_read_u8 v28, v26
	s_andn2_b64 s[10:11], s[10:11], exec
	s_mov_b32 s16, 1
	s_waitcnt lgkmcnt(0)
	v_and_b32_e32 v28, 1, v28
	v_cmp_eq_u32_e64 s[4:5], 1, v28
	s_xor_b64 s[4:5], s[4:5], -1
	s_and_b64 s[4:5], s[4:5], exec
	s_or_b64 s[10:11], s[10:11], s[4:5]
.LBB28_43:
	s_or_b64 exec, exec, s[12:13]
	v_mov_b32_e32 v29, s16
	s_and_saveexec_b64 s[4:5], s[10:11]
	s_cbranch_execz .LBB28_45
; %bb.44:
	ds_read_u8 v28, v26 offset:8
	s_waitcnt lgkmcnt(0)
	v_xor_b32_e32 v29, 1, v28
.LBB28_45:
	s_or_b64 exec, exec, s[4:5]
	v_bfe_u32 v28, v5, 3, 1
	v_lshl_add_u32 v27, v27, 3, v15
	v_cmp_eq_u32_e64 s[4:5], v29, v28
	s_and_saveexec_b64 s[10:11], s[4:5]
	s_cbranch_execz .LBB28_47
; %bb.46:
	ds_read2_b64 v[30:33], v27 offset1:8
	ds_read_u8 v29, v26 offset:8
	ds_read_u8 v34, v26
	ds_write2_b64 v25, v[2:3], v[0:1] offset1:8
	s_waitcnt lgkmcnt(3)
	ds_write2_b64 v27, v[32:33], v[30:31] offset1:8
	s_waitcnt lgkmcnt(3)
	ds_write_b8 v26, v29
	s_waitcnt lgkmcnt(3)
	ds_write_b8 v26, v34 offset:8
.LBB28_47:
	s_or_b64 exec, exec, s[10:11]
	s_waitcnt lgkmcnt(0)
	s_barrier
	ds_read2_b64 v[0:3], v22 offset1:4
                                        ; implicit-def: $sgpr16
	s_waitcnt lgkmcnt(0)
	v_cmp_ge_i64_e64 s[10:11], v[0:1], v[2:3]
	v_cmp_lt_i64_e64 s[4:5], v[0:1], v[2:3]
	s_and_saveexec_b64 s[12:13], s[4:5]
	s_cbranch_execnz .LBB28_96
; %bb.48:
	s_or_b64 exec, exec, s[12:13]
	v_mov_b32_e32 v29, s16
	s_and_saveexec_b64 s[4:5], s[10:11]
	s_cbranch_execnz .LBB28_97
.LBB28_49:
	s_or_b64 exec, exec, s[4:5]
	v_cmp_eq_u32_e64 s[4:5], v29, v28
	s_and_saveexec_b64 s[10:11], s[4:5]
	s_cbranch_execz .LBB28_51
.LBB28_50:
	ds_read2_b64 v[30:33], v24 offset1:4
	ds_read_u8 v29, v23 offset:4
	ds_read_u8 v34, v23
	ds_write2_b64 v22, v[2:3], v[0:1] offset1:4
	s_waitcnt lgkmcnt(3)
	ds_write2_b64 v24, v[32:33], v[30:31] offset1:4
	s_waitcnt lgkmcnt(3)
	ds_write_b8 v23, v29
	s_waitcnt lgkmcnt(3)
	ds_write_b8 v23, v34 offset:4
.LBB28_51:
	s_or_b64 exec, exec, s[10:11]
	s_waitcnt lgkmcnt(0)
	s_barrier
	ds_read2_b64 v[0:3], v16 offset1:2
                                        ; implicit-def: $sgpr16
	s_waitcnt lgkmcnt(0)
	v_cmp_ge_i64_e64 s[10:11], v[0:1], v[2:3]
	v_cmp_lt_i64_e64 s[4:5], v[0:1], v[2:3]
	s_and_saveexec_b64 s[12:13], s[4:5]
	s_cbranch_execnz .LBB28_98
; %bb.52:
	s_or_b64 exec, exec, s[12:13]
	v_mov_b32_e32 v29, s16
	s_and_saveexec_b64 s[4:5], s[10:11]
	s_cbranch_execnz .LBB28_99
.LBB28_53:
	s_or_b64 exec, exec, s[4:5]
	v_cmp_eq_u32_e64 s[4:5], v29, v28
	s_and_saveexec_b64 s[10:11], s[4:5]
	s_cbranch_execz .LBB28_55
.LBB28_54:
	ds_read2_b64 v[30:33], v20 offset1:2
	ds_read_u8 v29, v17 offset:2
	ds_read_u8 v34, v17
	ds_write2_b64 v16, v[2:3], v[0:1] offset1:2
	s_waitcnt lgkmcnt(3)
	ds_write2_b64 v20, v[32:33], v[30:31] offset1:2
	s_waitcnt lgkmcnt(3)
	ds_write_b8 v17, v29
	s_waitcnt lgkmcnt(3)
	ds_write_b8 v17, v34 offset:2
.LBB28_55:
	s_or_b64 exec, exec, s[10:11]
	s_waitcnt lgkmcnt(0)
	s_barrier
	ds_read_b128 v[0:3], v13
                                        ; implicit-def: $sgpr16
	s_waitcnt lgkmcnt(0)
	v_cmp_ge_i64_e64 s[10:11], v[0:1], v[2:3]
	v_cmp_lt_i64_e64 s[4:5], v[0:1], v[2:3]
	s_and_saveexec_b64 s[12:13], s[4:5]
	s_cbranch_execnz .LBB28_100
; %bb.56:
	s_or_b64 exec, exec, s[12:13]
	v_mov_b32_e32 v29, s16
	s_and_saveexec_b64 s[4:5], s[10:11]
	s_cbranch_execnz .LBB28_101
.LBB28_57:
	s_or_b64 exec, exec, s[4:5]
	v_cmp_eq_u32_e64 s[4:5], v29, v28
	s_and_saveexec_b64 s[10:11], s[4:5]
	s_cbranch_execz .LBB28_59
.LBB28_58:
	v_add_u32_e32 v36, v10, v12
	v_mov_b32_e32 v28, v2
	v_mov_b32_e32 v29, v3
	ds_read_b128 v[32:35], v36
	v_mov_b32_e32 v30, v0
	v_mov_b32_e32 v31, v1
	ds_write_b128 v13, v[28:31]
	ds_read_u16 v28, v14
	s_waitcnt lgkmcnt(2)
	v_mov_b32_e32 v0, v34
	v_mov_b32_e32 v1, v35
	;; [unrolled: 1-line block ×4, first 2 shown]
	s_mov_b32 s4, 0xc0c0001
	ds_write_b128 v36, v[0:3]
	s_waitcnt lgkmcnt(1)
	v_perm_b32 v0, 0, v28, s4
	ds_write_b16 v14, v0
.LBB28_59:
	s_or_b64 exec, exec, s[10:11]
	v_and_b32_e32 v0, 15, v5
	v_sub_u32_e32 v21, v21, v0
	v_lshl_add_u32 v19, v21, 3, v19
	s_waitcnt lgkmcnt(0)
	s_barrier
	ds_read2_b64 v[0:3], v19 offset1:16
	v_add_u32_e32 v18, v18, v21
	s_waitcnt lgkmcnt(0)
	v_cmp_ge_i64_e64 s[12:13], v[0:1], v[2:3]
	v_cmp_lt_i64_e64 s[4:5], v[0:1], v[2:3]
	s_and_saveexec_b64 s[10:11], s[4:5]
	s_cbranch_execz .LBB28_61
; %bb.60:
	ds_read_u8 v28, v18
	s_andn2_b64 s[12:13], s[12:13], exec
	s_waitcnt lgkmcnt(0)
	v_and_b32_e32 v28, 1, v28
	v_cmp_eq_u32_e64 s[4:5], 1, v28
	s_xor_b64 s[4:5], s[4:5], -1
	s_and_b64 s[4:5], s[4:5], exec
	s_or_b64 s[12:13], s[12:13], s[4:5]
.LBB28_61:
	s_or_b64 exec, exec, s[10:11]
	s_and_saveexec_b64 s[10:11], s[12:13]
	s_cbranch_execz .LBB28_64
; %bb.62:
	ds_read_u8 v28, v18 offset:16
	s_waitcnt lgkmcnt(0)
	v_cmp_ne_u16_e64 s[4:5], 0, v28
	s_and_b64 exec, exec, s[4:5]
	s_cbranch_execz .LBB28_64
; %bb.63:
	v_lshl_add_u32 v15, v21, 3, v15
	ds_read2_b64 v[30:33], v15 offset1:16
	ds_read_u8 v21, v18
	ds_write2_b64 v19, v[2:3], v[0:1] offset1:16
	ds_write_b8 v18, v28
	s_waitcnt lgkmcnt(3)
	ds_write2_b64 v15, v[32:33], v[30:31] offset1:16
	s_waitcnt lgkmcnt(3)
	ds_write_b8 v18, v21 offset:16
.LBB28_64:
	s_or_b64 exec, exec, s[10:11]
	s_waitcnt lgkmcnt(0)
	s_barrier
	ds_read2_b64 v[0:3], v25 offset1:8
	s_waitcnt lgkmcnt(0)
	v_cmp_ge_i64_e64 s[12:13], v[0:1], v[2:3]
	v_cmp_lt_i64_e64 s[4:5], v[0:1], v[2:3]
	s_and_saveexec_b64 s[10:11], s[4:5]
	s_cbranch_execz .LBB28_66
; %bb.65:
	ds_read_u8 v15, v26
	s_andn2_b64 s[12:13], s[12:13], exec
	s_waitcnt lgkmcnt(0)
	v_and_b32_e32 v15, 1, v15
	v_cmp_eq_u32_e64 s[4:5], 1, v15
	s_xor_b64 s[4:5], s[4:5], -1
	s_and_b64 s[4:5], s[4:5], exec
	s_or_b64 s[12:13], s[12:13], s[4:5]
.LBB28_66:
	s_or_b64 exec, exec, s[10:11]
	s_and_saveexec_b64 s[10:11], s[12:13]
	s_cbranch_execz .LBB28_69
; %bb.67:
	ds_read_u8 v15, v26 offset:8
	s_waitcnt lgkmcnt(0)
	v_cmp_ne_u16_e64 s[4:5], 0, v15
	s_and_b64 exec, exec, s[4:5]
	s_cbranch_execz .LBB28_69
; %bb.68:
	ds_read2_b64 v[28:31], v27 offset1:8
	ds_read_u8 v18, v26
	ds_write2_b64 v25, v[2:3], v[0:1] offset1:8
	ds_write_b8 v26, v15
	s_waitcnt lgkmcnt(3)
	ds_write2_b64 v27, v[30:31], v[28:29] offset1:8
	s_waitcnt lgkmcnt(3)
	ds_write_b8 v26, v18 offset:8
.LBB28_69:
	s_or_b64 exec, exec, s[10:11]
	s_waitcnt lgkmcnt(0)
	s_barrier
	ds_read2_b64 v[0:3], v22 offset1:4
	s_waitcnt lgkmcnt(0)
	v_cmp_ge_i64_e64 s[12:13], v[0:1], v[2:3]
	v_cmp_lt_i64_e64 s[4:5], v[0:1], v[2:3]
	s_and_saveexec_b64 s[10:11], s[4:5]
	s_cbranch_execz .LBB28_71
; %bb.70:
	ds_read_u8 v15, v23
	s_andn2_b64 s[12:13], s[12:13], exec
	s_waitcnt lgkmcnt(0)
	v_and_b32_e32 v15, 1, v15
	v_cmp_eq_u32_e64 s[4:5], 1, v15
	s_xor_b64 s[4:5], s[4:5], -1
	s_and_b64 s[4:5], s[4:5], exec
	s_or_b64 s[12:13], s[12:13], s[4:5]
.LBB28_71:
	s_or_b64 exec, exec, s[10:11]
	s_and_saveexec_b64 s[10:11], s[12:13]
	s_cbranch_execz .LBB28_74
; %bb.72:
	ds_read_u8 v15, v23 offset:4
	s_waitcnt lgkmcnt(0)
	v_cmp_ne_u16_e64 s[4:5], 0, v15
	s_and_b64 exec, exec, s[4:5]
	s_cbranch_execz .LBB28_74
; %bb.73:
	ds_read2_b64 v[26:29], v24 offset1:4
	ds_read_u8 v18, v23
	ds_write2_b64 v22, v[2:3], v[0:1] offset1:4
	ds_write_b8 v23, v15
	s_waitcnt lgkmcnt(3)
	ds_write2_b64 v24, v[28:29], v[26:27] offset1:4
	s_waitcnt lgkmcnt(3)
	ds_write_b8 v23, v18 offset:4
.LBB28_74:
	;; [unrolled: 38-line block ×3, first 2 shown]
	s_or_b64 exec, exec, s[10:11]
	s_waitcnt lgkmcnt(0)
	s_barrier
	ds_read_b128 v[0:3], v13
	s_waitcnt lgkmcnt(0)
	v_cmp_ge_i64_e64 s[12:13], v[0:1], v[2:3]
	v_cmp_lt_i64_e64 s[4:5], v[0:1], v[2:3]
	s_and_saveexec_b64 s[10:11], s[4:5]
	s_cbranch_execz .LBB28_81
; %bb.80:
	ds_read_u8 v15, v14
	s_andn2_b64 s[12:13], s[12:13], exec
	s_waitcnt lgkmcnt(0)
	v_and_b32_e32 v15, 1, v15
	v_cmp_eq_u32_e64 s[4:5], 1, v15
	s_xor_b64 s[4:5], s[4:5], -1
	s_and_b64 s[4:5], s[4:5], exec
	s_or_b64 s[12:13], s[12:13], s[4:5]
.LBB28_81:
	s_or_b64 exec, exec, s[10:11]
	s_and_saveexec_b64 s[10:11], s[12:13]
	s_cbranch_execz .LBB28_84
; %bb.82:
	ds_read_u8 v15, v14 offset:1
	s_waitcnt lgkmcnt(0)
	v_cmp_ne_u16_e64 s[4:5], 0, v15
	s_and_b64 exec, exec, s[4:5]
	s_cbranch_execz .LBB28_84
; %bb.83:
	v_add_u32_e32 v12, v10, v12
	v_mov_b32_e32 v16, v2
	v_mov_b32_e32 v17, v3
	ds_read_b128 v[20:23], v12
	v_mov_b32_e32 v18, v0
	v_mov_b32_e32 v19, v1
	ds_write_b128 v13, v[16:19]
	ds_read_u8 v13, v14
	s_waitcnt lgkmcnt(2)
	v_mov_b32_e32 v0, v22
	v_mov_b32_e32 v1, v23
	v_mov_b32_e32 v2, v20
	v_mov_b32_e32 v3, v21
	ds_write_b128 v12, v[0:3]
	s_waitcnt lgkmcnt(1)
	v_lshlrev_b16_e32 v0, 8, v13
	v_or_b32_e32 v0, v15, v0
	ds_write_b16 v14, v0
.LBB28_84:
	s_or_b64 exec, exec, s[10:11]
	s_waitcnt lgkmcnt(0)
	s_barrier
	s_and_saveexec_b64 s[4:5], vcc
	s_cbranch_execz .LBB28_89
; %bb.85:
	s_and_saveexec_b64 s[4:5], s[0:1]
	s_cbranch_execz .LBB28_87
; %bb.86:
	ds_read_b64 v[0:1], v11
	v_mad_u64_u32 v[2:3], s[0:1], v5, s14, v[6:7]
	v_mov_b32_e32 v3, 0
	v_lshlrev_b64 v[12:13], 3, v[2:3]
	v_mov_b32_e32 v2, s9
	v_add_co_u32_e32 v12, vcc, s8, v12
	v_addc_co_u32_e32 v13, vcc, v2, v13, vcc
	ds_read_b64 v[10:11], v10
	s_waitcnt lgkmcnt(1)
	global_store_dwordx2 v[12:13], v[0:1], off
	v_mad_u64_u32 v[0:1], s[0:1], v5, s15, v[4:5]
	v_mov_b32_e32 v1, v3
	v_lshlrev_b64 v[0:1], 3, v[0:1]
	v_mov_b32_e32 v2, s7
	v_add_co_u32_e32 v0, vcc, s6, v0
	v_addc_co_u32_e32 v1, vcc, v2, v1, vcc
	s_waitcnt lgkmcnt(0)
	global_store_dwordx2 v[0:1], v[10:11], off
.LBB28_87:
	s_or_b64 exec, exec, s[4:5]
	s_and_b64 exec, exec, s[2:3]
	s_cbranch_execz .LBB28_89
; %bb.88:
	ds_read_b64 v[0:1], v9
	v_mad_u64_u32 v[2:3], s[0:1], v7, s14, v[6:7]
	v_mov_b32_e32 v3, 0
	v_lshlrev_b64 v[10:11], 3, v[2:3]
	v_mov_b32_e32 v2, s9
	v_add_co_u32_e32 v10, vcc, s8, v10
	v_addc_co_u32_e32 v11, vcc, v2, v11, vcc
	ds_read_b64 v[8:9], v8
	s_waitcnt lgkmcnt(1)
	global_store_dwordx2 v[10:11], v[0:1], off
	v_mad_u64_u32 v[0:1], s[0:1], v7, s15, v[4:5]
	v_mov_b32_e32 v1, v3
	v_lshlrev_b64 v[0:1], 3, v[0:1]
	v_mov_b32_e32 v2, s7
	v_add_co_u32_e32 v0, vcc, s6, v0
	v_addc_co_u32_e32 v1, vcc, v2, v1, vcc
	s_waitcnt lgkmcnt(0)
	global_store_dwordx2 v[0:1], v[8:9], off
.LBB28_89:
	s_endpgm
.LBB28_90:
	ds_read_u8 v23, v14
	s_andn2_b64 s[10:11], s[10:11], exec
	s_mov_b32 s16, 1
	s_waitcnt lgkmcnt(0)
	v_and_b32_e32 v23, 1, v23
	v_cmp_eq_u32_e64 s[4:5], 1, v23
	s_xor_b64 s[4:5], s[4:5], -1
	s_and_b64 s[4:5], s[4:5], exec
	s_or_b64 s[10:11], s[10:11], s[4:5]
	s_or_b64 exec, exec, s[12:13]
	v_mov_b32_e32 v23, s16
	s_and_saveexec_b64 s[4:5], s[10:11]
	s_cbranch_execz .LBB28_25
.LBB28_91:
	ds_read_u8 v23, v14 offset:1
	s_waitcnt lgkmcnt(0)
	v_xor_b32_e32 v23, 1, v23
	s_or_b64 exec, exec, s[4:5]
	v_cmp_eq_u32_e64 s[4:5], v23, v22
	s_and_saveexec_b64 s[10:11], s[4:5]
	s_cbranch_execnz .LBB28_26
	s_branch .LBB28_27
.LBB28_92:
	ds_read_u8 v26, v17
	s_andn2_b64 s[10:11], s[10:11], exec
	s_mov_b32 s16, 1
	s_waitcnt lgkmcnt(0)
	v_and_b32_e32 v26, 1, v26
	v_cmp_eq_u32_e64 s[4:5], 1, v26
	s_xor_b64 s[4:5], s[4:5], -1
	s_and_b64 s[4:5], s[4:5], exec
	s_or_b64 s[10:11], s[10:11], s[4:5]
	s_or_b64 exec, exec, s[12:13]
	v_mov_b32_e32 v26, s16
	s_and_saveexec_b64 s[4:5], s[10:11]
	s_cbranch_execz .LBB28_35
.LBB28_93:
	ds_read_u8 v26, v17 offset:2
	s_waitcnt lgkmcnt(0)
	v_xor_b32_e32 v26, 1, v26
	s_or_b64 exec, exec, s[4:5]
	v_cmp_eq_u32_e64 s[4:5], v26, v25
	s_and_saveexec_b64 s[10:11], s[4:5]
	s_cbranch_execnz .LBB28_36
	s_branch .LBB28_37
.LBB28_94:
	ds_read_u8 v26, v14
	s_andn2_b64 s[10:11], s[10:11], exec
	s_mov_b32 s16, 1
	s_waitcnt lgkmcnt(0)
	v_and_b32_e32 v26, 1, v26
	v_cmp_eq_u32_e64 s[4:5], 1, v26
	s_xor_b64 s[4:5], s[4:5], -1
	s_and_b64 s[4:5], s[4:5], exec
	s_or_b64 s[10:11], s[10:11], s[4:5]
	s_or_b64 exec, exec, s[12:13]
	v_mov_b32_e32 v26, s16
	s_and_saveexec_b64 s[4:5], s[10:11]
	s_cbranch_execz .LBB28_39
.LBB28_95:
	ds_read_u8 v26, v14 offset:1
	s_waitcnt lgkmcnt(0)
	v_xor_b32_e32 v26, 1, v26
	s_or_b64 exec, exec, s[4:5]
	v_cmp_eq_u32_e64 s[4:5], v26, v25
	s_and_saveexec_b64 s[10:11], s[4:5]
	s_cbranch_execnz .LBB28_40
	s_branch .LBB28_41
.LBB28_96:
	ds_read_u8 v29, v23
	s_andn2_b64 s[10:11], s[10:11], exec
	s_mov_b32 s16, 1
	s_waitcnt lgkmcnt(0)
	v_and_b32_e32 v29, 1, v29
	v_cmp_eq_u32_e64 s[4:5], 1, v29
	s_xor_b64 s[4:5], s[4:5], -1
	s_and_b64 s[4:5], s[4:5], exec
	s_or_b64 s[10:11], s[10:11], s[4:5]
	s_or_b64 exec, exec, s[12:13]
	v_mov_b32_e32 v29, s16
	s_and_saveexec_b64 s[4:5], s[10:11]
	s_cbranch_execz .LBB28_49
.LBB28_97:
	ds_read_u8 v29, v23 offset:4
	s_waitcnt lgkmcnt(0)
	v_xor_b32_e32 v29, 1, v29
	s_or_b64 exec, exec, s[4:5]
	v_cmp_eq_u32_e64 s[4:5], v29, v28
	s_and_saveexec_b64 s[10:11], s[4:5]
	s_cbranch_execnz .LBB28_50
	s_branch .LBB28_51
.LBB28_98:
	ds_read_u8 v29, v17
	s_andn2_b64 s[10:11], s[10:11], exec
	s_mov_b32 s16, 1
	s_waitcnt lgkmcnt(0)
	v_and_b32_e32 v29, 1, v29
	v_cmp_eq_u32_e64 s[4:5], 1, v29
	s_xor_b64 s[4:5], s[4:5], -1
	s_and_b64 s[4:5], s[4:5], exec
	s_or_b64 s[10:11], s[10:11], s[4:5]
	s_or_b64 exec, exec, s[12:13]
	v_mov_b32_e32 v29, s16
	s_and_saveexec_b64 s[4:5], s[10:11]
	s_cbranch_execz .LBB28_53
.LBB28_99:
	ds_read_u8 v29, v17 offset:2
	s_waitcnt lgkmcnt(0)
	v_xor_b32_e32 v29, 1, v29
	s_or_b64 exec, exec, s[4:5]
	v_cmp_eq_u32_e64 s[4:5], v29, v28
	s_and_saveexec_b64 s[10:11], s[4:5]
	s_cbranch_execnz .LBB28_54
	s_branch .LBB28_55
.LBB28_100:
	ds_read_u8 v29, v14
	s_andn2_b64 s[10:11], s[10:11], exec
	s_mov_b32 s16, 1
	s_waitcnt lgkmcnt(0)
	v_and_b32_e32 v29, 1, v29
	v_cmp_eq_u32_e64 s[4:5], 1, v29
	s_xor_b64 s[4:5], s[4:5], -1
	s_and_b64 s[4:5], s[4:5], exec
	s_or_b64 s[10:11], s[10:11], s[4:5]
	s_or_b64 exec, exec, s[12:13]
	v_mov_b32_e32 v29, s16
	s_and_saveexec_b64 s[4:5], s[10:11]
	s_cbranch_execz .LBB28_57
.LBB28_101:
	ds_read_u8 v29, v14 offset:1
	s_waitcnt lgkmcnt(0)
	v_xor_b32_e32 v29, 1, v29
	s_or_b64 exec, exec, s[4:5]
	v_cmp_eq_u32_e64 s[4:5], v29, v28
	s_and_saveexec_b64 s[10:11], s[4:5]
	s_cbranch_execnz .LBB28_58
	s_branch .LBB28_59
	.section	.rodata,"a",@progbits
	.p2align	6, 0x0
	.amdhsa_kernel _ZN2at6native20bitonicSortKVInPlaceILin1ELin1ELi16ELi16EllNS0_4LTOpIlLb1EEEjEEvNS_4cuda6detail10TensorInfoIT3_T6_EES8_S8_S8_NS6_IT4_S8_EES8_T5_
		.amdhsa_group_segment_fixed_size 8704
		.amdhsa_private_segment_fixed_size 0
		.amdhsa_kernarg_size 712
		.amdhsa_user_sgpr_count 6
		.amdhsa_user_sgpr_private_segment_buffer 1
		.amdhsa_user_sgpr_dispatch_ptr 0
		.amdhsa_user_sgpr_queue_ptr 0
		.amdhsa_user_sgpr_kernarg_segment_ptr 1
		.amdhsa_user_sgpr_dispatch_id 0
		.amdhsa_user_sgpr_flat_scratch_init 0
		.amdhsa_user_sgpr_kernarg_preload_length 0
		.amdhsa_user_sgpr_kernarg_preload_offset 0
		.amdhsa_user_sgpr_private_segment_size 0
		.amdhsa_uses_dynamic_stack 0
		.amdhsa_system_sgpr_private_segment_wavefront_offset 0
		.amdhsa_system_sgpr_workgroup_id_x 1
		.amdhsa_system_sgpr_workgroup_id_y 1
		.amdhsa_system_sgpr_workgroup_id_z 1
		.amdhsa_system_sgpr_workgroup_info 0
		.amdhsa_system_vgpr_workitem_id 1
		.amdhsa_next_free_vgpr 37
		.amdhsa_next_free_sgpr 17
		.amdhsa_accum_offset 40
		.amdhsa_reserve_vcc 1
		.amdhsa_reserve_flat_scratch 0
		.amdhsa_float_round_mode_32 0
		.amdhsa_float_round_mode_16_64 0
		.amdhsa_float_denorm_mode_32 3
		.amdhsa_float_denorm_mode_16_64 3
		.amdhsa_dx10_clamp 1
		.amdhsa_ieee_mode 1
		.amdhsa_fp16_overflow 0
		.amdhsa_tg_split 0
		.amdhsa_exception_fp_ieee_invalid_op 0
		.amdhsa_exception_fp_denorm_src 0
		.amdhsa_exception_fp_ieee_div_zero 0
		.amdhsa_exception_fp_ieee_overflow 0
		.amdhsa_exception_fp_ieee_underflow 0
		.amdhsa_exception_fp_ieee_inexact 0
		.amdhsa_exception_int_div_zero 0
	.end_amdhsa_kernel
	.section	.text._ZN2at6native20bitonicSortKVInPlaceILin1ELin1ELi16ELi16EllNS0_4LTOpIlLb1EEEjEEvNS_4cuda6detail10TensorInfoIT3_T6_EES8_S8_S8_NS6_IT4_S8_EES8_T5_,"axG",@progbits,_ZN2at6native20bitonicSortKVInPlaceILin1ELin1ELi16ELi16EllNS0_4LTOpIlLb1EEEjEEvNS_4cuda6detail10TensorInfoIT3_T6_EES8_S8_S8_NS6_IT4_S8_EES8_T5_,comdat
.Lfunc_end28:
	.size	_ZN2at6native20bitonicSortKVInPlaceILin1ELin1ELi16ELi16EllNS0_4LTOpIlLb1EEEjEEvNS_4cuda6detail10TensorInfoIT3_T6_EES8_S8_S8_NS6_IT4_S8_EES8_T5_, .Lfunc_end28-_ZN2at6native20bitonicSortKVInPlaceILin1ELin1ELi16ELi16EllNS0_4LTOpIlLb1EEEjEEvNS_4cuda6detail10TensorInfoIT3_T6_EES8_S8_S8_NS6_IT4_S8_EES8_T5_
                                        ; -- End function
	.section	.AMDGPU.csdata,"",@progbits
; Kernel info:
; codeLenInByte = 4896
; NumSgprs: 21
; NumVgprs: 37
; NumAgprs: 0
; TotalNumVgprs: 37
; ScratchSize: 0
; MemoryBound: 0
; FloatMode: 240
; IeeeMode: 1
; LDSByteSize: 8704 bytes/workgroup (compile time only)
; SGPRBlocks: 2
; VGPRBlocks: 4
; NumSGPRsForWavesPerEU: 21
; NumVGPRsForWavesPerEU: 37
; AccumOffset: 40
; Occupancy: 7
; WaveLimiterHint : 1
; COMPUTE_PGM_RSRC2:SCRATCH_EN: 0
; COMPUTE_PGM_RSRC2:USER_SGPR: 6
; COMPUTE_PGM_RSRC2:TRAP_HANDLER: 0
; COMPUTE_PGM_RSRC2:TGID_X_EN: 1
; COMPUTE_PGM_RSRC2:TGID_Y_EN: 1
; COMPUTE_PGM_RSRC2:TGID_Z_EN: 1
; COMPUTE_PGM_RSRC2:TIDIG_COMP_CNT: 1
; COMPUTE_PGM_RSRC3_GFX90A:ACCUM_OFFSET: 9
; COMPUTE_PGM_RSRC3_GFX90A:TG_SPLIT: 0
	.section	.text._ZN2at6native20bitonicSortKVInPlaceILin1ELin1ELi16ELi16EllNS0_4GTOpIlLb1EEEjEEvNS_4cuda6detail10TensorInfoIT3_T6_EES8_S8_S8_NS6_IT4_S8_EES8_T5_,"axG",@progbits,_ZN2at6native20bitonicSortKVInPlaceILin1ELin1ELi16ELi16EllNS0_4GTOpIlLb1EEEjEEvNS_4cuda6detail10TensorInfoIT3_T6_EES8_S8_S8_NS6_IT4_S8_EES8_T5_,comdat
	.protected	_ZN2at6native20bitonicSortKVInPlaceILin1ELin1ELi16ELi16EllNS0_4GTOpIlLb1EEEjEEvNS_4cuda6detail10TensorInfoIT3_T6_EES8_S8_S8_NS6_IT4_S8_EES8_T5_ ; -- Begin function _ZN2at6native20bitonicSortKVInPlaceILin1ELin1ELi16ELi16EllNS0_4GTOpIlLb1EEEjEEvNS_4cuda6detail10TensorInfoIT3_T6_EES8_S8_S8_NS6_IT4_S8_EES8_T5_
	.globl	_ZN2at6native20bitonicSortKVInPlaceILin1ELin1ELi16ELi16EllNS0_4GTOpIlLb1EEEjEEvNS_4cuda6detail10TensorInfoIT3_T6_EES8_S8_S8_NS6_IT4_S8_EES8_T5_
	.p2align	8
	.type	_ZN2at6native20bitonicSortKVInPlaceILin1ELin1ELi16ELi16EllNS0_4GTOpIlLb1EEEjEEvNS_4cuda6detail10TensorInfoIT3_T6_EES8_S8_S8_NS6_IT4_S8_EES8_T5_,@function
_ZN2at6native20bitonicSortKVInPlaceILin1ELin1ELi16ELi16EllNS0_4GTOpIlLb1EEEjEEvNS_4cuda6detail10TensorInfoIT3_T6_EES8_S8_S8_NS6_IT4_S8_EES8_T5_: ; @_ZN2at6native20bitonicSortKVInPlaceILin1ELin1ELi16ELi16EllNS0_4GTOpIlLb1EEEjEEvNS_4cuda6detail10TensorInfoIT3_T6_EES8_S8_S8_NS6_IT4_S8_EES8_T5_
; %bb.0:
	s_load_dwordx2 s[2:3], s[4:5], 0x1c8
	s_load_dwordx4 s[12:15], s[4:5], 0xd8
	s_load_dword s9, s[4:5], 0x1d4
	s_add_u32 s0, s4, 0x1c8
	s_addc_u32 s1, s5, 0
	s_waitcnt lgkmcnt(0)
	s_mul_i32 s3, s3, s8
	s_add_i32 s3, s3, s7
	s_mul_i32 s2, s3, s2
	s_add_i32 s3, s2, s6
	s_lshr_b32 s2, s9, 16
	s_mul_i32 s3, s3, s2
	s_cmp_ge_u32 s3, s12
	s_cbranch_scc1 .LBB29_89
; %bb.1:
	s_load_dword s2, s[4:5], 0xd0
	v_bfe_u32 v10, v0, 10, 10
	v_add_u32_e32 v1, s3, v10
	v_mov_b32_e32 v2, 0
	v_mov_b32_e32 v6, v1
	s_waitcnt lgkmcnt(0)
	s_cmp_lt_i32 s2, 2
	s_cbranch_scc1 .LBB29_4
; %bb.2:
	s_add_i32 s6, s2, 1
	s_add_i32 s2, s2, -1
	s_mov_b32 s3, 0
	s_lshl_b64 s[2:3], s[2:3], 2
	s_add_u32 s2, s2, s4
	s_addc_u32 s3, s3, s5
	s_add_u32 s2, s2, 8
	s_addc_u32 s3, s3, 0
	v_mov_b32_e32 v2, 0
	v_mov_b32_e32 v6, v1
.LBB29_3:                               ; =>This Inner Loop Header: Depth=1
	s_load_dword s7, s[2:3], 0x0
	s_load_dword s8, s[2:3], 0x64
	v_mov_b32_e32 v3, v6
	s_add_i32 s6, s6, -1
	s_waitcnt lgkmcnt(0)
	v_cvt_f32_u32_e32 v4, s7
	s_sub_i32 s9, 0, s7
	s_add_u32 s2, s2, -4
	s_addc_u32 s3, s3, -1
	v_rcp_iflag_f32_e32 v4, v4
	s_cmp_gt_u32 s6, 2
	v_mul_f32_e32 v4, 0x4f7ffffe, v4
	v_cvt_u32_f32_e32 v4, v4
	v_mul_lo_u32 v5, s9, v4
	v_mul_hi_u32 v5, v4, v5
	v_add_u32_e32 v4, v4, v5
	v_mul_hi_u32 v4, v3, v4
	v_mul_lo_u32 v5, v4, s7
	v_sub_u32_e32 v5, v3, v5
	v_add_u32_e32 v6, 1, v4
	v_cmp_le_u32_e32 vcc, s7, v5
	v_cndmask_b32_e32 v4, v4, v6, vcc
	v_subrev_u32_e32 v6, s7, v5
	v_cndmask_b32_e32 v5, v5, v6, vcc
	v_add_u32_e32 v6, 1, v4
	v_cmp_le_u32_e32 vcc, s7, v5
	v_cndmask_b32_e32 v6, v4, v6, vcc
	v_mul_lo_u32 v4, v6, s7
	v_sub_u32_e32 v3, v3, v4
	v_mad_u64_u32 v[2:3], s[8:9], s8, v3, v[2:3]
	s_cbranch_scc1 .LBB29_3
.LBB29_4:
	s_load_dword s2, s[4:5], 0x1b8
	v_mov_b32_e32 v4, 0
	v_mov_b32_e32 v3, v1
	s_waitcnt lgkmcnt(0)
	s_cmp_lt_i32 s2, 2
	s_cbranch_scc1 .LBB29_7
; %bb.5:
	s_add_i32 s6, s2, 1
	s_add_i32 s2, s2, -1
	s_mov_b32 s3, 0
	s_lshl_b64 s[2:3], s[2:3], 2
	s_add_u32 s2, s2, s4
	s_addc_u32 s3, s3, s5
	s_add_u32 s2, s2, 0xf0
	s_addc_u32 s3, s3, 0
	v_mov_b32_e32 v4, 0
	v_mov_b32_e32 v3, v1
.LBB29_6:                               ; =>This Inner Loop Header: Depth=1
	s_load_dword s7, s[2:3], 0x0
	s_load_dword s8, s[2:3], 0x64
	v_mov_b32_e32 v5, v3
	s_add_i32 s6, s6, -1
	s_waitcnt lgkmcnt(0)
	v_cvt_f32_u32_e32 v3, s7
	s_sub_i32 s9, 0, s7
	s_add_u32 s2, s2, -4
	s_addc_u32 s3, s3, -1
	v_rcp_iflag_f32_e32 v3, v3
	s_cmp_gt_u32 s6, 2
	v_mul_f32_e32 v3, 0x4f7ffffe, v3
	v_cvt_u32_f32_e32 v3, v3
	v_mul_lo_u32 v7, s9, v3
	v_mul_hi_u32 v7, v3, v7
	v_add_u32_e32 v3, v3, v7
	v_mul_hi_u32 v3, v5, v3
	v_mul_lo_u32 v7, v3, s7
	v_sub_u32_e32 v7, v5, v7
	v_add_u32_e32 v8, 1, v3
	v_cmp_le_u32_e32 vcc, s7, v7
	v_cndmask_b32_e32 v3, v3, v8, vcc
	v_subrev_u32_e32 v8, s7, v7
	v_cndmask_b32_e32 v7, v7, v8, vcc
	v_add_u32_e32 v8, 1, v3
	v_cmp_le_u32_e32 vcc, s7, v7
	v_cndmask_b32_e32 v3, v3, v8, vcc
	v_mul_lo_u32 v7, v3, s7
	v_sub_u32_e32 v5, v5, v7
	v_mad_u64_u32 v[4:5], s[8:9], s8, v5, v[4:5]
	s_cbranch_scc1 .LBB29_6
.LBB29_7:
	s_load_dword s2, s[4:5], 0x6c
	v_cmp_gt_u32_e32 vcc, s12, v1
	s_waitcnt lgkmcnt(0)
	v_mad_u64_u32 v[6:7], s[2:3], s2, v6, v[2:3]
	s_load_dword s15, s[4:5], 0x1c0
	s_load_dword s2, s[4:5], 0x154
	s_load_dwordx2 s[8:9], s[4:5], 0x0
	s_load_dwordx2 s[6:7], s[4:5], 0xe8
	s_load_dword s12, s[0:1], 0xc
	s_waitcnt lgkmcnt(0)
	v_mad_u64_u32 v[4:5], s[2:3], s2, v3, v[4:5]
	v_and_b32_e32 v5, 0x3ff, v0
	v_cmp_gt_u32_e64 s[0:1], s13, v5
	v_pk_mov_b32 v[0:1], 0, 0
	s_and_b64 s[4:5], vcc, s[0:1]
	v_pk_mov_b32 v[2:3], v[0:1], v[0:1] op_sel:[0,1]
	v_pk_mov_b32 v[8:9], v[0:1], v[0:1] op_sel:[0,1]
	s_and_saveexec_b64 s[10:11], s[4:5]
	s_cbranch_execz .LBB29_9
; %bb.8:
	v_mad_u64_u32 v[8:9], s[2:3], v5, s14, v[6:7]
	v_mov_b32_e32 v9, 0
	v_lshlrev_b64 v[2:3], 3, v[8:9]
	v_mov_b32_e32 v7, s9
	v_add_co_u32_e64 v2, s[2:3], s8, v2
	v_addc_co_u32_e64 v3, s[2:3], v7, v3, s[2:3]
	v_mad_u64_u32 v[12:13], s[2:3], v5, s15, v[4:5]
	v_mov_b32_e32 v13, v9
	v_lshlrev_b64 v[8:9], 3, v[12:13]
	v_mov_b32_e32 v7, s7
	v_add_co_u32_e64 v8, s[2:3], s6, v8
	v_addc_co_u32_e64 v9, s[2:3], v7, v9, s[2:3]
	global_load_dwordx2 v[2:3], v[2:3], off
	s_nop 0
	global_load_dwordx2 v[8:9], v[8:9], off
.LBB29_9:
	s_or_b64 exec, exec, s[10:11]
	v_lshlrev_b32_e32 v19, 8, v10
	v_mov_b32_e32 v11, 0x2000
	v_lshlrev_b32_e32 v12, 3, v5
	v_lshl_add_u32 v18, v10, 5, v11
	v_add_u32_e32 v11, v19, v12
	s_and_b32 s16, 0xffff, s12
	v_cndmask_b32_e64 v7, 0, 1, s[4:5]
	s_waitcnt vmcnt(1)
	ds_write_b64 v11, v[2:3]
	v_add_u32_e32 v2, v18, v5
	ds_write_b8 v2, v7
	v_add_u32_e32 v7, s16, v5
	v_add_u32_e32 v15, 0x1000, v19
	v_cmp_gt_u32_e64 s[2:3], s13, v7
	v_add_u32_e32 v10, v15, v12
	s_and_b64 s[10:11], vcc, s[2:3]
	v_pk_mov_b32 v[2:3], v[0:1], v[0:1] op_sel:[0,1]
	s_waitcnt vmcnt(0)
	ds_write_b64 v10, v[8:9]
	s_and_saveexec_b64 s[12:13], s[10:11]
	s_cbranch_execz .LBB29_11
; %bb.10:
	v_mad_u64_u32 v[2:3], s[4:5], v7, s14, v[6:7]
	v_mov_b32_e32 v3, 0
	v_lshlrev_b64 v[0:1], 3, v[2:3]
	v_mov_b32_e32 v2, s9
	v_add_co_u32_e64 v0, s[4:5], s8, v0
	v_addc_co_u32_e64 v1, s[4:5], v2, v1, s[4:5]
	v_mad_u64_u32 v[8:9], s[4:5], v7, s15, v[4:5]
	v_mov_b32_e32 v9, v3
	v_lshlrev_b64 v[2:3], 3, v[8:9]
	v_mov_b32_e32 v8, s7
	v_add_co_u32_e64 v2, s[4:5], s6, v2
	v_addc_co_u32_e64 v3, s[4:5], v8, v3, s[4:5]
	global_load_dwordx2 v[0:1], v[0:1], off
	s_nop 0
	global_load_dwordx2 v[2:3], v[2:3], off
.LBB29_11:
	s_or_b64 exec, exec, s[12:13]
	s_lshl_b32 s4, s16, 3
	v_add_u32_e32 v9, s4, v11
	v_cndmask_b32_e64 v13, 0, 1, s[10:11]
	s_waitcnt vmcnt(1)
	ds_write_b64 v9, v[0:1]
	v_add_u32_e32 v0, v18, v7
	v_add_u32_e32 v8, s4, v10
	ds_write_b8 v0, v13
	v_add_u32_e32 v13, v11, v12
	s_waitcnt vmcnt(0)
	ds_write_b64 v8, v[2:3]
	s_waitcnt lgkmcnt(0)
	s_barrier
	ds_read_b128 v[0:3], v13
	v_lshlrev_b32_e32 v21, 1, v5
	s_mov_b32 s16, 1
	v_add_u32_e32 v14, v18, v21
	s_waitcnt lgkmcnt(0)
	v_cmp_le_i64_e64 s[10:11], v[0:1], v[2:3]
	v_cmp_gt_i64_e64 s[4:5], v[0:1], v[2:3]
	s_and_saveexec_b64 s[12:13], s[4:5]
	s_xor_b64 s[12:13], exec, s[12:13]
	s_cbranch_execz .LBB29_13
; %bb.12:
	ds_read_u8 v16, v14
	s_andn2_b64 s[10:11], s[10:11], exec
	s_waitcnt lgkmcnt(0)
	v_and_b32_e32 v16, 1, v16
	v_cmp_eq_u32_e64 s[4:5], 1, v16
	s_xor_b64 s[4:5], s[4:5], -1
	s_and_b64 s[4:5], s[4:5], exec
	s_or_b64 s[10:11], s[10:11], s[4:5]
.LBB29_13:
	s_or_b64 exec, exec, s[12:13]
	v_mov_b32_e32 v17, s16
	s_and_saveexec_b64 s[4:5], s[10:11]
	s_cbranch_execz .LBB29_15
; %bb.14:
	ds_read_u8 v16, v14 offset:1
	s_waitcnt lgkmcnt(0)
	v_xor_b32_e32 v17, 1, v16
.LBB29_15:
	s_or_b64 exec, exec, s[4:5]
	v_and_b32_e32 v16, 1, v5
	v_cmp_eq_u32_e64 s[4:5], v17, v16
	s_and_saveexec_b64 s[10:11], s[4:5]
	s_cbranch_execz .LBB29_17
; %bb.16:
	v_add_u32_e32 v17, v10, v12
	ds_read_b128 v[26:29], v17
	ds_read_u16 v20, v14
	v_mov_b32_e32 v22, v2
	v_mov_b32_e32 v23, v3
	;; [unrolled: 1-line block ×4, first 2 shown]
	s_waitcnt lgkmcnt(1)
	v_mov_b32_e32 v0, v28
	v_mov_b32_e32 v1, v29
	;; [unrolled: 1-line block ×4, first 2 shown]
	s_mov_b32 s4, 0xc0c0001
	ds_write_b128 v17, v[0:3]
	s_waitcnt lgkmcnt(1)
	v_perm_b32 v0, 0, v20, s4
	ds_write_b128 v13, v[22:25]
	ds_write_b16 v14, v0
.LBB29_17:
	s_or_b64 exec, exec, s[10:11]
	v_sub_u32_e32 v20, v21, v16
	v_lshl_add_u32 v16, v20, 3, v19
	s_waitcnt lgkmcnt(0)
	s_barrier
	ds_read2_b64 v[0:3], v16 offset1:2
	s_mov_b64 s[10:11], -1
	v_add_u32_e32 v17, v18, v20
                                        ; implicit-def: $sgpr16
	s_waitcnt lgkmcnt(0)
	v_cmp_gt_i64_e64 s[4:5], v[0:1], v[2:3]
	s_and_saveexec_b64 s[12:13], s[4:5]
	s_xor_b64 s[12:13], exec, s[12:13]
	s_cbranch_execz .LBB29_19
; %bb.18:
	ds_read_u8 v22, v17
	s_mov_b32 s16, 1
	s_waitcnt lgkmcnt(0)
	v_and_b32_e32 v22, 1, v22
	v_cmp_eq_u32_e64 s[4:5], 1, v22
	s_xor_b64 s[4:5], s[4:5], -1
	s_orn2_b64 s[10:11], s[4:5], exec
.LBB29_19:
	s_or_b64 exec, exec, s[12:13]
	v_mov_b32_e32 v23, s16
	s_and_saveexec_b64 s[4:5], s[10:11]
	s_cbranch_execz .LBB29_21
; %bb.20:
	ds_read_u8 v22, v17 offset:2
	s_waitcnt lgkmcnt(0)
	v_xor_b32_e32 v23, 1, v22
.LBB29_21:
	s_or_b64 exec, exec, s[4:5]
	v_bfe_u32 v22, v5, 1, 1
	v_lshl_add_u32 v20, v20, 3, v15
	v_cmp_eq_u32_e64 s[4:5], v23, v22
	s_and_saveexec_b64 s[10:11], s[4:5]
	s_cbranch_execz .LBB29_23
; %bb.22:
	ds_read2_b64 v[24:27], v20 offset1:2
	ds_read_u8 v23, v17 offset:2
	ds_read_u8 v28, v17
	ds_write2_b64 v16, v[2:3], v[0:1] offset1:2
	s_waitcnt lgkmcnt(3)
	ds_write2_b64 v20, v[26:27], v[24:25] offset1:2
	s_waitcnt lgkmcnt(3)
	ds_write_b8 v17, v23
	s_waitcnt lgkmcnt(3)
	ds_write_b8 v17, v28 offset:2
.LBB29_23:
	s_or_b64 exec, exec, s[10:11]
	s_waitcnt lgkmcnt(0)
	s_barrier
	ds_read_b128 v[0:3], v13
                                        ; implicit-def: $sgpr16
	s_waitcnt lgkmcnt(0)
	v_cmp_le_i64_e64 s[10:11], v[0:1], v[2:3]
	v_cmp_gt_i64_e64 s[4:5], v[0:1], v[2:3]
	s_and_saveexec_b64 s[12:13], s[4:5]
	s_cbranch_execnz .LBB29_90
; %bb.24:
	s_or_b64 exec, exec, s[12:13]
	v_mov_b32_e32 v23, s16
	s_and_saveexec_b64 s[4:5], s[10:11]
	s_cbranch_execnz .LBB29_91
.LBB29_25:
	s_or_b64 exec, exec, s[4:5]
	v_cmp_eq_u32_e64 s[4:5], v23, v22
	s_and_saveexec_b64 s[10:11], s[4:5]
	s_cbranch_execz .LBB29_27
.LBB29_26:
	v_add_u32_e32 v30, v10, v12
	v_mov_b32_e32 v22, v2
	v_mov_b32_e32 v23, v3
	ds_read_b128 v[26:29], v30
	v_mov_b32_e32 v24, v0
	v_mov_b32_e32 v25, v1
	ds_write_b128 v13, v[22:25]
	ds_read_u16 v22, v14
	s_waitcnt lgkmcnt(2)
	v_mov_b32_e32 v0, v28
	v_mov_b32_e32 v1, v29
	;; [unrolled: 1-line block ×4, first 2 shown]
	s_mov_b32 s4, 0xc0c0001
	ds_write_b128 v30, v[0:3]
	s_waitcnt lgkmcnt(1)
	v_perm_b32 v0, 0, v22, s4
	ds_write_b16 v14, v0
.LBB29_27:
	s_or_b64 exec, exec, s[10:11]
	v_and_b32_e32 v0, 3, v5
	v_sub_u32_e32 v24, v21, v0
	v_lshl_add_u32 v22, v24, 3, v19
	s_waitcnt lgkmcnt(0)
	s_barrier
	ds_read2_b64 v[0:3], v22 offset1:4
	v_add_u32_e32 v23, v18, v24
                                        ; implicit-def: $sgpr16
	s_waitcnt lgkmcnt(0)
	v_cmp_le_i64_e64 s[10:11], v[0:1], v[2:3]
	v_cmp_gt_i64_e64 s[4:5], v[0:1], v[2:3]
	s_and_saveexec_b64 s[12:13], s[4:5]
	s_cbranch_execz .LBB29_29
; %bb.28:
	ds_read_u8 v25, v23
	s_andn2_b64 s[10:11], s[10:11], exec
	s_mov_b32 s16, 1
	s_waitcnt lgkmcnt(0)
	v_and_b32_e32 v25, 1, v25
	v_cmp_eq_u32_e64 s[4:5], 1, v25
	s_xor_b64 s[4:5], s[4:5], -1
	s_and_b64 s[4:5], s[4:5], exec
	s_or_b64 s[10:11], s[10:11], s[4:5]
.LBB29_29:
	s_or_b64 exec, exec, s[12:13]
	v_mov_b32_e32 v26, s16
	s_and_saveexec_b64 s[4:5], s[10:11]
	s_cbranch_execz .LBB29_31
; %bb.30:
	ds_read_u8 v25, v23 offset:4
	s_waitcnt lgkmcnt(0)
	v_xor_b32_e32 v26, 1, v25
.LBB29_31:
	s_or_b64 exec, exec, s[4:5]
	v_bfe_u32 v25, v5, 2, 1
	v_lshl_add_u32 v24, v24, 3, v15
	v_cmp_eq_u32_e64 s[4:5], v26, v25
	s_and_saveexec_b64 s[10:11], s[4:5]
	s_cbranch_execz .LBB29_33
; %bb.32:
	ds_read2_b64 v[26:29], v24 offset1:4
	ds_read_u8 v30, v23 offset:4
	ds_read_u8 v31, v23
	ds_write2_b64 v22, v[2:3], v[0:1] offset1:4
	s_waitcnt lgkmcnt(3)
	ds_write2_b64 v24, v[28:29], v[26:27] offset1:4
	s_waitcnt lgkmcnt(3)
	ds_write_b8 v23, v30
	s_waitcnt lgkmcnt(3)
	ds_write_b8 v23, v31 offset:4
.LBB29_33:
	s_or_b64 exec, exec, s[10:11]
	s_waitcnt lgkmcnt(0)
	s_barrier
	ds_read2_b64 v[0:3], v16 offset1:2
                                        ; implicit-def: $sgpr16
	s_waitcnt lgkmcnt(0)
	v_cmp_le_i64_e64 s[10:11], v[0:1], v[2:3]
	v_cmp_gt_i64_e64 s[4:5], v[0:1], v[2:3]
	s_and_saveexec_b64 s[12:13], s[4:5]
	s_cbranch_execnz .LBB29_92
; %bb.34:
	s_or_b64 exec, exec, s[12:13]
	v_mov_b32_e32 v26, s16
	s_and_saveexec_b64 s[4:5], s[10:11]
	s_cbranch_execnz .LBB29_93
.LBB29_35:
	s_or_b64 exec, exec, s[4:5]
	v_cmp_eq_u32_e64 s[4:5], v26, v25
	s_and_saveexec_b64 s[10:11], s[4:5]
	s_cbranch_execz .LBB29_37
.LBB29_36:
	ds_read2_b64 v[26:29], v20 offset1:2
	ds_read_u8 v30, v17 offset:2
	ds_read_u8 v31, v17
	ds_write2_b64 v16, v[2:3], v[0:1] offset1:2
	s_waitcnt lgkmcnt(3)
	ds_write2_b64 v20, v[28:29], v[26:27] offset1:2
	s_waitcnt lgkmcnt(3)
	ds_write_b8 v17, v30
	s_waitcnt lgkmcnt(3)
	ds_write_b8 v17, v31 offset:2
.LBB29_37:
	s_or_b64 exec, exec, s[10:11]
	s_waitcnt lgkmcnt(0)
	s_barrier
	ds_read_b128 v[0:3], v13
                                        ; implicit-def: $sgpr16
	s_waitcnt lgkmcnt(0)
	v_cmp_le_i64_e64 s[10:11], v[0:1], v[2:3]
	v_cmp_gt_i64_e64 s[4:5], v[0:1], v[2:3]
	s_and_saveexec_b64 s[12:13], s[4:5]
	s_cbranch_execnz .LBB29_94
; %bb.38:
	s_or_b64 exec, exec, s[12:13]
	v_mov_b32_e32 v26, s16
	s_and_saveexec_b64 s[4:5], s[10:11]
	s_cbranch_execnz .LBB29_95
.LBB29_39:
	s_or_b64 exec, exec, s[4:5]
	v_cmp_eq_u32_e64 s[4:5], v26, v25
	s_and_saveexec_b64 s[10:11], s[4:5]
	s_cbranch_execz .LBB29_41
.LBB29_40:
	v_add_u32_e32 v25, v10, v12
	v_mov_b32_e32 v26, v2
	v_mov_b32_e32 v27, v3
	ds_read_b128 v[30:33], v25
	v_mov_b32_e32 v28, v0
	v_mov_b32_e32 v29, v1
	ds_write_b128 v13, v[26:29]
	ds_read_u16 v26, v14
	s_waitcnt lgkmcnt(2)
	v_mov_b32_e32 v0, v32
	v_mov_b32_e32 v1, v33
	;; [unrolled: 1-line block ×4, first 2 shown]
	s_mov_b32 s4, 0xc0c0001
	ds_write_b128 v25, v[0:3]
	s_waitcnt lgkmcnt(1)
	v_perm_b32 v0, 0, v26, s4
	ds_write_b16 v14, v0
.LBB29_41:
	s_or_b64 exec, exec, s[10:11]
	v_and_b32_e32 v0, 7, v5
	v_sub_u32_e32 v27, v21, v0
	v_lshl_add_u32 v25, v27, 3, v19
	s_waitcnt lgkmcnt(0)
	s_barrier
	ds_read2_b64 v[0:3], v25 offset1:8
	v_add_u32_e32 v26, v18, v27
                                        ; implicit-def: $sgpr16
	s_waitcnt lgkmcnt(0)
	v_cmp_le_i64_e64 s[10:11], v[0:1], v[2:3]
	v_cmp_gt_i64_e64 s[4:5], v[0:1], v[2:3]
	s_and_saveexec_b64 s[12:13], s[4:5]
	s_cbranch_execz .LBB29_43
; %bb.42:
	ds_read_u8 v28, v26
	s_andn2_b64 s[10:11], s[10:11], exec
	s_mov_b32 s16, 1
	s_waitcnt lgkmcnt(0)
	v_and_b32_e32 v28, 1, v28
	v_cmp_eq_u32_e64 s[4:5], 1, v28
	s_xor_b64 s[4:5], s[4:5], -1
	s_and_b64 s[4:5], s[4:5], exec
	s_or_b64 s[10:11], s[10:11], s[4:5]
.LBB29_43:
	s_or_b64 exec, exec, s[12:13]
	v_mov_b32_e32 v29, s16
	s_and_saveexec_b64 s[4:5], s[10:11]
	s_cbranch_execz .LBB29_45
; %bb.44:
	ds_read_u8 v28, v26 offset:8
	s_waitcnt lgkmcnt(0)
	v_xor_b32_e32 v29, 1, v28
.LBB29_45:
	s_or_b64 exec, exec, s[4:5]
	v_bfe_u32 v28, v5, 3, 1
	v_lshl_add_u32 v27, v27, 3, v15
	v_cmp_eq_u32_e64 s[4:5], v29, v28
	s_and_saveexec_b64 s[10:11], s[4:5]
	s_cbranch_execz .LBB29_47
; %bb.46:
	ds_read2_b64 v[30:33], v27 offset1:8
	ds_read_u8 v29, v26 offset:8
	ds_read_u8 v34, v26
	ds_write2_b64 v25, v[2:3], v[0:1] offset1:8
	s_waitcnt lgkmcnt(3)
	ds_write2_b64 v27, v[32:33], v[30:31] offset1:8
	s_waitcnt lgkmcnt(3)
	ds_write_b8 v26, v29
	s_waitcnt lgkmcnt(3)
	ds_write_b8 v26, v34 offset:8
.LBB29_47:
	s_or_b64 exec, exec, s[10:11]
	s_waitcnt lgkmcnt(0)
	s_barrier
	ds_read2_b64 v[0:3], v22 offset1:4
                                        ; implicit-def: $sgpr16
	s_waitcnt lgkmcnt(0)
	v_cmp_le_i64_e64 s[10:11], v[0:1], v[2:3]
	v_cmp_gt_i64_e64 s[4:5], v[0:1], v[2:3]
	s_and_saveexec_b64 s[12:13], s[4:5]
	s_cbranch_execnz .LBB29_96
; %bb.48:
	s_or_b64 exec, exec, s[12:13]
	v_mov_b32_e32 v29, s16
	s_and_saveexec_b64 s[4:5], s[10:11]
	s_cbranch_execnz .LBB29_97
.LBB29_49:
	s_or_b64 exec, exec, s[4:5]
	v_cmp_eq_u32_e64 s[4:5], v29, v28
	s_and_saveexec_b64 s[10:11], s[4:5]
	s_cbranch_execz .LBB29_51
.LBB29_50:
	ds_read2_b64 v[30:33], v24 offset1:4
	ds_read_u8 v29, v23 offset:4
	ds_read_u8 v34, v23
	ds_write2_b64 v22, v[2:3], v[0:1] offset1:4
	s_waitcnt lgkmcnt(3)
	ds_write2_b64 v24, v[32:33], v[30:31] offset1:4
	s_waitcnt lgkmcnt(3)
	ds_write_b8 v23, v29
	s_waitcnt lgkmcnt(3)
	ds_write_b8 v23, v34 offset:4
.LBB29_51:
	s_or_b64 exec, exec, s[10:11]
	s_waitcnt lgkmcnt(0)
	s_barrier
	ds_read2_b64 v[0:3], v16 offset1:2
                                        ; implicit-def: $sgpr16
	s_waitcnt lgkmcnt(0)
	v_cmp_le_i64_e64 s[10:11], v[0:1], v[2:3]
	v_cmp_gt_i64_e64 s[4:5], v[0:1], v[2:3]
	s_and_saveexec_b64 s[12:13], s[4:5]
	s_cbranch_execnz .LBB29_98
; %bb.52:
	s_or_b64 exec, exec, s[12:13]
	v_mov_b32_e32 v29, s16
	s_and_saveexec_b64 s[4:5], s[10:11]
	s_cbranch_execnz .LBB29_99
.LBB29_53:
	s_or_b64 exec, exec, s[4:5]
	v_cmp_eq_u32_e64 s[4:5], v29, v28
	s_and_saveexec_b64 s[10:11], s[4:5]
	s_cbranch_execz .LBB29_55
.LBB29_54:
	ds_read2_b64 v[30:33], v20 offset1:2
	ds_read_u8 v29, v17 offset:2
	ds_read_u8 v34, v17
	ds_write2_b64 v16, v[2:3], v[0:1] offset1:2
	s_waitcnt lgkmcnt(3)
	ds_write2_b64 v20, v[32:33], v[30:31] offset1:2
	s_waitcnt lgkmcnt(3)
	ds_write_b8 v17, v29
	s_waitcnt lgkmcnt(3)
	ds_write_b8 v17, v34 offset:2
.LBB29_55:
	s_or_b64 exec, exec, s[10:11]
	s_waitcnt lgkmcnt(0)
	s_barrier
	ds_read_b128 v[0:3], v13
                                        ; implicit-def: $sgpr16
	s_waitcnt lgkmcnt(0)
	v_cmp_le_i64_e64 s[10:11], v[0:1], v[2:3]
	v_cmp_gt_i64_e64 s[4:5], v[0:1], v[2:3]
	s_and_saveexec_b64 s[12:13], s[4:5]
	s_cbranch_execnz .LBB29_100
; %bb.56:
	s_or_b64 exec, exec, s[12:13]
	v_mov_b32_e32 v29, s16
	s_and_saveexec_b64 s[4:5], s[10:11]
	s_cbranch_execnz .LBB29_101
.LBB29_57:
	s_or_b64 exec, exec, s[4:5]
	v_cmp_eq_u32_e64 s[4:5], v29, v28
	s_and_saveexec_b64 s[10:11], s[4:5]
	s_cbranch_execz .LBB29_59
.LBB29_58:
	v_add_u32_e32 v36, v10, v12
	v_mov_b32_e32 v28, v2
	v_mov_b32_e32 v29, v3
	ds_read_b128 v[32:35], v36
	v_mov_b32_e32 v30, v0
	v_mov_b32_e32 v31, v1
	ds_write_b128 v13, v[28:31]
	ds_read_u16 v28, v14
	s_waitcnt lgkmcnt(2)
	v_mov_b32_e32 v0, v34
	v_mov_b32_e32 v1, v35
	;; [unrolled: 1-line block ×4, first 2 shown]
	s_mov_b32 s4, 0xc0c0001
	ds_write_b128 v36, v[0:3]
	s_waitcnt lgkmcnt(1)
	v_perm_b32 v0, 0, v28, s4
	ds_write_b16 v14, v0
.LBB29_59:
	s_or_b64 exec, exec, s[10:11]
	v_and_b32_e32 v0, 15, v5
	v_sub_u32_e32 v21, v21, v0
	v_lshl_add_u32 v19, v21, 3, v19
	s_waitcnt lgkmcnt(0)
	s_barrier
	ds_read2_b64 v[0:3], v19 offset1:16
	v_add_u32_e32 v18, v18, v21
	s_waitcnt lgkmcnt(0)
	v_cmp_le_i64_e64 s[12:13], v[0:1], v[2:3]
	v_cmp_gt_i64_e64 s[4:5], v[0:1], v[2:3]
	s_and_saveexec_b64 s[10:11], s[4:5]
	s_cbranch_execz .LBB29_61
; %bb.60:
	ds_read_u8 v28, v18
	s_andn2_b64 s[12:13], s[12:13], exec
	s_waitcnt lgkmcnt(0)
	v_and_b32_e32 v28, 1, v28
	v_cmp_eq_u32_e64 s[4:5], 1, v28
	s_xor_b64 s[4:5], s[4:5], -1
	s_and_b64 s[4:5], s[4:5], exec
	s_or_b64 s[12:13], s[12:13], s[4:5]
.LBB29_61:
	s_or_b64 exec, exec, s[10:11]
	s_and_saveexec_b64 s[10:11], s[12:13]
	s_cbranch_execz .LBB29_64
; %bb.62:
	ds_read_u8 v28, v18 offset:16
	s_waitcnt lgkmcnt(0)
	v_cmp_ne_u16_e64 s[4:5], 0, v28
	s_and_b64 exec, exec, s[4:5]
	s_cbranch_execz .LBB29_64
; %bb.63:
	v_lshl_add_u32 v15, v21, 3, v15
	ds_read2_b64 v[30:33], v15 offset1:16
	ds_read_u8 v21, v18
	ds_write2_b64 v19, v[2:3], v[0:1] offset1:16
	ds_write_b8 v18, v28
	s_waitcnt lgkmcnt(3)
	ds_write2_b64 v15, v[32:33], v[30:31] offset1:16
	s_waitcnt lgkmcnt(3)
	ds_write_b8 v18, v21 offset:16
.LBB29_64:
	s_or_b64 exec, exec, s[10:11]
	s_waitcnt lgkmcnt(0)
	s_barrier
	ds_read2_b64 v[0:3], v25 offset1:8
	s_waitcnt lgkmcnt(0)
	v_cmp_le_i64_e64 s[12:13], v[0:1], v[2:3]
	v_cmp_gt_i64_e64 s[4:5], v[0:1], v[2:3]
	s_and_saveexec_b64 s[10:11], s[4:5]
	s_cbranch_execz .LBB29_66
; %bb.65:
	ds_read_u8 v15, v26
	s_andn2_b64 s[12:13], s[12:13], exec
	s_waitcnt lgkmcnt(0)
	v_and_b32_e32 v15, 1, v15
	v_cmp_eq_u32_e64 s[4:5], 1, v15
	s_xor_b64 s[4:5], s[4:5], -1
	s_and_b64 s[4:5], s[4:5], exec
	s_or_b64 s[12:13], s[12:13], s[4:5]
.LBB29_66:
	s_or_b64 exec, exec, s[10:11]
	s_and_saveexec_b64 s[10:11], s[12:13]
	s_cbranch_execz .LBB29_69
; %bb.67:
	ds_read_u8 v15, v26 offset:8
	s_waitcnt lgkmcnt(0)
	v_cmp_ne_u16_e64 s[4:5], 0, v15
	s_and_b64 exec, exec, s[4:5]
	s_cbranch_execz .LBB29_69
; %bb.68:
	ds_read2_b64 v[28:31], v27 offset1:8
	ds_read_u8 v18, v26
	ds_write2_b64 v25, v[2:3], v[0:1] offset1:8
	ds_write_b8 v26, v15
	s_waitcnt lgkmcnt(3)
	ds_write2_b64 v27, v[30:31], v[28:29] offset1:8
	s_waitcnt lgkmcnt(3)
	ds_write_b8 v26, v18 offset:8
.LBB29_69:
	s_or_b64 exec, exec, s[10:11]
	s_waitcnt lgkmcnt(0)
	s_barrier
	ds_read2_b64 v[0:3], v22 offset1:4
	s_waitcnt lgkmcnt(0)
	v_cmp_le_i64_e64 s[12:13], v[0:1], v[2:3]
	v_cmp_gt_i64_e64 s[4:5], v[0:1], v[2:3]
	s_and_saveexec_b64 s[10:11], s[4:5]
	s_cbranch_execz .LBB29_71
; %bb.70:
	ds_read_u8 v15, v23
	s_andn2_b64 s[12:13], s[12:13], exec
	s_waitcnt lgkmcnt(0)
	v_and_b32_e32 v15, 1, v15
	v_cmp_eq_u32_e64 s[4:5], 1, v15
	s_xor_b64 s[4:5], s[4:5], -1
	s_and_b64 s[4:5], s[4:5], exec
	s_or_b64 s[12:13], s[12:13], s[4:5]
.LBB29_71:
	s_or_b64 exec, exec, s[10:11]
	s_and_saveexec_b64 s[10:11], s[12:13]
	s_cbranch_execz .LBB29_74
; %bb.72:
	ds_read_u8 v15, v23 offset:4
	s_waitcnt lgkmcnt(0)
	v_cmp_ne_u16_e64 s[4:5], 0, v15
	s_and_b64 exec, exec, s[4:5]
	s_cbranch_execz .LBB29_74
; %bb.73:
	ds_read2_b64 v[26:29], v24 offset1:4
	ds_read_u8 v18, v23
	ds_write2_b64 v22, v[2:3], v[0:1] offset1:4
	ds_write_b8 v23, v15
	s_waitcnt lgkmcnt(3)
	ds_write2_b64 v24, v[28:29], v[26:27] offset1:4
	s_waitcnt lgkmcnt(3)
	ds_write_b8 v23, v18 offset:4
.LBB29_74:
	;; [unrolled: 38-line block ×3, first 2 shown]
	s_or_b64 exec, exec, s[10:11]
	s_waitcnt lgkmcnt(0)
	s_barrier
	ds_read_b128 v[0:3], v13
	s_waitcnt lgkmcnt(0)
	v_cmp_le_i64_e64 s[12:13], v[0:1], v[2:3]
	v_cmp_gt_i64_e64 s[4:5], v[0:1], v[2:3]
	s_and_saveexec_b64 s[10:11], s[4:5]
	s_cbranch_execz .LBB29_81
; %bb.80:
	ds_read_u8 v15, v14
	s_andn2_b64 s[12:13], s[12:13], exec
	s_waitcnt lgkmcnt(0)
	v_and_b32_e32 v15, 1, v15
	v_cmp_eq_u32_e64 s[4:5], 1, v15
	s_xor_b64 s[4:5], s[4:5], -1
	s_and_b64 s[4:5], s[4:5], exec
	s_or_b64 s[12:13], s[12:13], s[4:5]
.LBB29_81:
	s_or_b64 exec, exec, s[10:11]
	s_and_saveexec_b64 s[10:11], s[12:13]
	s_cbranch_execz .LBB29_84
; %bb.82:
	ds_read_u8 v15, v14 offset:1
	s_waitcnt lgkmcnt(0)
	v_cmp_ne_u16_e64 s[4:5], 0, v15
	s_and_b64 exec, exec, s[4:5]
	s_cbranch_execz .LBB29_84
; %bb.83:
	v_add_u32_e32 v12, v10, v12
	v_mov_b32_e32 v16, v2
	v_mov_b32_e32 v17, v3
	ds_read_b128 v[20:23], v12
	v_mov_b32_e32 v18, v0
	v_mov_b32_e32 v19, v1
	ds_write_b128 v13, v[16:19]
	ds_read_u8 v13, v14
	s_waitcnt lgkmcnt(2)
	v_mov_b32_e32 v0, v22
	v_mov_b32_e32 v1, v23
	;; [unrolled: 1-line block ×4, first 2 shown]
	ds_write_b128 v12, v[0:3]
	s_waitcnt lgkmcnt(1)
	v_lshlrev_b16_e32 v0, 8, v13
	v_or_b32_e32 v0, v15, v0
	ds_write_b16 v14, v0
.LBB29_84:
	s_or_b64 exec, exec, s[10:11]
	s_waitcnt lgkmcnt(0)
	s_barrier
	s_and_saveexec_b64 s[4:5], vcc
	s_cbranch_execz .LBB29_89
; %bb.85:
	s_and_saveexec_b64 s[4:5], s[0:1]
	s_cbranch_execz .LBB29_87
; %bb.86:
	ds_read_b64 v[0:1], v11
	v_mad_u64_u32 v[2:3], s[0:1], v5, s14, v[6:7]
	v_mov_b32_e32 v3, 0
	v_lshlrev_b64 v[12:13], 3, v[2:3]
	v_mov_b32_e32 v2, s9
	v_add_co_u32_e32 v12, vcc, s8, v12
	v_addc_co_u32_e32 v13, vcc, v2, v13, vcc
	ds_read_b64 v[10:11], v10
	s_waitcnt lgkmcnt(1)
	global_store_dwordx2 v[12:13], v[0:1], off
	v_mad_u64_u32 v[0:1], s[0:1], v5, s15, v[4:5]
	v_mov_b32_e32 v1, v3
	v_lshlrev_b64 v[0:1], 3, v[0:1]
	v_mov_b32_e32 v2, s7
	v_add_co_u32_e32 v0, vcc, s6, v0
	v_addc_co_u32_e32 v1, vcc, v2, v1, vcc
	s_waitcnt lgkmcnt(0)
	global_store_dwordx2 v[0:1], v[10:11], off
.LBB29_87:
	s_or_b64 exec, exec, s[4:5]
	s_and_b64 exec, exec, s[2:3]
	s_cbranch_execz .LBB29_89
; %bb.88:
	ds_read_b64 v[0:1], v9
	v_mad_u64_u32 v[2:3], s[0:1], v7, s14, v[6:7]
	v_mov_b32_e32 v3, 0
	v_lshlrev_b64 v[10:11], 3, v[2:3]
	v_mov_b32_e32 v2, s9
	v_add_co_u32_e32 v10, vcc, s8, v10
	v_addc_co_u32_e32 v11, vcc, v2, v11, vcc
	ds_read_b64 v[8:9], v8
	s_waitcnt lgkmcnt(1)
	global_store_dwordx2 v[10:11], v[0:1], off
	v_mad_u64_u32 v[0:1], s[0:1], v7, s15, v[4:5]
	v_mov_b32_e32 v1, v3
	v_lshlrev_b64 v[0:1], 3, v[0:1]
	v_mov_b32_e32 v2, s7
	v_add_co_u32_e32 v0, vcc, s6, v0
	v_addc_co_u32_e32 v1, vcc, v2, v1, vcc
	s_waitcnt lgkmcnt(0)
	global_store_dwordx2 v[0:1], v[8:9], off
.LBB29_89:
	s_endpgm
.LBB29_90:
	ds_read_u8 v23, v14
	s_andn2_b64 s[10:11], s[10:11], exec
	s_mov_b32 s16, 1
	s_waitcnt lgkmcnt(0)
	v_and_b32_e32 v23, 1, v23
	v_cmp_eq_u32_e64 s[4:5], 1, v23
	s_xor_b64 s[4:5], s[4:5], -1
	s_and_b64 s[4:5], s[4:5], exec
	s_or_b64 s[10:11], s[10:11], s[4:5]
	s_or_b64 exec, exec, s[12:13]
	v_mov_b32_e32 v23, s16
	s_and_saveexec_b64 s[4:5], s[10:11]
	s_cbranch_execz .LBB29_25
.LBB29_91:
	ds_read_u8 v23, v14 offset:1
	s_waitcnt lgkmcnt(0)
	v_xor_b32_e32 v23, 1, v23
	s_or_b64 exec, exec, s[4:5]
	v_cmp_eq_u32_e64 s[4:5], v23, v22
	s_and_saveexec_b64 s[10:11], s[4:5]
	s_cbranch_execnz .LBB29_26
	s_branch .LBB29_27
.LBB29_92:
	ds_read_u8 v26, v17
	s_andn2_b64 s[10:11], s[10:11], exec
	s_mov_b32 s16, 1
	s_waitcnt lgkmcnt(0)
	v_and_b32_e32 v26, 1, v26
	v_cmp_eq_u32_e64 s[4:5], 1, v26
	s_xor_b64 s[4:5], s[4:5], -1
	s_and_b64 s[4:5], s[4:5], exec
	s_or_b64 s[10:11], s[10:11], s[4:5]
	s_or_b64 exec, exec, s[12:13]
	v_mov_b32_e32 v26, s16
	s_and_saveexec_b64 s[4:5], s[10:11]
	s_cbranch_execz .LBB29_35
.LBB29_93:
	ds_read_u8 v26, v17 offset:2
	s_waitcnt lgkmcnt(0)
	v_xor_b32_e32 v26, 1, v26
	s_or_b64 exec, exec, s[4:5]
	v_cmp_eq_u32_e64 s[4:5], v26, v25
	s_and_saveexec_b64 s[10:11], s[4:5]
	s_cbranch_execnz .LBB29_36
	s_branch .LBB29_37
.LBB29_94:
	ds_read_u8 v26, v14
	s_andn2_b64 s[10:11], s[10:11], exec
	s_mov_b32 s16, 1
	s_waitcnt lgkmcnt(0)
	v_and_b32_e32 v26, 1, v26
	v_cmp_eq_u32_e64 s[4:5], 1, v26
	s_xor_b64 s[4:5], s[4:5], -1
	s_and_b64 s[4:5], s[4:5], exec
	s_or_b64 s[10:11], s[10:11], s[4:5]
	s_or_b64 exec, exec, s[12:13]
	v_mov_b32_e32 v26, s16
	s_and_saveexec_b64 s[4:5], s[10:11]
	s_cbranch_execz .LBB29_39
.LBB29_95:
	ds_read_u8 v26, v14 offset:1
	s_waitcnt lgkmcnt(0)
	v_xor_b32_e32 v26, 1, v26
	s_or_b64 exec, exec, s[4:5]
	v_cmp_eq_u32_e64 s[4:5], v26, v25
	s_and_saveexec_b64 s[10:11], s[4:5]
	s_cbranch_execnz .LBB29_40
	s_branch .LBB29_41
.LBB29_96:
	ds_read_u8 v29, v23
	s_andn2_b64 s[10:11], s[10:11], exec
	s_mov_b32 s16, 1
	s_waitcnt lgkmcnt(0)
	v_and_b32_e32 v29, 1, v29
	v_cmp_eq_u32_e64 s[4:5], 1, v29
	s_xor_b64 s[4:5], s[4:5], -1
	s_and_b64 s[4:5], s[4:5], exec
	s_or_b64 s[10:11], s[10:11], s[4:5]
	s_or_b64 exec, exec, s[12:13]
	v_mov_b32_e32 v29, s16
	s_and_saveexec_b64 s[4:5], s[10:11]
	s_cbranch_execz .LBB29_49
.LBB29_97:
	ds_read_u8 v29, v23 offset:4
	s_waitcnt lgkmcnt(0)
	v_xor_b32_e32 v29, 1, v29
	s_or_b64 exec, exec, s[4:5]
	v_cmp_eq_u32_e64 s[4:5], v29, v28
	s_and_saveexec_b64 s[10:11], s[4:5]
	s_cbranch_execnz .LBB29_50
	s_branch .LBB29_51
.LBB29_98:
	ds_read_u8 v29, v17
	s_andn2_b64 s[10:11], s[10:11], exec
	s_mov_b32 s16, 1
	s_waitcnt lgkmcnt(0)
	v_and_b32_e32 v29, 1, v29
	v_cmp_eq_u32_e64 s[4:5], 1, v29
	s_xor_b64 s[4:5], s[4:5], -1
	s_and_b64 s[4:5], s[4:5], exec
	s_or_b64 s[10:11], s[10:11], s[4:5]
	s_or_b64 exec, exec, s[12:13]
	v_mov_b32_e32 v29, s16
	s_and_saveexec_b64 s[4:5], s[10:11]
	s_cbranch_execz .LBB29_53
.LBB29_99:
	ds_read_u8 v29, v17 offset:2
	s_waitcnt lgkmcnt(0)
	v_xor_b32_e32 v29, 1, v29
	s_or_b64 exec, exec, s[4:5]
	v_cmp_eq_u32_e64 s[4:5], v29, v28
	s_and_saveexec_b64 s[10:11], s[4:5]
	s_cbranch_execnz .LBB29_54
	s_branch .LBB29_55
.LBB29_100:
	ds_read_u8 v29, v14
	s_andn2_b64 s[10:11], s[10:11], exec
	s_mov_b32 s16, 1
	s_waitcnt lgkmcnt(0)
	v_and_b32_e32 v29, 1, v29
	v_cmp_eq_u32_e64 s[4:5], 1, v29
	s_xor_b64 s[4:5], s[4:5], -1
	s_and_b64 s[4:5], s[4:5], exec
	s_or_b64 s[10:11], s[10:11], s[4:5]
	s_or_b64 exec, exec, s[12:13]
	v_mov_b32_e32 v29, s16
	s_and_saveexec_b64 s[4:5], s[10:11]
	s_cbranch_execz .LBB29_57
.LBB29_101:
	ds_read_u8 v29, v14 offset:1
	s_waitcnt lgkmcnt(0)
	v_xor_b32_e32 v29, 1, v29
	s_or_b64 exec, exec, s[4:5]
	v_cmp_eq_u32_e64 s[4:5], v29, v28
	s_and_saveexec_b64 s[10:11], s[4:5]
	s_cbranch_execnz .LBB29_58
	s_branch .LBB29_59
	.section	.rodata,"a",@progbits
	.p2align	6, 0x0
	.amdhsa_kernel _ZN2at6native20bitonicSortKVInPlaceILin1ELin1ELi16ELi16EllNS0_4GTOpIlLb1EEEjEEvNS_4cuda6detail10TensorInfoIT3_T6_EES8_S8_S8_NS6_IT4_S8_EES8_T5_
		.amdhsa_group_segment_fixed_size 8704
		.amdhsa_private_segment_fixed_size 0
		.amdhsa_kernarg_size 712
		.amdhsa_user_sgpr_count 6
		.amdhsa_user_sgpr_private_segment_buffer 1
		.amdhsa_user_sgpr_dispatch_ptr 0
		.amdhsa_user_sgpr_queue_ptr 0
		.amdhsa_user_sgpr_kernarg_segment_ptr 1
		.amdhsa_user_sgpr_dispatch_id 0
		.amdhsa_user_sgpr_flat_scratch_init 0
		.amdhsa_user_sgpr_kernarg_preload_length 0
		.amdhsa_user_sgpr_kernarg_preload_offset 0
		.amdhsa_user_sgpr_private_segment_size 0
		.amdhsa_uses_dynamic_stack 0
		.amdhsa_system_sgpr_private_segment_wavefront_offset 0
		.amdhsa_system_sgpr_workgroup_id_x 1
		.amdhsa_system_sgpr_workgroup_id_y 1
		.amdhsa_system_sgpr_workgroup_id_z 1
		.amdhsa_system_sgpr_workgroup_info 0
		.amdhsa_system_vgpr_workitem_id 1
		.amdhsa_next_free_vgpr 37
		.amdhsa_next_free_sgpr 17
		.amdhsa_accum_offset 40
		.amdhsa_reserve_vcc 1
		.amdhsa_reserve_flat_scratch 0
		.amdhsa_float_round_mode_32 0
		.amdhsa_float_round_mode_16_64 0
		.amdhsa_float_denorm_mode_32 3
		.amdhsa_float_denorm_mode_16_64 3
		.amdhsa_dx10_clamp 1
		.amdhsa_ieee_mode 1
		.amdhsa_fp16_overflow 0
		.amdhsa_tg_split 0
		.amdhsa_exception_fp_ieee_invalid_op 0
		.amdhsa_exception_fp_denorm_src 0
		.amdhsa_exception_fp_ieee_div_zero 0
		.amdhsa_exception_fp_ieee_overflow 0
		.amdhsa_exception_fp_ieee_underflow 0
		.amdhsa_exception_fp_ieee_inexact 0
		.amdhsa_exception_int_div_zero 0
	.end_amdhsa_kernel
	.section	.text._ZN2at6native20bitonicSortKVInPlaceILin1ELin1ELi16ELi16EllNS0_4GTOpIlLb1EEEjEEvNS_4cuda6detail10TensorInfoIT3_T6_EES8_S8_S8_NS6_IT4_S8_EES8_T5_,"axG",@progbits,_ZN2at6native20bitonicSortKVInPlaceILin1ELin1ELi16ELi16EllNS0_4GTOpIlLb1EEEjEEvNS_4cuda6detail10TensorInfoIT3_T6_EES8_S8_S8_NS6_IT4_S8_EES8_T5_,comdat
.Lfunc_end29:
	.size	_ZN2at6native20bitonicSortKVInPlaceILin1ELin1ELi16ELi16EllNS0_4GTOpIlLb1EEEjEEvNS_4cuda6detail10TensorInfoIT3_T6_EES8_S8_S8_NS6_IT4_S8_EES8_T5_, .Lfunc_end29-_ZN2at6native20bitonicSortKVInPlaceILin1ELin1ELi16ELi16EllNS0_4GTOpIlLb1EEEjEEvNS_4cuda6detail10TensorInfoIT3_T6_EES8_S8_S8_NS6_IT4_S8_EES8_T5_
                                        ; -- End function
	.section	.AMDGPU.csdata,"",@progbits
; Kernel info:
; codeLenInByte = 4896
; NumSgprs: 21
; NumVgprs: 37
; NumAgprs: 0
; TotalNumVgprs: 37
; ScratchSize: 0
; MemoryBound: 0
; FloatMode: 240
; IeeeMode: 1
; LDSByteSize: 8704 bytes/workgroup (compile time only)
; SGPRBlocks: 2
; VGPRBlocks: 4
; NumSGPRsForWavesPerEU: 21
; NumVGPRsForWavesPerEU: 37
; AccumOffset: 40
; Occupancy: 7
; WaveLimiterHint : 1
; COMPUTE_PGM_RSRC2:SCRATCH_EN: 0
; COMPUTE_PGM_RSRC2:USER_SGPR: 6
; COMPUTE_PGM_RSRC2:TRAP_HANDLER: 0
; COMPUTE_PGM_RSRC2:TGID_X_EN: 1
; COMPUTE_PGM_RSRC2:TGID_Y_EN: 1
; COMPUTE_PGM_RSRC2:TGID_Z_EN: 1
; COMPUTE_PGM_RSRC2:TIDIG_COMP_CNT: 1
; COMPUTE_PGM_RSRC3_GFX90A:ACCUM_OFFSET: 9
; COMPUTE_PGM_RSRC3_GFX90A:TG_SPLIT: 0
	.section	.text._ZN2at6native20bitonicSortKVInPlaceILin1ELin1ELi16ELi16EllNS0_4LTOpIlLb1EEEmEEvNS_4cuda6detail10TensorInfoIT3_T6_EES8_S8_S8_NS6_IT4_S8_EES8_T5_,"axG",@progbits,_ZN2at6native20bitonicSortKVInPlaceILin1ELin1ELi16ELi16EllNS0_4LTOpIlLb1EEEmEEvNS_4cuda6detail10TensorInfoIT3_T6_EES8_S8_S8_NS6_IT4_S8_EES8_T5_,comdat
	.protected	_ZN2at6native20bitonicSortKVInPlaceILin1ELin1ELi16ELi16EllNS0_4LTOpIlLb1EEEmEEvNS_4cuda6detail10TensorInfoIT3_T6_EES8_S8_S8_NS6_IT4_S8_EES8_T5_ ; -- Begin function _ZN2at6native20bitonicSortKVInPlaceILin1ELin1ELi16ELi16EllNS0_4LTOpIlLb1EEEmEEvNS_4cuda6detail10TensorInfoIT3_T6_EES8_S8_S8_NS6_IT4_S8_EES8_T5_
	.globl	_ZN2at6native20bitonicSortKVInPlaceILin1ELin1ELi16ELi16EllNS0_4LTOpIlLb1EEEmEEvNS_4cuda6detail10TensorInfoIT3_T6_EES8_S8_S8_NS6_IT4_S8_EES8_T5_
	.p2align	8
	.type	_ZN2at6native20bitonicSortKVInPlaceILin1ELin1ELi16ELi16EllNS0_4LTOpIlLb1EEEmEEvNS_4cuda6detail10TensorInfoIT3_T6_EES8_S8_S8_NS6_IT4_S8_EES8_T5_,@function
_ZN2at6native20bitonicSortKVInPlaceILin1ELin1ELi16ELi16EllNS0_4LTOpIlLb1EEEmEEvNS_4cuda6detail10TensorInfoIT3_T6_EES8_S8_S8_NS6_IT4_S8_EES8_T5_: ; @_ZN2at6native20bitonicSortKVInPlaceILin1ELin1ELi16ELi16EllNS0_4LTOpIlLb1EEEmEEvNS_4cuda6detail10TensorInfoIT3_T6_EES8_S8_S8_NS6_IT4_S8_EES8_T5_
; %bb.0:
	s_load_dwordx2 s[0:1], s[4:5], 0x368
	s_load_dwordx4 s[12:15], s[4:5], 0x1a0
	s_load_dword s9, s[4:5], 0x374
	s_add_u32 s2, s4, 0x368
	s_addc_u32 s3, s5, 0
	s_waitcnt lgkmcnt(0)
	s_mul_i32 s1, s1, s8
	s_add_i32 s1, s1, s7
	s_mul_i32 s0, s1, s0
	s_add_i32 s0, s0, s6
	s_lshr_b32 s6, s9, 16
	s_mul_hi_u32 s1, s0, s6
	s_mul_i32 s0, s0, s6
	v_pk_mov_b32 v[2:3], s[12:13], s[12:13] op_sel:[0,1]
	v_cmp_ge_u64_e32 vcc, s[0:1], v[2:3]
	s_cbranch_vccnz .LBB30_99
; %bb.1:
	v_mov_b32_e32 v1, s1
	s_load_dwordx2 s[6:7], s[4:5], 0x1b0
	s_load_dword s1, s[4:5], 0x198
	v_bfe_u32 v16, v0, 10, 10
	v_add_co_u32_e32 v4, vcc, s0, v16
	v_addc_co_u32_e32 v5, vcc, 0, v1, vcc
	v_mov_b32_e32 v8, 0
	s_waitcnt lgkmcnt(0)
	s_cmp_lt_i32 s1, 2
	v_pk_mov_b32 v[2:3], 0, 0
	v_pk_mov_b32 v[6:7], v[4:5], v[4:5] op_sel:[0,1]
	s_cbranch_scc1 .LBB30_9
; %bb.2:
	s_add_i32 s18, s1, 1
	s_add_i32 s0, s1, -1
	s_mov_b32 s1, 0
	s_lshl_b64 s[0:1], s[0:1], 3
	s_add_u32 s0, s0, s4
	s_addc_u32 s1, s1, s5
	s_add_u32 s8, s0, 8
	s_addc_u32 s9, s1, 0
	v_pk_mov_b32 v[2:3], 0, 0
	v_pk_mov_b32 v[10:11], v[4:5], v[4:5] op_sel:[0,1]
.LBB30_3:                               ; =>This Inner Loop Header: Depth=1
	s_load_dwordx2 s[10:11], s[8:9], 0x0
                                        ; implicit-def: $vgpr6_vgpr7
	s_waitcnt lgkmcnt(0)
	v_or_b32_e32 v9, s11, v11
	v_cmp_ne_u64_e32 vcc, 0, v[8:9]
	s_and_saveexec_b64 s[0:1], vcc
	s_xor_b64 s[16:17], exec, s[0:1]
	s_cbranch_execz .LBB30_5
; %bb.4:                                ;   in Loop: Header=BB30_3 Depth=1
	v_cvt_f32_u32_e32 v1, s10
	v_cvt_f32_u32_e32 v6, s11
	s_sub_u32 s0, 0, s10
	s_subb_u32 s1, 0, s11
	v_mac_f32_e32 v1, 0x4f800000, v6
	v_rcp_f32_e32 v1, v1
	v_mul_f32_e32 v1, 0x5f7ffffc, v1
	v_mul_f32_e32 v6, 0x2f800000, v1
	v_trunc_f32_e32 v6, v6
	v_mac_f32_e32 v1, 0xcf800000, v6
	v_cvt_u32_f32_e32 v6, v6
	v_cvt_u32_f32_e32 v1, v1
	v_mul_lo_u32 v7, s0, v6
	v_mul_hi_u32 v12, s0, v1
	v_mul_lo_u32 v9, s1, v1
	v_add_u32_e32 v7, v12, v7
	v_mul_lo_u32 v13, s0, v1
	v_add_u32_e32 v7, v7, v9
	v_mul_hi_u32 v12, v1, v13
	v_mul_lo_u32 v14, v1, v7
	v_mul_hi_u32 v9, v1, v7
	v_add_co_u32_e32 v12, vcc, v12, v14
	v_addc_co_u32_e32 v9, vcc, 0, v9, vcc
	v_mul_hi_u32 v15, v6, v13
	v_mul_lo_u32 v13, v6, v13
	v_add_co_u32_e32 v12, vcc, v12, v13
	v_mul_hi_u32 v14, v6, v7
	v_addc_co_u32_e32 v9, vcc, v9, v15, vcc
	v_addc_co_u32_e32 v12, vcc, 0, v14, vcc
	v_mul_lo_u32 v7, v6, v7
	v_add_co_u32_e32 v7, vcc, v9, v7
	v_addc_co_u32_e32 v9, vcc, 0, v12, vcc
	v_add_co_u32_e32 v1, vcc, v1, v7
	v_addc_co_u32_e32 v6, vcc, v6, v9, vcc
	v_mul_lo_u32 v7, s0, v6
	v_mul_hi_u32 v9, s0, v1
	v_add_u32_e32 v7, v9, v7
	v_mul_lo_u32 v9, s1, v1
	v_add_u32_e32 v7, v7, v9
	v_mul_lo_u32 v12, s0, v1
	v_mul_hi_u32 v13, v6, v12
	v_mul_lo_u32 v14, v6, v12
	v_mul_lo_u32 v17, v1, v7
	v_mul_hi_u32 v12, v1, v12
	v_mul_hi_u32 v15, v1, v7
	v_add_co_u32_e32 v12, vcc, v12, v17
	v_addc_co_u32_e32 v15, vcc, 0, v15, vcc
	v_add_co_u32_e32 v12, vcc, v12, v14
	v_mul_hi_u32 v9, v6, v7
	v_addc_co_u32_e32 v12, vcc, v15, v13, vcc
	v_addc_co_u32_e32 v9, vcc, 0, v9, vcc
	v_mul_lo_u32 v7, v6, v7
	v_add_co_u32_e32 v7, vcc, v12, v7
	v_addc_co_u32_e32 v9, vcc, 0, v9, vcc
	v_add_co_u32_e32 v1, vcc, v1, v7
	v_addc_co_u32_e32 v9, vcc, v6, v9, vcc
	v_mad_u64_u32 v[6:7], s[0:1], v10, v9, 0
	v_mul_hi_u32 v12, v10, v1
	v_add_co_u32_e32 v14, vcc, v12, v6
	v_addc_co_u32_e32 v15, vcc, 0, v7, vcc
	v_mad_u64_u32 v[12:13], s[0:1], v11, v1, 0
	v_add_co_u32_e32 v1, vcc, v14, v12
	v_mad_u64_u32 v[6:7], s[0:1], v11, v9, 0
	v_addc_co_u32_e32 v1, vcc, v15, v13, vcc
	v_addc_co_u32_e32 v7, vcc, 0, v7, vcc
	v_add_co_u32_e32 v1, vcc, v1, v6
	v_addc_co_u32_e32 v9, vcc, 0, v7, vcc
	v_mul_lo_u32 v12, s11, v1
	v_mul_lo_u32 v13, s10, v9
	v_mad_u64_u32 v[6:7], s[0:1], s10, v1, 0
	v_add3_u32 v7, v7, v13, v12
	v_sub_u32_e32 v12, v11, v7
	v_mov_b32_e32 v13, s11
	v_sub_co_u32_e32 v6, vcc, v10, v6
	v_subb_co_u32_e64 v12, s[0:1], v12, v13, vcc
	v_subrev_co_u32_e64 v13, s[0:1], s10, v6
	v_subbrev_co_u32_e64 v12, s[0:1], 0, v12, s[0:1]
	v_cmp_le_u32_e64 s[0:1], s11, v12
	v_cndmask_b32_e64 v14, 0, -1, s[0:1]
	v_cmp_le_u32_e64 s[0:1], s10, v13
	v_cndmask_b32_e64 v13, 0, -1, s[0:1]
	v_cmp_eq_u32_e64 s[0:1], s11, v12
	v_cndmask_b32_e64 v12, v14, v13, s[0:1]
	v_add_co_u32_e64 v13, s[0:1], 2, v1
	v_addc_co_u32_e64 v14, s[0:1], 0, v9, s[0:1]
	v_add_co_u32_e64 v15, s[0:1], 1, v1
	v_addc_co_u32_e64 v17, s[0:1], 0, v9, s[0:1]
	v_subb_co_u32_e32 v7, vcc, v11, v7, vcc
	v_cmp_ne_u32_e64 s[0:1], 0, v12
	v_cmp_le_u32_e32 vcc, s11, v7
	v_cndmask_b32_e64 v12, v17, v14, s[0:1]
	v_cndmask_b32_e64 v14, 0, -1, vcc
	v_cmp_le_u32_e32 vcc, s10, v6
	v_cndmask_b32_e64 v6, 0, -1, vcc
	v_cmp_eq_u32_e32 vcc, s11, v7
	v_cndmask_b32_e32 v6, v14, v6, vcc
	v_cmp_ne_u32_e32 vcc, 0, v6
	v_cndmask_b32_e64 v6, v15, v13, s[0:1]
	v_cndmask_b32_e32 v7, v9, v12, vcc
	v_cndmask_b32_e32 v6, v1, v6, vcc
.LBB30_5:                               ;   in Loop: Header=BB30_3 Depth=1
	s_andn2_saveexec_b64 s[0:1], s[16:17]
	s_cbranch_execz .LBB30_7
; %bb.6:                                ;   in Loop: Header=BB30_3 Depth=1
	v_cvt_f32_u32_e32 v1, s10
	s_sub_i32 s16, 0, s10
	v_rcp_iflag_f32_e32 v1, v1
	v_mul_f32_e32 v1, 0x4f7ffffe, v1
	v_cvt_u32_f32_e32 v1, v1
	v_mul_lo_u32 v6, s16, v1
	v_mul_hi_u32 v6, v1, v6
	v_add_u32_e32 v1, v1, v6
	v_mul_hi_u32 v1, v10, v1
	v_mul_lo_u32 v6, v1, s10
	v_sub_u32_e32 v6, v10, v6
	v_add_u32_e32 v7, 1, v1
	v_subrev_u32_e32 v9, s10, v6
	v_cmp_le_u32_e32 vcc, s10, v6
	v_cndmask_b32_e32 v6, v6, v9, vcc
	v_cndmask_b32_e32 v1, v1, v7, vcc
	v_add_u32_e32 v7, 1, v1
	v_cmp_le_u32_e32 vcc, s10, v6
	v_cndmask_b32_e32 v6, v1, v7, vcc
	v_mov_b32_e32 v7, v8
.LBB30_7:                               ;   in Loop: Header=BB30_3 Depth=1
	s_or_b64 exec, exec, s[0:1]
	v_mad_u64_u32 v[12:13], s[0:1], v6, s10, 0
	s_load_dwordx2 s[0:1], s[8:9], 0xc8
	v_mul_lo_u32 v1, v7, s10
	v_mul_lo_u32 v9, v6, s11
	v_add3_u32 v1, v13, v9, v1
	v_sub_co_u32_e32 v9, vcc, v10, v12
	s_add_i32 s18, s18, -1
	v_subb_co_u32_e32 v1, vcc, v11, v1, vcc
	s_add_u32 s8, s8, -8
	s_waitcnt lgkmcnt(0)
	v_mul_lo_u32 v1, s0, v1
	v_mul_lo_u32 v10, s1, v9
	v_mad_u64_u32 v[2:3], s[0:1], s0, v9, v[2:3]
	s_addc_u32 s9, s9, -1
	s_cmp_gt_u32 s18, 2
	v_add3_u32 v3, v10, v3, v1
	s_cbranch_scc0 .LBB30_9
; %bb.8:                                ;   in Loop: Header=BB30_3 Depth=1
	v_pk_mov_b32 v[10:11], v[6:7], v[6:7] op_sel:[0,1]
	s_branch .LBB30_3
.LBB30_9:
	s_load_dword s0, s[4:5], 0x350
	s_load_dwordx2 s[8:9], s[4:5], 0xd0
	v_pk_mov_b32 v[8:9], 0, 0
	v_pk_mov_b32 v[14:15], v[4:5], v[4:5] op_sel:[0,1]
	s_waitcnt lgkmcnt(0)
	s_cmp_lt_i32 s0, 2
	s_cbranch_scc1 .LBB30_17
; %bb.10:
	s_add_i32 s20, s0, 1
	s_add_i32 s0, s0, -1
	s_mov_b32 s1, 0
	s_lshl_b64 s[0:1], s[0:1], 3
	s_add_u32 s0, s0, s4
	s_addc_u32 s1, s1, s5
	s_add_u32 s10, s0, 0x1c0
	s_addc_u32 s11, s1, 0
	v_pk_mov_b32 v[8:9], 0, 0
	v_mov_b32_e32 v10, 0
	v_pk_mov_b32 v[12:13], v[4:5], v[4:5] op_sel:[0,1]
.LBB30_11:                              ; =>This Inner Loop Header: Depth=1
	s_load_dwordx2 s[16:17], s[10:11], 0x0
                                        ; implicit-def: $vgpr14_vgpr15
	s_waitcnt lgkmcnt(0)
	v_or_b32_e32 v11, s17, v13
	v_cmp_ne_u64_e32 vcc, 0, v[10:11]
	s_and_saveexec_b64 s[0:1], vcc
	s_xor_b64 s[18:19], exec, s[0:1]
	s_cbranch_execz .LBB30_13
; %bb.12:                               ;   in Loop: Header=BB30_11 Depth=1
	v_cvt_f32_u32_e32 v1, s16
	v_cvt_f32_u32_e32 v11, s17
	s_sub_u32 s0, 0, s16
	s_subb_u32 s1, 0, s17
	v_mac_f32_e32 v1, 0x4f800000, v11
	v_rcp_f32_e32 v1, v1
	v_mul_f32_e32 v1, 0x5f7ffffc, v1
	v_mul_f32_e32 v11, 0x2f800000, v1
	v_trunc_f32_e32 v11, v11
	v_mac_f32_e32 v1, 0xcf800000, v11
	v_cvt_u32_f32_e32 v11, v11
	v_cvt_u32_f32_e32 v1, v1
	v_mul_lo_u32 v14, s0, v11
	v_mul_hi_u32 v17, s0, v1
	v_mul_lo_u32 v15, s1, v1
	v_add_u32_e32 v14, v17, v14
	v_mul_lo_u32 v18, s0, v1
	v_add_u32_e32 v14, v14, v15
	v_mul_hi_u32 v17, v1, v18
	v_mul_lo_u32 v19, v1, v14
	v_mul_hi_u32 v15, v1, v14
	v_add_co_u32_e32 v17, vcc, v17, v19
	v_addc_co_u32_e32 v15, vcc, 0, v15, vcc
	v_mul_hi_u32 v20, v11, v18
	v_mul_lo_u32 v18, v11, v18
	v_add_co_u32_e32 v17, vcc, v17, v18
	v_mul_hi_u32 v19, v11, v14
	v_addc_co_u32_e32 v15, vcc, v15, v20, vcc
	v_addc_co_u32_e32 v17, vcc, 0, v19, vcc
	v_mul_lo_u32 v14, v11, v14
	v_add_co_u32_e32 v14, vcc, v15, v14
	v_addc_co_u32_e32 v15, vcc, 0, v17, vcc
	v_add_co_u32_e32 v1, vcc, v1, v14
	v_addc_co_u32_e32 v11, vcc, v11, v15, vcc
	v_mul_lo_u32 v14, s0, v11
	v_mul_hi_u32 v15, s0, v1
	v_add_u32_e32 v14, v15, v14
	v_mul_lo_u32 v15, s1, v1
	v_add_u32_e32 v14, v14, v15
	v_mul_lo_u32 v17, s0, v1
	v_mul_hi_u32 v18, v11, v17
	v_mul_lo_u32 v19, v11, v17
	v_mul_lo_u32 v21, v1, v14
	v_mul_hi_u32 v17, v1, v17
	v_mul_hi_u32 v20, v1, v14
	v_add_co_u32_e32 v17, vcc, v17, v21
	v_addc_co_u32_e32 v20, vcc, 0, v20, vcc
	v_add_co_u32_e32 v17, vcc, v17, v19
	v_mul_hi_u32 v15, v11, v14
	v_addc_co_u32_e32 v17, vcc, v20, v18, vcc
	v_addc_co_u32_e32 v15, vcc, 0, v15, vcc
	v_mul_lo_u32 v14, v11, v14
	v_add_co_u32_e32 v14, vcc, v17, v14
	v_addc_co_u32_e32 v15, vcc, 0, v15, vcc
	v_add_co_u32_e32 v1, vcc, v1, v14
	v_addc_co_u32_e32 v11, vcc, v11, v15, vcc
	v_mad_u64_u32 v[14:15], s[0:1], v12, v11, 0
	v_mul_hi_u32 v17, v12, v1
	v_add_co_u32_e32 v17, vcc, v17, v14
	v_addc_co_u32_e32 v20, vcc, 0, v15, vcc
	v_mad_u64_u32 v[18:19], s[0:1], v13, v1, 0
	v_add_co_u32_e32 v1, vcc, v17, v18
	v_mad_u64_u32 v[14:15], s[0:1], v13, v11, 0
	v_addc_co_u32_e32 v1, vcc, v20, v19, vcc
	v_addc_co_u32_e32 v11, vcc, 0, v15, vcc
	v_add_co_u32_e32 v1, vcc, v1, v14
	v_addc_co_u32_e32 v11, vcc, 0, v11, vcc
	v_mul_lo_u32 v17, s17, v1
	v_mul_lo_u32 v18, s16, v11
	v_mad_u64_u32 v[14:15], s[0:1], s16, v1, 0
	v_add3_u32 v15, v15, v18, v17
	v_sub_u32_e32 v17, v13, v15
	v_mov_b32_e32 v18, s17
	v_sub_co_u32_e32 v14, vcc, v12, v14
	v_subb_co_u32_e64 v17, s[0:1], v17, v18, vcc
	v_subrev_co_u32_e64 v18, s[0:1], s16, v14
	v_subbrev_co_u32_e64 v17, s[0:1], 0, v17, s[0:1]
	v_cmp_le_u32_e64 s[0:1], s17, v17
	v_cndmask_b32_e64 v19, 0, -1, s[0:1]
	v_cmp_le_u32_e64 s[0:1], s16, v18
	v_cndmask_b32_e64 v18, 0, -1, s[0:1]
	v_cmp_eq_u32_e64 s[0:1], s17, v17
	v_cndmask_b32_e64 v17, v19, v18, s[0:1]
	v_add_co_u32_e64 v18, s[0:1], 2, v1
	v_addc_co_u32_e64 v19, s[0:1], 0, v11, s[0:1]
	v_add_co_u32_e64 v20, s[0:1], 1, v1
	v_addc_co_u32_e64 v21, s[0:1], 0, v11, s[0:1]
	v_subb_co_u32_e32 v15, vcc, v13, v15, vcc
	v_cmp_ne_u32_e64 s[0:1], 0, v17
	v_cmp_le_u32_e32 vcc, s17, v15
	v_cndmask_b32_e64 v17, v21, v19, s[0:1]
	v_cndmask_b32_e64 v19, 0, -1, vcc
	v_cmp_le_u32_e32 vcc, s16, v14
	v_cndmask_b32_e64 v14, 0, -1, vcc
	v_cmp_eq_u32_e32 vcc, s17, v15
	v_cndmask_b32_e32 v14, v19, v14, vcc
	v_cmp_ne_u32_e32 vcc, 0, v14
	v_cndmask_b32_e32 v15, v11, v17, vcc
	v_cndmask_b32_e64 v11, v20, v18, s[0:1]
	v_cndmask_b32_e32 v14, v1, v11, vcc
.LBB30_13:                              ;   in Loop: Header=BB30_11 Depth=1
	s_andn2_saveexec_b64 s[0:1], s[18:19]
	s_cbranch_execz .LBB30_15
; %bb.14:                               ;   in Loop: Header=BB30_11 Depth=1
	v_cvt_f32_u32_e32 v1, s16
	s_sub_i32 s18, 0, s16
	v_rcp_iflag_f32_e32 v1, v1
	v_mul_f32_e32 v1, 0x4f7ffffe, v1
	v_cvt_u32_f32_e32 v1, v1
	v_mul_lo_u32 v11, s18, v1
	v_mul_hi_u32 v11, v1, v11
	v_add_u32_e32 v1, v1, v11
	v_mul_hi_u32 v1, v12, v1
	v_mul_lo_u32 v11, v1, s16
	v_sub_u32_e32 v11, v12, v11
	v_add_u32_e32 v14, 1, v1
	v_subrev_u32_e32 v15, s16, v11
	v_cmp_le_u32_e32 vcc, s16, v11
	v_cndmask_b32_e32 v11, v11, v15, vcc
	v_cndmask_b32_e32 v1, v1, v14, vcc
	v_add_u32_e32 v14, 1, v1
	v_cmp_le_u32_e32 vcc, s16, v11
	v_cndmask_b32_e32 v14, v1, v14, vcc
	v_mov_b32_e32 v15, v10
.LBB30_15:                              ;   in Loop: Header=BB30_11 Depth=1
	s_or_b64 exec, exec, s[0:1]
	v_mad_u64_u32 v[18:19], s[0:1], v14, s16, 0
	s_load_dwordx2 s[0:1], s[10:11], 0xc8
	v_mul_lo_u32 v1, v15, s16
	v_mul_lo_u32 v11, v14, s17
	v_add3_u32 v1, v19, v11, v1
	v_sub_co_u32_e32 v11, vcc, v12, v18
	s_add_i32 s20, s20, -1
	v_subb_co_u32_e32 v1, vcc, v13, v1, vcc
	s_add_u32 s10, s10, -8
	s_waitcnt lgkmcnt(0)
	v_mul_lo_u32 v1, s0, v1
	v_mul_lo_u32 v12, s1, v11
	v_mad_u64_u32 v[8:9], s[0:1], s0, v11, v[8:9]
	s_addc_u32 s11, s11, -1
	s_cmp_gt_u32 s20, 2
	v_add3_u32 v9, v12, v9, v1
	s_cbranch_scc0 .LBB30_17
; %bb.16:                               ;   in Loop: Header=BB30_11 Depth=1
	v_pk_mov_b32 v[12:13], v[14:15], v[14:15] op_sel:[0,1]
	s_branch .LBB30_11
.LBB30_17:
	v_mul_lo_u32 v1, s9, v6
	v_mul_lo_u32 v10, s8, v7
	v_mad_u64_u32 v[6:7], s[0:1], s8, v6, 0
	s_load_dwordx2 s[8:9], s[4:5], 0x358
	s_load_dwordx2 s[0:1], s[4:5], 0x288
	;; [unrolled: 1-line block ×4, first 2 shown]
	v_add3_u32 v7, v7, v10, v1
	v_cmp_gt_u64_e32 vcc, s[12:13], v[4:5]
	v_lshlrev_b64 v[6:7], 3, v[6:7]
	s_waitcnt lgkmcnt(0)
	v_mul_lo_u32 v1, s1, v14
	v_mul_lo_u32 v10, s0, v15
	v_mad_u64_u32 v[4:5], s[0:1], s0, v14, 0
	v_add3_u32 v5, v5, v10, v1
	v_mov_b32_e32 v1, s11
	v_add_co_u32_e64 v6, s[0:1], s10, v6
	v_addc_co_u32_e64 v1, s[0:1], v1, v7, s[0:1]
	v_lshlrev_b64 v[2:3], 3, v[2:3]
	v_add_co_u32_e64 v12, s[0:1], v6, v2
	v_addc_co_u32_e64 v13, s[0:1], v1, v3, s[0:1]
	v_lshlrev_b64 v[2:3], 3, v[4:5]
	v_mov_b32_e32 v1, s17
	v_add_co_u32_e64 v4, s[0:1], s16, v2
	s_load_dword s12, s[2:3], 0xc
	v_addc_co_u32_e64 v1, s[0:1], v1, v3, s[0:1]
	v_lshlrev_b64 v[2:3], 3, v[8:9]
	v_add_co_u32_e64 v10, s[0:1], v4, v2
	v_mov_b32_e32 v5, 0
	v_addc_co_u32_e64 v11, s[0:1], v1, v3, s[0:1]
	v_and_b32_e32 v6, 0x3ff, v0
	v_mov_b32_e32 v7, v5
	v_cmp_gt_u64_e64 s[0:1], s[14:15], v[6:7]
	v_pk_mov_b32 v[0:1], 0, 0
	s_and_b64 s[4:5], vcc, s[0:1]
	v_pk_mov_b32 v[2:3], v[0:1], v[0:1] op_sel:[0,1]
	v_pk_mov_b32 v[8:9], v[0:1], v[0:1] op_sel:[0,1]
	s_and_saveexec_b64 s[10:11], s[4:5]
	s_cbranch_execz .LBB30_19
; %bb.18:
	v_mad_u64_u32 v[2:3], s[2:3], v6, s6, 0
	v_mov_b32_e32 v4, v3
	v_mad_u64_u32 v[8:9], s[2:3], v6, s7, v[4:5]
	v_mov_b32_e32 v3, v8
	v_lshlrev_b64 v[2:3], 3, v[2:3]
	v_add_co_u32_e64 v2, s[2:3], v12, v2
	v_addc_co_u32_e64 v3, s[2:3], v13, v3, s[2:3]
	v_mad_u64_u32 v[8:9], s[2:3], v6, s8, 0
	v_mov_b32_e32 v4, v9
	v_mad_u64_u32 v[14:15], s[2:3], v6, s9, v[4:5]
	v_mov_b32_e32 v9, v14
	v_lshlrev_b64 v[8:9], 3, v[8:9]
	v_add_co_u32_e64 v8, s[2:3], v10, v8
	v_addc_co_u32_e64 v9, s[2:3], v11, v9, s[2:3]
	global_load_dwordx2 v[2:3], v[2:3], off
	s_nop 0
	global_load_dwordx2 v[8:9], v[8:9], off
.LBB30_19:
	s_or_b64 exec, exec, s[10:11]
	v_lshlrev_b32_e32 v21, 8, v16
	v_mov_b32_e32 v7, 0x2000
	v_lshlrev_b32_e32 v15, 3, v6
	v_lshl_add_u32 v20, v16, 5, v7
	v_add_u32_e32 v14, v21, v15
	s_waitcnt lgkmcnt(0)
	s_and_b32 s16, 0xffff, s12
	v_cndmask_b32_e64 v4, 0, 1, s[4:5]
	s_waitcnt vmcnt(1)
	ds_write_b64 v14, v[2:3]
	v_add_u32_e32 v2, v20, v6
	ds_write_b8 v2, v4
	v_add_u32_e32 v4, s16, v6
	v_add_u32_e32 v17, 0x1000, v21
	v_cmp_gt_u64_e64 s[2:3], s[14:15], v[4:5]
	v_add_u32_e32 v7, v17, v15
	s_and_b64 s[10:11], vcc, s[2:3]
	v_pk_mov_b32 v[2:3], v[0:1], v[0:1] op_sel:[0,1]
	s_waitcnt vmcnt(0)
	ds_write_b64 v7, v[8:9]
	s_and_saveexec_b64 s[12:13], s[10:11]
	s_cbranch_execz .LBB30_21
; %bb.20:
	v_mad_u64_u32 v[0:1], s[4:5], v4, s6, 0
	v_mov_b32_e32 v2, v1
	v_mad_u64_u32 v[2:3], s[4:5], v4, s7, v[2:3]
	v_mov_b32_e32 v1, v2
	v_lshlrev_b64 v[0:1], 3, v[0:1]
	v_add_co_u32_e64 v0, s[4:5], v12, v0
	v_addc_co_u32_e64 v1, s[4:5], v13, v1, s[4:5]
	v_mad_u64_u32 v[2:3], s[4:5], v4, s8, 0
	v_mov_b32_e32 v8, v3
	v_mad_u64_u32 v[8:9], s[4:5], v4, s9, v[8:9]
	v_mov_b32_e32 v3, v8
	v_lshlrev_b64 v[2:3], 3, v[2:3]
	v_add_co_u32_e64 v2, s[4:5], v10, v2
	v_addc_co_u32_e64 v3, s[4:5], v11, v3, s[4:5]
	global_load_dwordx2 v[0:1], v[0:1], off
	s_nop 0
	global_load_dwordx2 v[2:3], v[2:3], off
.LBB30_21:
	s_or_b64 exec, exec, s[12:13]
	s_lshl_b32 s4, s16, 3
	v_add_u32_e32 v8, s4, v14
	v_cndmask_b32_e64 v9, 0, 1, s[10:11]
	s_waitcnt vmcnt(1)
	ds_write_b64 v8, v[0:1]
	v_add_u32_e32 v0, v20, v4
	v_add_u32_e32 v5, s4, v7
	ds_write_b8 v0, v9
	v_add_u32_e32 v9, v14, v15
	s_waitcnt vmcnt(0)
	ds_write_b64 v5, v[2:3]
	s_waitcnt lgkmcnt(0)
	s_barrier
	ds_read_b128 v[0:3], v9
	v_lshlrev_b32_e32 v23, 1, v6
	s_mov_b32 s14, 1
	v_add_u32_e32 v16, v20, v23
	s_waitcnt lgkmcnt(0)
	v_cmp_ge_i64_e64 s[10:11], v[0:1], v[2:3]
	v_cmp_lt_i64_e64 s[4:5], v[0:1], v[2:3]
	s_and_saveexec_b64 s[12:13], s[4:5]
	s_xor_b64 s[12:13], exec, s[12:13]
	s_cbranch_execz .LBB30_23
; %bb.22:
	ds_read_u8 v18, v16
	s_andn2_b64 s[10:11], s[10:11], exec
	s_waitcnt lgkmcnt(0)
	v_and_b32_e32 v18, 1, v18
	v_cmp_eq_u32_e64 s[4:5], 1, v18
	s_xor_b64 s[4:5], s[4:5], -1
	s_and_b64 s[4:5], s[4:5], exec
	s_or_b64 s[10:11], s[10:11], s[4:5]
.LBB30_23:
	s_or_b64 exec, exec, s[12:13]
	v_mov_b32_e32 v19, s14
	s_and_saveexec_b64 s[4:5], s[10:11]
	s_cbranch_execz .LBB30_25
; %bb.24:
	ds_read_u8 v18, v16 offset:1
	s_waitcnt lgkmcnt(0)
	v_xor_b32_e32 v19, 1, v18
.LBB30_25:
	s_or_b64 exec, exec, s[4:5]
	v_and_b32_e32 v18, 1, v6
	v_cmp_eq_u32_e64 s[4:5], v19, v18
	s_and_saveexec_b64 s[10:11], s[4:5]
	s_cbranch_execz .LBB30_27
; %bb.26:
	v_add_u32_e32 v19, v7, v15
	ds_read_b128 v[28:31], v19
	ds_read_u16 v22, v16
	v_mov_b32_e32 v24, v2
	v_mov_b32_e32 v25, v3
	v_mov_b32_e32 v26, v0
	v_mov_b32_e32 v27, v1
	s_waitcnt lgkmcnt(1)
	v_mov_b32_e32 v0, v30
	v_mov_b32_e32 v1, v31
	;; [unrolled: 1-line block ×4, first 2 shown]
	s_mov_b32 s4, 0xc0c0001
	ds_write_b128 v19, v[0:3]
	s_waitcnt lgkmcnt(1)
	v_perm_b32 v0, 0, v22, s4
	ds_write_b128 v9, v[24:27]
	ds_write_b16 v16, v0
.LBB30_27:
	s_or_b64 exec, exec, s[10:11]
	v_sub_u32_e32 v22, v23, v18
	v_lshl_add_u32 v18, v22, 3, v21
	s_waitcnt lgkmcnt(0)
	s_barrier
	ds_read2_b64 v[0:3], v18 offset1:2
	s_mov_b64 s[10:11], -1
	v_add_u32_e32 v19, v20, v22
                                        ; implicit-def: $sgpr14
	s_waitcnt lgkmcnt(0)
	v_cmp_lt_i64_e64 s[4:5], v[0:1], v[2:3]
	s_and_saveexec_b64 s[12:13], s[4:5]
	s_xor_b64 s[12:13], exec, s[12:13]
	s_cbranch_execz .LBB30_29
; %bb.28:
	ds_read_u8 v24, v19
	s_mov_b32 s14, 1
	s_waitcnt lgkmcnt(0)
	v_and_b32_e32 v24, 1, v24
	v_cmp_eq_u32_e64 s[4:5], 1, v24
	s_xor_b64 s[4:5], s[4:5], -1
	s_orn2_b64 s[10:11], s[4:5], exec
.LBB30_29:
	s_or_b64 exec, exec, s[12:13]
	v_mov_b32_e32 v25, s14
	s_and_saveexec_b64 s[4:5], s[10:11]
	s_cbranch_execz .LBB30_31
; %bb.30:
	ds_read_u8 v24, v19 offset:2
	s_waitcnt lgkmcnt(0)
	v_xor_b32_e32 v25, 1, v24
.LBB30_31:
	s_or_b64 exec, exec, s[4:5]
	v_bfe_u32 v24, v6, 1, 1
	v_lshl_add_u32 v22, v22, 3, v17
	v_cmp_eq_u32_e64 s[4:5], v25, v24
	s_and_saveexec_b64 s[10:11], s[4:5]
	s_cbranch_execz .LBB30_33
; %bb.32:
	ds_read2_b64 v[26:29], v22 offset1:2
	ds_read_u8 v25, v19 offset:2
	ds_read_u8 v30, v19
	ds_write2_b64 v18, v[2:3], v[0:1] offset1:2
	s_waitcnt lgkmcnt(3)
	ds_write2_b64 v22, v[28:29], v[26:27] offset1:2
	s_waitcnt lgkmcnt(3)
	ds_write_b8 v19, v25
	s_waitcnt lgkmcnt(3)
	ds_write_b8 v19, v30 offset:2
.LBB30_33:
	s_or_b64 exec, exec, s[10:11]
	s_waitcnt lgkmcnt(0)
	s_barrier
	ds_read_b128 v[0:3], v9
                                        ; implicit-def: $sgpr14
	s_waitcnt lgkmcnt(0)
	v_cmp_ge_i64_e64 s[10:11], v[0:1], v[2:3]
	v_cmp_lt_i64_e64 s[4:5], v[0:1], v[2:3]
	s_and_saveexec_b64 s[12:13], s[4:5]
	s_cbranch_execnz .LBB30_100
; %bb.34:
	s_or_b64 exec, exec, s[12:13]
	v_mov_b32_e32 v25, s14
	s_and_saveexec_b64 s[4:5], s[10:11]
	s_cbranch_execnz .LBB30_101
.LBB30_35:
	s_or_b64 exec, exec, s[4:5]
	v_cmp_eq_u32_e64 s[4:5], v25, v24
	s_and_saveexec_b64 s[10:11], s[4:5]
	s_cbranch_execz .LBB30_37
.LBB30_36:
	v_add_u32_e32 v32, v7, v15
	v_mov_b32_e32 v24, v2
	v_mov_b32_e32 v25, v3
	ds_read_b128 v[28:31], v32
	v_mov_b32_e32 v26, v0
	v_mov_b32_e32 v27, v1
	ds_write_b128 v9, v[24:27]
	ds_read_u16 v24, v16
	s_waitcnt lgkmcnt(2)
	v_mov_b32_e32 v0, v30
	v_mov_b32_e32 v1, v31
	;; [unrolled: 1-line block ×4, first 2 shown]
	s_mov_b32 s4, 0xc0c0001
	ds_write_b128 v32, v[0:3]
	s_waitcnt lgkmcnt(1)
	v_perm_b32 v0, 0, v24, s4
	ds_write_b16 v16, v0
.LBB30_37:
	s_or_b64 exec, exec, s[10:11]
	v_and_b32_e32 v0, 3, v6
	v_sub_u32_e32 v26, v23, v0
	v_lshl_add_u32 v24, v26, 3, v21
	s_waitcnt lgkmcnt(0)
	s_barrier
	ds_read2_b64 v[0:3], v24 offset1:4
	v_add_u32_e32 v25, v20, v26
                                        ; implicit-def: $sgpr14
	s_waitcnt lgkmcnt(0)
	v_cmp_ge_i64_e64 s[10:11], v[0:1], v[2:3]
	v_cmp_lt_i64_e64 s[4:5], v[0:1], v[2:3]
	s_and_saveexec_b64 s[12:13], s[4:5]
	s_cbranch_execz .LBB30_39
; %bb.38:
	ds_read_u8 v27, v25
	s_andn2_b64 s[10:11], s[10:11], exec
	s_mov_b32 s14, 1
	s_waitcnt lgkmcnt(0)
	v_and_b32_e32 v27, 1, v27
	v_cmp_eq_u32_e64 s[4:5], 1, v27
	s_xor_b64 s[4:5], s[4:5], -1
	s_and_b64 s[4:5], s[4:5], exec
	s_or_b64 s[10:11], s[10:11], s[4:5]
.LBB30_39:
	s_or_b64 exec, exec, s[12:13]
	v_mov_b32_e32 v28, s14
	s_and_saveexec_b64 s[4:5], s[10:11]
	s_cbranch_execz .LBB30_41
; %bb.40:
	ds_read_u8 v27, v25 offset:4
	s_waitcnt lgkmcnt(0)
	v_xor_b32_e32 v28, 1, v27
.LBB30_41:
	s_or_b64 exec, exec, s[4:5]
	v_bfe_u32 v27, v6, 2, 1
	v_lshl_add_u32 v26, v26, 3, v17
	v_cmp_eq_u32_e64 s[4:5], v28, v27
	s_and_saveexec_b64 s[10:11], s[4:5]
	s_cbranch_execz .LBB30_43
; %bb.42:
	ds_read2_b64 v[28:31], v26 offset1:4
	ds_read_u8 v32, v25 offset:4
	ds_read_u8 v33, v25
	ds_write2_b64 v24, v[2:3], v[0:1] offset1:4
	s_waitcnt lgkmcnt(3)
	ds_write2_b64 v26, v[30:31], v[28:29] offset1:4
	s_waitcnt lgkmcnt(3)
	ds_write_b8 v25, v32
	s_waitcnt lgkmcnt(3)
	ds_write_b8 v25, v33 offset:4
.LBB30_43:
	s_or_b64 exec, exec, s[10:11]
	s_waitcnt lgkmcnt(0)
	s_barrier
	ds_read2_b64 v[0:3], v18 offset1:2
                                        ; implicit-def: $sgpr14
	s_waitcnt lgkmcnt(0)
	v_cmp_ge_i64_e64 s[10:11], v[0:1], v[2:3]
	v_cmp_lt_i64_e64 s[4:5], v[0:1], v[2:3]
	s_and_saveexec_b64 s[12:13], s[4:5]
	s_cbranch_execnz .LBB30_102
; %bb.44:
	s_or_b64 exec, exec, s[12:13]
	v_mov_b32_e32 v28, s14
	s_and_saveexec_b64 s[4:5], s[10:11]
	s_cbranch_execnz .LBB30_103
.LBB30_45:
	s_or_b64 exec, exec, s[4:5]
	v_cmp_eq_u32_e64 s[4:5], v28, v27
	s_and_saveexec_b64 s[10:11], s[4:5]
	s_cbranch_execz .LBB30_47
.LBB30_46:
	ds_read2_b64 v[28:31], v22 offset1:2
	ds_read_u8 v32, v19 offset:2
	ds_read_u8 v33, v19
	ds_write2_b64 v18, v[2:3], v[0:1] offset1:2
	s_waitcnt lgkmcnt(3)
	ds_write2_b64 v22, v[30:31], v[28:29] offset1:2
	s_waitcnt lgkmcnt(3)
	ds_write_b8 v19, v32
	s_waitcnt lgkmcnt(3)
	ds_write_b8 v19, v33 offset:2
.LBB30_47:
	s_or_b64 exec, exec, s[10:11]
	s_waitcnt lgkmcnt(0)
	s_barrier
	ds_read_b128 v[0:3], v9
                                        ; implicit-def: $sgpr14
	s_waitcnt lgkmcnt(0)
	v_cmp_ge_i64_e64 s[10:11], v[0:1], v[2:3]
	v_cmp_lt_i64_e64 s[4:5], v[0:1], v[2:3]
	s_and_saveexec_b64 s[12:13], s[4:5]
	s_cbranch_execnz .LBB30_104
; %bb.48:
	s_or_b64 exec, exec, s[12:13]
	v_mov_b32_e32 v28, s14
	s_and_saveexec_b64 s[4:5], s[10:11]
	s_cbranch_execnz .LBB30_105
.LBB30_49:
	s_or_b64 exec, exec, s[4:5]
	v_cmp_eq_u32_e64 s[4:5], v28, v27
	s_and_saveexec_b64 s[10:11], s[4:5]
	s_cbranch_execz .LBB30_51
.LBB30_50:
	v_add_u32_e32 v27, v7, v15
	v_mov_b32_e32 v28, v2
	v_mov_b32_e32 v29, v3
	ds_read_b128 v[32:35], v27
	v_mov_b32_e32 v30, v0
	v_mov_b32_e32 v31, v1
	ds_write_b128 v9, v[28:31]
	ds_read_u16 v28, v16
	s_waitcnt lgkmcnt(2)
	v_mov_b32_e32 v0, v34
	v_mov_b32_e32 v1, v35
	;; [unrolled: 1-line block ×4, first 2 shown]
	s_mov_b32 s4, 0xc0c0001
	ds_write_b128 v27, v[0:3]
	s_waitcnt lgkmcnt(1)
	v_perm_b32 v0, 0, v28, s4
	ds_write_b16 v16, v0
.LBB30_51:
	s_or_b64 exec, exec, s[10:11]
	v_and_b32_e32 v0, 7, v6
	v_sub_u32_e32 v29, v23, v0
	v_lshl_add_u32 v27, v29, 3, v21
	s_waitcnt lgkmcnt(0)
	s_barrier
	ds_read2_b64 v[0:3], v27 offset1:8
	v_add_u32_e32 v28, v20, v29
                                        ; implicit-def: $sgpr14
	s_waitcnt lgkmcnt(0)
	v_cmp_ge_i64_e64 s[10:11], v[0:1], v[2:3]
	v_cmp_lt_i64_e64 s[4:5], v[0:1], v[2:3]
	s_and_saveexec_b64 s[12:13], s[4:5]
	s_cbranch_execz .LBB30_53
; %bb.52:
	ds_read_u8 v30, v28
	s_andn2_b64 s[10:11], s[10:11], exec
	s_mov_b32 s14, 1
	s_waitcnt lgkmcnt(0)
	v_and_b32_e32 v30, 1, v30
	v_cmp_eq_u32_e64 s[4:5], 1, v30
	s_xor_b64 s[4:5], s[4:5], -1
	s_and_b64 s[4:5], s[4:5], exec
	s_or_b64 s[10:11], s[10:11], s[4:5]
.LBB30_53:
	s_or_b64 exec, exec, s[12:13]
	v_mov_b32_e32 v31, s14
	s_and_saveexec_b64 s[4:5], s[10:11]
	s_cbranch_execz .LBB30_55
; %bb.54:
	ds_read_u8 v30, v28 offset:8
	s_waitcnt lgkmcnt(0)
	v_xor_b32_e32 v31, 1, v30
.LBB30_55:
	s_or_b64 exec, exec, s[4:5]
	v_bfe_u32 v30, v6, 3, 1
	v_lshl_add_u32 v29, v29, 3, v17
	v_cmp_eq_u32_e64 s[4:5], v31, v30
	s_and_saveexec_b64 s[10:11], s[4:5]
	s_cbranch_execz .LBB30_57
; %bb.56:
	ds_read2_b64 v[32:35], v29 offset1:8
	ds_read_u8 v31, v28 offset:8
	ds_read_u8 v36, v28
	ds_write2_b64 v27, v[2:3], v[0:1] offset1:8
	s_waitcnt lgkmcnt(3)
	ds_write2_b64 v29, v[34:35], v[32:33] offset1:8
	s_waitcnt lgkmcnt(3)
	ds_write_b8 v28, v31
	s_waitcnt lgkmcnt(3)
	ds_write_b8 v28, v36 offset:8
.LBB30_57:
	s_or_b64 exec, exec, s[10:11]
	s_waitcnt lgkmcnt(0)
	s_barrier
	ds_read2_b64 v[0:3], v24 offset1:4
                                        ; implicit-def: $sgpr14
	s_waitcnt lgkmcnt(0)
	v_cmp_ge_i64_e64 s[10:11], v[0:1], v[2:3]
	v_cmp_lt_i64_e64 s[4:5], v[0:1], v[2:3]
	s_and_saveexec_b64 s[12:13], s[4:5]
	s_cbranch_execnz .LBB30_106
; %bb.58:
	s_or_b64 exec, exec, s[12:13]
	v_mov_b32_e32 v31, s14
	s_and_saveexec_b64 s[4:5], s[10:11]
	s_cbranch_execnz .LBB30_107
.LBB30_59:
	s_or_b64 exec, exec, s[4:5]
	v_cmp_eq_u32_e64 s[4:5], v31, v30
	s_and_saveexec_b64 s[10:11], s[4:5]
	s_cbranch_execz .LBB30_61
.LBB30_60:
	ds_read2_b64 v[32:35], v26 offset1:4
	ds_read_u8 v31, v25 offset:4
	ds_read_u8 v36, v25
	ds_write2_b64 v24, v[2:3], v[0:1] offset1:4
	s_waitcnt lgkmcnt(3)
	ds_write2_b64 v26, v[34:35], v[32:33] offset1:4
	s_waitcnt lgkmcnt(3)
	ds_write_b8 v25, v31
	s_waitcnt lgkmcnt(3)
	ds_write_b8 v25, v36 offset:4
.LBB30_61:
	s_or_b64 exec, exec, s[10:11]
	s_waitcnt lgkmcnt(0)
	s_barrier
	ds_read2_b64 v[0:3], v18 offset1:2
                                        ; implicit-def: $sgpr14
	s_waitcnt lgkmcnt(0)
	v_cmp_ge_i64_e64 s[10:11], v[0:1], v[2:3]
	v_cmp_lt_i64_e64 s[4:5], v[0:1], v[2:3]
	s_and_saveexec_b64 s[12:13], s[4:5]
	s_cbranch_execnz .LBB30_108
; %bb.62:
	s_or_b64 exec, exec, s[12:13]
	v_mov_b32_e32 v31, s14
	s_and_saveexec_b64 s[4:5], s[10:11]
	s_cbranch_execnz .LBB30_109
.LBB30_63:
	s_or_b64 exec, exec, s[4:5]
	v_cmp_eq_u32_e64 s[4:5], v31, v30
	s_and_saveexec_b64 s[10:11], s[4:5]
	s_cbranch_execz .LBB30_65
.LBB30_64:
	ds_read2_b64 v[32:35], v22 offset1:2
	ds_read_u8 v31, v19 offset:2
	ds_read_u8 v36, v19
	ds_write2_b64 v18, v[2:3], v[0:1] offset1:2
	s_waitcnt lgkmcnt(3)
	ds_write2_b64 v22, v[34:35], v[32:33] offset1:2
	s_waitcnt lgkmcnt(3)
	ds_write_b8 v19, v31
	s_waitcnt lgkmcnt(3)
	ds_write_b8 v19, v36 offset:2
.LBB30_65:
	s_or_b64 exec, exec, s[10:11]
	s_waitcnt lgkmcnt(0)
	s_barrier
	ds_read_b128 v[0:3], v9
                                        ; implicit-def: $sgpr14
	s_waitcnt lgkmcnt(0)
	v_cmp_ge_i64_e64 s[10:11], v[0:1], v[2:3]
	v_cmp_lt_i64_e64 s[4:5], v[0:1], v[2:3]
	s_and_saveexec_b64 s[12:13], s[4:5]
	s_cbranch_execnz .LBB30_110
; %bb.66:
	s_or_b64 exec, exec, s[12:13]
	v_mov_b32_e32 v31, s14
	s_and_saveexec_b64 s[4:5], s[10:11]
	s_cbranch_execnz .LBB30_111
.LBB30_67:
	s_or_b64 exec, exec, s[4:5]
	v_cmp_eq_u32_e64 s[4:5], v31, v30
	s_and_saveexec_b64 s[10:11], s[4:5]
	s_cbranch_execz .LBB30_69
.LBB30_68:
	v_add_u32_e32 v38, v7, v15
	v_mov_b32_e32 v30, v2
	v_mov_b32_e32 v31, v3
	ds_read_b128 v[34:37], v38
	v_mov_b32_e32 v32, v0
	v_mov_b32_e32 v33, v1
	ds_write_b128 v9, v[30:33]
	ds_read_u16 v30, v16
	s_waitcnt lgkmcnt(2)
	v_mov_b32_e32 v0, v36
	v_mov_b32_e32 v1, v37
	;; [unrolled: 1-line block ×4, first 2 shown]
	s_mov_b32 s4, 0xc0c0001
	ds_write_b128 v38, v[0:3]
	s_waitcnt lgkmcnt(1)
	v_perm_b32 v0, 0, v30, s4
	ds_write_b16 v16, v0
.LBB30_69:
	s_or_b64 exec, exec, s[10:11]
	v_and_b32_e32 v0, 15, v6
	v_sub_u32_e32 v23, v23, v0
	v_lshl_add_u32 v21, v23, 3, v21
	s_waitcnt lgkmcnt(0)
	s_barrier
	ds_read2_b64 v[0:3], v21 offset1:16
	v_add_u32_e32 v20, v20, v23
	s_waitcnt lgkmcnt(0)
	v_cmp_ge_i64_e64 s[12:13], v[0:1], v[2:3]
	v_cmp_lt_i64_e64 s[4:5], v[0:1], v[2:3]
	s_and_saveexec_b64 s[10:11], s[4:5]
	s_cbranch_execz .LBB30_71
; %bb.70:
	ds_read_u8 v30, v20
	s_andn2_b64 s[12:13], s[12:13], exec
	s_waitcnt lgkmcnt(0)
	v_and_b32_e32 v30, 1, v30
	v_cmp_eq_u32_e64 s[4:5], 1, v30
	s_xor_b64 s[4:5], s[4:5], -1
	s_and_b64 s[4:5], s[4:5], exec
	s_or_b64 s[12:13], s[12:13], s[4:5]
.LBB30_71:
	s_or_b64 exec, exec, s[10:11]
	s_and_saveexec_b64 s[10:11], s[12:13]
	s_cbranch_execz .LBB30_74
; %bb.72:
	ds_read_u8 v30, v20 offset:16
	s_waitcnt lgkmcnt(0)
	v_cmp_ne_u16_e64 s[4:5], 0, v30
	s_and_b64 exec, exec, s[4:5]
	s_cbranch_execz .LBB30_74
; %bb.73:
	v_lshl_add_u32 v17, v23, 3, v17
	ds_read2_b64 v[32:35], v17 offset1:16
	ds_read_u8 v23, v20
	ds_write2_b64 v21, v[2:3], v[0:1] offset1:16
	ds_write_b8 v20, v30
	s_waitcnt lgkmcnt(3)
	ds_write2_b64 v17, v[34:35], v[32:33] offset1:16
	s_waitcnt lgkmcnt(3)
	ds_write_b8 v20, v23 offset:16
.LBB30_74:
	s_or_b64 exec, exec, s[10:11]
	s_waitcnt lgkmcnt(0)
	s_barrier
	ds_read2_b64 v[0:3], v27 offset1:8
	s_waitcnt lgkmcnt(0)
	v_cmp_ge_i64_e64 s[12:13], v[0:1], v[2:3]
	v_cmp_lt_i64_e64 s[4:5], v[0:1], v[2:3]
	s_and_saveexec_b64 s[10:11], s[4:5]
	s_cbranch_execz .LBB30_76
; %bb.75:
	ds_read_u8 v17, v28
	s_andn2_b64 s[12:13], s[12:13], exec
	s_waitcnt lgkmcnt(0)
	v_and_b32_e32 v17, 1, v17
	v_cmp_eq_u32_e64 s[4:5], 1, v17
	s_xor_b64 s[4:5], s[4:5], -1
	s_and_b64 s[4:5], s[4:5], exec
	s_or_b64 s[12:13], s[12:13], s[4:5]
.LBB30_76:
	s_or_b64 exec, exec, s[10:11]
	s_and_saveexec_b64 s[10:11], s[12:13]
	s_cbranch_execz .LBB30_79
; %bb.77:
	ds_read_u8 v17, v28 offset:8
	s_waitcnt lgkmcnt(0)
	v_cmp_ne_u16_e64 s[4:5], 0, v17
	s_and_b64 exec, exec, s[4:5]
	s_cbranch_execz .LBB30_79
; %bb.78:
	ds_read2_b64 v[30:33], v29 offset1:8
	ds_read_u8 v20, v28
	ds_write2_b64 v27, v[2:3], v[0:1] offset1:8
	ds_write_b8 v28, v17
	s_waitcnt lgkmcnt(3)
	ds_write2_b64 v29, v[32:33], v[30:31] offset1:8
	s_waitcnt lgkmcnt(3)
	ds_write_b8 v28, v20 offset:8
.LBB30_79:
	s_or_b64 exec, exec, s[10:11]
	s_waitcnt lgkmcnt(0)
	s_barrier
	ds_read2_b64 v[0:3], v24 offset1:4
	s_waitcnt lgkmcnt(0)
	v_cmp_ge_i64_e64 s[12:13], v[0:1], v[2:3]
	v_cmp_lt_i64_e64 s[4:5], v[0:1], v[2:3]
	s_and_saveexec_b64 s[10:11], s[4:5]
	s_cbranch_execz .LBB30_81
; %bb.80:
	ds_read_u8 v17, v25
	s_andn2_b64 s[12:13], s[12:13], exec
	s_waitcnt lgkmcnt(0)
	v_and_b32_e32 v17, 1, v17
	v_cmp_eq_u32_e64 s[4:5], 1, v17
	s_xor_b64 s[4:5], s[4:5], -1
	s_and_b64 s[4:5], s[4:5], exec
	s_or_b64 s[12:13], s[12:13], s[4:5]
.LBB30_81:
	s_or_b64 exec, exec, s[10:11]
	s_and_saveexec_b64 s[10:11], s[12:13]
	s_cbranch_execz .LBB30_84
; %bb.82:
	ds_read_u8 v17, v25 offset:4
	s_waitcnt lgkmcnt(0)
	v_cmp_ne_u16_e64 s[4:5], 0, v17
	s_and_b64 exec, exec, s[4:5]
	s_cbranch_execz .LBB30_84
; %bb.83:
	ds_read2_b64 v[28:31], v26 offset1:4
	ds_read_u8 v20, v25
	ds_write2_b64 v24, v[2:3], v[0:1] offset1:4
	ds_write_b8 v25, v17
	s_waitcnt lgkmcnt(3)
	ds_write2_b64 v26, v[30:31], v[28:29] offset1:4
	s_waitcnt lgkmcnt(3)
	ds_write_b8 v25, v20 offset:4
.LBB30_84:
	;; [unrolled: 38-line block ×3, first 2 shown]
	s_or_b64 exec, exec, s[10:11]
	s_waitcnt lgkmcnt(0)
	s_barrier
	ds_read_b128 v[0:3], v9
	s_waitcnt lgkmcnt(0)
	v_cmp_ge_i64_e64 s[12:13], v[0:1], v[2:3]
	v_cmp_lt_i64_e64 s[4:5], v[0:1], v[2:3]
	s_and_saveexec_b64 s[10:11], s[4:5]
	s_cbranch_execz .LBB30_91
; %bb.90:
	ds_read_u8 v17, v16
	s_andn2_b64 s[12:13], s[12:13], exec
	s_waitcnt lgkmcnt(0)
	v_and_b32_e32 v17, 1, v17
	v_cmp_eq_u32_e64 s[4:5], 1, v17
	s_xor_b64 s[4:5], s[4:5], -1
	s_and_b64 s[4:5], s[4:5], exec
	s_or_b64 s[12:13], s[12:13], s[4:5]
.LBB30_91:
	s_or_b64 exec, exec, s[10:11]
	s_and_saveexec_b64 s[10:11], s[12:13]
	s_cbranch_execz .LBB30_94
; %bb.92:
	ds_read_u8 v17, v16 offset:1
	s_waitcnt lgkmcnt(0)
	v_cmp_ne_u16_e64 s[4:5], 0, v17
	s_and_b64 exec, exec, s[4:5]
	s_cbranch_execz .LBB30_94
; %bb.93:
	v_add_u32_e32 v15, v7, v15
	v_mov_b32_e32 v18, v2
	v_mov_b32_e32 v19, v3
	ds_read_b128 v[22:25], v15
	v_mov_b32_e32 v20, v0
	v_mov_b32_e32 v21, v1
	ds_write_b128 v9, v[18:21]
	ds_read_u8 v9, v16
	s_waitcnt lgkmcnt(2)
	v_mov_b32_e32 v0, v24
	v_mov_b32_e32 v1, v25
	;; [unrolled: 1-line block ×4, first 2 shown]
	ds_write_b128 v15, v[0:3]
	s_waitcnt lgkmcnt(1)
	v_lshlrev_b16_e32 v0, 8, v9
	v_or_b32_e32 v0, v17, v0
	ds_write_b16 v16, v0
.LBB30_94:
	s_or_b64 exec, exec, s[10:11]
	s_waitcnt lgkmcnt(0)
	s_barrier
	s_and_saveexec_b64 s[4:5], vcc
	s_cbranch_execz .LBB30_99
; %bb.95:
	s_and_saveexec_b64 s[4:5], s[0:1]
	s_cbranch_execz .LBB30_97
; %bb.96:
	v_mad_u64_u32 v[2:3], s[0:1], v6, s6, 0
	ds_read_b64 v[0:1], v14
	v_mov_b32_e32 v14, v3
	v_mad_u64_u32 v[14:15], s[0:1], v6, s7, v[14:15]
	v_mov_b32_e32 v3, v14
	v_lshlrev_b64 v[2:3], 3, v[2:3]
	v_add_co_u32_e32 v2, vcc, v12, v2
	v_addc_co_u32_e32 v3, vcc, v13, v3, vcc
	s_waitcnt lgkmcnt(0)
	global_store_dwordx2 v[2:3], v[0:1], off
	v_mad_u64_u32 v[0:1], s[0:1], v6, s8, 0
	v_mov_b32_e32 v2, v1
	ds_read_b64 v[14:15], v7
	v_mad_u64_u32 v[2:3], s[0:1], v6, s9, v[2:3]
	v_mov_b32_e32 v1, v2
	v_lshlrev_b64 v[0:1], 3, v[0:1]
	v_add_co_u32_e32 v0, vcc, v10, v0
	v_addc_co_u32_e32 v1, vcc, v11, v1, vcc
	s_waitcnt lgkmcnt(0)
	global_store_dwordx2 v[0:1], v[14:15], off
.LBB30_97:
	s_or_b64 exec, exec, s[4:5]
	s_and_b64 exec, exec, s[2:3]
	s_cbranch_execz .LBB30_99
; %bb.98:
	v_mad_u64_u32 v[2:3], s[0:1], v4, s6, 0
	v_mov_b32_e32 v6, v3
	ds_read_b64 v[0:1], v8
	v_mad_u64_u32 v[6:7], s[0:1], v4, s7, v[6:7]
	v_mov_b32_e32 v3, v6
	ds_read_b64 v[6:7], v5
	v_lshlrev_b64 v[2:3], 3, v[2:3]
	v_add_co_u32_e32 v2, vcc, v12, v2
	v_addc_co_u32_e32 v3, vcc, v13, v3, vcc
	s_waitcnt lgkmcnt(1)
	global_store_dwordx2 v[2:3], v[0:1], off
	v_mad_u64_u32 v[0:1], s[0:1], v4, s8, 0
	v_mov_b32_e32 v2, v1
	v_mad_u64_u32 v[2:3], s[0:1], v4, s9, v[2:3]
	v_mov_b32_e32 v1, v2
	v_lshlrev_b64 v[0:1], 3, v[0:1]
	v_add_co_u32_e32 v0, vcc, v10, v0
	v_addc_co_u32_e32 v1, vcc, v11, v1, vcc
	s_waitcnt lgkmcnt(0)
	global_store_dwordx2 v[0:1], v[6:7], off
.LBB30_99:
	s_endpgm
.LBB30_100:
	ds_read_u8 v25, v16
	s_andn2_b64 s[10:11], s[10:11], exec
	s_mov_b32 s14, 1
	s_waitcnt lgkmcnt(0)
	v_and_b32_e32 v25, 1, v25
	v_cmp_eq_u32_e64 s[4:5], 1, v25
	s_xor_b64 s[4:5], s[4:5], -1
	s_and_b64 s[4:5], s[4:5], exec
	s_or_b64 s[10:11], s[10:11], s[4:5]
	s_or_b64 exec, exec, s[12:13]
	v_mov_b32_e32 v25, s14
	s_and_saveexec_b64 s[4:5], s[10:11]
	s_cbranch_execz .LBB30_35
.LBB30_101:
	ds_read_u8 v25, v16 offset:1
	s_waitcnt lgkmcnt(0)
	v_xor_b32_e32 v25, 1, v25
	s_or_b64 exec, exec, s[4:5]
	v_cmp_eq_u32_e64 s[4:5], v25, v24
	s_and_saveexec_b64 s[10:11], s[4:5]
	s_cbranch_execnz .LBB30_36
	s_branch .LBB30_37
.LBB30_102:
	ds_read_u8 v28, v19
	s_andn2_b64 s[10:11], s[10:11], exec
	s_mov_b32 s14, 1
	s_waitcnt lgkmcnt(0)
	v_and_b32_e32 v28, 1, v28
	v_cmp_eq_u32_e64 s[4:5], 1, v28
	s_xor_b64 s[4:5], s[4:5], -1
	s_and_b64 s[4:5], s[4:5], exec
	s_or_b64 s[10:11], s[10:11], s[4:5]
	s_or_b64 exec, exec, s[12:13]
	v_mov_b32_e32 v28, s14
	s_and_saveexec_b64 s[4:5], s[10:11]
	s_cbranch_execz .LBB30_45
.LBB30_103:
	ds_read_u8 v28, v19 offset:2
	s_waitcnt lgkmcnt(0)
	v_xor_b32_e32 v28, 1, v28
	s_or_b64 exec, exec, s[4:5]
	v_cmp_eq_u32_e64 s[4:5], v28, v27
	s_and_saveexec_b64 s[10:11], s[4:5]
	s_cbranch_execnz .LBB30_46
	s_branch .LBB30_47
.LBB30_104:
	ds_read_u8 v28, v16
	s_andn2_b64 s[10:11], s[10:11], exec
	s_mov_b32 s14, 1
	s_waitcnt lgkmcnt(0)
	v_and_b32_e32 v28, 1, v28
	v_cmp_eq_u32_e64 s[4:5], 1, v28
	s_xor_b64 s[4:5], s[4:5], -1
	s_and_b64 s[4:5], s[4:5], exec
	s_or_b64 s[10:11], s[10:11], s[4:5]
	s_or_b64 exec, exec, s[12:13]
	v_mov_b32_e32 v28, s14
	s_and_saveexec_b64 s[4:5], s[10:11]
	s_cbranch_execz .LBB30_49
.LBB30_105:
	ds_read_u8 v28, v16 offset:1
	s_waitcnt lgkmcnt(0)
	v_xor_b32_e32 v28, 1, v28
	s_or_b64 exec, exec, s[4:5]
	v_cmp_eq_u32_e64 s[4:5], v28, v27
	s_and_saveexec_b64 s[10:11], s[4:5]
	s_cbranch_execnz .LBB30_50
	s_branch .LBB30_51
.LBB30_106:
	ds_read_u8 v31, v25
	s_andn2_b64 s[10:11], s[10:11], exec
	s_mov_b32 s14, 1
	s_waitcnt lgkmcnt(0)
	v_and_b32_e32 v31, 1, v31
	v_cmp_eq_u32_e64 s[4:5], 1, v31
	s_xor_b64 s[4:5], s[4:5], -1
	s_and_b64 s[4:5], s[4:5], exec
	s_or_b64 s[10:11], s[10:11], s[4:5]
	s_or_b64 exec, exec, s[12:13]
	v_mov_b32_e32 v31, s14
	s_and_saveexec_b64 s[4:5], s[10:11]
	s_cbranch_execz .LBB30_59
.LBB30_107:
	ds_read_u8 v31, v25 offset:4
	s_waitcnt lgkmcnt(0)
	v_xor_b32_e32 v31, 1, v31
	s_or_b64 exec, exec, s[4:5]
	v_cmp_eq_u32_e64 s[4:5], v31, v30
	s_and_saveexec_b64 s[10:11], s[4:5]
	s_cbranch_execnz .LBB30_60
	s_branch .LBB30_61
.LBB30_108:
	ds_read_u8 v31, v19
	s_andn2_b64 s[10:11], s[10:11], exec
	s_mov_b32 s14, 1
	s_waitcnt lgkmcnt(0)
	v_and_b32_e32 v31, 1, v31
	v_cmp_eq_u32_e64 s[4:5], 1, v31
	s_xor_b64 s[4:5], s[4:5], -1
	s_and_b64 s[4:5], s[4:5], exec
	s_or_b64 s[10:11], s[10:11], s[4:5]
	s_or_b64 exec, exec, s[12:13]
	v_mov_b32_e32 v31, s14
	s_and_saveexec_b64 s[4:5], s[10:11]
	s_cbranch_execz .LBB30_63
.LBB30_109:
	ds_read_u8 v31, v19 offset:2
	s_waitcnt lgkmcnt(0)
	v_xor_b32_e32 v31, 1, v31
	s_or_b64 exec, exec, s[4:5]
	v_cmp_eq_u32_e64 s[4:5], v31, v30
	s_and_saveexec_b64 s[10:11], s[4:5]
	s_cbranch_execnz .LBB30_64
	s_branch .LBB30_65
.LBB30_110:
	ds_read_u8 v31, v16
	s_andn2_b64 s[10:11], s[10:11], exec
	s_mov_b32 s14, 1
	s_waitcnt lgkmcnt(0)
	v_and_b32_e32 v31, 1, v31
	v_cmp_eq_u32_e64 s[4:5], 1, v31
	s_xor_b64 s[4:5], s[4:5], -1
	s_and_b64 s[4:5], s[4:5], exec
	s_or_b64 s[10:11], s[10:11], s[4:5]
	s_or_b64 exec, exec, s[12:13]
	v_mov_b32_e32 v31, s14
	s_and_saveexec_b64 s[4:5], s[10:11]
	s_cbranch_execz .LBB30_67
.LBB30_111:
	ds_read_u8 v31, v16 offset:1
	s_waitcnt lgkmcnt(0)
	v_xor_b32_e32 v31, 1, v31
	s_or_b64 exec, exec, s[4:5]
	v_cmp_eq_u32_e64 s[4:5], v31, v30
	s_and_saveexec_b64 s[10:11], s[4:5]
	s_cbranch_execnz .LBB30_68
	s_branch .LBB30_69
	.section	.rodata,"a",@progbits
	.p2align	6, 0x0
	.amdhsa_kernel _ZN2at6native20bitonicSortKVInPlaceILin1ELin1ELi16ELi16EllNS0_4LTOpIlLb1EEEmEEvNS_4cuda6detail10TensorInfoIT3_T6_EES8_S8_S8_NS6_IT4_S8_EES8_T5_
		.amdhsa_group_segment_fixed_size 8704
		.amdhsa_private_segment_fixed_size 0
		.amdhsa_kernarg_size 1128
		.amdhsa_user_sgpr_count 6
		.amdhsa_user_sgpr_private_segment_buffer 1
		.amdhsa_user_sgpr_dispatch_ptr 0
		.amdhsa_user_sgpr_queue_ptr 0
		.amdhsa_user_sgpr_kernarg_segment_ptr 1
		.amdhsa_user_sgpr_dispatch_id 0
		.amdhsa_user_sgpr_flat_scratch_init 0
		.amdhsa_user_sgpr_kernarg_preload_length 0
		.amdhsa_user_sgpr_kernarg_preload_offset 0
		.amdhsa_user_sgpr_private_segment_size 0
		.amdhsa_uses_dynamic_stack 0
		.amdhsa_system_sgpr_private_segment_wavefront_offset 0
		.amdhsa_system_sgpr_workgroup_id_x 1
		.amdhsa_system_sgpr_workgroup_id_y 1
		.amdhsa_system_sgpr_workgroup_id_z 1
		.amdhsa_system_sgpr_workgroup_info 0
		.amdhsa_system_vgpr_workitem_id 1
		.amdhsa_next_free_vgpr 39
		.amdhsa_next_free_sgpr 21
		.amdhsa_accum_offset 40
		.amdhsa_reserve_vcc 1
		.amdhsa_reserve_flat_scratch 0
		.amdhsa_float_round_mode_32 0
		.amdhsa_float_round_mode_16_64 0
		.amdhsa_float_denorm_mode_32 3
		.amdhsa_float_denorm_mode_16_64 3
		.amdhsa_dx10_clamp 1
		.amdhsa_ieee_mode 1
		.amdhsa_fp16_overflow 0
		.amdhsa_tg_split 0
		.amdhsa_exception_fp_ieee_invalid_op 0
		.amdhsa_exception_fp_denorm_src 0
		.amdhsa_exception_fp_ieee_div_zero 0
		.amdhsa_exception_fp_ieee_overflow 0
		.amdhsa_exception_fp_ieee_underflow 0
		.amdhsa_exception_fp_ieee_inexact 0
		.amdhsa_exception_int_div_zero 0
	.end_amdhsa_kernel
	.section	.text._ZN2at6native20bitonicSortKVInPlaceILin1ELin1ELi16ELi16EllNS0_4LTOpIlLb1EEEmEEvNS_4cuda6detail10TensorInfoIT3_T6_EES8_S8_S8_NS6_IT4_S8_EES8_T5_,"axG",@progbits,_ZN2at6native20bitonicSortKVInPlaceILin1ELin1ELi16ELi16EllNS0_4LTOpIlLb1EEEmEEvNS_4cuda6detail10TensorInfoIT3_T6_EES8_S8_S8_NS6_IT4_S8_EES8_T5_,comdat
.Lfunc_end30:
	.size	_ZN2at6native20bitonicSortKVInPlaceILin1ELin1ELi16ELi16EllNS0_4LTOpIlLb1EEEmEEvNS_4cuda6detail10TensorInfoIT3_T6_EES8_S8_S8_NS6_IT4_S8_EES8_T5_, .Lfunc_end30-_ZN2at6native20bitonicSortKVInPlaceILin1ELin1ELi16ELi16EllNS0_4LTOpIlLb1EEEmEEvNS_4cuda6detail10TensorInfoIT3_T6_EES8_S8_S8_NS6_IT4_S8_EES8_T5_
                                        ; -- End function
	.section	.AMDGPU.csdata,"",@progbits
; Kernel info:
; codeLenInByte = 6604
; NumSgprs: 25
; NumVgprs: 39
; NumAgprs: 0
; TotalNumVgprs: 39
; ScratchSize: 0
; MemoryBound: 0
; FloatMode: 240
; IeeeMode: 1
; LDSByteSize: 8704 bytes/workgroup (compile time only)
; SGPRBlocks: 3
; VGPRBlocks: 4
; NumSGPRsForWavesPerEU: 25
; NumVGPRsForWavesPerEU: 39
; AccumOffset: 40
; Occupancy: 7
; WaveLimiterHint : 1
; COMPUTE_PGM_RSRC2:SCRATCH_EN: 0
; COMPUTE_PGM_RSRC2:USER_SGPR: 6
; COMPUTE_PGM_RSRC2:TRAP_HANDLER: 0
; COMPUTE_PGM_RSRC2:TGID_X_EN: 1
; COMPUTE_PGM_RSRC2:TGID_Y_EN: 1
; COMPUTE_PGM_RSRC2:TGID_Z_EN: 1
; COMPUTE_PGM_RSRC2:TIDIG_COMP_CNT: 1
; COMPUTE_PGM_RSRC3_GFX90A:ACCUM_OFFSET: 9
; COMPUTE_PGM_RSRC3_GFX90A:TG_SPLIT: 0
	.section	.text._ZN2at6native20bitonicSortKVInPlaceILin1ELin1ELi16ELi16EllNS0_4GTOpIlLb1EEEmEEvNS_4cuda6detail10TensorInfoIT3_T6_EES8_S8_S8_NS6_IT4_S8_EES8_T5_,"axG",@progbits,_ZN2at6native20bitonicSortKVInPlaceILin1ELin1ELi16ELi16EllNS0_4GTOpIlLb1EEEmEEvNS_4cuda6detail10TensorInfoIT3_T6_EES8_S8_S8_NS6_IT4_S8_EES8_T5_,comdat
	.protected	_ZN2at6native20bitonicSortKVInPlaceILin1ELin1ELi16ELi16EllNS0_4GTOpIlLb1EEEmEEvNS_4cuda6detail10TensorInfoIT3_T6_EES8_S8_S8_NS6_IT4_S8_EES8_T5_ ; -- Begin function _ZN2at6native20bitonicSortKVInPlaceILin1ELin1ELi16ELi16EllNS0_4GTOpIlLb1EEEmEEvNS_4cuda6detail10TensorInfoIT3_T6_EES8_S8_S8_NS6_IT4_S8_EES8_T5_
	.globl	_ZN2at6native20bitonicSortKVInPlaceILin1ELin1ELi16ELi16EllNS0_4GTOpIlLb1EEEmEEvNS_4cuda6detail10TensorInfoIT3_T6_EES8_S8_S8_NS6_IT4_S8_EES8_T5_
	.p2align	8
	.type	_ZN2at6native20bitonicSortKVInPlaceILin1ELin1ELi16ELi16EllNS0_4GTOpIlLb1EEEmEEvNS_4cuda6detail10TensorInfoIT3_T6_EES8_S8_S8_NS6_IT4_S8_EES8_T5_,@function
_ZN2at6native20bitonicSortKVInPlaceILin1ELin1ELi16ELi16EllNS0_4GTOpIlLb1EEEmEEvNS_4cuda6detail10TensorInfoIT3_T6_EES8_S8_S8_NS6_IT4_S8_EES8_T5_: ; @_ZN2at6native20bitonicSortKVInPlaceILin1ELin1ELi16ELi16EllNS0_4GTOpIlLb1EEEmEEvNS_4cuda6detail10TensorInfoIT3_T6_EES8_S8_S8_NS6_IT4_S8_EES8_T5_
; %bb.0:
	s_load_dwordx2 s[0:1], s[4:5], 0x368
	s_load_dwordx4 s[12:15], s[4:5], 0x1a0
	s_load_dword s9, s[4:5], 0x374
	s_add_u32 s2, s4, 0x368
	s_addc_u32 s3, s5, 0
	s_waitcnt lgkmcnt(0)
	s_mul_i32 s1, s1, s8
	s_add_i32 s1, s1, s7
	s_mul_i32 s0, s1, s0
	s_add_i32 s0, s0, s6
	s_lshr_b32 s6, s9, 16
	s_mul_hi_u32 s1, s0, s6
	s_mul_i32 s0, s0, s6
	v_pk_mov_b32 v[2:3], s[12:13], s[12:13] op_sel:[0,1]
	v_cmp_ge_u64_e32 vcc, s[0:1], v[2:3]
	s_cbranch_vccnz .LBB31_99
; %bb.1:
	v_mov_b32_e32 v1, s1
	s_load_dwordx2 s[6:7], s[4:5], 0x1b0
	s_load_dword s1, s[4:5], 0x198
	v_bfe_u32 v16, v0, 10, 10
	v_add_co_u32_e32 v4, vcc, s0, v16
	v_addc_co_u32_e32 v5, vcc, 0, v1, vcc
	v_mov_b32_e32 v8, 0
	s_waitcnt lgkmcnt(0)
	s_cmp_lt_i32 s1, 2
	v_pk_mov_b32 v[2:3], 0, 0
	v_pk_mov_b32 v[6:7], v[4:5], v[4:5] op_sel:[0,1]
	s_cbranch_scc1 .LBB31_9
; %bb.2:
	s_add_i32 s18, s1, 1
	s_add_i32 s0, s1, -1
	s_mov_b32 s1, 0
	s_lshl_b64 s[0:1], s[0:1], 3
	s_add_u32 s0, s0, s4
	s_addc_u32 s1, s1, s5
	s_add_u32 s8, s0, 8
	s_addc_u32 s9, s1, 0
	v_pk_mov_b32 v[2:3], 0, 0
	v_pk_mov_b32 v[10:11], v[4:5], v[4:5] op_sel:[0,1]
.LBB31_3:                               ; =>This Inner Loop Header: Depth=1
	s_load_dwordx2 s[10:11], s[8:9], 0x0
                                        ; implicit-def: $vgpr6_vgpr7
	s_waitcnt lgkmcnt(0)
	v_or_b32_e32 v9, s11, v11
	v_cmp_ne_u64_e32 vcc, 0, v[8:9]
	s_and_saveexec_b64 s[0:1], vcc
	s_xor_b64 s[16:17], exec, s[0:1]
	s_cbranch_execz .LBB31_5
; %bb.4:                                ;   in Loop: Header=BB31_3 Depth=1
	v_cvt_f32_u32_e32 v1, s10
	v_cvt_f32_u32_e32 v6, s11
	s_sub_u32 s0, 0, s10
	s_subb_u32 s1, 0, s11
	v_mac_f32_e32 v1, 0x4f800000, v6
	v_rcp_f32_e32 v1, v1
	v_mul_f32_e32 v1, 0x5f7ffffc, v1
	v_mul_f32_e32 v6, 0x2f800000, v1
	v_trunc_f32_e32 v6, v6
	v_mac_f32_e32 v1, 0xcf800000, v6
	v_cvt_u32_f32_e32 v6, v6
	v_cvt_u32_f32_e32 v1, v1
	v_mul_lo_u32 v7, s0, v6
	v_mul_hi_u32 v12, s0, v1
	v_mul_lo_u32 v9, s1, v1
	v_add_u32_e32 v7, v12, v7
	v_mul_lo_u32 v13, s0, v1
	v_add_u32_e32 v7, v7, v9
	v_mul_hi_u32 v12, v1, v13
	v_mul_lo_u32 v14, v1, v7
	v_mul_hi_u32 v9, v1, v7
	v_add_co_u32_e32 v12, vcc, v12, v14
	v_addc_co_u32_e32 v9, vcc, 0, v9, vcc
	v_mul_hi_u32 v15, v6, v13
	v_mul_lo_u32 v13, v6, v13
	v_add_co_u32_e32 v12, vcc, v12, v13
	v_mul_hi_u32 v14, v6, v7
	v_addc_co_u32_e32 v9, vcc, v9, v15, vcc
	v_addc_co_u32_e32 v12, vcc, 0, v14, vcc
	v_mul_lo_u32 v7, v6, v7
	v_add_co_u32_e32 v7, vcc, v9, v7
	v_addc_co_u32_e32 v9, vcc, 0, v12, vcc
	v_add_co_u32_e32 v1, vcc, v1, v7
	v_addc_co_u32_e32 v6, vcc, v6, v9, vcc
	v_mul_lo_u32 v7, s0, v6
	v_mul_hi_u32 v9, s0, v1
	v_add_u32_e32 v7, v9, v7
	v_mul_lo_u32 v9, s1, v1
	v_add_u32_e32 v7, v7, v9
	v_mul_lo_u32 v12, s0, v1
	v_mul_hi_u32 v13, v6, v12
	v_mul_lo_u32 v14, v6, v12
	v_mul_lo_u32 v17, v1, v7
	v_mul_hi_u32 v12, v1, v12
	v_mul_hi_u32 v15, v1, v7
	v_add_co_u32_e32 v12, vcc, v12, v17
	v_addc_co_u32_e32 v15, vcc, 0, v15, vcc
	v_add_co_u32_e32 v12, vcc, v12, v14
	v_mul_hi_u32 v9, v6, v7
	v_addc_co_u32_e32 v12, vcc, v15, v13, vcc
	v_addc_co_u32_e32 v9, vcc, 0, v9, vcc
	v_mul_lo_u32 v7, v6, v7
	v_add_co_u32_e32 v7, vcc, v12, v7
	v_addc_co_u32_e32 v9, vcc, 0, v9, vcc
	v_add_co_u32_e32 v1, vcc, v1, v7
	v_addc_co_u32_e32 v9, vcc, v6, v9, vcc
	v_mad_u64_u32 v[6:7], s[0:1], v10, v9, 0
	v_mul_hi_u32 v12, v10, v1
	v_add_co_u32_e32 v14, vcc, v12, v6
	v_addc_co_u32_e32 v15, vcc, 0, v7, vcc
	v_mad_u64_u32 v[12:13], s[0:1], v11, v1, 0
	v_add_co_u32_e32 v1, vcc, v14, v12
	v_mad_u64_u32 v[6:7], s[0:1], v11, v9, 0
	v_addc_co_u32_e32 v1, vcc, v15, v13, vcc
	v_addc_co_u32_e32 v7, vcc, 0, v7, vcc
	v_add_co_u32_e32 v1, vcc, v1, v6
	v_addc_co_u32_e32 v9, vcc, 0, v7, vcc
	v_mul_lo_u32 v12, s11, v1
	v_mul_lo_u32 v13, s10, v9
	v_mad_u64_u32 v[6:7], s[0:1], s10, v1, 0
	v_add3_u32 v7, v7, v13, v12
	v_sub_u32_e32 v12, v11, v7
	v_mov_b32_e32 v13, s11
	v_sub_co_u32_e32 v6, vcc, v10, v6
	v_subb_co_u32_e64 v12, s[0:1], v12, v13, vcc
	v_subrev_co_u32_e64 v13, s[0:1], s10, v6
	v_subbrev_co_u32_e64 v12, s[0:1], 0, v12, s[0:1]
	v_cmp_le_u32_e64 s[0:1], s11, v12
	v_cndmask_b32_e64 v14, 0, -1, s[0:1]
	v_cmp_le_u32_e64 s[0:1], s10, v13
	v_cndmask_b32_e64 v13, 0, -1, s[0:1]
	v_cmp_eq_u32_e64 s[0:1], s11, v12
	v_cndmask_b32_e64 v12, v14, v13, s[0:1]
	v_add_co_u32_e64 v13, s[0:1], 2, v1
	v_addc_co_u32_e64 v14, s[0:1], 0, v9, s[0:1]
	v_add_co_u32_e64 v15, s[0:1], 1, v1
	v_addc_co_u32_e64 v17, s[0:1], 0, v9, s[0:1]
	v_subb_co_u32_e32 v7, vcc, v11, v7, vcc
	v_cmp_ne_u32_e64 s[0:1], 0, v12
	v_cmp_le_u32_e32 vcc, s11, v7
	v_cndmask_b32_e64 v12, v17, v14, s[0:1]
	v_cndmask_b32_e64 v14, 0, -1, vcc
	v_cmp_le_u32_e32 vcc, s10, v6
	v_cndmask_b32_e64 v6, 0, -1, vcc
	v_cmp_eq_u32_e32 vcc, s11, v7
	v_cndmask_b32_e32 v6, v14, v6, vcc
	v_cmp_ne_u32_e32 vcc, 0, v6
	v_cndmask_b32_e64 v6, v15, v13, s[0:1]
	v_cndmask_b32_e32 v7, v9, v12, vcc
	v_cndmask_b32_e32 v6, v1, v6, vcc
.LBB31_5:                               ;   in Loop: Header=BB31_3 Depth=1
	s_andn2_saveexec_b64 s[0:1], s[16:17]
	s_cbranch_execz .LBB31_7
; %bb.6:                                ;   in Loop: Header=BB31_3 Depth=1
	v_cvt_f32_u32_e32 v1, s10
	s_sub_i32 s16, 0, s10
	v_rcp_iflag_f32_e32 v1, v1
	v_mul_f32_e32 v1, 0x4f7ffffe, v1
	v_cvt_u32_f32_e32 v1, v1
	v_mul_lo_u32 v6, s16, v1
	v_mul_hi_u32 v6, v1, v6
	v_add_u32_e32 v1, v1, v6
	v_mul_hi_u32 v1, v10, v1
	v_mul_lo_u32 v6, v1, s10
	v_sub_u32_e32 v6, v10, v6
	v_add_u32_e32 v7, 1, v1
	v_subrev_u32_e32 v9, s10, v6
	v_cmp_le_u32_e32 vcc, s10, v6
	v_cndmask_b32_e32 v6, v6, v9, vcc
	v_cndmask_b32_e32 v1, v1, v7, vcc
	v_add_u32_e32 v7, 1, v1
	v_cmp_le_u32_e32 vcc, s10, v6
	v_cndmask_b32_e32 v6, v1, v7, vcc
	v_mov_b32_e32 v7, v8
.LBB31_7:                               ;   in Loop: Header=BB31_3 Depth=1
	s_or_b64 exec, exec, s[0:1]
	v_mad_u64_u32 v[12:13], s[0:1], v6, s10, 0
	s_load_dwordx2 s[0:1], s[8:9], 0xc8
	v_mul_lo_u32 v1, v7, s10
	v_mul_lo_u32 v9, v6, s11
	v_add3_u32 v1, v13, v9, v1
	v_sub_co_u32_e32 v9, vcc, v10, v12
	s_add_i32 s18, s18, -1
	v_subb_co_u32_e32 v1, vcc, v11, v1, vcc
	s_add_u32 s8, s8, -8
	s_waitcnt lgkmcnt(0)
	v_mul_lo_u32 v1, s0, v1
	v_mul_lo_u32 v10, s1, v9
	v_mad_u64_u32 v[2:3], s[0:1], s0, v9, v[2:3]
	s_addc_u32 s9, s9, -1
	s_cmp_gt_u32 s18, 2
	v_add3_u32 v3, v10, v3, v1
	s_cbranch_scc0 .LBB31_9
; %bb.8:                                ;   in Loop: Header=BB31_3 Depth=1
	v_pk_mov_b32 v[10:11], v[6:7], v[6:7] op_sel:[0,1]
	s_branch .LBB31_3
.LBB31_9:
	s_load_dword s0, s[4:5], 0x350
	s_load_dwordx2 s[8:9], s[4:5], 0xd0
	v_pk_mov_b32 v[8:9], 0, 0
	v_pk_mov_b32 v[14:15], v[4:5], v[4:5] op_sel:[0,1]
	s_waitcnt lgkmcnt(0)
	s_cmp_lt_i32 s0, 2
	s_cbranch_scc1 .LBB31_17
; %bb.10:
	s_add_i32 s20, s0, 1
	s_add_i32 s0, s0, -1
	s_mov_b32 s1, 0
	s_lshl_b64 s[0:1], s[0:1], 3
	s_add_u32 s0, s0, s4
	s_addc_u32 s1, s1, s5
	s_add_u32 s10, s0, 0x1c0
	s_addc_u32 s11, s1, 0
	v_pk_mov_b32 v[8:9], 0, 0
	v_mov_b32_e32 v10, 0
	v_pk_mov_b32 v[12:13], v[4:5], v[4:5] op_sel:[0,1]
.LBB31_11:                              ; =>This Inner Loop Header: Depth=1
	s_load_dwordx2 s[16:17], s[10:11], 0x0
                                        ; implicit-def: $vgpr14_vgpr15
	s_waitcnt lgkmcnt(0)
	v_or_b32_e32 v11, s17, v13
	v_cmp_ne_u64_e32 vcc, 0, v[10:11]
	s_and_saveexec_b64 s[0:1], vcc
	s_xor_b64 s[18:19], exec, s[0:1]
	s_cbranch_execz .LBB31_13
; %bb.12:                               ;   in Loop: Header=BB31_11 Depth=1
	v_cvt_f32_u32_e32 v1, s16
	v_cvt_f32_u32_e32 v11, s17
	s_sub_u32 s0, 0, s16
	s_subb_u32 s1, 0, s17
	v_mac_f32_e32 v1, 0x4f800000, v11
	v_rcp_f32_e32 v1, v1
	v_mul_f32_e32 v1, 0x5f7ffffc, v1
	v_mul_f32_e32 v11, 0x2f800000, v1
	v_trunc_f32_e32 v11, v11
	v_mac_f32_e32 v1, 0xcf800000, v11
	v_cvt_u32_f32_e32 v11, v11
	v_cvt_u32_f32_e32 v1, v1
	v_mul_lo_u32 v14, s0, v11
	v_mul_hi_u32 v17, s0, v1
	v_mul_lo_u32 v15, s1, v1
	v_add_u32_e32 v14, v17, v14
	v_mul_lo_u32 v18, s0, v1
	v_add_u32_e32 v14, v14, v15
	v_mul_hi_u32 v17, v1, v18
	v_mul_lo_u32 v19, v1, v14
	v_mul_hi_u32 v15, v1, v14
	v_add_co_u32_e32 v17, vcc, v17, v19
	v_addc_co_u32_e32 v15, vcc, 0, v15, vcc
	v_mul_hi_u32 v20, v11, v18
	v_mul_lo_u32 v18, v11, v18
	v_add_co_u32_e32 v17, vcc, v17, v18
	v_mul_hi_u32 v19, v11, v14
	v_addc_co_u32_e32 v15, vcc, v15, v20, vcc
	v_addc_co_u32_e32 v17, vcc, 0, v19, vcc
	v_mul_lo_u32 v14, v11, v14
	v_add_co_u32_e32 v14, vcc, v15, v14
	v_addc_co_u32_e32 v15, vcc, 0, v17, vcc
	v_add_co_u32_e32 v1, vcc, v1, v14
	v_addc_co_u32_e32 v11, vcc, v11, v15, vcc
	v_mul_lo_u32 v14, s0, v11
	v_mul_hi_u32 v15, s0, v1
	v_add_u32_e32 v14, v15, v14
	v_mul_lo_u32 v15, s1, v1
	v_add_u32_e32 v14, v14, v15
	v_mul_lo_u32 v17, s0, v1
	v_mul_hi_u32 v18, v11, v17
	v_mul_lo_u32 v19, v11, v17
	v_mul_lo_u32 v21, v1, v14
	v_mul_hi_u32 v17, v1, v17
	v_mul_hi_u32 v20, v1, v14
	v_add_co_u32_e32 v17, vcc, v17, v21
	v_addc_co_u32_e32 v20, vcc, 0, v20, vcc
	v_add_co_u32_e32 v17, vcc, v17, v19
	v_mul_hi_u32 v15, v11, v14
	v_addc_co_u32_e32 v17, vcc, v20, v18, vcc
	v_addc_co_u32_e32 v15, vcc, 0, v15, vcc
	v_mul_lo_u32 v14, v11, v14
	v_add_co_u32_e32 v14, vcc, v17, v14
	v_addc_co_u32_e32 v15, vcc, 0, v15, vcc
	v_add_co_u32_e32 v1, vcc, v1, v14
	v_addc_co_u32_e32 v11, vcc, v11, v15, vcc
	v_mad_u64_u32 v[14:15], s[0:1], v12, v11, 0
	v_mul_hi_u32 v17, v12, v1
	v_add_co_u32_e32 v17, vcc, v17, v14
	v_addc_co_u32_e32 v20, vcc, 0, v15, vcc
	v_mad_u64_u32 v[18:19], s[0:1], v13, v1, 0
	v_add_co_u32_e32 v1, vcc, v17, v18
	v_mad_u64_u32 v[14:15], s[0:1], v13, v11, 0
	v_addc_co_u32_e32 v1, vcc, v20, v19, vcc
	v_addc_co_u32_e32 v11, vcc, 0, v15, vcc
	v_add_co_u32_e32 v1, vcc, v1, v14
	v_addc_co_u32_e32 v11, vcc, 0, v11, vcc
	v_mul_lo_u32 v17, s17, v1
	v_mul_lo_u32 v18, s16, v11
	v_mad_u64_u32 v[14:15], s[0:1], s16, v1, 0
	v_add3_u32 v15, v15, v18, v17
	v_sub_u32_e32 v17, v13, v15
	v_mov_b32_e32 v18, s17
	v_sub_co_u32_e32 v14, vcc, v12, v14
	v_subb_co_u32_e64 v17, s[0:1], v17, v18, vcc
	v_subrev_co_u32_e64 v18, s[0:1], s16, v14
	v_subbrev_co_u32_e64 v17, s[0:1], 0, v17, s[0:1]
	v_cmp_le_u32_e64 s[0:1], s17, v17
	v_cndmask_b32_e64 v19, 0, -1, s[0:1]
	v_cmp_le_u32_e64 s[0:1], s16, v18
	v_cndmask_b32_e64 v18, 0, -1, s[0:1]
	v_cmp_eq_u32_e64 s[0:1], s17, v17
	v_cndmask_b32_e64 v17, v19, v18, s[0:1]
	v_add_co_u32_e64 v18, s[0:1], 2, v1
	v_addc_co_u32_e64 v19, s[0:1], 0, v11, s[0:1]
	v_add_co_u32_e64 v20, s[0:1], 1, v1
	v_addc_co_u32_e64 v21, s[0:1], 0, v11, s[0:1]
	v_subb_co_u32_e32 v15, vcc, v13, v15, vcc
	v_cmp_ne_u32_e64 s[0:1], 0, v17
	v_cmp_le_u32_e32 vcc, s17, v15
	v_cndmask_b32_e64 v17, v21, v19, s[0:1]
	v_cndmask_b32_e64 v19, 0, -1, vcc
	v_cmp_le_u32_e32 vcc, s16, v14
	v_cndmask_b32_e64 v14, 0, -1, vcc
	v_cmp_eq_u32_e32 vcc, s17, v15
	v_cndmask_b32_e32 v14, v19, v14, vcc
	v_cmp_ne_u32_e32 vcc, 0, v14
	v_cndmask_b32_e32 v15, v11, v17, vcc
	v_cndmask_b32_e64 v11, v20, v18, s[0:1]
	v_cndmask_b32_e32 v14, v1, v11, vcc
.LBB31_13:                              ;   in Loop: Header=BB31_11 Depth=1
	s_andn2_saveexec_b64 s[0:1], s[18:19]
	s_cbranch_execz .LBB31_15
; %bb.14:                               ;   in Loop: Header=BB31_11 Depth=1
	v_cvt_f32_u32_e32 v1, s16
	s_sub_i32 s18, 0, s16
	v_rcp_iflag_f32_e32 v1, v1
	v_mul_f32_e32 v1, 0x4f7ffffe, v1
	v_cvt_u32_f32_e32 v1, v1
	v_mul_lo_u32 v11, s18, v1
	v_mul_hi_u32 v11, v1, v11
	v_add_u32_e32 v1, v1, v11
	v_mul_hi_u32 v1, v12, v1
	v_mul_lo_u32 v11, v1, s16
	v_sub_u32_e32 v11, v12, v11
	v_add_u32_e32 v14, 1, v1
	v_subrev_u32_e32 v15, s16, v11
	v_cmp_le_u32_e32 vcc, s16, v11
	v_cndmask_b32_e32 v11, v11, v15, vcc
	v_cndmask_b32_e32 v1, v1, v14, vcc
	v_add_u32_e32 v14, 1, v1
	v_cmp_le_u32_e32 vcc, s16, v11
	v_cndmask_b32_e32 v14, v1, v14, vcc
	v_mov_b32_e32 v15, v10
.LBB31_15:                              ;   in Loop: Header=BB31_11 Depth=1
	s_or_b64 exec, exec, s[0:1]
	v_mad_u64_u32 v[18:19], s[0:1], v14, s16, 0
	s_load_dwordx2 s[0:1], s[10:11], 0xc8
	v_mul_lo_u32 v1, v15, s16
	v_mul_lo_u32 v11, v14, s17
	v_add3_u32 v1, v19, v11, v1
	v_sub_co_u32_e32 v11, vcc, v12, v18
	s_add_i32 s20, s20, -1
	v_subb_co_u32_e32 v1, vcc, v13, v1, vcc
	s_add_u32 s10, s10, -8
	s_waitcnt lgkmcnt(0)
	v_mul_lo_u32 v1, s0, v1
	v_mul_lo_u32 v12, s1, v11
	v_mad_u64_u32 v[8:9], s[0:1], s0, v11, v[8:9]
	s_addc_u32 s11, s11, -1
	s_cmp_gt_u32 s20, 2
	v_add3_u32 v9, v12, v9, v1
	s_cbranch_scc0 .LBB31_17
; %bb.16:                               ;   in Loop: Header=BB31_11 Depth=1
	v_pk_mov_b32 v[12:13], v[14:15], v[14:15] op_sel:[0,1]
	s_branch .LBB31_11
.LBB31_17:
	v_mul_lo_u32 v1, s9, v6
	v_mul_lo_u32 v10, s8, v7
	v_mad_u64_u32 v[6:7], s[0:1], s8, v6, 0
	s_load_dwordx2 s[8:9], s[4:5], 0x358
	s_load_dwordx2 s[0:1], s[4:5], 0x288
	s_load_dwordx2 s[10:11], s[4:5], 0x0
	s_load_dwordx2 s[16:17], s[4:5], 0x1b8
	v_add3_u32 v7, v7, v10, v1
	v_cmp_gt_u64_e32 vcc, s[12:13], v[4:5]
	v_lshlrev_b64 v[6:7], 3, v[6:7]
	s_waitcnt lgkmcnt(0)
	v_mul_lo_u32 v1, s1, v14
	v_mul_lo_u32 v10, s0, v15
	v_mad_u64_u32 v[4:5], s[0:1], s0, v14, 0
	v_add3_u32 v5, v5, v10, v1
	v_mov_b32_e32 v1, s11
	v_add_co_u32_e64 v6, s[0:1], s10, v6
	v_addc_co_u32_e64 v1, s[0:1], v1, v7, s[0:1]
	v_lshlrev_b64 v[2:3], 3, v[2:3]
	v_add_co_u32_e64 v12, s[0:1], v6, v2
	v_addc_co_u32_e64 v13, s[0:1], v1, v3, s[0:1]
	v_lshlrev_b64 v[2:3], 3, v[4:5]
	v_mov_b32_e32 v1, s17
	v_add_co_u32_e64 v4, s[0:1], s16, v2
	s_load_dword s12, s[2:3], 0xc
	v_addc_co_u32_e64 v1, s[0:1], v1, v3, s[0:1]
	v_lshlrev_b64 v[2:3], 3, v[8:9]
	v_add_co_u32_e64 v10, s[0:1], v4, v2
	v_mov_b32_e32 v5, 0
	v_addc_co_u32_e64 v11, s[0:1], v1, v3, s[0:1]
	v_and_b32_e32 v6, 0x3ff, v0
	v_mov_b32_e32 v7, v5
	v_cmp_gt_u64_e64 s[0:1], s[14:15], v[6:7]
	v_pk_mov_b32 v[0:1], 0, 0
	s_and_b64 s[4:5], vcc, s[0:1]
	v_pk_mov_b32 v[2:3], v[0:1], v[0:1] op_sel:[0,1]
	v_pk_mov_b32 v[8:9], v[0:1], v[0:1] op_sel:[0,1]
	s_and_saveexec_b64 s[10:11], s[4:5]
	s_cbranch_execz .LBB31_19
; %bb.18:
	v_mad_u64_u32 v[2:3], s[2:3], v6, s6, 0
	v_mov_b32_e32 v4, v3
	v_mad_u64_u32 v[8:9], s[2:3], v6, s7, v[4:5]
	v_mov_b32_e32 v3, v8
	v_lshlrev_b64 v[2:3], 3, v[2:3]
	v_add_co_u32_e64 v2, s[2:3], v12, v2
	v_addc_co_u32_e64 v3, s[2:3], v13, v3, s[2:3]
	v_mad_u64_u32 v[8:9], s[2:3], v6, s8, 0
	v_mov_b32_e32 v4, v9
	v_mad_u64_u32 v[14:15], s[2:3], v6, s9, v[4:5]
	v_mov_b32_e32 v9, v14
	v_lshlrev_b64 v[8:9], 3, v[8:9]
	v_add_co_u32_e64 v8, s[2:3], v10, v8
	v_addc_co_u32_e64 v9, s[2:3], v11, v9, s[2:3]
	global_load_dwordx2 v[2:3], v[2:3], off
	s_nop 0
	global_load_dwordx2 v[8:9], v[8:9], off
.LBB31_19:
	s_or_b64 exec, exec, s[10:11]
	v_lshlrev_b32_e32 v21, 8, v16
	v_mov_b32_e32 v7, 0x2000
	v_lshlrev_b32_e32 v15, 3, v6
	v_lshl_add_u32 v20, v16, 5, v7
	v_add_u32_e32 v14, v21, v15
	s_waitcnt lgkmcnt(0)
	s_and_b32 s16, 0xffff, s12
	v_cndmask_b32_e64 v4, 0, 1, s[4:5]
	s_waitcnt vmcnt(1)
	ds_write_b64 v14, v[2:3]
	v_add_u32_e32 v2, v20, v6
	ds_write_b8 v2, v4
	v_add_u32_e32 v4, s16, v6
	v_add_u32_e32 v17, 0x1000, v21
	v_cmp_gt_u64_e64 s[2:3], s[14:15], v[4:5]
	v_add_u32_e32 v7, v17, v15
	s_and_b64 s[10:11], vcc, s[2:3]
	v_pk_mov_b32 v[2:3], v[0:1], v[0:1] op_sel:[0,1]
	s_waitcnt vmcnt(0)
	ds_write_b64 v7, v[8:9]
	s_and_saveexec_b64 s[12:13], s[10:11]
	s_cbranch_execz .LBB31_21
; %bb.20:
	v_mad_u64_u32 v[0:1], s[4:5], v4, s6, 0
	v_mov_b32_e32 v2, v1
	v_mad_u64_u32 v[2:3], s[4:5], v4, s7, v[2:3]
	v_mov_b32_e32 v1, v2
	v_lshlrev_b64 v[0:1], 3, v[0:1]
	v_add_co_u32_e64 v0, s[4:5], v12, v0
	v_addc_co_u32_e64 v1, s[4:5], v13, v1, s[4:5]
	v_mad_u64_u32 v[2:3], s[4:5], v4, s8, 0
	v_mov_b32_e32 v8, v3
	v_mad_u64_u32 v[8:9], s[4:5], v4, s9, v[8:9]
	v_mov_b32_e32 v3, v8
	v_lshlrev_b64 v[2:3], 3, v[2:3]
	v_add_co_u32_e64 v2, s[4:5], v10, v2
	v_addc_co_u32_e64 v3, s[4:5], v11, v3, s[4:5]
	global_load_dwordx2 v[0:1], v[0:1], off
	s_nop 0
	global_load_dwordx2 v[2:3], v[2:3], off
.LBB31_21:
	s_or_b64 exec, exec, s[12:13]
	s_lshl_b32 s4, s16, 3
	v_add_u32_e32 v8, s4, v14
	v_cndmask_b32_e64 v9, 0, 1, s[10:11]
	s_waitcnt vmcnt(1)
	ds_write_b64 v8, v[0:1]
	v_add_u32_e32 v0, v20, v4
	v_add_u32_e32 v5, s4, v7
	ds_write_b8 v0, v9
	v_add_u32_e32 v9, v14, v15
	s_waitcnt vmcnt(0)
	ds_write_b64 v5, v[2:3]
	s_waitcnt lgkmcnt(0)
	s_barrier
	ds_read_b128 v[0:3], v9
	v_lshlrev_b32_e32 v23, 1, v6
	s_mov_b32 s14, 1
	v_add_u32_e32 v16, v20, v23
	s_waitcnt lgkmcnt(0)
	v_cmp_le_i64_e64 s[10:11], v[0:1], v[2:3]
	v_cmp_gt_i64_e64 s[4:5], v[0:1], v[2:3]
	s_and_saveexec_b64 s[12:13], s[4:5]
	s_xor_b64 s[12:13], exec, s[12:13]
	s_cbranch_execz .LBB31_23
; %bb.22:
	ds_read_u8 v18, v16
	s_andn2_b64 s[10:11], s[10:11], exec
	s_waitcnt lgkmcnt(0)
	v_and_b32_e32 v18, 1, v18
	v_cmp_eq_u32_e64 s[4:5], 1, v18
	s_xor_b64 s[4:5], s[4:5], -1
	s_and_b64 s[4:5], s[4:5], exec
	s_or_b64 s[10:11], s[10:11], s[4:5]
.LBB31_23:
	s_or_b64 exec, exec, s[12:13]
	v_mov_b32_e32 v19, s14
	s_and_saveexec_b64 s[4:5], s[10:11]
	s_cbranch_execz .LBB31_25
; %bb.24:
	ds_read_u8 v18, v16 offset:1
	s_waitcnt lgkmcnt(0)
	v_xor_b32_e32 v19, 1, v18
.LBB31_25:
	s_or_b64 exec, exec, s[4:5]
	v_and_b32_e32 v18, 1, v6
	v_cmp_eq_u32_e64 s[4:5], v19, v18
	s_and_saveexec_b64 s[10:11], s[4:5]
	s_cbranch_execz .LBB31_27
; %bb.26:
	v_add_u32_e32 v19, v7, v15
	ds_read_b128 v[28:31], v19
	ds_read_u16 v22, v16
	v_mov_b32_e32 v24, v2
	v_mov_b32_e32 v25, v3
	;; [unrolled: 1-line block ×4, first 2 shown]
	s_waitcnt lgkmcnt(1)
	v_mov_b32_e32 v0, v30
	v_mov_b32_e32 v1, v31
	;; [unrolled: 1-line block ×4, first 2 shown]
	s_mov_b32 s4, 0xc0c0001
	ds_write_b128 v19, v[0:3]
	s_waitcnt lgkmcnt(1)
	v_perm_b32 v0, 0, v22, s4
	ds_write_b128 v9, v[24:27]
	ds_write_b16 v16, v0
.LBB31_27:
	s_or_b64 exec, exec, s[10:11]
	v_sub_u32_e32 v22, v23, v18
	v_lshl_add_u32 v18, v22, 3, v21
	s_waitcnt lgkmcnt(0)
	s_barrier
	ds_read2_b64 v[0:3], v18 offset1:2
	s_mov_b64 s[10:11], -1
	v_add_u32_e32 v19, v20, v22
                                        ; implicit-def: $sgpr14
	s_waitcnt lgkmcnt(0)
	v_cmp_gt_i64_e64 s[4:5], v[0:1], v[2:3]
	s_and_saveexec_b64 s[12:13], s[4:5]
	s_xor_b64 s[12:13], exec, s[12:13]
	s_cbranch_execz .LBB31_29
; %bb.28:
	ds_read_u8 v24, v19
	s_mov_b32 s14, 1
	s_waitcnt lgkmcnt(0)
	v_and_b32_e32 v24, 1, v24
	v_cmp_eq_u32_e64 s[4:5], 1, v24
	s_xor_b64 s[4:5], s[4:5], -1
	s_orn2_b64 s[10:11], s[4:5], exec
.LBB31_29:
	s_or_b64 exec, exec, s[12:13]
	v_mov_b32_e32 v25, s14
	s_and_saveexec_b64 s[4:5], s[10:11]
	s_cbranch_execz .LBB31_31
; %bb.30:
	ds_read_u8 v24, v19 offset:2
	s_waitcnt lgkmcnt(0)
	v_xor_b32_e32 v25, 1, v24
.LBB31_31:
	s_or_b64 exec, exec, s[4:5]
	v_bfe_u32 v24, v6, 1, 1
	v_lshl_add_u32 v22, v22, 3, v17
	v_cmp_eq_u32_e64 s[4:5], v25, v24
	s_and_saveexec_b64 s[10:11], s[4:5]
	s_cbranch_execz .LBB31_33
; %bb.32:
	ds_read2_b64 v[26:29], v22 offset1:2
	ds_read_u8 v25, v19 offset:2
	ds_read_u8 v30, v19
	ds_write2_b64 v18, v[2:3], v[0:1] offset1:2
	s_waitcnt lgkmcnt(3)
	ds_write2_b64 v22, v[28:29], v[26:27] offset1:2
	s_waitcnt lgkmcnt(3)
	ds_write_b8 v19, v25
	s_waitcnt lgkmcnt(3)
	ds_write_b8 v19, v30 offset:2
.LBB31_33:
	s_or_b64 exec, exec, s[10:11]
	s_waitcnt lgkmcnt(0)
	s_barrier
	ds_read_b128 v[0:3], v9
                                        ; implicit-def: $sgpr14
	s_waitcnt lgkmcnt(0)
	v_cmp_le_i64_e64 s[10:11], v[0:1], v[2:3]
	v_cmp_gt_i64_e64 s[4:5], v[0:1], v[2:3]
	s_and_saveexec_b64 s[12:13], s[4:5]
	s_cbranch_execnz .LBB31_100
; %bb.34:
	s_or_b64 exec, exec, s[12:13]
	v_mov_b32_e32 v25, s14
	s_and_saveexec_b64 s[4:5], s[10:11]
	s_cbranch_execnz .LBB31_101
.LBB31_35:
	s_or_b64 exec, exec, s[4:5]
	v_cmp_eq_u32_e64 s[4:5], v25, v24
	s_and_saveexec_b64 s[10:11], s[4:5]
	s_cbranch_execz .LBB31_37
.LBB31_36:
	v_add_u32_e32 v32, v7, v15
	v_mov_b32_e32 v24, v2
	v_mov_b32_e32 v25, v3
	ds_read_b128 v[28:31], v32
	v_mov_b32_e32 v26, v0
	v_mov_b32_e32 v27, v1
	ds_write_b128 v9, v[24:27]
	ds_read_u16 v24, v16
	s_waitcnt lgkmcnt(2)
	v_mov_b32_e32 v0, v30
	v_mov_b32_e32 v1, v31
	;; [unrolled: 1-line block ×4, first 2 shown]
	s_mov_b32 s4, 0xc0c0001
	ds_write_b128 v32, v[0:3]
	s_waitcnt lgkmcnt(1)
	v_perm_b32 v0, 0, v24, s4
	ds_write_b16 v16, v0
.LBB31_37:
	s_or_b64 exec, exec, s[10:11]
	v_and_b32_e32 v0, 3, v6
	v_sub_u32_e32 v26, v23, v0
	v_lshl_add_u32 v24, v26, 3, v21
	s_waitcnt lgkmcnt(0)
	s_barrier
	ds_read2_b64 v[0:3], v24 offset1:4
	v_add_u32_e32 v25, v20, v26
                                        ; implicit-def: $sgpr14
	s_waitcnt lgkmcnt(0)
	v_cmp_le_i64_e64 s[10:11], v[0:1], v[2:3]
	v_cmp_gt_i64_e64 s[4:5], v[0:1], v[2:3]
	s_and_saveexec_b64 s[12:13], s[4:5]
	s_cbranch_execz .LBB31_39
; %bb.38:
	ds_read_u8 v27, v25
	s_andn2_b64 s[10:11], s[10:11], exec
	s_mov_b32 s14, 1
	s_waitcnt lgkmcnt(0)
	v_and_b32_e32 v27, 1, v27
	v_cmp_eq_u32_e64 s[4:5], 1, v27
	s_xor_b64 s[4:5], s[4:5], -1
	s_and_b64 s[4:5], s[4:5], exec
	s_or_b64 s[10:11], s[10:11], s[4:5]
.LBB31_39:
	s_or_b64 exec, exec, s[12:13]
	v_mov_b32_e32 v28, s14
	s_and_saveexec_b64 s[4:5], s[10:11]
	s_cbranch_execz .LBB31_41
; %bb.40:
	ds_read_u8 v27, v25 offset:4
	s_waitcnt lgkmcnt(0)
	v_xor_b32_e32 v28, 1, v27
.LBB31_41:
	s_or_b64 exec, exec, s[4:5]
	v_bfe_u32 v27, v6, 2, 1
	v_lshl_add_u32 v26, v26, 3, v17
	v_cmp_eq_u32_e64 s[4:5], v28, v27
	s_and_saveexec_b64 s[10:11], s[4:5]
	s_cbranch_execz .LBB31_43
; %bb.42:
	ds_read2_b64 v[28:31], v26 offset1:4
	ds_read_u8 v32, v25 offset:4
	ds_read_u8 v33, v25
	ds_write2_b64 v24, v[2:3], v[0:1] offset1:4
	s_waitcnt lgkmcnt(3)
	ds_write2_b64 v26, v[30:31], v[28:29] offset1:4
	s_waitcnt lgkmcnt(3)
	ds_write_b8 v25, v32
	s_waitcnt lgkmcnt(3)
	ds_write_b8 v25, v33 offset:4
.LBB31_43:
	s_or_b64 exec, exec, s[10:11]
	s_waitcnt lgkmcnt(0)
	s_barrier
	ds_read2_b64 v[0:3], v18 offset1:2
                                        ; implicit-def: $sgpr14
	s_waitcnt lgkmcnt(0)
	v_cmp_le_i64_e64 s[10:11], v[0:1], v[2:3]
	v_cmp_gt_i64_e64 s[4:5], v[0:1], v[2:3]
	s_and_saveexec_b64 s[12:13], s[4:5]
	s_cbranch_execnz .LBB31_102
; %bb.44:
	s_or_b64 exec, exec, s[12:13]
	v_mov_b32_e32 v28, s14
	s_and_saveexec_b64 s[4:5], s[10:11]
	s_cbranch_execnz .LBB31_103
.LBB31_45:
	s_or_b64 exec, exec, s[4:5]
	v_cmp_eq_u32_e64 s[4:5], v28, v27
	s_and_saveexec_b64 s[10:11], s[4:5]
	s_cbranch_execz .LBB31_47
.LBB31_46:
	ds_read2_b64 v[28:31], v22 offset1:2
	ds_read_u8 v32, v19 offset:2
	ds_read_u8 v33, v19
	ds_write2_b64 v18, v[2:3], v[0:1] offset1:2
	s_waitcnt lgkmcnt(3)
	ds_write2_b64 v22, v[30:31], v[28:29] offset1:2
	s_waitcnt lgkmcnt(3)
	ds_write_b8 v19, v32
	s_waitcnt lgkmcnt(3)
	ds_write_b8 v19, v33 offset:2
.LBB31_47:
	s_or_b64 exec, exec, s[10:11]
	s_waitcnt lgkmcnt(0)
	s_barrier
	ds_read_b128 v[0:3], v9
                                        ; implicit-def: $sgpr14
	s_waitcnt lgkmcnt(0)
	v_cmp_le_i64_e64 s[10:11], v[0:1], v[2:3]
	v_cmp_gt_i64_e64 s[4:5], v[0:1], v[2:3]
	s_and_saveexec_b64 s[12:13], s[4:5]
	s_cbranch_execnz .LBB31_104
; %bb.48:
	s_or_b64 exec, exec, s[12:13]
	v_mov_b32_e32 v28, s14
	s_and_saveexec_b64 s[4:5], s[10:11]
	s_cbranch_execnz .LBB31_105
.LBB31_49:
	s_or_b64 exec, exec, s[4:5]
	v_cmp_eq_u32_e64 s[4:5], v28, v27
	s_and_saveexec_b64 s[10:11], s[4:5]
	s_cbranch_execz .LBB31_51
.LBB31_50:
	v_add_u32_e32 v27, v7, v15
	v_mov_b32_e32 v28, v2
	v_mov_b32_e32 v29, v3
	ds_read_b128 v[32:35], v27
	v_mov_b32_e32 v30, v0
	v_mov_b32_e32 v31, v1
	ds_write_b128 v9, v[28:31]
	ds_read_u16 v28, v16
	s_waitcnt lgkmcnt(2)
	v_mov_b32_e32 v0, v34
	v_mov_b32_e32 v1, v35
	v_mov_b32_e32 v2, v32
	v_mov_b32_e32 v3, v33
	s_mov_b32 s4, 0xc0c0001
	ds_write_b128 v27, v[0:3]
	s_waitcnt lgkmcnt(1)
	v_perm_b32 v0, 0, v28, s4
	ds_write_b16 v16, v0
.LBB31_51:
	s_or_b64 exec, exec, s[10:11]
	v_and_b32_e32 v0, 7, v6
	v_sub_u32_e32 v29, v23, v0
	v_lshl_add_u32 v27, v29, 3, v21
	s_waitcnt lgkmcnt(0)
	s_barrier
	ds_read2_b64 v[0:3], v27 offset1:8
	v_add_u32_e32 v28, v20, v29
                                        ; implicit-def: $sgpr14
	s_waitcnt lgkmcnt(0)
	v_cmp_le_i64_e64 s[10:11], v[0:1], v[2:3]
	v_cmp_gt_i64_e64 s[4:5], v[0:1], v[2:3]
	s_and_saveexec_b64 s[12:13], s[4:5]
	s_cbranch_execz .LBB31_53
; %bb.52:
	ds_read_u8 v30, v28
	s_andn2_b64 s[10:11], s[10:11], exec
	s_mov_b32 s14, 1
	s_waitcnt lgkmcnt(0)
	v_and_b32_e32 v30, 1, v30
	v_cmp_eq_u32_e64 s[4:5], 1, v30
	s_xor_b64 s[4:5], s[4:5], -1
	s_and_b64 s[4:5], s[4:5], exec
	s_or_b64 s[10:11], s[10:11], s[4:5]
.LBB31_53:
	s_or_b64 exec, exec, s[12:13]
	v_mov_b32_e32 v31, s14
	s_and_saveexec_b64 s[4:5], s[10:11]
	s_cbranch_execz .LBB31_55
; %bb.54:
	ds_read_u8 v30, v28 offset:8
	s_waitcnt lgkmcnt(0)
	v_xor_b32_e32 v31, 1, v30
.LBB31_55:
	s_or_b64 exec, exec, s[4:5]
	v_bfe_u32 v30, v6, 3, 1
	v_lshl_add_u32 v29, v29, 3, v17
	v_cmp_eq_u32_e64 s[4:5], v31, v30
	s_and_saveexec_b64 s[10:11], s[4:5]
	s_cbranch_execz .LBB31_57
; %bb.56:
	ds_read2_b64 v[32:35], v29 offset1:8
	ds_read_u8 v31, v28 offset:8
	ds_read_u8 v36, v28
	ds_write2_b64 v27, v[2:3], v[0:1] offset1:8
	s_waitcnt lgkmcnt(3)
	ds_write2_b64 v29, v[34:35], v[32:33] offset1:8
	s_waitcnt lgkmcnt(3)
	ds_write_b8 v28, v31
	s_waitcnt lgkmcnt(3)
	ds_write_b8 v28, v36 offset:8
.LBB31_57:
	s_or_b64 exec, exec, s[10:11]
	s_waitcnt lgkmcnt(0)
	s_barrier
	ds_read2_b64 v[0:3], v24 offset1:4
                                        ; implicit-def: $sgpr14
	s_waitcnt lgkmcnt(0)
	v_cmp_le_i64_e64 s[10:11], v[0:1], v[2:3]
	v_cmp_gt_i64_e64 s[4:5], v[0:1], v[2:3]
	s_and_saveexec_b64 s[12:13], s[4:5]
	s_cbranch_execnz .LBB31_106
; %bb.58:
	s_or_b64 exec, exec, s[12:13]
	v_mov_b32_e32 v31, s14
	s_and_saveexec_b64 s[4:5], s[10:11]
	s_cbranch_execnz .LBB31_107
.LBB31_59:
	s_or_b64 exec, exec, s[4:5]
	v_cmp_eq_u32_e64 s[4:5], v31, v30
	s_and_saveexec_b64 s[10:11], s[4:5]
	s_cbranch_execz .LBB31_61
.LBB31_60:
	ds_read2_b64 v[32:35], v26 offset1:4
	ds_read_u8 v31, v25 offset:4
	ds_read_u8 v36, v25
	ds_write2_b64 v24, v[2:3], v[0:1] offset1:4
	s_waitcnt lgkmcnt(3)
	ds_write2_b64 v26, v[34:35], v[32:33] offset1:4
	s_waitcnt lgkmcnt(3)
	ds_write_b8 v25, v31
	s_waitcnt lgkmcnt(3)
	ds_write_b8 v25, v36 offset:4
.LBB31_61:
	s_or_b64 exec, exec, s[10:11]
	s_waitcnt lgkmcnt(0)
	s_barrier
	ds_read2_b64 v[0:3], v18 offset1:2
                                        ; implicit-def: $sgpr14
	s_waitcnt lgkmcnt(0)
	v_cmp_le_i64_e64 s[10:11], v[0:1], v[2:3]
	v_cmp_gt_i64_e64 s[4:5], v[0:1], v[2:3]
	s_and_saveexec_b64 s[12:13], s[4:5]
	s_cbranch_execnz .LBB31_108
; %bb.62:
	s_or_b64 exec, exec, s[12:13]
	v_mov_b32_e32 v31, s14
	s_and_saveexec_b64 s[4:5], s[10:11]
	s_cbranch_execnz .LBB31_109
.LBB31_63:
	s_or_b64 exec, exec, s[4:5]
	v_cmp_eq_u32_e64 s[4:5], v31, v30
	s_and_saveexec_b64 s[10:11], s[4:5]
	s_cbranch_execz .LBB31_65
.LBB31_64:
	ds_read2_b64 v[32:35], v22 offset1:2
	ds_read_u8 v31, v19 offset:2
	ds_read_u8 v36, v19
	ds_write2_b64 v18, v[2:3], v[0:1] offset1:2
	s_waitcnt lgkmcnt(3)
	ds_write2_b64 v22, v[34:35], v[32:33] offset1:2
	s_waitcnt lgkmcnt(3)
	ds_write_b8 v19, v31
	s_waitcnt lgkmcnt(3)
	ds_write_b8 v19, v36 offset:2
.LBB31_65:
	s_or_b64 exec, exec, s[10:11]
	s_waitcnt lgkmcnt(0)
	s_barrier
	ds_read_b128 v[0:3], v9
                                        ; implicit-def: $sgpr14
	s_waitcnt lgkmcnt(0)
	v_cmp_le_i64_e64 s[10:11], v[0:1], v[2:3]
	v_cmp_gt_i64_e64 s[4:5], v[0:1], v[2:3]
	s_and_saveexec_b64 s[12:13], s[4:5]
	s_cbranch_execnz .LBB31_110
; %bb.66:
	s_or_b64 exec, exec, s[12:13]
	v_mov_b32_e32 v31, s14
	s_and_saveexec_b64 s[4:5], s[10:11]
	s_cbranch_execnz .LBB31_111
.LBB31_67:
	s_or_b64 exec, exec, s[4:5]
	v_cmp_eq_u32_e64 s[4:5], v31, v30
	s_and_saveexec_b64 s[10:11], s[4:5]
	s_cbranch_execz .LBB31_69
.LBB31_68:
	v_add_u32_e32 v38, v7, v15
	v_mov_b32_e32 v30, v2
	v_mov_b32_e32 v31, v3
	ds_read_b128 v[34:37], v38
	v_mov_b32_e32 v32, v0
	v_mov_b32_e32 v33, v1
	ds_write_b128 v9, v[30:33]
	ds_read_u16 v30, v16
	s_waitcnt lgkmcnt(2)
	v_mov_b32_e32 v0, v36
	v_mov_b32_e32 v1, v37
	;; [unrolled: 1-line block ×4, first 2 shown]
	s_mov_b32 s4, 0xc0c0001
	ds_write_b128 v38, v[0:3]
	s_waitcnt lgkmcnt(1)
	v_perm_b32 v0, 0, v30, s4
	ds_write_b16 v16, v0
.LBB31_69:
	s_or_b64 exec, exec, s[10:11]
	v_and_b32_e32 v0, 15, v6
	v_sub_u32_e32 v23, v23, v0
	v_lshl_add_u32 v21, v23, 3, v21
	s_waitcnt lgkmcnt(0)
	s_barrier
	ds_read2_b64 v[0:3], v21 offset1:16
	v_add_u32_e32 v20, v20, v23
	s_waitcnt lgkmcnt(0)
	v_cmp_le_i64_e64 s[12:13], v[0:1], v[2:3]
	v_cmp_gt_i64_e64 s[4:5], v[0:1], v[2:3]
	s_and_saveexec_b64 s[10:11], s[4:5]
	s_cbranch_execz .LBB31_71
; %bb.70:
	ds_read_u8 v30, v20
	s_andn2_b64 s[12:13], s[12:13], exec
	s_waitcnt lgkmcnt(0)
	v_and_b32_e32 v30, 1, v30
	v_cmp_eq_u32_e64 s[4:5], 1, v30
	s_xor_b64 s[4:5], s[4:5], -1
	s_and_b64 s[4:5], s[4:5], exec
	s_or_b64 s[12:13], s[12:13], s[4:5]
.LBB31_71:
	s_or_b64 exec, exec, s[10:11]
	s_and_saveexec_b64 s[10:11], s[12:13]
	s_cbranch_execz .LBB31_74
; %bb.72:
	ds_read_u8 v30, v20 offset:16
	s_waitcnt lgkmcnt(0)
	v_cmp_ne_u16_e64 s[4:5], 0, v30
	s_and_b64 exec, exec, s[4:5]
	s_cbranch_execz .LBB31_74
; %bb.73:
	v_lshl_add_u32 v17, v23, 3, v17
	ds_read2_b64 v[32:35], v17 offset1:16
	ds_read_u8 v23, v20
	ds_write2_b64 v21, v[2:3], v[0:1] offset1:16
	ds_write_b8 v20, v30
	s_waitcnt lgkmcnt(3)
	ds_write2_b64 v17, v[34:35], v[32:33] offset1:16
	s_waitcnt lgkmcnt(3)
	ds_write_b8 v20, v23 offset:16
.LBB31_74:
	s_or_b64 exec, exec, s[10:11]
	s_waitcnt lgkmcnt(0)
	s_barrier
	ds_read2_b64 v[0:3], v27 offset1:8
	s_waitcnt lgkmcnt(0)
	v_cmp_le_i64_e64 s[12:13], v[0:1], v[2:3]
	v_cmp_gt_i64_e64 s[4:5], v[0:1], v[2:3]
	s_and_saveexec_b64 s[10:11], s[4:5]
	s_cbranch_execz .LBB31_76
; %bb.75:
	ds_read_u8 v17, v28
	s_andn2_b64 s[12:13], s[12:13], exec
	s_waitcnt lgkmcnt(0)
	v_and_b32_e32 v17, 1, v17
	v_cmp_eq_u32_e64 s[4:5], 1, v17
	s_xor_b64 s[4:5], s[4:5], -1
	s_and_b64 s[4:5], s[4:5], exec
	s_or_b64 s[12:13], s[12:13], s[4:5]
.LBB31_76:
	s_or_b64 exec, exec, s[10:11]
	s_and_saveexec_b64 s[10:11], s[12:13]
	s_cbranch_execz .LBB31_79
; %bb.77:
	ds_read_u8 v17, v28 offset:8
	s_waitcnt lgkmcnt(0)
	v_cmp_ne_u16_e64 s[4:5], 0, v17
	s_and_b64 exec, exec, s[4:5]
	s_cbranch_execz .LBB31_79
; %bb.78:
	ds_read2_b64 v[30:33], v29 offset1:8
	ds_read_u8 v20, v28
	ds_write2_b64 v27, v[2:3], v[0:1] offset1:8
	ds_write_b8 v28, v17
	s_waitcnt lgkmcnt(3)
	ds_write2_b64 v29, v[32:33], v[30:31] offset1:8
	s_waitcnt lgkmcnt(3)
	ds_write_b8 v28, v20 offset:8
.LBB31_79:
	s_or_b64 exec, exec, s[10:11]
	s_waitcnt lgkmcnt(0)
	s_barrier
	ds_read2_b64 v[0:3], v24 offset1:4
	s_waitcnt lgkmcnt(0)
	v_cmp_le_i64_e64 s[12:13], v[0:1], v[2:3]
	v_cmp_gt_i64_e64 s[4:5], v[0:1], v[2:3]
	s_and_saveexec_b64 s[10:11], s[4:5]
	s_cbranch_execz .LBB31_81
; %bb.80:
	ds_read_u8 v17, v25
	s_andn2_b64 s[12:13], s[12:13], exec
	s_waitcnt lgkmcnt(0)
	v_and_b32_e32 v17, 1, v17
	v_cmp_eq_u32_e64 s[4:5], 1, v17
	s_xor_b64 s[4:5], s[4:5], -1
	s_and_b64 s[4:5], s[4:5], exec
	s_or_b64 s[12:13], s[12:13], s[4:5]
.LBB31_81:
	s_or_b64 exec, exec, s[10:11]
	s_and_saveexec_b64 s[10:11], s[12:13]
	s_cbranch_execz .LBB31_84
; %bb.82:
	ds_read_u8 v17, v25 offset:4
	s_waitcnt lgkmcnt(0)
	v_cmp_ne_u16_e64 s[4:5], 0, v17
	s_and_b64 exec, exec, s[4:5]
	s_cbranch_execz .LBB31_84
; %bb.83:
	ds_read2_b64 v[28:31], v26 offset1:4
	ds_read_u8 v20, v25
	ds_write2_b64 v24, v[2:3], v[0:1] offset1:4
	ds_write_b8 v25, v17
	s_waitcnt lgkmcnt(3)
	ds_write2_b64 v26, v[30:31], v[28:29] offset1:4
	s_waitcnt lgkmcnt(3)
	ds_write_b8 v25, v20 offset:4
.LBB31_84:
	;; [unrolled: 38-line block ×3, first 2 shown]
	s_or_b64 exec, exec, s[10:11]
	s_waitcnt lgkmcnt(0)
	s_barrier
	ds_read_b128 v[0:3], v9
	s_waitcnt lgkmcnt(0)
	v_cmp_le_i64_e64 s[12:13], v[0:1], v[2:3]
	v_cmp_gt_i64_e64 s[4:5], v[0:1], v[2:3]
	s_and_saveexec_b64 s[10:11], s[4:5]
	s_cbranch_execz .LBB31_91
; %bb.90:
	ds_read_u8 v17, v16
	s_andn2_b64 s[12:13], s[12:13], exec
	s_waitcnt lgkmcnt(0)
	v_and_b32_e32 v17, 1, v17
	v_cmp_eq_u32_e64 s[4:5], 1, v17
	s_xor_b64 s[4:5], s[4:5], -1
	s_and_b64 s[4:5], s[4:5], exec
	s_or_b64 s[12:13], s[12:13], s[4:5]
.LBB31_91:
	s_or_b64 exec, exec, s[10:11]
	s_and_saveexec_b64 s[10:11], s[12:13]
	s_cbranch_execz .LBB31_94
; %bb.92:
	ds_read_u8 v17, v16 offset:1
	s_waitcnt lgkmcnt(0)
	v_cmp_ne_u16_e64 s[4:5], 0, v17
	s_and_b64 exec, exec, s[4:5]
	s_cbranch_execz .LBB31_94
; %bb.93:
	v_add_u32_e32 v15, v7, v15
	v_mov_b32_e32 v18, v2
	v_mov_b32_e32 v19, v3
	ds_read_b128 v[22:25], v15
	v_mov_b32_e32 v20, v0
	v_mov_b32_e32 v21, v1
	ds_write_b128 v9, v[18:21]
	ds_read_u8 v9, v16
	s_waitcnt lgkmcnt(2)
	v_mov_b32_e32 v0, v24
	v_mov_b32_e32 v1, v25
	;; [unrolled: 1-line block ×4, first 2 shown]
	ds_write_b128 v15, v[0:3]
	s_waitcnt lgkmcnt(1)
	v_lshlrev_b16_e32 v0, 8, v9
	v_or_b32_e32 v0, v17, v0
	ds_write_b16 v16, v0
.LBB31_94:
	s_or_b64 exec, exec, s[10:11]
	s_waitcnt lgkmcnt(0)
	s_barrier
	s_and_saveexec_b64 s[4:5], vcc
	s_cbranch_execz .LBB31_99
; %bb.95:
	s_and_saveexec_b64 s[4:5], s[0:1]
	s_cbranch_execz .LBB31_97
; %bb.96:
	v_mad_u64_u32 v[2:3], s[0:1], v6, s6, 0
	ds_read_b64 v[0:1], v14
	v_mov_b32_e32 v14, v3
	v_mad_u64_u32 v[14:15], s[0:1], v6, s7, v[14:15]
	v_mov_b32_e32 v3, v14
	v_lshlrev_b64 v[2:3], 3, v[2:3]
	v_add_co_u32_e32 v2, vcc, v12, v2
	v_addc_co_u32_e32 v3, vcc, v13, v3, vcc
	s_waitcnt lgkmcnt(0)
	global_store_dwordx2 v[2:3], v[0:1], off
	v_mad_u64_u32 v[0:1], s[0:1], v6, s8, 0
	v_mov_b32_e32 v2, v1
	ds_read_b64 v[14:15], v7
	v_mad_u64_u32 v[2:3], s[0:1], v6, s9, v[2:3]
	v_mov_b32_e32 v1, v2
	v_lshlrev_b64 v[0:1], 3, v[0:1]
	v_add_co_u32_e32 v0, vcc, v10, v0
	v_addc_co_u32_e32 v1, vcc, v11, v1, vcc
	s_waitcnt lgkmcnt(0)
	global_store_dwordx2 v[0:1], v[14:15], off
.LBB31_97:
	s_or_b64 exec, exec, s[4:5]
	s_and_b64 exec, exec, s[2:3]
	s_cbranch_execz .LBB31_99
; %bb.98:
	v_mad_u64_u32 v[2:3], s[0:1], v4, s6, 0
	v_mov_b32_e32 v6, v3
	ds_read_b64 v[0:1], v8
	v_mad_u64_u32 v[6:7], s[0:1], v4, s7, v[6:7]
	v_mov_b32_e32 v3, v6
	ds_read_b64 v[6:7], v5
	v_lshlrev_b64 v[2:3], 3, v[2:3]
	v_add_co_u32_e32 v2, vcc, v12, v2
	v_addc_co_u32_e32 v3, vcc, v13, v3, vcc
	s_waitcnt lgkmcnt(1)
	global_store_dwordx2 v[2:3], v[0:1], off
	v_mad_u64_u32 v[0:1], s[0:1], v4, s8, 0
	v_mov_b32_e32 v2, v1
	v_mad_u64_u32 v[2:3], s[0:1], v4, s9, v[2:3]
	v_mov_b32_e32 v1, v2
	v_lshlrev_b64 v[0:1], 3, v[0:1]
	v_add_co_u32_e32 v0, vcc, v10, v0
	v_addc_co_u32_e32 v1, vcc, v11, v1, vcc
	s_waitcnt lgkmcnt(0)
	global_store_dwordx2 v[0:1], v[6:7], off
.LBB31_99:
	s_endpgm
.LBB31_100:
	ds_read_u8 v25, v16
	s_andn2_b64 s[10:11], s[10:11], exec
	s_mov_b32 s14, 1
	s_waitcnt lgkmcnt(0)
	v_and_b32_e32 v25, 1, v25
	v_cmp_eq_u32_e64 s[4:5], 1, v25
	s_xor_b64 s[4:5], s[4:5], -1
	s_and_b64 s[4:5], s[4:5], exec
	s_or_b64 s[10:11], s[10:11], s[4:5]
	s_or_b64 exec, exec, s[12:13]
	v_mov_b32_e32 v25, s14
	s_and_saveexec_b64 s[4:5], s[10:11]
	s_cbranch_execz .LBB31_35
.LBB31_101:
	ds_read_u8 v25, v16 offset:1
	s_waitcnt lgkmcnt(0)
	v_xor_b32_e32 v25, 1, v25
	s_or_b64 exec, exec, s[4:5]
	v_cmp_eq_u32_e64 s[4:5], v25, v24
	s_and_saveexec_b64 s[10:11], s[4:5]
	s_cbranch_execnz .LBB31_36
	s_branch .LBB31_37
.LBB31_102:
	ds_read_u8 v28, v19
	s_andn2_b64 s[10:11], s[10:11], exec
	s_mov_b32 s14, 1
	s_waitcnt lgkmcnt(0)
	v_and_b32_e32 v28, 1, v28
	v_cmp_eq_u32_e64 s[4:5], 1, v28
	s_xor_b64 s[4:5], s[4:5], -1
	s_and_b64 s[4:5], s[4:5], exec
	s_or_b64 s[10:11], s[10:11], s[4:5]
	s_or_b64 exec, exec, s[12:13]
	v_mov_b32_e32 v28, s14
	s_and_saveexec_b64 s[4:5], s[10:11]
	s_cbranch_execz .LBB31_45
.LBB31_103:
	ds_read_u8 v28, v19 offset:2
	s_waitcnt lgkmcnt(0)
	v_xor_b32_e32 v28, 1, v28
	s_or_b64 exec, exec, s[4:5]
	v_cmp_eq_u32_e64 s[4:5], v28, v27
	s_and_saveexec_b64 s[10:11], s[4:5]
	s_cbranch_execnz .LBB31_46
	s_branch .LBB31_47
.LBB31_104:
	ds_read_u8 v28, v16
	s_andn2_b64 s[10:11], s[10:11], exec
	s_mov_b32 s14, 1
	s_waitcnt lgkmcnt(0)
	v_and_b32_e32 v28, 1, v28
	v_cmp_eq_u32_e64 s[4:5], 1, v28
	s_xor_b64 s[4:5], s[4:5], -1
	s_and_b64 s[4:5], s[4:5], exec
	s_or_b64 s[10:11], s[10:11], s[4:5]
	s_or_b64 exec, exec, s[12:13]
	v_mov_b32_e32 v28, s14
	s_and_saveexec_b64 s[4:5], s[10:11]
	s_cbranch_execz .LBB31_49
.LBB31_105:
	ds_read_u8 v28, v16 offset:1
	s_waitcnt lgkmcnt(0)
	v_xor_b32_e32 v28, 1, v28
	s_or_b64 exec, exec, s[4:5]
	v_cmp_eq_u32_e64 s[4:5], v28, v27
	s_and_saveexec_b64 s[10:11], s[4:5]
	s_cbranch_execnz .LBB31_50
	s_branch .LBB31_51
.LBB31_106:
	ds_read_u8 v31, v25
	s_andn2_b64 s[10:11], s[10:11], exec
	s_mov_b32 s14, 1
	s_waitcnt lgkmcnt(0)
	v_and_b32_e32 v31, 1, v31
	v_cmp_eq_u32_e64 s[4:5], 1, v31
	s_xor_b64 s[4:5], s[4:5], -1
	s_and_b64 s[4:5], s[4:5], exec
	s_or_b64 s[10:11], s[10:11], s[4:5]
	s_or_b64 exec, exec, s[12:13]
	v_mov_b32_e32 v31, s14
	s_and_saveexec_b64 s[4:5], s[10:11]
	s_cbranch_execz .LBB31_59
.LBB31_107:
	ds_read_u8 v31, v25 offset:4
	s_waitcnt lgkmcnt(0)
	v_xor_b32_e32 v31, 1, v31
	s_or_b64 exec, exec, s[4:5]
	v_cmp_eq_u32_e64 s[4:5], v31, v30
	s_and_saveexec_b64 s[10:11], s[4:5]
	s_cbranch_execnz .LBB31_60
	s_branch .LBB31_61
.LBB31_108:
	ds_read_u8 v31, v19
	s_andn2_b64 s[10:11], s[10:11], exec
	s_mov_b32 s14, 1
	s_waitcnt lgkmcnt(0)
	v_and_b32_e32 v31, 1, v31
	v_cmp_eq_u32_e64 s[4:5], 1, v31
	s_xor_b64 s[4:5], s[4:5], -1
	s_and_b64 s[4:5], s[4:5], exec
	s_or_b64 s[10:11], s[10:11], s[4:5]
	s_or_b64 exec, exec, s[12:13]
	v_mov_b32_e32 v31, s14
	s_and_saveexec_b64 s[4:5], s[10:11]
	s_cbranch_execz .LBB31_63
.LBB31_109:
	ds_read_u8 v31, v19 offset:2
	s_waitcnt lgkmcnt(0)
	v_xor_b32_e32 v31, 1, v31
	s_or_b64 exec, exec, s[4:5]
	v_cmp_eq_u32_e64 s[4:5], v31, v30
	s_and_saveexec_b64 s[10:11], s[4:5]
	s_cbranch_execnz .LBB31_64
	s_branch .LBB31_65
.LBB31_110:
	ds_read_u8 v31, v16
	s_andn2_b64 s[10:11], s[10:11], exec
	s_mov_b32 s14, 1
	s_waitcnt lgkmcnt(0)
	v_and_b32_e32 v31, 1, v31
	v_cmp_eq_u32_e64 s[4:5], 1, v31
	s_xor_b64 s[4:5], s[4:5], -1
	s_and_b64 s[4:5], s[4:5], exec
	s_or_b64 s[10:11], s[10:11], s[4:5]
	s_or_b64 exec, exec, s[12:13]
	v_mov_b32_e32 v31, s14
	s_and_saveexec_b64 s[4:5], s[10:11]
	s_cbranch_execz .LBB31_67
.LBB31_111:
	ds_read_u8 v31, v16 offset:1
	s_waitcnt lgkmcnt(0)
	v_xor_b32_e32 v31, 1, v31
	s_or_b64 exec, exec, s[4:5]
	v_cmp_eq_u32_e64 s[4:5], v31, v30
	s_and_saveexec_b64 s[10:11], s[4:5]
	s_cbranch_execnz .LBB31_68
	s_branch .LBB31_69
	.section	.rodata,"a",@progbits
	.p2align	6, 0x0
	.amdhsa_kernel _ZN2at6native20bitonicSortKVInPlaceILin1ELin1ELi16ELi16EllNS0_4GTOpIlLb1EEEmEEvNS_4cuda6detail10TensorInfoIT3_T6_EES8_S8_S8_NS6_IT4_S8_EES8_T5_
		.amdhsa_group_segment_fixed_size 8704
		.amdhsa_private_segment_fixed_size 0
		.amdhsa_kernarg_size 1128
		.amdhsa_user_sgpr_count 6
		.amdhsa_user_sgpr_private_segment_buffer 1
		.amdhsa_user_sgpr_dispatch_ptr 0
		.amdhsa_user_sgpr_queue_ptr 0
		.amdhsa_user_sgpr_kernarg_segment_ptr 1
		.amdhsa_user_sgpr_dispatch_id 0
		.amdhsa_user_sgpr_flat_scratch_init 0
		.amdhsa_user_sgpr_kernarg_preload_length 0
		.amdhsa_user_sgpr_kernarg_preload_offset 0
		.amdhsa_user_sgpr_private_segment_size 0
		.amdhsa_uses_dynamic_stack 0
		.amdhsa_system_sgpr_private_segment_wavefront_offset 0
		.amdhsa_system_sgpr_workgroup_id_x 1
		.amdhsa_system_sgpr_workgroup_id_y 1
		.amdhsa_system_sgpr_workgroup_id_z 1
		.amdhsa_system_sgpr_workgroup_info 0
		.amdhsa_system_vgpr_workitem_id 1
		.amdhsa_next_free_vgpr 39
		.amdhsa_next_free_sgpr 21
		.amdhsa_accum_offset 40
		.amdhsa_reserve_vcc 1
		.amdhsa_reserve_flat_scratch 0
		.amdhsa_float_round_mode_32 0
		.amdhsa_float_round_mode_16_64 0
		.amdhsa_float_denorm_mode_32 3
		.amdhsa_float_denorm_mode_16_64 3
		.amdhsa_dx10_clamp 1
		.amdhsa_ieee_mode 1
		.amdhsa_fp16_overflow 0
		.amdhsa_tg_split 0
		.amdhsa_exception_fp_ieee_invalid_op 0
		.amdhsa_exception_fp_denorm_src 0
		.amdhsa_exception_fp_ieee_div_zero 0
		.amdhsa_exception_fp_ieee_overflow 0
		.amdhsa_exception_fp_ieee_underflow 0
		.amdhsa_exception_fp_ieee_inexact 0
		.amdhsa_exception_int_div_zero 0
	.end_amdhsa_kernel
	.section	.text._ZN2at6native20bitonicSortKVInPlaceILin1ELin1ELi16ELi16EllNS0_4GTOpIlLb1EEEmEEvNS_4cuda6detail10TensorInfoIT3_T6_EES8_S8_S8_NS6_IT4_S8_EES8_T5_,"axG",@progbits,_ZN2at6native20bitonicSortKVInPlaceILin1ELin1ELi16ELi16EllNS0_4GTOpIlLb1EEEmEEvNS_4cuda6detail10TensorInfoIT3_T6_EES8_S8_S8_NS6_IT4_S8_EES8_T5_,comdat
.Lfunc_end31:
	.size	_ZN2at6native20bitonicSortKVInPlaceILin1ELin1ELi16ELi16EllNS0_4GTOpIlLb1EEEmEEvNS_4cuda6detail10TensorInfoIT3_T6_EES8_S8_S8_NS6_IT4_S8_EES8_T5_, .Lfunc_end31-_ZN2at6native20bitonicSortKVInPlaceILin1ELin1ELi16ELi16EllNS0_4GTOpIlLb1EEEmEEvNS_4cuda6detail10TensorInfoIT3_T6_EES8_S8_S8_NS6_IT4_S8_EES8_T5_
                                        ; -- End function
	.section	.AMDGPU.csdata,"",@progbits
; Kernel info:
; codeLenInByte = 6604
; NumSgprs: 25
; NumVgprs: 39
; NumAgprs: 0
; TotalNumVgprs: 39
; ScratchSize: 0
; MemoryBound: 0
; FloatMode: 240
; IeeeMode: 1
; LDSByteSize: 8704 bytes/workgroup (compile time only)
; SGPRBlocks: 3
; VGPRBlocks: 4
; NumSGPRsForWavesPerEU: 25
; NumVGPRsForWavesPerEU: 39
; AccumOffset: 40
; Occupancy: 7
; WaveLimiterHint : 1
; COMPUTE_PGM_RSRC2:SCRATCH_EN: 0
; COMPUTE_PGM_RSRC2:USER_SGPR: 6
; COMPUTE_PGM_RSRC2:TRAP_HANDLER: 0
; COMPUTE_PGM_RSRC2:TGID_X_EN: 1
; COMPUTE_PGM_RSRC2:TGID_Y_EN: 1
; COMPUTE_PGM_RSRC2:TGID_Z_EN: 1
; COMPUTE_PGM_RSRC2:TIDIG_COMP_CNT: 1
; COMPUTE_PGM_RSRC3_GFX90A:ACCUM_OFFSET: 9
; COMPUTE_PGM_RSRC3_GFX90A:TG_SPLIT: 0
	.section	.text._ZN2at6native20bitonicSortKVInPlaceILin2ELin1ELi16ELi16EslNS0_4LTOpIsLb1EEEjEEvNS_4cuda6detail10TensorInfoIT3_T6_EES8_S8_S8_NS6_IT4_S8_EES8_T5_,"axG",@progbits,_ZN2at6native20bitonicSortKVInPlaceILin2ELin1ELi16ELi16EslNS0_4LTOpIsLb1EEEjEEvNS_4cuda6detail10TensorInfoIT3_T6_EES8_S8_S8_NS6_IT4_S8_EES8_T5_,comdat
	.protected	_ZN2at6native20bitonicSortKVInPlaceILin2ELin1ELi16ELi16EslNS0_4LTOpIsLb1EEEjEEvNS_4cuda6detail10TensorInfoIT3_T6_EES8_S8_S8_NS6_IT4_S8_EES8_T5_ ; -- Begin function _ZN2at6native20bitonicSortKVInPlaceILin2ELin1ELi16ELi16EslNS0_4LTOpIsLb1EEEjEEvNS_4cuda6detail10TensorInfoIT3_T6_EES8_S8_S8_NS6_IT4_S8_EES8_T5_
	.globl	_ZN2at6native20bitonicSortKVInPlaceILin2ELin1ELi16ELi16EslNS0_4LTOpIsLb1EEEjEEvNS_4cuda6detail10TensorInfoIT3_T6_EES8_S8_S8_NS6_IT4_S8_EES8_T5_
	.p2align	8
	.type	_ZN2at6native20bitonicSortKVInPlaceILin2ELin1ELi16ELi16EslNS0_4LTOpIsLb1EEEjEEvNS_4cuda6detail10TensorInfoIT3_T6_EES8_S8_S8_NS6_IT4_S8_EES8_T5_,@function
_ZN2at6native20bitonicSortKVInPlaceILin2ELin1ELi16ELi16EslNS0_4LTOpIsLb1EEEjEEvNS_4cuda6detail10TensorInfoIT3_T6_EES8_S8_S8_NS6_IT4_S8_EES8_T5_: ; @_ZN2at6native20bitonicSortKVInPlaceILin2ELin1ELi16ELi16EslNS0_4LTOpIsLb1EEEjEEvNS_4cuda6detail10TensorInfoIT3_T6_EES8_S8_S8_NS6_IT4_S8_EES8_T5_
; %bb.0:
	s_load_dwordx2 s[2:3], s[4:5], 0x1c8
	s_load_dwordx4 s[12:15], s[4:5], 0xd8
	s_load_dword s9, s[4:5], 0x1d4
	s_add_u32 s0, s4, 0x1c8
	s_addc_u32 s1, s5, 0
	s_waitcnt lgkmcnt(0)
	s_mul_i32 s3, s3, s8
	s_add_i32 s3, s3, s7
	s_mul_i32 s2, s3, s2
	s_add_i32 s8, s2, s6
	s_lshr_b32 s2, s9, 16
	s_mul_i32 s8, s8, s2
	s_cmp_ge_u32 s8, s12
	s_cbranch_scc1 .LBB32_86
; %bb.1:
	s_load_dwordx2 s[6:7], s[4:5], 0x0
	s_load_dword s9, s[4:5], 0x1b8
	s_add_u32 s2, s4, 0xe8
	v_bfe_u32 v5, v0, 10, 10
	s_addc_u32 s3, s5, 0
	v_add_u32_e32 v1, s8, v5
	s_waitcnt lgkmcnt(0)
	s_cmp_lt_i32 s9, 2
	v_mov_b32_e32 v2, 0
	v_mov_b32_e32 v6, v1
	s_cbranch_scc1 .LBB32_4
; %bb.2:
	s_add_i32 s10, s9, 1
	s_add_i32 s8, s9, -1
	s_mov_b32 s9, 0
	s_lshl_b64 s[8:9], s[8:9], 2
	s_add_u32 s8, s8, s2
	s_addc_u32 s9, s9, s3
	s_add_u32 s8, s8, 8
	s_addc_u32 s9, s9, 0
	v_mov_b32_e32 v2, 0
	v_mov_b32_e32 v6, v1
.LBB32_3:                               ; =>This Inner Loop Header: Depth=1
	s_load_dword s11, s[8:9], 0x0
	s_load_dword s15, s[8:9], 0x64
	v_mov_b32_e32 v3, v6
	s_add_i32 s10, s10, -1
	s_waitcnt lgkmcnt(0)
	v_cvt_f32_u32_e32 v4, s11
	s_sub_i32 s16, 0, s11
	s_add_u32 s8, s8, -4
	s_addc_u32 s9, s9, -1
	v_rcp_iflag_f32_e32 v4, v4
	s_cmp_gt_u32 s10, 2
	v_mul_f32_e32 v4, 0x4f7ffffe, v4
	v_cvt_u32_f32_e32 v4, v4
	v_mul_lo_u32 v6, s16, v4
	v_mul_hi_u32 v6, v4, v6
	v_add_u32_e32 v4, v4, v6
	v_mul_hi_u32 v4, v3, v4
	v_mul_lo_u32 v6, v4, s11
	v_sub_u32_e32 v6, v3, v6
	v_add_u32_e32 v7, 1, v4
	v_cmp_le_u32_e32 vcc, s11, v6
	v_cndmask_b32_e32 v4, v4, v7, vcc
	v_subrev_u32_e32 v7, s11, v6
	v_cndmask_b32_e32 v6, v6, v7, vcc
	v_add_u32_e32 v7, 1, v4
	v_cmp_le_u32_e32 vcc, s11, v6
	v_cndmask_b32_e32 v6, v4, v7, vcc
	v_mul_lo_u32 v4, v6, s11
	v_sub_u32_e32 v3, v3, v4
	v_mad_u64_u32 v[2:3], s[16:17], s15, v3, v[2:3]
	s_cbranch_scc1 .LBB32_3
.LBB32_4:
	s_load_dword s8, s[4:5], 0x6c
	s_load_dword s15, s[4:5], 0x1c0
	;; [unrolled: 1-line block ×3, first 2 shown]
	v_cmp_gt_u32_e32 vcc, s12, v1
	s_load_dword s12, s[0:1], 0xc
	s_waitcnt lgkmcnt(0)
	v_mul_lo_u32 v4, s8, v1
	s_load_dwordx2 s[8:9], s[2:3], 0x0
	v_mad_u64_u32 v[2:3], s[2:3], s10, v6, v[2:3]
	v_and_b32_e32 v3, 0x3ff, v0
	v_cmp_gt_u32_e64 s[0:1], s13, v3
	v_pk_mov_b32 v[0:1], 0, 0
	s_and_b64 s[4:5], vcc, s[0:1]
	v_mov_b32_e32 v10, 0
	v_mov_b32_e32 v8, 0
	v_pk_mov_b32 v[6:7], v[0:1], v[0:1] op_sel:[0,1]
	s_and_saveexec_b64 s[10:11], s[4:5]
	s_cbranch_execz .LBB32_6
; %bb.5:
	v_mad_u64_u32 v[6:7], s[2:3], v3, s14, v[4:5]
	v_mov_b32_e32 v7, 0
	v_lshlrev_b64 v[8:9], 1, v[6:7]
	v_mov_b32_e32 v6, s7
	v_add_co_u32_e64 v8, s[2:3], s6, v8
	v_addc_co_u32_e64 v9, s[2:3], v6, v9, s[2:3]
	v_mad_u64_u32 v[12:13], s[2:3], v3, s15, v[2:3]
	v_mov_b32_e32 v13, v7
	v_lshlrev_b64 v[6:7], 3, v[12:13]
	global_load_ushort v8, v[8:9], off
	s_waitcnt lgkmcnt(0)
	v_mov_b32_e32 v9, s9
	v_add_co_u32_e64 v6, s[2:3], s8, v6
	v_addc_co_u32_e64 v7, s[2:3], v9, v7, s[2:3]
	global_load_dwordx2 v[6:7], v[6:7], off
.LBB32_6:
	s_or_b64 exec, exec, s[10:11]
	v_mov_b32_e32 v9, 0x1000
	v_lshl_add_u32 v16, v5, 6, v9
	v_mov_b32_e32 v9, 0x1400
	v_lshl_add_u32 v15, v5, 5, v9
	s_and_b32 s16, 0xffff, s12
	v_cndmask_b32_e64 v11, 0, 1, s[4:5]
	v_lshlrev_b32_e32 v13, 8, v5
	v_add_u32_e32 v5, v15, v3
	ds_write_b8 v5, v11
	v_add_u32_e32 v5, s16, v3
	v_lshl_add_u32 v9, v3, 1, v16
	v_cmp_gt_u32_e64 s[2:3], s13, v5
	s_waitcnt vmcnt(1)
	ds_write_b16 v9, v8
	v_lshl_add_u32 v8, v3, 3, v13
	s_and_b64 s[10:11], vcc, s[2:3]
	s_waitcnt vmcnt(0)
	ds_write_b64 v8, v[6:7]
	s_and_saveexec_b64 s[12:13], s[10:11]
	s_cbranch_execz .LBB32_8
; %bb.7:
	v_mad_u64_u32 v[0:1], s[4:5], v5, s14, v[4:5]
	v_mov_b32_e32 v1, 0
	v_lshlrev_b64 v[6:7], 1, v[0:1]
	v_mov_b32_e32 v0, s7
	v_add_co_u32_e64 v6, s[4:5], s6, v6
	v_addc_co_u32_e64 v7, s[4:5], v0, v7, s[4:5]
	global_load_ushort v10, v[6:7], off
	v_mad_u64_u32 v[6:7], s[4:5], v5, s15, v[2:3]
	v_mov_b32_e32 v7, v1
	v_lshlrev_b64 v[0:1], 3, v[6:7]
	s_waitcnt lgkmcnt(0)
	v_mov_b32_e32 v6, s9
	v_add_co_u32_e64 v0, s[4:5], s8, v0
	v_addc_co_u32_e64 v1, s[4:5], v6, v1, s[4:5]
	global_load_dwordx2 v[0:1], v[0:1], off
.LBB32_8:
	s_or_b64 exec, exec, s[12:13]
	v_lshl_add_u32 v6, s16, 3, v8
	v_lshlrev_b32_e32 v17, 1, v3
	v_cndmask_b32_e64 v11, 0, 1, s[10:11]
	v_lshl_add_u32 v7, s16, 1, v9
	s_waitcnt vmcnt(0)
	ds_write_b64 v6, v[0:1]
	v_add_u32_e32 v0, v15, v5
	v_add_u32_e32 v1, v9, v17
	ds_write_b16 v7, v10
	ds_write_b8 v0, v11
	s_waitcnt lgkmcnt(0)
	s_barrier
	ds_read_b32 v11, v1
	v_add_u32_e32 v0, v15, v17
                                        ; implicit-def: $sgpr16
	s_waitcnt lgkmcnt(0)
	v_cmp_ge_i16_sdwa s[10:11], v11, v11 src0_sel:DWORD src1_sel:WORD_1
	v_cmp_lt_i16_sdwa s[4:5], v11, v11 src0_sel:DWORD src1_sel:WORD_1
	s_and_saveexec_b64 s[12:13], s[4:5]
	s_xor_b64 s[12:13], exec, s[12:13]
	s_cbranch_execz .LBB32_10
; %bb.9:
	ds_read_u8 v10, v0
	s_andn2_b64 s[10:11], s[10:11], exec
	s_mov_b32 s16, 1
	s_waitcnt lgkmcnt(0)
	v_and_b32_e32 v10, 1, v10
	v_cmp_eq_u32_e64 s[4:5], 1, v10
	s_xor_b64 s[4:5], s[4:5], -1
	s_and_b64 s[4:5], s[4:5], exec
	s_or_b64 s[10:11], s[10:11], s[4:5]
.LBB32_10:
	s_or_b64 exec, exec, s[12:13]
	v_mov_b32_e32 v14, s16
	s_and_saveexec_b64 s[4:5], s[10:11]
	s_cbranch_execz .LBB32_12
; %bb.11:
	ds_read_u8 v10, v0 offset:1
	s_waitcnt lgkmcnt(0)
	v_xor_b32_e32 v14, 1, v10
.LBB32_12:
	s_or_b64 exec, exec, s[4:5]
	v_and_b32_e32 v12, 1, v3
	v_lshlrev_b32_e32 v10, 3, v3
	v_cmp_eq_u32_e64 s[4:5], v14, v12
	s_and_saveexec_b64 s[10:11], s[4:5]
	s_cbranch_execz .LBB32_14
; %bb.13:
	v_add_u32_e32 v14, v8, v10
	v_alignbit_b32 v11, v11, v11, 16
	ds_read_b128 v[18:21], v14
	ds_write_b32 v1, v11
	ds_read_u16 v11, v0
	s_mov_b32 s4, 0xc0c0001
	s_waitcnt lgkmcnt(2)
	v_mov_b32_e32 v22, v18
	v_mov_b32_e32 v23, v19
	s_waitcnt lgkmcnt(0)
	v_perm_b32 v11, 0, v11, s4
	ds_write_b128 v14, v[20:23]
	ds_write_b16 v0, v11
.LBB32_14:
	s_or_b64 exec, exec, s[10:11]
	v_sub_u32_e32 v14, v17, v12
	v_lshl_add_u32 v11, v14, 1, v16
	s_waitcnt lgkmcnt(0)
	s_barrier
	ds_read_u16 v19, v11
	ds_read_u16 v20, v11 offset:4
	s_mov_b64 s[10:11], -1
	v_add_u32_e32 v12, v15, v14
                                        ; implicit-def: $sgpr16
	s_waitcnt lgkmcnt(0)
	v_cmp_lt_i16_e64 s[4:5], v19, v20
	s_and_saveexec_b64 s[12:13], s[4:5]
	s_xor_b64 s[12:13], exec, s[12:13]
	s_cbranch_execz .LBB32_16
; %bb.15:
	ds_read_u8 v18, v12
	s_mov_b32 s16, 1
	s_waitcnt lgkmcnt(0)
	v_and_b32_e32 v18, 1, v18
	v_cmp_eq_u32_e64 s[4:5], 1, v18
	s_xor_b64 s[4:5], s[4:5], -1
	s_orn2_b64 s[10:11], s[4:5], exec
.LBB32_16:
	s_or_b64 exec, exec, s[12:13]
	v_mov_b32_e32 v21, s16
	s_and_saveexec_b64 s[4:5], s[10:11]
	s_cbranch_execz .LBB32_18
; %bb.17:
	ds_read_u8 v18, v12 offset:2
	s_waitcnt lgkmcnt(0)
	v_xor_b32_e32 v21, 1, v18
.LBB32_18:
	s_or_b64 exec, exec, s[4:5]
	v_bfe_u32 v18, v3, 1, 1
	v_lshl_add_u32 v14, v14, 3, v13
	v_cmp_eq_u32_e64 s[4:5], v21, v18
	s_and_saveexec_b64 s[10:11], s[4:5]
	s_cbranch_execz .LBB32_20
; %bb.19:
	ds_read2_b64 v[22:25], v14 offset1:2
	ds_read_u8 v21, v12 offset:2
	ds_read_u8 v26, v12
	ds_write_b16 v11, v20
	ds_write_b16 v11, v19 offset:4
	s_waitcnt lgkmcnt(4)
	ds_write2_b64 v14, v[24:25], v[22:23] offset1:2
	s_waitcnt lgkmcnt(4)
	ds_write_b8 v12, v21
	s_waitcnt lgkmcnt(4)
	ds_write_b8 v12, v26 offset:2
.LBB32_20:
	s_or_b64 exec, exec, s[10:11]
	s_waitcnt lgkmcnt(0)
	s_barrier
	ds_read_b32 v19, v1
                                        ; implicit-def: $sgpr16
	s_waitcnt lgkmcnt(0)
	v_cmp_ge_i16_sdwa s[10:11], v19, v19 src0_sel:DWORD src1_sel:WORD_1
	v_cmp_lt_i16_sdwa s[4:5], v19, v19 src0_sel:DWORD src1_sel:WORD_1
	s_and_saveexec_b64 s[12:13], s[4:5]
	s_cbranch_execnz .LBB32_87
; %bb.21:
	s_or_b64 exec, exec, s[12:13]
	v_mov_b32_e32 v20, s16
	s_and_saveexec_b64 s[4:5], s[10:11]
	s_cbranch_execnz .LBB32_88
.LBB32_22:
	s_or_b64 exec, exec, s[4:5]
	v_cmp_eq_u32_e64 s[4:5], v20, v18
	s_and_saveexec_b64 s[10:11], s[4:5]
	s_cbranch_execz .LBB32_24
.LBB32_23:
	v_add_u32_e32 v24, v8, v10
	ds_read_b128 v[20:23], v24
	ds_read_u16 v25, v0
	v_alignbit_b32 v18, v19, v19, 16
	ds_write_b32 v1, v18
	s_mov_b32 s4, 0xc0c0001
	s_waitcnt lgkmcnt(2)
	v_mov_b32_e32 v18, v22
	v_mov_b32_e32 v19, v23
	ds_write_b128 v24, v[18:21]
	s_waitcnt lgkmcnt(2)
	v_perm_b32 v18, 0, v25, s4
	ds_write_b16 v0, v18
.LBB32_24:
	s_or_b64 exec, exec, s[10:11]
	v_and_b32_e32 v18, 3, v3
	v_sub_u32_e32 v20, v17, v18
	v_lshl_add_u32 v18, v20, 1, v16
	s_waitcnt lgkmcnt(0)
	s_barrier
	ds_read_u16 v22, v18
	ds_read_u16 v23, v18 offset:8
	s_mov_b32 s16, 1
	v_add_u32_e32 v19, v15, v20
	s_waitcnt lgkmcnt(0)
	v_cmp_ge_i16_e64 s[10:11], v22, v23
	v_cmp_lt_i16_e64 s[4:5], v22, v23
	s_and_saveexec_b64 s[12:13], s[4:5]
	s_cbranch_execz .LBB32_26
; %bb.25:
	ds_read_u8 v21, v19
	s_andn2_b64 s[10:11], s[10:11], exec
	s_waitcnt lgkmcnt(0)
	v_and_b32_e32 v21, 1, v21
	v_cmp_eq_u32_e64 s[4:5], 1, v21
	s_xor_b64 s[4:5], s[4:5], -1
	s_and_b64 s[4:5], s[4:5], exec
	s_or_b64 s[10:11], s[10:11], s[4:5]
.LBB32_26:
	s_or_b64 exec, exec, s[12:13]
	v_mov_b32_e32 v24, s16
	s_and_saveexec_b64 s[4:5], s[10:11]
	s_cbranch_execz .LBB32_28
; %bb.27:
	ds_read_u8 v21, v19 offset:4
	s_waitcnt lgkmcnt(0)
	v_xor_b32_e32 v24, 1, v21
.LBB32_28:
	s_or_b64 exec, exec, s[4:5]
	v_bfe_u32 v21, v3, 2, 1
	v_lshl_add_u32 v20, v20, 3, v13
	v_cmp_eq_u32_e64 s[4:5], v24, v21
	s_and_saveexec_b64 s[10:11], s[4:5]
	s_cbranch_execz .LBB32_30
; %bb.29:
	ds_read2_b64 v[24:27], v20 offset1:4
	ds_read_u8 v28, v19 offset:4
	ds_read_u8 v29, v19
	ds_write_b16 v18, v23
	ds_write_b16 v18, v22 offset:8
	s_waitcnt lgkmcnt(4)
	ds_write2_b64 v20, v[26:27], v[24:25] offset1:4
	s_waitcnt lgkmcnt(4)
	ds_write_b8 v19, v28
	s_waitcnt lgkmcnt(4)
	ds_write_b8 v19, v29 offset:4
.LBB32_30:
	s_or_b64 exec, exec, s[10:11]
	s_waitcnt lgkmcnt(0)
	s_barrier
	ds_read_u16 v22, v11
	ds_read_u16 v23, v11 offset:4
                                        ; implicit-def: $sgpr16
	s_waitcnt lgkmcnt(0)
	v_cmp_ge_i16_e64 s[10:11], v22, v23
	v_cmp_lt_i16_e64 s[4:5], v22, v23
	s_and_saveexec_b64 s[12:13], s[4:5]
	s_cbranch_execnz .LBB32_89
; %bb.31:
	s_or_b64 exec, exec, s[12:13]
	v_mov_b32_e32 v24, s16
	s_and_saveexec_b64 s[4:5], s[10:11]
	s_cbranch_execnz .LBB32_90
.LBB32_32:
	s_or_b64 exec, exec, s[4:5]
	v_cmp_eq_u32_e64 s[4:5], v24, v21
	s_and_saveexec_b64 s[10:11], s[4:5]
	s_cbranch_execz .LBB32_34
.LBB32_33:
	ds_read2_b64 v[24:27], v14 offset1:2
	ds_read_u8 v28, v12 offset:2
	ds_read_u8 v29, v12
	ds_write_b16 v11, v23
	ds_write_b16 v11, v22 offset:4
	s_waitcnt lgkmcnt(4)
	ds_write2_b64 v14, v[26:27], v[24:25] offset1:2
	s_waitcnt lgkmcnt(4)
	ds_write_b8 v12, v28
	s_waitcnt lgkmcnt(4)
	ds_write_b8 v12, v29 offset:2
.LBB32_34:
	s_or_b64 exec, exec, s[10:11]
	s_waitcnt lgkmcnt(0)
	s_barrier
	ds_read_b32 v22, v1
                                        ; implicit-def: $sgpr16
	s_waitcnt lgkmcnt(0)
	v_cmp_ge_i16_sdwa s[10:11], v22, v22 src0_sel:DWORD src1_sel:WORD_1
	v_cmp_lt_i16_sdwa s[4:5], v22, v22 src0_sel:DWORD src1_sel:WORD_1
	s_and_saveexec_b64 s[12:13], s[4:5]
	s_cbranch_execnz .LBB32_91
; %bb.35:
	s_or_b64 exec, exec, s[12:13]
	v_mov_b32_e32 v23, s16
	s_and_saveexec_b64 s[4:5], s[10:11]
	s_cbranch_execnz .LBB32_92
.LBB32_36:
	s_or_b64 exec, exec, s[4:5]
	v_cmp_eq_u32_e64 s[4:5], v23, v21
	s_and_saveexec_b64 s[10:11], s[4:5]
	s_cbranch_execz .LBB32_38
.LBB32_37:
	v_add_u32_e32 v21, v8, v10
	ds_read_b128 v[24:27], v21
	ds_read_u16 v28, v0
	v_alignbit_b32 v22, v22, v22, 16
	ds_write_b32 v1, v22
	s_mov_b32 s4, 0xc0c0001
	s_waitcnt lgkmcnt(2)
	v_mov_b32_e32 v22, v26
	v_mov_b32_e32 v23, v27
	ds_write_b128 v21, v[22:25]
	s_waitcnt lgkmcnt(2)
	v_perm_b32 v21, 0, v28, s4
	ds_write_b16 v0, v21
.LBB32_38:
	s_or_b64 exec, exec, s[10:11]
	v_and_b32_e32 v21, 7, v3
	v_sub_u32_e32 v23, v17, v21
	v_lshl_add_u32 v21, v23, 1, v16
	s_waitcnt lgkmcnt(0)
	s_barrier
	ds_read_u16 v25, v21
	ds_read_u16 v26, v21 offset:16
	s_mov_b32 s16, 1
	v_add_u32_e32 v22, v15, v23
	s_waitcnt lgkmcnt(0)
	v_cmp_ge_i16_e64 s[10:11], v25, v26
	v_cmp_lt_i16_e64 s[4:5], v25, v26
	s_and_saveexec_b64 s[12:13], s[4:5]
	s_cbranch_execz .LBB32_40
; %bb.39:
	ds_read_u8 v24, v22
	s_andn2_b64 s[10:11], s[10:11], exec
	s_waitcnt lgkmcnt(0)
	v_and_b32_e32 v24, 1, v24
	v_cmp_eq_u32_e64 s[4:5], 1, v24
	s_xor_b64 s[4:5], s[4:5], -1
	s_and_b64 s[4:5], s[4:5], exec
	s_or_b64 s[10:11], s[10:11], s[4:5]
.LBB32_40:
	s_or_b64 exec, exec, s[12:13]
	v_mov_b32_e32 v27, s16
	s_and_saveexec_b64 s[4:5], s[10:11]
	s_cbranch_execz .LBB32_42
; %bb.41:
	ds_read_u8 v24, v22 offset:8
	s_waitcnt lgkmcnt(0)
	v_xor_b32_e32 v27, 1, v24
.LBB32_42:
	s_or_b64 exec, exec, s[4:5]
	v_bfe_u32 v24, v3, 3, 1
	v_lshl_add_u32 v23, v23, 3, v13
	v_cmp_eq_u32_e64 s[4:5], v27, v24
	s_and_saveexec_b64 s[10:11], s[4:5]
	s_cbranch_execz .LBB32_44
; %bb.43:
	ds_read2_b64 v[28:31], v23 offset1:8
	ds_read_u8 v27, v22 offset:8
	ds_read_u8 v32, v22
	ds_write_b16 v21, v26
	ds_write_b16 v21, v25 offset:16
	s_waitcnt lgkmcnt(4)
	ds_write2_b64 v23, v[30:31], v[28:29] offset1:8
	s_waitcnt lgkmcnt(4)
	ds_write_b8 v22, v27
	s_waitcnt lgkmcnt(4)
	ds_write_b8 v22, v32 offset:8
.LBB32_44:
	s_or_b64 exec, exec, s[10:11]
	s_waitcnt lgkmcnt(0)
	s_barrier
	ds_read_u16 v25, v18
	ds_read_u16 v26, v18 offset:8
                                        ; implicit-def: $sgpr16
	s_waitcnt lgkmcnt(0)
	v_cmp_ge_i16_e64 s[10:11], v25, v26
	v_cmp_lt_i16_e64 s[4:5], v25, v26
	s_and_saveexec_b64 s[12:13], s[4:5]
	s_cbranch_execnz .LBB32_93
; %bb.45:
	s_or_b64 exec, exec, s[12:13]
	v_mov_b32_e32 v27, s16
	s_and_saveexec_b64 s[4:5], s[10:11]
	s_cbranch_execnz .LBB32_94
.LBB32_46:
	s_or_b64 exec, exec, s[4:5]
	v_cmp_eq_u32_e64 s[4:5], v27, v24
	s_and_saveexec_b64 s[10:11], s[4:5]
	s_cbranch_execz .LBB32_48
.LBB32_47:
	ds_read2_b64 v[28:31], v20 offset1:4
	ds_read_u8 v27, v19 offset:4
	ds_read_u8 v32, v19
	ds_write_b16 v18, v26
	ds_write_b16 v18, v25 offset:8
	s_waitcnt lgkmcnt(4)
	ds_write2_b64 v20, v[30:31], v[28:29] offset1:4
	s_waitcnt lgkmcnt(4)
	ds_write_b8 v19, v27
	s_waitcnt lgkmcnt(4)
	ds_write_b8 v19, v32 offset:4
.LBB32_48:
	s_or_b64 exec, exec, s[10:11]
	s_waitcnt lgkmcnt(0)
	s_barrier
	ds_read_u16 v25, v11
	ds_read_u16 v26, v11 offset:4
                                        ; implicit-def: $sgpr16
	s_waitcnt lgkmcnt(0)
	v_cmp_ge_i16_e64 s[10:11], v25, v26
	v_cmp_lt_i16_e64 s[4:5], v25, v26
	s_and_saveexec_b64 s[12:13], s[4:5]
	s_cbranch_execnz .LBB32_95
; %bb.49:
	s_or_b64 exec, exec, s[12:13]
	v_mov_b32_e32 v27, s16
	s_and_saveexec_b64 s[4:5], s[10:11]
	s_cbranch_execnz .LBB32_96
.LBB32_50:
	s_or_b64 exec, exec, s[4:5]
	v_cmp_eq_u32_e64 s[4:5], v27, v24
	s_and_saveexec_b64 s[10:11], s[4:5]
	s_cbranch_execz .LBB32_52
.LBB32_51:
	ds_read2_b64 v[28:31], v14 offset1:2
	ds_read_u8 v27, v12 offset:2
	ds_read_u8 v32, v12
	ds_write_b16 v11, v26
	ds_write_b16 v11, v25 offset:4
	s_waitcnt lgkmcnt(4)
	ds_write2_b64 v14, v[30:31], v[28:29] offset1:2
	s_waitcnt lgkmcnt(4)
	ds_write_b8 v12, v27
	s_waitcnt lgkmcnt(4)
	ds_write_b8 v12, v32 offset:2
.LBB32_52:
	s_or_b64 exec, exec, s[10:11]
	s_waitcnt lgkmcnt(0)
	s_barrier
	ds_read_b32 v25, v1
                                        ; implicit-def: $sgpr16
	s_waitcnt lgkmcnt(0)
	v_cmp_ge_i16_sdwa s[10:11], v25, v25 src0_sel:DWORD src1_sel:WORD_1
	v_cmp_lt_i16_sdwa s[4:5], v25, v25 src0_sel:DWORD src1_sel:WORD_1
	s_and_saveexec_b64 s[12:13], s[4:5]
	s_cbranch_execnz .LBB32_97
; %bb.53:
	s_or_b64 exec, exec, s[12:13]
	v_mov_b32_e32 v26, s16
	s_and_saveexec_b64 s[4:5], s[10:11]
	s_cbranch_execnz .LBB32_98
.LBB32_54:
	s_or_b64 exec, exec, s[4:5]
	v_cmp_eq_u32_e64 s[4:5], v26, v24
	s_and_saveexec_b64 s[10:11], s[4:5]
	s_cbranch_execz .LBB32_56
.LBB32_55:
	v_add_u32_e32 v30, v8, v10
	ds_read_b128 v[26:29], v30
	ds_read_u16 v31, v0
	v_alignbit_b32 v24, v25, v25, 16
	ds_write_b32 v1, v24
	s_mov_b32 s4, 0xc0c0001
	s_waitcnt lgkmcnt(2)
	v_mov_b32_e32 v24, v28
	v_mov_b32_e32 v25, v29
	ds_write_b128 v30, v[24:27]
	s_waitcnt lgkmcnt(2)
	v_perm_b32 v24, 0, v31, s4
	ds_write_b16 v0, v24
.LBB32_56:
	s_or_b64 exec, exec, s[10:11]
	v_and_b32_e32 v24, 15, v3
	v_sub_u32_e32 v25, v17, v24
	v_lshl_add_u32 v16, v25, 1, v16
	s_waitcnt lgkmcnt(0)
	s_barrier
	ds_read_u16 v17, v16
	ds_read_u16 v24, v16 offset:32
	v_add_u32_e32 v15, v15, v25
	s_waitcnt lgkmcnt(0)
	v_cmp_ge_i16_e64 s[12:13], v17, v24
	v_cmp_lt_i16_e64 s[4:5], v17, v24
	s_and_saveexec_b64 s[10:11], s[4:5]
	s_cbranch_execz .LBB32_58
; %bb.57:
	ds_read_u8 v26, v15
	s_andn2_b64 s[12:13], s[12:13], exec
	s_waitcnt lgkmcnt(0)
	v_and_b32_e32 v26, 1, v26
	v_cmp_eq_u32_e64 s[4:5], 1, v26
	s_xor_b64 s[4:5], s[4:5], -1
	s_and_b64 s[4:5], s[4:5], exec
	s_or_b64 s[12:13], s[12:13], s[4:5]
.LBB32_58:
	s_or_b64 exec, exec, s[10:11]
	s_and_saveexec_b64 s[10:11], s[12:13]
	s_cbranch_execz .LBB32_61
; %bb.59:
	ds_read_u8 v26, v15 offset:16
	s_waitcnt lgkmcnt(0)
	v_cmp_ne_u16_e64 s[4:5], 0, v26
	s_and_b64 exec, exec, s[4:5]
	s_cbranch_execz .LBB32_61
; %bb.60:
	v_lshl_add_u32 v13, v25, 3, v13
	ds_read2_b64 v[28:31], v13 offset1:16
	ds_read_u8 v25, v15
	ds_write_b16 v16, v24
	ds_write_b16 v16, v17 offset:32
	ds_write_b8 v15, v26
	s_waitcnt lgkmcnt(4)
	ds_write2_b64 v13, v[30:31], v[28:29] offset1:16
	s_waitcnt lgkmcnt(4)
	ds_write_b8 v15, v25 offset:16
.LBB32_61:
	s_or_b64 exec, exec, s[10:11]
	s_waitcnt lgkmcnt(0)
	s_barrier
	ds_read_u16 v13, v21
	ds_read_u16 v15, v21 offset:16
	s_waitcnt lgkmcnt(0)
	v_cmp_ge_i16_e64 s[12:13], v13, v15
	v_cmp_lt_i16_e64 s[4:5], v13, v15
	s_and_saveexec_b64 s[10:11], s[4:5]
	s_cbranch_execz .LBB32_63
; %bb.62:
	ds_read_u8 v16, v22
	s_andn2_b64 s[12:13], s[12:13], exec
	s_waitcnt lgkmcnt(0)
	v_and_b32_e32 v16, 1, v16
	v_cmp_eq_u32_e64 s[4:5], 1, v16
	s_xor_b64 s[4:5], s[4:5], -1
	s_and_b64 s[4:5], s[4:5], exec
	s_or_b64 s[12:13], s[12:13], s[4:5]
.LBB32_63:
	s_or_b64 exec, exec, s[10:11]
	s_and_saveexec_b64 s[10:11], s[12:13]
	s_cbranch_execz .LBB32_66
; %bb.64:
	ds_read_u8 v16, v22 offset:8
	s_waitcnt lgkmcnt(0)
	v_cmp_ne_u16_e64 s[4:5], 0, v16
	s_and_b64 exec, exec, s[4:5]
	s_cbranch_execz .LBB32_66
; %bb.65:
	ds_read2_b64 v[24:27], v23 offset1:8
	ds_read_u8 v17, v22
	ds_write_b16 v21, v15
	ds_write_b16 v21, v13 offset:16
	ds_write_b8 v22, v16
	s_waitcnt lgkmcnt(4)
	ds_write2_b64 v23, v[26:27], v[24:25] offset1:8
	s_waitcnt lgkmcnt(4)
	ds_write_b8 v22, v17 offset:8
.LBB32_66:
	s_or_b64 exec, exec, s[10:11]
	s_waitcnt lgkmcnt(0)
	s_barrier
	ds_read_u16 v13, v18
	ds_read_u16 v15, v18 offset:8
	s_waitcnt lgkmcnt(0)
	v_cmp_ge_i16_e64 s[12:13], v13, v15
	v_cmp_lt_i16_e64 s[4:5], v13, v15
	s_and_saveexec_b64 s[10:11], s[4:5]
	s_cbranch_execz .LBB32_68
; %bb.67:
	ds_read_u8 v16, v19
	s_andn2_b64 s[12:13], s[12:13], exec
	s_waitcnt lgkmcnt(0)
	v_and_b32_e32 v16, 1, v16
	v_cmp_eq_u32_e64 s[4:5], 1, v16
	s_xor_b64 s[4:5], s[4:5], -1
	s_and_b64 s[4:5], s[4:5], exec
	s_or_b64 s[12:13], s[12:13], s[4:5]
.LBB32_68:
	s_or_b64 exec, exec, s[10:11]
	s_and_saveexec_b64 s[10:11], s[12:13]
	s_cbranch_execz .LBB32_71
; %bb.69:
	ds_read_u8 v16, v19 offset:4
	s_waitcnt lgkmcnt(0)
	v_cmp_ne_u16_e64 s[4:5], 0, v16
	s_and_b64 exec, exec, s[4:5]
	s_cbranch_execz .LBB32_71
; %bb.70:
	ds_read2_b64 v[22:25], v20 offset1:4
	ds_read_u8 v17, v19
	ds_write_b16 v18, v15
	ds_write_b16 v18, v13 offset:8
	ds_write_b8 v19, v16
	s_waitcnt lgkmcnt(4)
	ds_write2_b64 v20, v[24:25], v[22:23] offset1:4
	s_waitcnt lgkmcnt(4)
	ds_write_b8 v19, v17 offset:4
.LBB32_71:
	;; [unrolled: 40-line block ×3, first 2 shown]
	s_or_b64 exec, exec, s[10:11]
	s_waitcnt lgkmcnt(0)
	s_barrier
	ds_read_b32 v11, v1
	s_waitcnt lgkmcnt(0)
	v_cmp_ge_i16_sdwa s[12:13], v11, v11 src0_sel:DWORD src1_sel:WORD_1
	v_cmp_lt_i16_sdwa s[4:5], v11, v11 src0_sel:DWORD src1_sel:WORD_1
	s_and_saveexec_b64 s[10:11], s[4:5]
	s_cbranch_execz .LBB32_78
; %bb.77:
	ds_read_u8 v12, v0
	s_andn2_b64 s[12:13], s[12:13], exec
	s_waitcnt lgkmcnt(0)
	v_and_b32_e32 v12, 1, v12
	v_cmp_eq_u32_e64 s[4:5], 1, v12
	s_xor_b64 s[4:5], s[4:5], -1
	s_and_b64 s[4:5], s[4:5], exec
	s_or_b64 s[12:13], s[12:13], s[4:5]
.LBB32_78:
	s_or_b64 exec, exec, s[10:11]
	s_and_saveexec_b64 s[10:11], s[12:13]
	s_cbranch_execz .LBB32_81
; %bb.79:
	ds_read_u8 v12, v0 offset:1
	s_waitcnt lgkmcnt(0)
	v_cmp_ne_u16_e64 s[4:5], 0, v12
	s_and_b64 exec, exec, s[4:5]
	s_cbranch_execz .LBB32_81
; %bb.80:
	v_add_u32_e32 v10, v8, v10
	v_alignbit_b32 v11, v11, v11, 16
	ds_read_b128 v[14:17], v10
	ds_write_b32 v1, v11
	ds_read_u8 v1, v0
	s_waitcnt lgkmcnt(2)
	v_mov_b32_e32 v18, v14
	v_mov_b32_e32 v19, v15
	s_waitcnt lgkmcnt(0)
	v_lshlrev_b16_e32 v1, 8, v1
	v_or_b32_e32 v1, v12, v1
	ds_write_b128 v10, v[16:19]
	ds_write_b16 v0, v1
.LBB32_81:
	s_or_b64 exec, exec, s[10:11]
	s_waitcnt lgkmcnt(0)
	s_barrier
	s_and_saveexec_b64 s[4:5], vcc
	s_cbranch_execz .LBB32_86
; %bb.82:
	s_and_saveexec_b64 s[4:5], s[0:1]
	s_cbranch_execz .LBB32_84
; %bb.83:
	ds_read_u16 v12, v9
	v_mad_u64_u32 v[0:1], s[0:1], v3, s14, v[4:5]
	v_mov_b32_e32 v1, 0
	v_lshlrev_b64 v[10:11], 1, v[0:1]
	v_mov_b32_e32 v0, s7
	v_add_co_u32_e32 v10, vcc, s6, v10
	v_addc_co_u32_e32 v11, vcc, v0, v11, vcc
	ds_read_b64 v[8:9], v8
	s_waitcnt lgkmcnt(1)
	global_store_short v[10:11], v12, off
	v_mad_u64_u32 v[10:11], s[0:1], v3, s15, v[2:3]
	v_mov_b32_e32 v11, v1
	v_lshlrev_b64 v[0:1], 3, v[10:11]
	v_mov_b32_e32 v3, s9
	v_add_co_u32_e32 v0, vcc, s8, v0
	v_addc_co_u32_e32 v1, vcc, v3, v1, vcc
	s_waitcnt lgkmcnt(0)
	global_store_dwordx2 v[0:1], v[8:9], off
.LBB32_84:
	s_or_b64 exec, exec, s[4:5]
	s_and_b64 exec, exec, s[2:3]
	s_cbranch_execz .LBB32_86
; %bb.85:
	ds_read_u16 v3, v7
	v_mad_u64_u32 v[0:1], s[0:1], v5, s14, v[4:5]
	v_mov_b32_e32 v1, 0
	v_lshlrev_b64 v[8:9], 1, v[0:1]
	v_mov_b32_e32 v0, s7
	v_add_co_u32_e32 v8, vcc, s6, v8
	v_addc_co_u32_e32 v9, vcc, v0, v9, vcc
	ds_read_b64 v[6:7], v6
	s_waitcnt lgkmcnt(1)
	global_store_short v[8:9], v3, off
	v_mad_u64_u32 v[2:3], s[0:1], v5, s15, v[2:3]
	v_mov_b32_e32 v3, v1
	v_lshlrev_b64 v[0:1], 3, v[2:3]
	v_mov_b32_e32 v2, s9
	v_add_co_u32_e32 v0, vcc, s8, v0
	v_addc_co_u32_e32 v1, vcc, v2, v1, vcc
	s_waitcnt lgkmcnt(0)
	global_store_dwordx2 v[0:1], v[6:7], off
.LBB32_86:
	s_endpgm
.LBB32_87:
	ds_read_u8 v20, v0
	s_andn2_b64 s[10:11], s[10:11], exec
	s_mov_b32 s16, 1
	s_waitcnt lgkmcnt(0)
	v_and_b32_e32 v20, 1, v20
	v_cmp_eq_u32_e64 s[4:5], 1, v20
	s_xor_b64 s[4:5], s[4:5], -1
	s_and_b64 s[4:5], s[4:5], exec
	s_or_b64 s[10:11], s[10:11], s[4:5]
	s_or_b64 exec, exec, s[12:13]
	v_mov_b32_e32 v20, s16
	s_and_saveexec_b64 s[4:5], s[10:11]
	s_cbranch_execz .LBB32_22
.LBB32_88:
	ds_read_u8 v20, v0 offset:1
	s_waitcnt lgkmcnt(0)
	v_xor_b32_e32 v20, 1, v20
	s_or_b64 exec, exec, s[4:5]
	v_cmp_eq_u32_e64 s[4:5], v20, v18
	s_and_saveexec_b64 s[10:11], s[4:5]
	s_cbranch_execnz .LBB32_23
	s_branch .LBB32_24
.LBB32_89:
	ds_read_u8 v24, v12
	s_andn2_b64 s[10:11], s[10:11], exec
	s_mov_b32 s16, 1
	s_waitcnt lgkmcnt(0)
	v_and_b32_e32 v24, 1, v24
	v_cmp_eq_u32_e64 s[4:5], 1, v24
	s_xor_b64 s[4:5], s[4:5], -1
	s_and_b64 s[4:5], s[4:5], exec
	s_or_b64 s[10:11], s[10:11], s[4:5]
	s_or_b64 exec, exec, s[12:13]
	v_mov_b32_e32 v24, s16
	s_and_saveexec_b64 s[4:5], s[10:11]
	s_cbranch_execz .LBB32_32
.LBB32_90:
	ds_read_u8 v24, v12 offset:2
	s_waitcnt lgkmcnt(0)
	v_xor_b32_e32 v24, 1, v24
	s_or_b64 exec, exec, s[4:5]
	v_cmp_eq_u32_e64 s[4:5], v24, v21
	s_and_saveexec_b64 s[10:11], s[4:5]
	s_cbranch_execnz .LBB32_33
	s_branch .LBB32_34
.LBB32_91:
	ds_read_u8 v23, v0
	s_andn2_b64 s[10:11], s[10:11], exec
	s_mov_b32 s16, 1
	s_waitcnt lgkmcnt(0)
	v_and_b32_e32 v23, 1, v23
	v_cmp_eq_u32_e64 s[4:5], 1, v23
	s_xor_b64 s[4:5], s[4:5], -1
	s_and_b64 s[4:5], s[4:5], exec
	s_or_b64 s[10:11], s[10:11], s[4:5]
	s_or_b64 exec, exec, s[12:13]
	v_mov_b32_e32 v23, s16
	s_and_saveexec_b64 s[4:5], s[10:11]
	s_cbranch_execz .LBB32_36
.LBB32_92:
	ds_read_u8 v23, v0 offset:1
	s_waitcnt lgkmcnt(0)
	v_xor_b32_e32 v23, 1, v23
	s_or_b64 exec, exec, s[4:5]
	v_cmp_eq_u32_e64 s[4:5], v23, v21
	s_and_saveexec_b64 s[10:11], s[4:5]
	s_cbranch_execnz .LBB32_37
	s_branch .LBB32_38
.LBB32_93:
	ds_read_u8 v27, v19
	s_andn2_b64 s[10:11], s[10:11], exec
	s_mov_b32 s16, 1
	s_waitcnt lgkmcnt(0)
	v_and_b32_e32 v27, 1, v27
	v_cmp_eq_u32_e64 s[4:5], 1, v27
	s_xor_b64 s[4:5], s[4:5], -1
	s_and_b64 s[4:5], s[4:5], exec
	s_or_b64 s[10:11], s[10:11], s[4:5]
	s_or_b64 exec, exec, s[12:13]
	v_mov_b32_e32 v27, s16
	s_and_saveexec_b64 s[4:5], s[10:11]
	s_cbranch_execz .LBB32_46
.LBB32_94:
	ds_read_u8 v27, v19 offset:4
	s_waitcnt lgkmcnt(0)
	v_xor_b32_e32 v27, 1, v27
	s_or_b64 exec, exec, s[4:5]
	v_cmp_eq_u32_e64 s[4:5], v27, v24
	s_and_saveexec_b64 s[10:11], s[4:5]
	s_cbranch_execnz .LBB32_47
	s_branch .LBB32_48
.LBB32_95:
	ds_read_u8 v27, v12
	s_andn2_b64 s[10:11], s[10:11], exec
	s_mov_b32 s16, 1
	s_waitcnt lgkmcnt(0)
	v_and_b32_e32 v27, 1, v27
	v_cmp_eq_u32_e64 s[4:5], 1, v27
	s_xor_b64 s[4:5], s[4:5], -1
	s_and_b64 s[4:5], s[4:5], exec
	s_or_b64 s[10:11], s[10:11], s[4:5]
	s_or_b64 exec, exec, s[12:13]
	v_mov_b32_e32 v27, s16
	s_and_saveexec_b64 s[4:5], s[10:11]
	s_cbranch_execz .LBB32_50
.LBB32_96:
	ds_read_u8 v27, v12 offset:2
	s_waitcnt lgkmcnt(0)
	v_xor_b32_e32 v27, 1, v27
	s_or_b64 exec, exec, s[4:5]
	v_cmp_eq_u32_e64 s[4:5], v27, v24
	s_and_saveexec_b64 s[10:11], s[4:5]
	s_cbranch_execnz .LBB32_51
	s_branch .LBB32_52
.LBB32_97:
	ds_read_u8 v26, v0
	s_andn2_b64 s[10:11], s[10:11], exec
	s_mov_b32 s16, 1
	s_waitcnt lgkmcnt(0)
	v_and_b32_e32 v26, 1, v26
	v_cmp_eq_u32_e64 s[4:5], 1, v26
	s_xor_b64 s[4:5], s[4:5], -1
	s_and_b64 s[4:5], s[4:5], exec
	s_or_b64 s[10:11], s[10:11], s[4:5]
	s_or_b64 exec, exec, s[12:13]
	v_mov_b32_e32 v26, s16
	s_and_saveexec_b64 s[4:5], s[10:11]
	s_cbranch_execz .LBB32_54
.LBB32_98:
	ds_read_u8 v26, v0 offset:1
	s_waitcnt lgkmcnt(0)
	v_xor_b32_e32 v26, 1, v26
	s_or_b64 exec, exec, s[4:5]
	v_cmp_eq_u32_e64 s[4:5], v26, v24
	s_and_saveexec_b64 s[10:11], s[4:5]
	s_cbranch_execnz .LBB32_55
	s_branch .LBB32_56
	.section	.rodata,"a",@progbits
	.p2align	6, 0x0
	.amdhsa_kernel _ZN2at6native20bitonicSortKVInPlaceILin2ELin1ELi16ELi16EslNS0_4LTOpIsLb1EEEjEEvNS_4cuda6detail10TensorInfoIT3_T6_EES8_S8_S8_NS6_IT4_S8_EES8_T5_
		.amdhsa_group_segment_fixed_size 5632
		.amdhsa_private_segment_fixed_size 0
		.amdhsa_kernarg_size 712
		.amdhsa_user_sgpr_count 6
		.amdhsa_user_sgpr_private_segment_buffer 1
		.amdhsa_user_sgpr_dispatch_ptr 0
		.amdhsa_user_sgpr_queue_ptr 0
		.amdhsa_user_sgpr_kernarg_segment_ptr 1
		.amdhsa_user_sgpr_dispatch_id 0
		.amdhsa_user_sgpr_flat_scratch_init 0
		.amdhsa_user_sgpr_kernarg_preload_length 0
		.amdhsa_user_sgpr_kernarg_preload_offset 0
		.amdhsa_user_sgpr_private_segment_size 0
		.amdhsa_uses_dynamic_stack 0
		.amdhsa_system_sgpr_private_segment_wavefront_offset 0
		.amdhsa_system_sgpr_workgroup_id_x 1
		.amdhsa_system_sgpr_workgroup_id_y 1
		.amdhsa_system_sgpr_workgroup_id_z 1
		.amdhsa_system_sgpr_workgroup_info 0
		.amdhsa_system_vgpr_workitem_id 1
		.amdhsa_next_free_vgpr 33
		.amdhsa_next_free_sgpr 18
		.amdhsa_accum_offset 36
		.amdhsa_reserve_vcc 1
		.amdhsa_reserve_flat_scratch 0
		.amdhsa_float_round_mode_32 0
		.amdhsa_float_round_mode_16_64 0
		.amdhsa_float_denorm_mode_32 3
		.amdhsa_float_denorm_mode_16_64 3
		.amdhsa_dx10_clamp 1
		.amdhsa_ieee_mode 1
		.amdhsa_fp16_overflow 0
		.amdhsa_tg_split 0
		.amdhsa_exception_fp_ieee_invalid_op 0
		.amdhsa_exception_fp_denorm_src 0
		.amdhsa_exception_fp_ieee_div_zero 0
		.amdhsa_exception_fp_ieee_overflow 0
		.amdhsa_exception_fp_ieee_underflow 0
		.amdhsa_exception_fp_ieee_inexact 0
		.amdhsa_exception_int_div_zero 0
	.end_amdhsa_kernel
	.section	.text._ZN2at6native20bitonicSortKVInPlaceILin2ELin1ELi16ELi16EslNS0_4LTOpIsLb1EEEjEEvNS_4cuda6detail10TensorInfoIT3_T6_EES8_S8_S8_NS6_IT4_S8_EES8_T5_,"axG",@progbits,_ZN2at6native20bitonicSortKVInPlaceILin2ELin1ELi16ELi16EslNS0_4LTOpIsLb1EEEjEEvNS_4cuda6detail10TensorInfoIT3_T6_EES8_S8_S8_NS6_IT4_S8_EES8_T5_,comdat
.Lfunc_end32:
	.size	_ZN2at6native20bitonicSortKVInPlaceILin2ELin1ELi16ELi16EslNS0_4LTOpIsLb1EEEjEEvNS_4cuda6detail10TensorInfoIT3_T6_EES8_S8_S8_NS6_IT4_S8_EES8_T5_, .Lfunc_end32-_ZN2at6native20bitonicSortKVInPlaceILin2ELin1ELi16ELi16EslNS0_4LTOpIsLb1EEEjEEvNS_4cuda6detail10TensorInfoIT3_T6_EES8_S8_S8_NS6_IT4_S8_EES8_T5_
                                        ; -- End function
	.section	.AMDGPU.csdata,"",@progbits
; Kernel info:
; codeLenInByte = 4760
; NumSgprs: 22
; NumVgprs: 33
; NumAgprs: 0
; TotalNumVgprs: 33
; ScratchSize: 0
; MemoryBound: 0
; FloatMode: 240
; IeeeMode: 1
; LDSByteSize: 5632 bytes/workgroup (compile time only)
; SGPRBlocks: 2
; VGPRBlocks: 4
; NumSGPRsForWavesPerEU: 22
; NumVGPRsForWavesPerEU: 33
; AccumOffset: 36
; Occupancy: 8
; WaveLimiterHint : 1
; COMPUTE_PGM_RSRC2:SCRATCH_EN: 0
; COMPUTE_PGM_RSRC2:USER_SGPR: 6
; COMPUTE_PGM_RSRC2:TRAP_HANDLER: 0
; COMPUTE_PGM_RSRC2:TGID_X_EN: 1
; COMPUTE_PGM_RSRC2:TGID_Y_EN: 1
; COMPUTE_PGM_RSRC2:TGID_Z_EN: 1
; COMPUTE_PGM_RSRC2:TIDIG_COMP_CNT: 1
; COMPUTE_PGM_RSRC3_GFX90A:ACCUM_OFFSET: 8
; COMPUTE_PGM_RSRC3_GFX90A:TG_SPLIT: 0
	.section	.text._ZN2at6native20bitonicSortKVInPlaceILin2ELin1ELi16ELi16EslNS0_4GTOpIsLb1EEEjEEvNS_4cuda6detail10TensorInfoIT3_T6_EES8_S8_S8_NS6_IT4_S8_EES8_T5_,"axG",@progbits,_ZN2at6native20bitonicSortKVInPlaceILin2ELin1ELi16ELi16EslNS0_4GTOpIsLb1EEEjEEvNS_4cuda6detail10TensorInfoIT3_T6_EES8_S8_S8_NS6_IT4_S8_EES8_T5_,comdat
	.protected	_ZN2at6native20bitonicSortKVInPlaceILin2ELin1ELi16ELi16EslNS0_4GTOpIsLb1EEEjEEvNS_4cuda6detail10TensorInfoIT3_T6_EES8_S8_S8_NS6_IT4_S8_EES8_T5_ ; -- Begin function _ZN2at6native20bitonicSortKVInPlaceILin2ELin1ELi16ELi16EslNS0_4GTOpIsLb1EEEjEEvNS_4cuda6detail10TensorInfoIT3_T6_EES8_S8_S8_NS6_IT4_S8_EES8_T5_
	.globl	_ZN2at6native20bitonicSortKVInPlaceILin2ELin1ELi16ELi16EslNS0_4GTOpIsLb1EEEjEEvNS_4cuda6detail10TensorInfoIT3_T6_EES8_S8_S8_NS6_IT4_S8_EES8_T5_
	.p2align	8
	.type	_ZN2at6native20bitonicSortKVInPlaceILin2ELin1ELi16ELi16EslNS0_4GTOpIsLb1EEEjEEvNS_4cuda6detail10TensorInfoIT3_T6_EES8_S8_S8_NS6_IT4_S8_EES8_T5_,@function
_ZN2at6native20bitonicSortKVInPlaceILin2ELin1ELi16ELi16EslNS0_4GTOpIsLb1EEEjEEvNS_4cuda6detail10TensorInfoIT3_T6_EES8_S8_S8_NS6_IT4_S8_EES8_T5_: ; @_ZN2at6native20bitonicSortKVInPlaceILin2ELin1ELi16ELi16EslNS0_4GTOpIsLb1EEEjEEvNS_4cuda6detail10TensorInfoIT3_T6_EES8_S8_S8_NS6_IT4_S8_EES8_T5_
; %bb.0:
	s_load_dwordx2 s[2:3], s[4:5], 0x1c8
	s_load_dwordx4 s[12:15], s[4:5], 0xd8
	s_load_dword s9, s[4:5], 0x1d4
	s_add_u32 s0, s4, 0x1c8
	s_addc_u32 s1, s5, 0
	s_waitcnt lgkmcnt(0)
	s_mul_i32 s3, s3, s8
	s_add_i32 s3, s3, s7
	s_mul_i32 s2, s3, s2
	s_add_i32 s8, s2, s6
	s_lshr_b32 s2, s9, 16
	s_mul_i32 s8, s8, s2
	s_cmp_ge_u32 s8, s12
	s_cbranch_scc1 .LBB33_86
; %bb.1:
	s_load_dwordx2 s[6:7], s[4:5], 0x0
	s_load_dword s9, s[4:5], 0x1b8
	s_add_u32 s2, s4, 0xe8
	v_bfe_u32 v5, v0, 10, 10
	s_addc_u32 s3, s5, 0
	v_add_u32_e32 v1, s8, v5
	s_waitcnt lgkmcnt(0)
	s_cmp_lt_i32 s9, 2
	v_mov_b32_e32 v2, 0
	v_mov_b32_e32 v6, v1
	s_cbranch_scc1 .LBB33_4
; %bb.2:
	s_add_i32 s10, s9, 1
	s_add_i32 s8, s9, -1
	s_mov_b32 s9, 0
	s_lshl_b64 s[8:9], s[8:9], 2
	s_add_u32 s8, s8, s2
	s_addc_u32 s9, s9, s3
	s_add_u32 s8, s8, 8
	s_addc_u32 s9, s9, 0
	v_mov_b32_e32 v2, 0
	v_mov_b32_e32 v6, v1
.LBB33_3:                               ; =>This Inner Loop Header: Depth=1
	s_load_dword s11, s[8:9], 0x0
	s_load_dword s15, s[8:9], 0x64
	v_mov_b32_e32 v3, v6
	s_add_i32 s10, s10, -1
	s_waitcnt lgkmcnt(0)
	v_cvt_f32_u32_e32 v4, s11
	s_sub_i32 s16, 0, s11
	s_add_u32 s8, s8, -4
	s_addc_u32 s9, s9, -1
	v_rcp_iflag_f32_e32 v4, v4
	s_cmp_gt_u32 s10, 2
	v_mul_f32_e32 v4, 0x4f7ffffe, v4
	v_cvt_u32_f32_e32 v4, v4
	v_mul_lo_u32 v6, s16, v4
	v_mul_hi_u32 v6, v4, v6
	v_add_u32_e32 v4, v4, v6
	v_mul_hi_u32 v4, v3, v4
	v_mul_lo_u32 v6, v4, s11
	v_sub_u32_e32 v6, v3, v6
	v_add_u32_e32 v7, 1, v4
	v_cmp_le_u32_e32 vcc, s11, v6
	v_cndmask_b32_e32 v4, v4, v7, vcc
	v_subrev_u32_e32 v7, s11, v6
	v_cndmask_b32_e32 v6, v6, v7, vcc
	v_add_u32_e32 v7, 1, v4
	v_cmp_le_u32_e32 vcc, s11, v6
	v_cndmask_b32_e32 v6, v4, v7, vcc
	v_mul_lo_u32 v4, v6, s11
	v_sub_u32_e32 v3, v3, v4
	v_mad_u64_u32 v[2:3], s[16:17], s15, v3, v[2:3]
	s_cbranch_scc1 .LBB33_3
.LBB33_4:
	s_load_dword s8, s[4:5], 0x6c
	s_load_dword s15, s[4:5], 0x1c0
	;; [unrolled: 1-line block ×3, first 2 shown]
	v_cmp_gt_u32_e32 vcc, s12, v1
	s_load_dword s12, s[0:1], 0xc
	s_waitcnt lgkmcnt(0)
	v_mul_lo_u32 v4, s8, v1
	s_load_dwordx2 s[8:9], s[2:3], 0x0
	v_mad_u64_u32 v[2:3], s[2:3], s10, v6, v[2:3]
	v_and_b32_e32 v3, 0x3ff, v0
	v_cmp_gt_u32_e64 s[0:1], s13, v3
	v_pk_mov_b32 v[0:1], 0, 0
	s_and_b64 s[4:5], vcc, s[0:1]
	v_mov_b32_e32 v10, 0
	v_mov_b32_e32 v8, 0
	v_pk_mov_b32 v[6:7], v[0:1], v[0:1] op_sel:[0,1]
	s_and_saveexec_b64 s[10:11], s[4:5]
	s_cbranch_execz .LBB33_6
; %bb.5:
	v_mad_u64_u32 v[6:7], s[2:3], v3, s14, v[4:5]
	v_mov_b32_e32 v7, 0
	v_lshlrev_b64 v[8:9], 1, v[6:7]
	v_mov_b32_e32 v6, s7
	v_add_co_u32_e64 v8, s[2:3], s6, v8
	v_addc_co_u32_e64 v9, s[2:3], v6, v9, s[2:3]
	v_mad_u64_u32 v[12:13], s[2:3], v3, s15, v[2:3]
	v_mov_b32_e32 v13, v7
	v_lshlrev_b64 v[6:7], 3, v[12:13]
	global_load_ushort v8, v[8:9], off
	s_waitcnt lgkmcnt(0)
	v_mov_b32_e32 v9, s9
	v_add_co_u32_e64 v6, s[2:3], s8, v6
	v_addc_co_u32_e64 v7, s[2:3], v9, v7, s[2:3]
	global_load_dwordx2 v[6:7], v[6:7], off
.LBB33_6:
	s_or_b64 exec, exec, s[10:11]
	v_mov_b32_e32 v9, 0x1000
	v_lshl_add_u32 v16, v5, 6, v9
	v_mov_b32_e32 v9, 0x1400
	v_lshl_add_u32 v15, v5, 5, v9
	s_and_b32 s16, 0xffff, s12
	v_cndmask_b32_e64 v11, 0, 1, s[4:5]
	v_lshlrev_b32_e32 v13, 8, v5
	v_add_u32_e32 v5, v15, v3
	ds_write_b8 v5, v11
	v_add_u32_e32 v5, s16, v3
	v_lshl_add_u32 v9, v3, 1, v16
	v_cmp_gt_u32_e64 s[2:3], s13, v5
	s_waitcnt vmcnt(1)
	ds_write_b16 v9, v8
	v_lshl_add_u32 v8, v3, 3, v13
	s_and_b64 s[10:11], vcc, s[2:3]
	s_waitcnt vmcnt(0)
	ds_write_b64 v8, v[6:7]
	s_and_saveexec_b64 s[12:13], s[10:11]
	s_cbranch_execz .LBB33_8
; %bb.7:
	v_mad_u64_u32 v[0:1], s[4:5], v5, s14, v[4:5]
	v_mov_b32_e32 v1, 0
	v_lshlrev_b64 v[6:7], 1, v[0:1]
	v_mov_b32_e32 v0, s7
	v_add_co_u32_e64 v6, s[4:5], s6, v6
	v_addc_co_u32_e64 v7, s[4:5], v0, v7, s[4:5]
	global_load_ushort v10, v[6:7], off
	v_mad_u64_u32 v[6:7], s[4:5], v5, s15, v[2:3]
	v_mov_b32_e32 v7, v1
	v_lshlrev_b64 v[0:1], 3, v[6:7]
	s_waitcnt lgkmcnt(0)
	v_mov_b32_e32 v6, s9
	v_add_co_u32_e64 v0, s[4:5], s8, v0
	v_addc_co_u32_e64 v1, s[4:5], v6, v1, s[4:5]
	global_load_dwordx2 v[0:1], v[0:1], off
.LBB33_8:
	s_or_b64 exec, exec, s[12:13]
	v_lshl_add_u32 v6, s16, 3, v8
	v_lshlrev_b32_e32 v17, 1, v3
	v_cndmask_b32_e64 v11, 0, 1, s[10:11]
	v_lshl_add_u32 v7, s16, 1, v9
	s_waitcnt vmcnt(0)
	ds_write_b64 v6, v[0:1]
	v_add_u32_e32 v0, v15, v5
	v_add_u32_e32 v1, v9, v17
	ds_write_b16 v7, v10
	ds_write_b8 v0, v11
	s_waitcnt lgkmcnt(0)
	s_barrier
	ds_read_b32 v11, v1
	v_add_u32_e32 v0, v15, v17
                                        ; implicit-def: $sgpr16
	s_waitcnt lgkmcnt(0)
	v_cmp_le_i16_sdwa s[10:11], v11, v11 src0_sel:DWORD src1_sel:WORD_1
	v_cmp_gt_i16_sdwa s[4:5], v11, v11 src0_sel:DWORD src1_sel:WORD_1
	s_and_saveexec_b64 s[12:13], s[4:5]
	s_xor_b64 s[12:13], exec, s[12:13]
	s_cbranch_execz .LBB33_10
; %bb.9:
	ds_read_u8 v10, v0
	s_andn2_b64 s[10:11], s[10:11], exec
	s_mov_b32 s16, 1
	s_waitcnt lgkmcnt(0)
	v_and_b32_e32 v10, 1, v10
	v_cmp_eq_u32_e64 s[4:5], 1, v10
	s_xor_b64 s[4:5], s[4:5], -1
	s_and_b64 s[4:5], s[4:5], exec
	s_or_b64 s[10:11], s[10:11], s[4:5]
.LBB33_10:
	s_or_b64 exec, exec, s[12:13]
	v_mov_b32_e32 v14, s16
	s_and_saveexec_b64 s[4:5], s[10:11]
	s_cbranch_execz .LBB33_12
; %bb.11:
	ds_read_u8 v10, v0 offset:1
	s_waitcnt lgkmcnt(0)
	v_xor_b32_e32 v14, 1, v10
.LBB33_12:
	s_or_b64 exec, exec, s[4:5]
	v_and_b32_e32 v12, 1, v3
	v_lshlrev_b32_e32 v10, 3, v3
	v_cmp_eq_u32_e64 s[4:5], v14, v12
	s_and_saveexec_b64 s[10:11], s[4:5]
	s_cbranch_execz .LBB33_14
; %bb.13:
	v_add_u32_e32 v14, v8, v10
	v_alignbit_b32 v11, v11, v11, 16
	ds_read_b128 v[18:21], v14
	ds_write_b32 v1, v11
	ds_read_u16 v11, v0
	s_mov_b32 s4, 0xc0c0001
	s_waitcnt lgkmcnt(2)
	v_mov_b32_e32 v22, v18
	v_mov_b32_e32 v23, v19
	s_waitcnt lgkmcnt(0)
	v_perm_b32 v11, 0, v11, s4
	ds_write_b128 v14, v[20:23]
	ds_write_b16 v0, v11
.LBB33_14:
	s_or_b64 exec, exec, s[10:11]
	v_sub_u32_e32 v14, v17, v12
	v_lshl_add_u32 v11, v14, 1, v16
	s_waitcnt lgkmcnt(0)
	s_barrier
	ds_read_u16 v19, v11
	ds_read_u16 v20, v11 offset:4
	s_mov_b64 s[10:11], -1
	v_add_u32_e32 v12, v15, v14
                                        ; implicit-def: $sgpr16
	s_waitcnt lgkmcnt(0)
	v_cmp_gt_i16_e64 s[4:5], v19, v20
	s_and_saveexec_b64 s[12:13], s[4:5]
	s_xor_b64 s[12:13], exec, s[12:13]
	s_cbranch_execz .LBB33_16
; %bb.15:
	ds_read_u8 v18, v12
	s_mov_b32 s16, 1
	s_waitcnt lgkmcnt(0)
	v_and_b32_e32 v18, 1, v18
	v_cmp_eq_u32_e64 s[4:5], 1, v18
	s_xor_b64 s[4:5], s[4:5], -1
	s_orn2_b64 s[10:11], s[4:5], exec
.LBB33_16:
	s_or_b64 exec, exec, s[12:13]
	v_mov_b32_e32 v21, s16
	s_and_saveexec_b64 s[4:5], s[10:11]
	s_cbranch_execz .LBB33_18
; %bb.17:
	ds_read_u8 v18, v12 offset:2
	s_waitcnt lgkmcnt(0)
	v_xor_b32_e32 v21, 1, v18
.LBB33_18:
	s_or_b64 exec, exec, s[4:5]
	v_bfe_u32 v18, v3, 1, 1
	v_lshl_add_u32 v14, v14, 3, v13
	v_cmp_eq_u32_e64 s[4:5], v21, v18
	s_and_saveexec_b64 s[10:11], s[4:5]
	s_cbranch_execz .LBB33_20
; %bb.19:
	ds_read2_b64 v[22:25], v14 offset1:2
	ds_read_u8 v21, v12 offset:2
	ds_read_u8 v26, v12
	ds_write_b16 v11, v20
	ds_write_b16 v11, v19 offset:4
	s_waitcnt lgkmcnt(4)
	ds_write2_b64 v14, v[24:25], v[22:23] offset1:2
	s_waitcnt lgkmcnt(4)
	ds_write_b8 v12, v21
	s_waitcnt lgkmcnt(4)
	ds_write_b8 v12, v26 offset:2
.LBB33_20:
	s_or_b64 exec, exec, s[10:11]
	s_waitcnt lgkmcnt(0)
	s_barrier
	ds_read_b32 v19, v1
                                        ; implicit-def: $sgpr16
	s_waitcnt lgkmcnt(0)
	v_cmp_le_i16_sdwa s[10:11], v19, v19 src0_sel:DWORD src1_sel:WORD_1
	v_cmp_gt_i16_sdwa s[4:5], v19, v19 src0_sel:DWORD src1_sel:WORD_1
	s_and_saveexec_b64 s[12:13], s[4:5]
	s_cbranch_execnz .LBB33_87
; %bb.21:
	s_or_b64 exec, exec, s[12:13]
	v_mov_b32_e32 v20, s16
	s_and_saveexec_b64 s[4:5], s[10:11]
	s_cbranch_execnz .LBB33_88
.LBB33_22:
	s_or_b64 exec, exec, s[4:5]
	v_cmp_eq_u32_e64 s[4:5], v20, v18
	s_and_saveexec_b64 s[10:11], s[4:5]
	s_cbranch_execz .LBB33_24
.LBB33_23:
	v_add_u32_e32 v24, v8, v10
	ds_read_b128 v[20:23], v24
	ds_read_u16 v25, v0
	v_alignbit_b32 v18, v19, v19, 16
	ds_write_b32 v1, v18
	s_mov_b32 s4, 0xc0c0001
	s_waitcnt lgkmcnt(2)
	v_mov_b32_e32 v18, v22
	v_mov_b32_e32 v19, v23
	ds_write_b128 v24, v[18:21]
	s_waitcnt lgkmcnt(2)
	v_perm_b32 v18, 0, v25, s4
	ds_write_b16 v0, v18
.LBB33_24:
	s_or_b64 exec, exec, s[10:11]
	v_and_b32_e32 v18, 3, v3
	v_sub_u32_e32 v20, v17, v18
	v_lshl_add_u32 v18, v20, 1, v16
	s_waitcnt lgkmcnt(0)
	s_barrier
	ds_read_u16 v22, v18
	ds_read_u16 v23, v18 offset:8
	s_mov_b32 s16, 1
	v_add_u32_e32 v19, v15, v20
	s_waitcnt lgkmcnt(0)
	v_cmp_le_i16_e64 s[10:11], v22, v23
	v_cmp_gt_i16_e64 s[4:5], v22, v23
	s_and_saveexec_b64 s[12:13], s[4:5]
	s_cbranch_execz .LBB33_26
; %bb.25:
	ds_read_u8 v21, v19
	s_andn2_b64 s[10:11], s[10:11], exec
	s_waitcnt lgkmcnt(0)
	v_and_b32_e32 v21, 1, v21
	v_cmp_eq_u32_e64 s[4:5], 1, v21
	s_xor_b64 s[4:5], s[4:5], -1
	s_and_b64 s[4:5], s[4:5], exec
	s_or_b64 s[10:11], s[10:11], s[4:5]
.LBB33_26:
	s_or_b64 exec, exec, s[12:13]
	v_mov_b32_e32 v24, s16
	s_and_saveexec_b64 s[4:5], s[10:11]
	s_cbranch_execz .LBB33_28
; %bb.27:
	ds_read_u8 v21, v19 offset:4
	s_waitcnt lgkmcnt(0)
	v_xor_b32_e32 v24, 1, v21
.LBB33_28:
	s_or_b64 exec, exec, s[4:5]
	v_bfe_u32 v21, v3, 2, 1
	v_lshl_add_u32 v20, v20, 3, v13
	v_cmp_eq_u32_e64 s[4:5], v24, v21
	s_and_saveexec_b64 s[10:11], s[4:5]
	s_cbranch_execz .LBB33_30
; %bb.29:
	ds_read2_b64 v[24:27], v20 offset1:4
	ds_read_u8 v28, v19 offset:4
	ds_read_u8 v29, v19
	ds_write_b16 v18, v23
	ds_write_b16 v18, v22 offset:8
	s_waitcnt lgkmcnt(4)
	ds_write2_b64 v20, v[26:27], v[24:25] offset1:4
	s_waitcnt lgkmcnt(4)
	ds_write_b8 v19, v28
	s_waitcnt lgkmcnt(4)
	ds_write_b8 v19, v29 offset:4
.LBB33_30:
	s_or_b64 exec, exec, s[10:11]
	s_waitcnt lgkmcnt(0)
	s_barrier
	ds_read_u16 v22, v11
	ds_read_u16 v23, v11 offset:4
                                        ; implicit-def: $sgpr16
	s_waitcnt lgkmcnt(0)
	v_cmp_le_i16_e64 s[10:11], v22, v23
	v_cmp_gt_i16_e64 s[4:5], v22, v23
	s_and_saveexec_b64 s[12:13], s[4:5]
	s_cbranch_execnz .LBB33_89
; %bb.31:
	s_or_b64 exec, exec, s[12:13]
	v_mov_b32_e32 v24, s16
	s_and_saveexec_b64 s[4:5], s[10:11]
	s_cbranch_execnz .LBB33_90
.LBB33_32:
	s_or_b64 exec, exec, s[4:5]
	v_cmp_eq_u32_e64 s[4:5], v24, v21
	s_and_saveexec_b64 s[10:11], s[4:5]
	s_cbranch_execz .LBB33_34
.LBB33_33:
	ds_read2_b64 v[24:27], v14 offset1:2
	ds_read_u8 v28, v12 offset:2
	ds_read_u8 v29, v12
	ds_write_b16 v11, v23
	ds_write_b16 v11, v22 offset:4
	s_waitcnt lgkmcnt(4)
	ds_write2_b64 v14, v[26:27], v[24:25] offset1:2
	s_waitcnt lgkmcnt(4)
	ds_write_b8 v12, v28
	s_waitcnt lgkmcnt(4)
	ds_write_b8 v12, v29 offset:2
.LBB33_34:
	s_or_b64 exec, exec, s[10:11]
	s_waitcnt lgkmcnt(0)
	s_barrier
	ds_read_b32 v22, v1
                                        ; implicit-def: $sgpr16
	s_waitcnt lgkmcnt(0)
	v_cmp_le_i16_sdwa s[10:11], v22, v22 src0_sel:DWORD src1_sel:WORD_1
	v_cmp_gt_i16_sdwa s[4:5], v22, v22 src0_sel:DWORD src1_sel:WORD_1
	s_and_saveexec_b64 s[12:13], s[4:5]
	s_cbranch_execnz .LBB33_91
; %bb.35:
	s_or_b64 exec, exec, s[12:13]
	v_mov_b32_e32 v23, s16
	s_and_saveexec_b64 s[4:5], s[10:11]
	s_cbranch_execnz .LBB33_92
.LBB33_36:
	s_or_b64 exec, exec, s[4:5]
	v_cmp_eq_u32_e64 s[4:5], v23, v21
	s_and_saveexec_b64 s[10:11], s[4:5]
	s_cbranch_execz .LBB33_38
.LBB33_37:
	v_add_u32_e32 v21, v8, v10
	ds_read_b128 v[24:27], v21
	ds_read_u16 v28, v0
	v_alignbit_b32 v22, v22, v22, 16
	ds_write_b32 v1, v22
	s_mov_b32 s4, 0xc0c0001
	s_waitcnt lgkmcnt(2)
	v_mov_b32_e32 v22, v26
	v_mov_b32_e32 v23, v27
	ds_write_b128 v21, v[22:25]
	s_waitcnt lgkmcnt(2)
	v_perm_b32 v21, 0, v28, s4
	ds_write_b16 v0, v21
.LBB33_38:
	s_or_b64 exec, exec, s[10:11]
	v_and_b32_e32 v21, 7, v3
	v_sub_u32_e32 v23, v17, v21
	v_lshl_add_u32 v21, v23, 1, v16
	s_waitcnt lgkmcnt(0)
	s_barrier
	ds_read_u16 v25, v21
	ds_read_u16 v26, v21 offset:16
	s_mov_b32 s16, 1
	v_add_u32_e32 v22, v15, v23
	s_waitcnt lgkmcnt(0)
	v_cmp_le_i16_e64 s[10:11], v25, v26
	v_cmp_gt_i16_e64 s[4:5], v25, v26
	s_and_saveexec_b64 s[12:13], s[4:5]
	s_cbranch_execz .LBB33_40
; %bb.39:
	ds_read_u8 v24, v22
	s_andn2_b64 s[10:11], s[10:11], exec
	s_waitcnt lgkmcnt(0)
	v_and_b32_e32 v24, 1, v24
	v_cmp_eq_u32_e64 s[4:5], 1, v24
	s_xor_b64 s[4:5], s[4:5], -1
	s_and_b64 s[4:5], s[4:5], exec
	s_or_b64 s[10:11], s[10:11], s[4:5]
.LBB33_40:
	s_or_b64 exec, exec, s[12:13]
	v_mov_b32_e32 v27, s16
	s_and_saveexec_b64 s[4:5], s[10:11]
	s_cbranch_execz .LBB33_42
; %bb.41:
	ds_read_u8 v24, v22 offset:8
	s_waitcnt lgkmcnt(0)
	v_xor_b32_e32 v27, 1, v24
.LBB33_42:
	s_or_b64 exec, exec, s[4:5]
	v_bfe_u32 v24, v3, 3, 1
	v_lshl_add_u32 v23, v23, 3, v13
	v_cmp_eq_u32_e64 s[4:5], v27, v24
	s_and_saveexec_b64 s[10:11], s[4:5]
	s_cbranch_execz .LBB33_44
; %bb.43:
	ds_read2_b64 v[28:31], v23 offset1:8
	ds_read_u8 v27, v22 offset:8
	ds_read_u8 v32, v22
	ds_write_b16 v21, v26
	ds_write_b16 v21, v25 offset:16
	s_waitcnt lgkmcnt(4)
	ds_write2_b64 v23, v[30:31], v[28:29] offset1:8
	s_waitcnt lgkmcnt(4)
	ds_write_b8 v22, v27
	s_waitcnt lgkmcnt(4)
	ds_write_b8 v22, v32 offset:8
.LBB33_44:
	s_or_b64 exec, exec, s[10:11]
	s_waitcnt lgkmcnt(0)
	s_barrier
	ds_read_u16 v25, v18
	ds_read_u16 v26, v18 offset:8
                                        ; implicit-def: $sgpr16
	s_waitcnt lgkmcnt(0)
	v_cmp_le_i16_e64 s[10:11], v25, v26
	v_cmp_gt_i16_e64 s[4:5], v25, v26
	s_and_saveexec_b64 s[12:13], s[4:5]
	s_cbranch_execnz .LBB33_93
; %bb.45:
	s_or_b64 exec, exec, s[12:13]
	v_mov_b32_e32 v27, s16
	s_and_saveexec_b64 s[4:5], s[10:11]
	s_cbranch_execnz .LBB33_94
.LBB33_46:
	s_or_b64 exec, exec, s[4:5]
	v_cmp_eq_u32_e64 s[4:5], v27, v24
	s_and_saveexec_b64 s[10:11], s[4:5]
	s_cbranch_execz .LBB33_48
.LBB33_47:
	ds_read2_b64 v[28:31], v20 offset1:4
	ds_read_u8 v27, v19 offset:4
	ds_read_u8 v32, v19
	ds_write_b16 v18, v26
	ds_write_b16 v18, v25 offset:8
	s_waitcnt lgkmcnt(4)
	ds_write2_b64 v20, v[30:31], v[28:29] offset1:4
	s_waitcnt lgkmcnt(4)
	ds_write_b8 v19, v27
	s_waitcnt lgkmcnt(4)
	ds_write_b8 v19, v32 offset:4
.LBB33_48:
	s_or_b64 exec, exec, s[10:11]
	s_waitcnt lgkmcnt(0)
	s_barrier
	ds_read_u16 v25, v11
	ds_read_u16 v26, v11 offset:4
                                        ; implicit-def: $sgpr16
	s_waitcnt lgkmcnt(0)
	v_cmp_le_i16_e64 s[10:11], v25, v26
	v_cmp_gt_i16_e64 s[4:5], v25, v26
	s_and_saveexec_b64 s[12:13], s[4:5]
	s_cbranch_execnz .LBB33_95
; %bb.49:
	s_or_b64 exec, exec, s[12:13]
	v_mov_b32_e32 v27, s16
	s_and_saveexec_b64 s[4:5], s[10:11]
	s_cbranch_execnz .LBB33_96
.LBB33_50:
	s_or_b64 exec, exec, s[4:5]
	v_cmp_eq_u32_e64 s[4:5], v27, v24
	s_and_saveexec_b64 s[10:11], s[4:5]
	s_cbranch_execz .LBB33_52
.LBB33_51:
	ds_read2_b64 v[28:31], v14 offset1:2
	ds_read_u8 v27, v12 offset:2
	ds_read_u8 v32, v12
	ds_write_b16 v11, v26
	ds_write_b16 v11, v25 offset:4
	s_waitcnt lgkmcnt(4)
	ds_write2_b64 v14, v[30:31], v[28:29] offset1:2
	s_waitcnt lgkmcnt(4)
	ds_write_b8 v12, v27
	s_waitcnt lgkmcnt(4)
	ds_write_b8 v12, v32 offset:2
.LBB33_52:
	s_or_b64 exec, exec, s[10:11]
	s_waitcnt lgkmcnt(0)
	s_barrier
	ds_read_b32 v25, v1
                                        ; implicit-def: $sgpr16
	s_waitcnt lgkmcnt(0)
	v_cmp_le_i16_sdwa s[10:11], v25, v25 src0_sel:DWORD src1_sel:WORD_1
	v_cmp_gt_i16_sdwa s[4:5], v25, v25 src0_sel:DWORD src1_sel:WORD_1
	s_and_saveexec_b64 s[12:13], s[4:5]
	s_cbranch_execnz .LBB33_97
; %bb.53:
	s_or_b64 exec, exec, s[12:13]
	v_mov_b32_e32 v26, s16
	s_and_saveexec_b64 s[4:5], s[10:11]
	s_cbranch_execnz .LBB33_98
.LBB33_54:
	s_or_b64 exec, exec, s[4:5]
	v_cmp_eq_u32_e64 s[4:5], v26, v24
	s_and_saveexec_b64 s[10:11], s[4:5]
	s_cbranch_execz .LBB33_56
.LBB33_55:
	v_add_u32_e32 v30, v8, v10
	ds_read_b128 v[26:29], v30
	ds_read_u16 v31, v0
	v_alignbit_b32 v24, v25, v25, 16
	ds_write_b32 v1, v24
	s_mov_b32 s4, 0xc0c0001
	s_waitcnt lgkmcnt(2)
	v_mov_b32_e32 v24, v28
	v_mov_b32_e32 v25, v29
	ds_write_b128 v30, v[24:27]
	s_waitcnt lgkmcnt(2)
	v_perm_b32 v24, 0, v31, s4
	ds_write_b16 v0, v24
.LBB33_56:
	s_or_b64 exec, exec, s[10:11]
	v_and_b32_e32 v24, 15, v3
	v_sub_u32_e32 v25, v17, v24
	v_lshl_add_u32 v16, v25, 1, v16
	s_waitcnt lgkmcnt(0)
	s_barrier
	ds_read_u16 v17, v16
	ds_read_u16 v24, v16 offset:32
	v_add_u32_e32 v15, v15, v25
	s_waitcnt lgkmcnt(0)
	v_cmp_le_i16_e64 s[12:13], v17, v24
	v_cmp_gt_i16_e64 s[4:5], v17, v24
	s_and_saveexec_b64 s[10:11], s[4:5]
	s_cbranch_execz .LBB33_58
; %bb.57:
	ds_read_u8 v26, v15
	s_andn2_b64 s[12:13], s[12:13], exec
	s_waitcnt lgkmcnt(0)
	v_and_b32_e32 v26, 1, v26
	v_cmp_eq_u32_e64 s[4:5], 1, v26
	s_xor_b64 s[4:5], s[4:5], -1
	s_and_b64 s[4:5], s[4:5], exec
	s_or_b64 s[12:13], s[12:13], s[4:5]
.LBB33_58:
	s_or_b64 exec, exec, s[10:11]
	s_and_saveexec_b64 s[10:11], s[12:13]
	s_cbranch_execz .LBB33_61
; %bb.59:
	ds_read_u8 v26, v15 offset:16
	s_waitcnt lgkmcnt(0)
	v_cmp_ne_u16_e64 s[4:5], 0, v26
	s_and_b64 exec, exec, s[4:5]
	s_cbranch_execz .LBB33_61
; %bb.60:
	v_lshl_add_u32 v13, v25, 3, v13
	ds_read2_b64 v[28:31], v13 offset1:16
	ds_read_u8 v25, v15
	ds_write_b16 v16, v24
	ds_write_b16 v16, v17 offset:32
	ds_write_b8 v15, v26
	s_waitcnt lgkmcnt(4)
	ds_write2_b64 v13, v[30:31], v[28:29] offset1:16
	s_waitcnt lgkmcnt(4)
	ds_write_b8 v15, v25 offset:16
.LBB33_61:
	s_or_b64 exec, exec, s[10:11]
	s_waitcnt lgkmcnt(0)
	s_barrier
	ds_read_u16 v13, v21
	ds_read_u16 v15, v21 offset:16
	s_waitcnt lgkmcnt(0)
	v_cmp_le_i16_e64 s[12:13], v13, v15
	v_cmp_gt_i16_e64 s[4:5], v13, v15
	s_and_saveexec_b64 s[10:11], s[4:5]
	s_cbranch_execz .LBB33_63
; %bb.62:
	ds_read_u8 v16, v22
	s_andn2_b64 s[12:13], s[12:13], exec
	s_waitcnt lgkmcnt(0)
	v_and_b32_e32 v16, 1, v16
	v_cmp_eq_u32_e64 s[4:5], 1, v16
	s_xor_b64 s[4:5], s[4:5], -1
	s_and_b64 s[4:5], s[4:5], exec
	s_or_b64 s[12:13], s[12:13], s[4:5]
.LBB33_63:
	s_or_b64 exec, exec, s[10:11]
	s_and_saveexec_b64 s[10:11], s[12:13]
	s_cbranch_execz .LBB33_66
; %bb.64:
	ds_read_u8 v16, v22 offset:8
	s_waitcnt lgkmcnt(0)
	v_cmp_ne_u16_e64 s[4:5], 0, v16
	s_and_b64 exec, exec, s[4:5]
	s_cbranch_execz .LBB33_66
; %bb.65:
	ds_read2_b64 v[24:27], v23 offset1:8
	ds_read_u8 v17, v22
	ds_write_b16 v21, v15
	ds_write_b16 v21, v13 offset:16
	ds_write_b8 v22, v16
	s_waitcnt lgkmcnt(4)
	ds_write2_b64 v23, v[26:27], v[24:25] offset1:8
	s_waitcnt lgkmcnt(4)
	ds_write_b8 v22, v17 offset:8
.LBB33_66:
	s_or_b64 exec, exec, s[10:11]
	s_waitcnt lgkmcnt(0)
	s_barrier
	ds_read_u16 v13, v18
	ds_read_u16 v15, v18 offset:8
	s_waitcnt lgkmcnt(0)
	v_cmp_le_i16_e64 s[12:13], v13, v15
	v_cmp_gt_i16_e64 s[4:5], v13, v15
	s_and_saveexec_b64 s[10:11], s[4:5]
	s_cbranch_execz .LBB33_68
; %bb.67:
	ds_read_u8 v16, v19
	s_andn2_b64 s[12:13], s[12:13], exec
	s_waitcnt lgkmcnt(0)
	v_and_b32_e32 v16, 1, v16
	v_cmp_eq_u32_e64 s[4:5], 1, v16
	s_xor_b64 s[4:5], s[4:5], -1
	s_and_b64 s[4:5], s[4:5], exec
	s_or_b64 s[12:13], s[12:13], s[4:5]
.LBB33_68:
	s_or_b64 exec, exec, s[10:11]
	s_and_saveexec_b64 s[10:11], s[12:13]
	s_cbranch_execz .LBB33_71
; %bb.69:
	ds_read_u8 v16, v19 offset:4
	s_waitcnt lgkmcnt(0)
	v_cmp_ne_u16_e64 s[4:5], 0, v16
	s_and_b64 exec, exec, s[4:5]
	s_cbranch_execz .LBB33_71
; %bb.70:
	ds_read2_b64 v[22:25], v20 offset1:4
	ds_read_u8 v17, v19
	ds_write_b16 v18, v15
	ds_write_b16 v18, v13 offset:8
	ds_write_b8 v19, v16
	s_waitcnt lgkmcnt(4)
	ds_write2_b64 v20, v[24:25], v[22:23] offset1:4
	s_waitcnt lgkmcnt(4)
	ds_write_b8 v19, v17 offset:4
.LBB33_71:
	;; [unrolled: 40-line block ×3, first 2 shown]
	s_or_b64 exec, exec, s[10:11]
	s_waitcnt lgkmcnt(0)
	s_barrier
	ds_read_b32 v11, v1
	s_waitcnt lgkmcnt(0)
	v_cmp_le_i16_sdwa s[12:13], v11, v11 src0_sel:DWORD src1_sel:WORD_1
	v_cmp_gt_i16_sdwa s[4:5], v11, v11 src0_sel:DWORD src1_sel:WORD_1
	s_and_saveexec_b64 s[10:11], s[4:5]
	s_cbranch_execz .LBB33_78
; %bb.77:
	ds_read_u8 v12, v0
	s_andn2_b64 s[12:13], s[12:13], exec
	s_waitcnt lgkmcnt(0)
	v_and_b32_e32 v12, 1, v12
	v_cmp_eq_u32_e64 s[4:5], 1, v12
	s_xor_b64 s[4:5], s[4:5], -1
	s_and_b64 s[4:5], s[4:5], exec
	s_or_b64 s[12:13], s[12:13], s[4:5]
.LBB33_78:
	s_or_b64 exec, exec, s[10:11]
	s_and_saveexec_b64 s[10:11], s[12:13]
	s_cbranch_execz .LBB33_81
; %bb.79:
	ds_read_u8 v12, v0 offset:1
	s_waitcnt lgkmcnt(0)
	v_cmp_ne_u16_e64 s[4:5], 0, v12
	s_and_b64 exec, exec, s[4:5]
	s_cbranch_execz .LBB33_81
; %bb.80:
	v_add_u32_e32 v10, v8, v10
	v_alignbit_b32 v11, v11, v11, 16
	ds_read_b128 v[14:17], v10
	ds_write_b32 v1, v11
	ds_read_u8 v1, v0
	s_waitcnt lgkmcnt(2)
	v_mov_b32_e32 v18, v14
	v_mov_b32_e32 v19, v15
	s_waitcnt lgkmcnt(0)
	v_lshlrev_b16_e32 v1, 8, v1
	v_or_b32_e32 v1, v12, v1
	ds_write_b128 v10, v[16:19]
	ds_write_b16 v0, v1
.LBB33_81:
	s_or_b64 exec, exec, s[10:11]
	s_waitcnt lgkmcnt(0)
	s_barrier
	s_and_saveexec_b64 s[4:5], vcc
	s_cbranch_execz .LBB33_86
; %bb.82:
	s_and_saveexec_b64 s[4:5], s[0:1]
	s_cbranch_execz .LBB33_84
; %bb.83:
	ds_read_u16 v12, v9
	v_mad_u64_u32 v[0:1], s[0:1], v3, s14, v[4:5]
	v_mov_b32_e32 v1, 0
	v_lshlrev_b64 v[10:11], 1, v[0:1]
	v_mov_b32_e32 v0, s7
	v_add_co_u32_e32 v10, vcc, s6, v10
	v_addc_co_u32_e32 v11, vcc, v0, v11, vcc
	ds_read_b64 v[8:9], v8
	s_waitcnt lgkmcnt(1)
	global_store_short v[10:11], v12, off
	v_mad_u64_u32 v[10:11], s[0:1], v3, s15, v[2:3]
	v_mov_b32_e32 v11, v1
	v_lshlrev_b64 v[0:1], 3, v[10:11]
	v_mov_b32_e32 v3, s9
	v_add_co_u32_e32 v0, vcc, s8, v0
	v_addc_co_u32_e32 v1, vcc, v3, v1, vcc
	s_waitcnt lgkmcnt(0)
	global_store_dwordx2 v[0:1], v[8:9], off
.LBB33_84:
	s_or_b64 exec, exec, s[4:5]
	s_and_b64 exec, exec, s[2:3]
	s_cbranch_execz .LBB33_86
; %bb.85:
	ds_read_u16 v3, v7
	v_mad_u64_u32 v[0:1], s[0:1], v5, s14, v[4:5]
	v_mov_b32_e32 v1, 0
	v_lshlrev_b64 v[8:9], 1, v[0:1]
	v_mov_b32_e32 v0, s7
	v_add_co_u32_e32 v8, vcc, s6, v8
	v_addc_co_u32_e32 v9, vcc, v0, v9, vcc
	ds_read_b64 v[6:7], v6
	s_waitcnt lgkmcnt(1)
	global_store_short v[8:9], v3, off
	v_mad_u64_u32 v[2:3], s[0:1], v5, s15, v[2:3]
	v_mov_b32_e32 v3, v1
	v_lshlrev_b64 v[0:1], 3, v[2:3]
	v_mov_b32_e32 v2, s9
	v_add_co_u32_e32 v0, vcc, s8, v0
	v_addc_co_u32_e32 v1, vcc, v2, v1, vcc
	s_waitcnt lgkmcnt(0)
	global_store_dwordx2 v[0:1], v[6:7], off
.LBB33_86:
	s_endpgm
.LBB33_87:
	ds_read_u8 v20, v0
	s_andn2_b64 s[10:11], s[10:11], exec
	s_mov_b32 s16, 1
	s_waitcnt lgkmcnt(0)
	v_and_b32_e32 v20, 1, v20
	v_cmp_eq_u32_e64 s[4:5], 1, v20
	s_xor_b64 s[4:5], s[4:5], -1
	s_and_b64 s[4:5], s[4:5], exec
	s_or_b64 s[10:11], s[10:11], s[4:5]
	s_or_b64 exec, exec, s[12:13]
	v_mov_b32_e32 v20, s16
	s_and_saveexec_b64 s[4:5], s[10:11]
	s_cbranch_execz .LBB33_22
.LBB33_88:
	ds_read_u8 v20, v0 offset:1
	s_waitcnt lgkmcnt(0)
	v_xor_b32_e32 v20, 1, v20
	s_or_b64 exec, exec, s[4:5]
	v_cmp_eq_u32_e64 s[4:5], v20, v18
	s_and_saveexec_b64 s[10:11], s[4:5]
	s_cbranch_execnz .LBB33_23
	s_branch .LBB33_24
.LBB33_89:
	ds_read_u8 v24, v12
	s_andn2_b64 s[10:11], s[10:11], exec
	s_mov_b32 s16, 1
	s_waitcnt lgkmcnt(0)
	v_and_b32_e32 v24, 1, v24
	v_cmp_eq_u32_e64 s[4:5], 1, v24
	s_xor_b64 s[4:5], s[4:5], -1
	s_and_b64 s[4:5], s[4:5], exec
	s_or_b64 s[10:11], s[10:11], s[4:5]
	s_or_b64 exec, exec, s[12:13]
	v_mov_b32_e32 v24, s16
	s_and_saveexec_b64 s[4:5], s[10:11]
	s_cbranch_execz .LBB33_32
.LBB33_90:
	ds_read_u8 v24, v12 offset:2
	s_waitcnt lgkmcnt(0)
	v_xor_b32_e32 v24, 1, v24
	s_or_b64 exec, exec, s[4:5]
	v_cmp_eq_u32_e64 s[4:5], v24, v21
	s_and_saveexec_b64 s[10:11], s[4:5]
	s_cbranch_execnz .LBB33_33
	s_branch .LBB33_34
.LBB33_91:
	ds_read_u8 v23, v0
	s_andn2_b64 s[10:11], s[10:11], exec
	s_mov_b32 s16, 1
	s_waitcnt lgkmcnt(0)
	v_and_b32_e32 v23, 1, v23
	v_cmp_eq_u32_e64 s[4:5], 1, v23
	s_xor_b64 s[4:5], s[4:5], -1
	s_and_b64 s[4:5], s[4:5], exec
	s_or_b64 s[10:11], s[10:11], s[4:5]
	s_or_b64 exec, exec, s[12:13]
	v_mov_b32_e32 v23, s16
	s_and_saveexec_b64 s[4:5], s[10:11]
	s_cbranch_execz .LBB33_36
.LBB33_92:
	ds_read_u8 v23, v0 offset:1
	s_waitcnt lgkmcnt(0)
	v_xor_b32_e32 v23, 1, v23
	s_or_b64 exec, exec, s[4:5]
	v_cmp_eq_u32_e64 s[4:5], v23, v21
	s_and_saveexec_b64 s[10:11], s[4:5]
	s_cbranch_execnz .LBB33_37
	s_branch .LBB33_38
.LBB33_93:
	ds_read_u8 v27, v19
	s_andn2_b64 s[10:11], s[10:11], exec
	s_mov_b32 s16, 1
	s_waitcnt lgkmcnt(0)
	v_and_b32_e32 v27, 1, v27
	v_cmp_eq_u32_e64 s[4:5], 1, v27
	s_xor_b64 s[4:5], s[4:5], -1
	s_and_b64 s[4:5], s[4:5], exec
	s_or_b64 s[10:11], s[10:11], s[4:5]
	s_or_b64 exec, exec, s[12:13]
	v_mov_b32_e32 v27, s16
	s_and_saveexec_b64 s[4:5], s[10:11]
	s_cbranch_execz .LBB33_46
.LBB33_94:
	ds_read_u8 v27, v19 offset:4
	s_waitcnt lgkmcnt(0)
	v_xor_b32_e32 v27, 1, v27
	s_or_b64 exec, exec, s[4:5]
	v_cmp_eq_u32_e64 s[4:5], v27, v24
	s_and_saveexec_b64 s[10:11], s[4:5]
	s_cbranch_execnz .LBB33_47
	s_branch .LBB33_48
.LBB33_95:
	ds_read_u8 v27, v12
	s_andn2_b64 s[10:11], s[10:11], exec
	s_mov_b32 s16, 1
	s_waitcnt lgkmcnt(0)
	v_and_b32_e32 v27, 1, v27
	v_cmp_eq_u32_e64 s[4:5], 1, v27
	s_xor_b64 s[4:5], s[4:5], -1
	s_and_b64 s[4:5], s[4:5], exec
	s_or_b64 s[10:11], s[10:11], s[4:5]
	s_or_b64 exec, exec, s[12:13]
	v_mov_b32_e32 v27, s16
	s_and_saveexec_b64 s[4:5], s[10:11]
	s_cbranch_execz .LBB33_50
.LBB33_96:
	ds_read_u8 v27, v12 offset:2
	s_waitcnt lgkmcnt(0)
	v_xor_b32_e32 v27, 1, v27
	s_or_b64 exec, exec, s[4:5]
	v_cmp_eq_u32_e64 s[4:5], v27, v24
	s_and_saveexec_b64 s[10:11], s[4:5]
	s_cbranch_execnz .LBB33_51
	s_branch .LBB33_52
.LBB33_97:
	ds_read_u8 v26, v0
	s_andn2_b64 s[10:11], s[10:11], exec
	s_mov_b32 s16, 1
	s_waitcnt lgkmcnt(0)
	v_and_b32_e32 v26, 1, v26
	v_cmp_eq_u32_e64 s[4:5], 1, v26
	s_xor_b64 s[4:5], s[4:5], -1
	s_and_b64 s[4:5], s[4:5], exec
	s_or_b64 s[10:11], s[10:11], s[4:5]
	s_or_b64 exec, exec, s[12:13]
	v_mov_b32_e32 v26, s16
	s_and_saveexec_b64 s[4:5], s[10:11]
	s_cbranch_execz .LBB33_54
.LBB33_98:
	ds_read_u8 v26, v0 offset:1
	s_waitcnt lgkmcnt(0)
	v_xor_b32_e32 v26, 1, v26
	s_or_b64 exec, exec, s[4:5]
	v_cmp_eq_u32_e64 s[4:5], v26, v24
	s_and_saveexec_b64 s[10:11], s[4:5]
	s_cbranch_execnz .LBB33_55
	s_branch .LBB33_56
	.section	.rodata,"a",@progbits
	.p2align	6, 0x0
	.amdhsa_kernel _ZN2at6native20bitonicSortKVInPlaceILin2ELin1ELi16ELi16EslNS0_4GTOpIsLb1EEEjEEvNS_4cuda6detail10TensorInfoIT3_T6_EES8_S8_S8_NS6_IT4_S8_EES8_T5_
		.amdhsa_group_segment_fixed_size 5632
		.amdhsa_private_segment_fixed_size 0
		.amdhsa_kernarg_size 712
		.amdhsa_user_sgpr_count 6
		.amdhsa_user_sgpr_private_segment_buffer 1
		.amdhsa_user_sgpr_dispatch_ptr 0
		.amdhsa_user_sgpr_queue_ptr 0
		.amdhsa_user_sgpr_kernarg_segment_ptr 1
		.amdhsa_user_sgpr_dispatch_id 0
		.amdhsa_user_sgpr_flat_scratch_init 0
		.amdhsa_user_sgpr_kernarg_preload_length 0
		.amdhsa_user_sgpr_kernarg_preload_offset 0
		.amdhsa_user_sgpr_private_segment_size 0
		.amdhsa_uses_dynamic_stack 0
		.amdhsa_system_sgpr_private_segment_wavefront_offset 0
		.amdhsa_system_sgpr_workgroup_id_x 1
		.amdhsa_system_sgpr_workgroup_id_y 1
		.amdhsa_system_sgpr_workgroup_id_z 1
		.amdhsa_system_sgpr_workgroup_info 0
		.amdhsa_system_vgpr_workitem_id 1
		.amdhsa_next_free_vgpr 33
		.amdhsa_next_free_sgpr 18
		.amdhsa_accum_offset 36
		.amdhsa_reserve_vcc 1
		.amdhsa_reserve_flat_scratch 0
		.amdhsa_float_round_mode_32 0
		.amdhsa_float_round_mode_16_64 0
		.amdhsa_float_denorm_mode_32 3
		.amdhsa_float_denorm_mode_16_64 3
		.amdhsa_dx10_clamp 1
		.amdhsa_ieee_mode 1
		.amdhsa_fp16_overflow 0
		.amdhsa_tg_split 0
		.amdhsa_exception_fp_ieee_invalid_op 0
		.amdhsa_exception_fp_denorm_src 0
		.amdhsa_exception_fp_ieee_div_zero 0
		.amdhsa_exception_fp_ieee_overflow 0
		.amdhsa_exception_fp_ieee_underflow 0
		.amdhsa_exception_fp_ieee_inexact 0
		.amdhsa_exception_int_div_zero 0
	.end_amdhsa_kernel
	.section	.text._ZN2at6native20bitonicSortKVInPlaceILin2ELin1ELi16ELi16EslNS0_4GTOpIsLb1EEEjEEvNS_4cuda6detail10TensorInfoIT3_T6_EES8_S8_S8_NS6_IT4_S8_EES8_T5_,"axG",@progbits,_ZN2at6native20bitonicSortKVInPlaceILin2ELin1ELi16ELi16EslNS0_4GTOpIsLb1EEEjEEvNS_4cuda6detail10TensorInfoIT3_T6_EES8_S8_S8_NS6_IT4_S8_EES8_T5_,comdat
.Lfunc_end33:
	.size	_ZN2at6native20bitonicSortKVInPlaceILin2ELin1ELi16ELi16EslNS0_4GTOpIsLb1EEEjEEvNS_4cuda6detail10TensorInfoIT3_T6_EES8_S8_S8_NS6_IT4_S8_EES8_T5_, .Lfunc_end33-_ZN2at6native20bitonicSortKVInPlaceILin2ELin1ELi16ELi16EslNS0_4GTOpIsLb1EEEjEEvNS_4cuda6detail10TensorInfoIT3_T6_EES8_S8_S8_NS6_IT4_S8_EES8_T5_
                                        ; -- End function
	.section	.AMDGPU.csdata,"",@progbits
; Kernel info:
; codeLenInByte = 4760
; NumSgprs: 22
; NumVgprs: 33
; NumAgprs: 0
; TotalNumVgprs: 33
; ScratchSize: 0
; MemoryBound: 0
; FloatMode: 240
; IeeeMode: 1
; LDSByteSize: 5632 bytes/workgroup (compile time only)
; SGPRBlocks: 2
; VGPRBlocks: 4
; NumSGPRsForWavesPerEU: 22
; NumVGPRsForWavesPerEU: 33
; AccumOffset: 36
; Occupancy: 8
; WaveLimiterHint : 1
; COMPUTE_PGM_RSRC2:SCRATCH_EN: 0
; COMPUTE_PGM_RSRC2:USER_SGPR: 6
; COMPUTE_PGM_RSRC2:TRAP_HANDLER: 0
; COMPUTE_PGM_RSRC2:TGID_X_EN: 1
; COMPUTE_PGM_RSRC2:TGID_Y_EN: 1
; COMPUTE_PGM_RSRC2:TGID_Z_EN: 1
; COMPUTE_PGM_RSRC2:TIDIG_COMP_CNT: 1
; COMPUTE_PGM_RSRC3_GFX90A:ACCUM_OFFSET: 8
; COMPUTE_PGM_RSRC3_GFX90A:TG_SPLIT: 0
	.section	.text._ZN2at6native20bitonicSortKVInPlaceILi2ELin1ELi16ELi16EslNS0_4LTOpIsLb1EEEjEEvNS_4cuda6detail10TensorInfoIT3_T6_EES8_S8_S8_NS6_IT4_S8_EES8_T5_,"axG",@progbits,_ZN2at6native20bitonicSortKVInPlaceILi2ELin1ELi16ELi16EslNS0_4LTOpIsLb1EEEjEEvNS_4cuda6detail10TensorInfoIT3_T6_EES8_S8_S8_NS6_IT4_S8_EES8_T5_,comdat
	.protected	_ZN2at6native20bitonicSortKVInPlaceILi2ELin1ELi16ELi16EslNS0_4LTOpIsLb1EEEjEEvNS_4cuda6detail10TensorInfoIT3_T6_EES8_S8_S8_NS6_IT4_S8_EES8_T5_ ; -- Begin function _ZN2at6native20bitonicSortKVInPlaceILi2ELin1ELi16ELi16EslNS0_4LTOpIsLb1EEEjEEvNS_4cuda6detail10TensorInfoIT3_T6_EES8_S8_S8_NS6_IT4_S8_EES8_T5_
	.globl	_ZN2at6native20bitonicSortKVInPlaceILi2ELin1ELi16ELi16EslNS0_4LTOpIsLb1EEEjEEvNS_4cuda6detail10TensorInfoIT3_T6_EES8_S8_S8_NS6_IT4_S8_EES8_T5_
	.p2align	8
	.type	_ZN2at6native20bitonicSortKVInPlaceILi2ELin1ELi16ELi16EslNS0_4LTOpIsLb1EEEjEEvNS_4cuda6detail10TensorInfoIT3_T6_EES8_S8_S8_NS6_IT4_S8_EES8_T5_,@function
_ZN2at6native20bitonicSortKVInPlaceILi2ELin1ELi16ELi16EslNS0_4LTOpIsLb1EEEjEEvNS_4cuda6detail10TensorInfoIT3_T6_EES8_S8_S8_NS6_IT4_S8_EES8_T5_: ; @_ZN2at6native20bitonicSortKVInPlaceILi2ELin1ELi16ELi16EslNS0_4LTOpIsLb1EEEjEEvNS_4cuda6detail10TensorInfoIT3_T6_EES8_S8_S8_NS6_IT4_S8_EES8_T5_
; %bb.0:
	s_load_dwordx2 s[0:1], s[4:5], 0x1c8
	s_load_dwordx4 s[12:15], s[4:5], 0xd8
	s_load_dword s9, s[4:5], 0x1d4
	s_add_u32 s2, s4, 0x1c8
	s_addc_u32 s3, s5, 0
	s_waitcnt lgkmcnt(0)
	s_mul_i32 s1, s1, s8
	s_add_i32 s1, s1, s7
	s_mul_i32 s0, s1, s0
	s_add_i32 s0, s0, s6
	s_lshr_b32 s1, s9, 16
	s_mul_i32 s0, s0, s1
	s_cmp_ge_u32 s0, s12
	s_cbranch_scc1 .LBB34_86
; %bb.1:
	s_load_dword s15, s[4:5], 0xc
	s_load_dwordx2 s[8:9], s[4:5], 0x6c
	s_load_dword s17, s[4:5], 0x1b8
	s_add_u32 s10, s4, 0xe8
	v_bfe_u32 v8, v0, 10, 10
	s_waitcnt lgkmcnt(0)
	v_cvt_f32_u32_e32 v1, s15
	s_load_dwordx2 s[6:7], s[4:5], 0x0
	s_addc_u32 s11, s5, 0
	s_mov_b32 s1, 0
	v_rcp_iflag_f32_e32 v1, v1
	v_mov_b32_e32 v2, 0
	v_mul_f32_e32 v1, 0x4f7ffffe, v1
	v_cvt_u32_f32_e32 v3, v1
	v_add_u32_e32 v1, s0, v8
	s_sub_i32 s0, 0, s15
	s_cmp_lt_i32 s17, 2
	v_mul_lo_u32 v4, s0, v3
	v_mul_hi_u32 v4, v3, v4
	v_add_u32_e32 v3, v3, v4
	v_mad_u64_u32 v[4:5], s[18:19], v1, v3, 0
	v_mov_b32_e32 v6, v1
	s_cbranch_scc1 .LBB34_4
; %bb.2:
	s_add_i32 s0, s17, -1
	s_add_i32 s16, s17, 1
	s_lshl_b64 s[0:1], s[0:1], 2
	s_add_u32 s0, s0, s10
	s_addc_u32 s1, s1, s11
	s_add_u32 s0, s0, 8
	s_addc_u32 s1, s1, 0
	v_mov_b32_e32 v2, 0
	v_mov_b32_e32 v6, v1
.LBB34_3:                               ; =>This Inner Loop Header: Depth=1
	s_load_dword s17, s[0:1], 0x0
	s_load_dword s18, s[0:1], 0x64
	v_mov_b32_e32 v3, v6
	s_add_i32 s16, s16, -1
	s_waitcnt lgkmcnt(0)
	v_cvt_f32_u32_e32 v4, s17
	s_sub_i32 s19, 0, s17
	s_add_u32 s0, s0, -4
	s_addc_u32 s1, s1, -1
	v_rcp_iflag_f32_e32 v4, v4
	s_cmp_gt_u32 s16, 2
	v_mul_f32_e32 v4, 0x4f7ffffe, v4
	v_cvt_u32_f32_e32 v4, v4
	v_mul_lo_u32 v6, s19, v4
	v_mul_hi_u32 v6, v4, v6
	v_add_u32_e32 v4, v4, v6
	v_mul_hi_u32 v4, v3, v4
	v_mul_lo_u32 v6, v4, s17
	v_sub_u32_e32 v6, v3, v6
	v_add_u32_e32 v7, 1, v4
	v_cmp_le_u32_e32 vcc, s17, v6
	v_cndmask_b32_e32 v4, v4, v7, vcc
	v_subrev_u32_e32 v7, s17, v6
	v_cndmask_b32_e32 v6, v6, v7, vcc
	v_add_u32_e32 v7, 1, v4
	v_cmp_le_u32_e32 vcc, s17, v6
	v_cndmask_b32_e32 v6, v4, v7, vcc
	v_mul_lo_u32 v4, v6, s17
	v_sub_u32_e32 v3, v3, v4
	v_mad_u64_u32 v[2:3], s[18:19], s18, v3, v[2:3]
	s_cbranch_scc1 .LBB34_3
.LBB34_4:
	v_mul_lo_u32 v3, v5, s15
	v_sub_u32_e32 v3, v1, v3
	v_add_u32_e32 v4, 1, v5
	v_cmp_le_u32_e64 s[0:1], s15, v3
	v_cndmask_b32_e64 v4, v5, v4, s[0:1]
	v_subrev_u32_e32 v5, s15, v3
	v_cndmask_b32_e64 v3, v3, v5, s[0:1]
	v_add_u32_e32 v5, 1, v4
	v_cmp_le_u32_e64 s[0:1], s15, v3
	v_cndmask_b32_e64 v3, v4, v5, s[0:1]
	v_cmp_gt_u32_e32 vcc, s12, v1
	v_mul_lo_u32 v4, v3, s15
	s_load_dword s15, s[4:5], 0x1c0
	s_load_dword s12, s[10:11], 0x6c
	v_sub_u32_e32 v1, v1, v4
	v_mul_lo_u32 v4, v1, s9
	v_mad_u64_u32 v[4:5], s[0:1], v3, s8, v[4:5]
	s_load_dwordx2 s[8:9], s[10:11], 0x0
	s_waitcnt lgkmcnt(0)
	v_mad_u64_u32 v[2:3], s[0:1], s12, v6, v[2:3]
	s_load_dword s12, s[2:3], 0xc
	v_and_b32_e32 v3, 0x3ff, v0
	v_cmp_gt_u32_e64 s[0:1], s13, v3
	v_pk_mov_b32 v[0:1], 0, 0
	s_and_b64 s[4:5], vcc, s[0:1]
	v_mov_b32_e32 v10, 0
	v_mov_b32_e32 v5, 0
	v_pk_mov_b32 v[6:7], v[0:1], v[0:1] op_sel:[0,1]
	s_and_saveexec_b64 s[10:11], s[4:5]
	s_cbranch_execz .LBB34_6
; %bb.5:
	v_mad_u64_u32 v[6:7], s[2:3], v3, s14, v[4:5]
	v_mov_b32_e32 v7, 0
	v_lshlrev_b64 v[12:13], 1, v[6:7]
	v_mov_b32_e32 v5, s7
	v_add_co_u32_e64 v12, s[2:3], s6, v12
	v_addc_co_u32_e64 v13, s[2:3], v5, v13, s[2:3]
	global_load_ushort v5, v[12:13], off
	v_mad_u64_u32 v[12:13], s[2:3], v3, s15, v[2:3]
	v_mov_b32_e32 v13, v7
	v_lshlrev_b64 v[6:7], 3, v[12:13]
	v_mov_b32_e32 v9, s9
	v_add_co_u32_e64 v6, s[2:3], s8, v6
	v_addc_co_u32_e64 v7, s[2:3], v9, v7, s[2:3]
	global_load_dwordx2 v[6:7], v[6:7], off
.LBB34_6:
	s_or_b64 exec, exec, s[10:11]
	v_mov_b32_e32 v9, 0x1000
	v_lshl_add_u32 v16, v8, 6, v9
	v_mov_b32_e32 v9, 0x1400
	v_lshl_add_u32 v15, v8, 5, v9
	v_lshl_add_u32 v9, v3, 1, v16
	s_waitcnt lgkmcnt(0)
	s_and_b32 s16, 0xffff, s12
	v_cndmask_b32_e64 v11, 0, 1, s[4:5]
	s_waitcnt vmcnt(1)
	ds_write_b16 v9, v5
	v_add_u32_e32 v5, v15, v3
	ds_write_b8 v5, v11
	v_add_u32_e32 v5, s16, v3
	v_lshlrev_b32_e32 v13, 8, v8
	v_cmp_gt_u32_e64 s[2:3], s13, v5
	v_lshl_add_u32 v8, v3, 3, v13
	s_and_b64 s[10:11], vcc, s[2:3]
	s_waitcnt vmcnt(0)
	ds_write_b64 v8, v[6:7]
	s_and_saveexec_b64 s[12:13], s[10:11]
	s_cbranch_execz .LBB34_8
; %bb.7:
	v_mad_u64_u32 v[0:1], s[4:5], v5, s14, v[4:5]
	v_mov_b32_e32 v1, 0
	v_lshlrev_b64 v[6:7], 1, v[0:1]
	v_mov_b32_e32 v0, s7
	v_add_co_u32_e64 v6, s[4:5], s6, v6
	v_addc_co_u32_e64 v7, s[4:5], v0, v7, s[4:5]
	global_load_ushort v10, v[6:7], off
	v_mad_u64_u32 v[6:7], s[4:5], v5, s15, v[2:3]
	v_mov_b32_e32 v7, v1
	v_lshlrev_b64 v[0:1], 3, v[6:7]
	v_mov_b32_e32 v6, s9
	v_add_co_u32_e64 v0, s[4:5], s8, v0
	v_addc_co_u32_e64 v1, s[4:5], v6, v1, s[4:5]
	global_load_dwordx2 v[0:1], v[0:1], off
.LBB34_8:
	s_or_b64 exec, exec, s[12:13]
	v_lshl_add_u32 v6, s16, 3, v8
	v_lshlrev_b32_e32 v17, 1, v3
	v_cndmask_b32_e64 v11, 0, 1, s[10:11]
	v_lshl_add_u32 v7, s16, 1, v9
	s_waitcnt vmcnt(0)
	ds_write_b64 v6, v[0:1]
	v_add_u32_e32 v0, v15, v5
	v_add_u32_e32 v1, v9, v17
	ds_write_b16 v7, v10
	ds_write_b8 v0, v11
	s_waitcnt lgkmcnt(0)
	s_barrier
	ds_read_b32 v11, v1
	s_mov_b32 s16, 1
	v_add_u32_e32 v0, v15, v17
	s_waitcnt lgkmcnt(0)
	v_cmp_ge_i16_sdwa s[10:11], v11, v11 src0_sel:DWORD src1_sel:WORD_1
	v_cmp_lt_i16_sdwa s[4:5], v11, v11 src0_sel:DWORD src1_sel:WORD_1
	s_and_saveexec_b64 s[12:13], s[4:5]
	s_xor_b64 s[12:13], exec, s[12:13]
	s_cbranch_execz .LBB34_10
; %bb.9:
	ds_read_u8 v10, v0
	s_andn2_b64 s[10:11], s[10:11], exec
	s_waitcnt lgkmcnt(0)
	v_and_b32_e32 v10, 1, v10
	v_cmp_eq_u32_e64 s[4:5], 1, v10
	s_xor_b64 s[4:5], s[4:5], -1
	s_and_b64 s[4:5], s[4:5], exec
	s_or_b64 s[10:11], s[10:11], s[4:5]
.LBB34_10:
	s_or_b64 exec, exec, s[12:13]
	v_mov_b32_e32 v14, s16
	s_and_saveexec_b64 s[4:5], s[10:11]
	s_cbranch_execz .LBB34_12
; %bb.11:
	ds_read_u8 v10, v0 offset:1
	s_waitcnt lgkmcnt(0)
	v_xor_b32_e32 v14, 1, v10
.LBB34_12:
	s_or_b64 exec, exec, s[4:5]
	v_and_b32_e32 v12, 1, v3
	v_lshlrev_b32_e32 v10, 3, v3
	v_cmp_eq_u32_e64 s[4:5], v14, v12
	s_and_saveexec_b64 s[10:11], s[4:5]
	s_cbranch_execz .LBB34_14
; %bb.13:
	v_add_u32_e32 v14, v8, v10
	v_alignbit_b32 v11, v11, v11, 16
	ds_read_b128 v[18:21], v14
	ds_write_b32 v1, v11
	ds_read_u16 v11, v0
	s_mov_b32 s4, 0xc0c0001
	s_waitcnt lgkmcnt(2)
	v_mov_b32_e32 v22, v18
	v_mov_b32_e32 v23, v19
	s_waitcnt lgkmcnt(0)
	v_perm_b32 v11, 0, v11, s4
	ds_write_b128 v14, v[20:23]
	ds_write_b16 v0, v11
.LBB34_14:
	s_or_b64 exec, exec, s[10:11]
	v_sub_u32_e32 v14, v17, v12
	v_lshl_add_u32 v11, v14, 1, v16
	s_waitcnt lgkmcnt(0)
	s_barrier
	ds_read_u16 v19, v11
	ds_read_u16 v20, v11 offset:4
	s_mov_b64 s[10:11], -1
	v_add_u32_e32 v12, v15, v14
                                        ; implicit-def: $sgpr16
	s_waitcnt lgkmcnt(0)
	v_cmp_lt_i16_e64 s[4:5], v19, v20
	s_and_saveexec_b64 s[12:13], s[4:5]
	s_xor_b64 s[12:13], exec, s[12:13]
	s_cbranch_execz .LBB34_16
; %bb.15:
	ds_read_u8 v18, v12
	s_mov_b32 s16, 1
	s_waitcnt lgkmcnt(0)
	v_and_b32_e32 v18, 1, v18
	v_cmp_eq_u32_e64 s[4:5], 1, v18
	s_xor_b64 s[4:5], s[4:5], -1
	s_orn2_b64 s[10:11], s[4:5], exec
.LBB34_16:
	s_or_b64 exec, exec, s[12:13]
	v_mov_b32_e32 v21, s16
	s_and_saveexec_b64 s[4:5], s[10:11]
	s_cbranch_execz .LBB34_18
; %bb.17:
	ds_read_u8 v18, v12 offset:2
	s_waitcnt lgkmcnt(0)
	v_xor_b32_e32 v21, 1, v18
.LBB34_18:
	s_or_b64 exec, exec, s[4:5]
	v_bfe_u32 v18, v3, 1, 1
	v_lshl_add_u32 v14, v14, 3, v13
	v_cmp_eq_u32_e64 s[4:5], v21, v18
	s_and_saveexec_b64 s[10:11], s[4:5]
	s_cbranch_execz .LBB34_20
; %bb.19:
	ds_read2_b64 v[22:25], v14 offset1:2
	ds_read_u8 v21, v12 offset:2
	ds_read_u8 v26, v12
	ds_write_b16 v11, v20
	ds_write_b16 v11, v19 offset:4
	s_waitcnt lgkmcnt(4)
	ds_write2_b64 v14, v[24:25], v[22:23] offset1:2
	s_waitcnt lgkmcnt(4)
	ds_write_b8 v12, v21
	s_waitcnt lgkmcnt(4)
	ds_write_b8 v12, v26 offset:2
.LBB34_20:
	s_or_b64 exec, exec, s[10:11]
	s_waitcnt lgkmcnt(0)
	s_barrier
	ds_read_b32 v19, v1
                                        ; implicit-def: $sgpr16
	s_waitcnt lgkmcnt(0)
	v_cmp_ge_i16_sdwa s[10:11], v19, v19 src0_sel:DWORD src1_sel:WORD_1
	v_cmp_lt_i16_sdwa s[4:5], v19, v19 src0_sel:DWORD src1_sel:WORD_1
	s_and_saveexec_b64 s[12:13], s[4:5]
	s_cbranch_execnz .LBB34_87
; %bb.21:
	s_or_b64 exec, exec, s[12:13]
	v_mov_b32_e32 v20, s16
	s_and_saveexec_b64 s[4:5], s[10:11]
	s_cbranch_execnz .LBB34_88
.LBB34_22:
	s_or_b64 exec, exec, s[4:5]
	v_cmp_eq_u32_e64 s[4:5], v20, v18
	s_and_saveexec_b64 s[10:11], s[4:5]
	s_cbranch_execz .LBB34_24
.LBB34_23:
	v_add_u32_e32 v24, v8, v10
	ds_read_b128 v[20:23], v24
	ds_read_u16 v25, v0
	v_alignbit_b32 v18, v19, v19, 16
	ds_write_b32 v1, v18
	s_mov_b32 s4, 0xc0c0001
	s_waitcnt lgkmcnt(2)
	v_mov_b32_e32 v18, v22
	v_mov_b32_e32 v19, v23
	ds_write_b128 v24, v[18:21]
	s_waitcnt lgkmcnt(2)
	v_perm_b32 v18, 0, v25, s4
	ds_write_b16 v0, v18
.LBB34_24:
	s_or_b64 exec, exec, s[10:11]
	v_and_b32_e32 v18, 3, v3
	v_sub_u32_e32 v20, v17, v18
	v_lshl_add_u32 v18, v20, 1, v16
	s_waitcnt lgkmcnt(0)
	s_barrier
	ds_read_u16 v22, v18
	ds_read_u16 v23, v18 offset:8
	s_mov_b32 s16, 1
	v_add_u32_e32 v19, v15, v20
	s_waitcnt lgkmcnt(0)
	v_cmp_ge_i16_e64 s[10:11], v22, v23
	v_cmp_lt_i16_e64 s[4:5], v22, v23
	s_and_saveexec_b64 s[12:13], s[4:5]
	s_cbranch_execz .LBB34_26
; %bb.25:
	ds_read_u8 v21, v19
	s_andn2_b64 s[10:11], s[10:11], exec
	s_waitcnt lgkmcnt(0)
	v_and_b32_e32 v21, 1, v21
	v_cmp_eq_u32_e64 s[4:5], 1, v21
	s_xor_b64 s[4:5], s[4:5], -1
	s_and_b64 s[4:5], s[4:5], exec
	s_or_b64 s[10:11], s[10:11], s[4:5]
.LBB34_26:
	s_or_b64 exec, exec, s[12:13]
	v_mov_b32_e32 v24, s16
	s_and_saveexec_b64 s[4:5], s[10:11]
	s_cbranch_execz .LBB34_28
; %bb.27:
	ds_read_u8 v21, v19 offset:4
	s_waitcnt lgkmcnt(0)
	v_xor_b32_e32 v24, 1, v21
.LBB34_28:
	s_or_b64 exec, exec, s[4:5]
	v_bfe_u32 v21, v3, 2, 1
	v_lshl_add_u32 v20, v20, 3, v13
	v_cmp_eq_u32_e64 s[4:5], v24, v21
	s_and_saveexec_b64 s[10:11], s[4:5]
	s_cbranch_execz .LBB34_30
; %bb.29:
	ds_read2_b64 v[24:27], v20 offset1:4
	ds_read_u8 v28, v19 offset:4
	ds_read_u8 v29, v19
	ds_write_b16 v18, v23
	ds_write_b16 v18, v22 offset:8
	s_waitcnt lgkmcnt(4)
	ds_write2_b64 v20, v[26:27], v[24:25] offset1:4
	s_waitcnt lgkmcnt(4)
	ds_write_b8 v19, v28
	s_waitcnt lgkmcnt(4)
	ds_write_b8 v19, v29 offset:4
.LBB34_30:
	s_or_b64 exec, exec, s[10:11]
	s_waitcnt lgkmcnt(0)
	s_barrier
	ds_read_u16 v22, v11
	ds_read_u16 v23, v11 offset:4
                                        ; implicit-def: $sgpr16
	s_waitcnt lgkmcnt(0)
	v_cmp_ge_i16_e64 s[10:11], v22, v23
	v_cmp_lt_i16_e64 s[4:5], v22, v23
	s_and_saveexec_b64 s[12:13], s[4:5]
	s_cbranch_execnz .LBB34_89
; %bb.31:
	s_or_b64 exec, exec, s[12:13]
	v_mov_b32_e32 v24, s16
	s_and_saveexec_b64 s[4:5], s[10:11]
	s_cbranch_execnz .LBB34_90
.LBB34_32:
	s_or_b64 exec, exec, s[4:5]
	v_cmp_eq_u32_e64 s[4:5], v24, v21
	s_and_saveexec_b64 s[10:11], s[4:5]
	s_cbranch_execz .LBB34_34
.LBB34_33:
	ds_read2_b64 v[24:27], v14 offset1:2
	ds_read_u8 v28, v12 offset:2
	ds_read_u8 v29, v12
	ds_write_b16 v11, v23
	ds_write_b16 v11, v22 offset:4
	s_waitcnt lgkmcnt(4)
	ds_write2_b64 v14, v[26:27], v[24:25] offset1:2
	s_waitcnt lgkmcnt(4)
	ds_write_b8 v12, v28
	s_waitcnt lgkmcnt(4)
	ds_write_b8 v12, v29 offset:2
.LBB34_34:
	s_or_b64 exec, exec, s[10:11]
	s_waitcnt lgkmcnt(0)
	s_barrier
	ds_read_b32 v22, v1
                                        ; implicit-def: $sgpr16
	s_waitcnt lgkmcnt(0)
	v_cmp_ge_i16_sdwa s[10:11], v22, v22 src0_sel:DWORD src1_sel:WORD_1
	v_cmp_lt_i16_sdwa s[4:5], v22, v22 src0_sel:DWORD src1_sel:WORD_1
	s_and_saveexec_b64 s[12:13], s[4:5]
	s_cbranch_execnz .LBB34_91
; %bb.35:
	s_or_b64 exec, exec, s[12:13]
	v_mov_b32_e32 v23, s16
	s_and_saveexec_b64 s[4:5], s[10:11]
	s_cbranch_execnz .LBB34_92
.LBB34_36:
	s_or_b64 exec, exec, s[4:5]
	v_cmp_eq_u32_e64 s[4:5], v23, v21
	s_and_saveexec_b64 s[10:11], s[4:5]
	s_cbranch_execz .LBB34_38
.LBB34_37:
	v_add_u32_e32 v21, v8, v10
	ds_read_b128 v[24:27], v21
	ds_read_u16 v28, v0
	v_alignbit_b32 v22, v22, v22, 16
	ds_write_b32 v1, v22
	s_mov_b32 s4, 0xc0c0001
	s_waitcnt lgkmcnt(2)
	v_mov_b32_e32 v22, v26
	v_mov_b32_e32 v23, v27
	ds_write_b128 v21, v[22:25]
	s_waitcnt lgkmcnt(2)
	v_perm_b32 v21, 0, v28, s4
	ds_write_b16 v0, v21
.LBB34_38:
	s_or_b64 exec, exec, s[10:11]
	v_and_b32_e32 v21, 7, v3
	v_sub_u32_e32 v23, v17, v21
	v_lshl_add_u32 v21, v23, 1, v16
	s_waitcnt lgkmcnt(0)
	s_barrier
	ds_read_u16 v25, v21
	ds_read_u16 v26, v21 offset:16
	s_mov_b32 s16, 1
	v_add_u32_e32 v22, v15, v23
	s_waitcnt lgkmcnt(0)
	v_cmp_ge_i16_e64 s[10:11], v25, v26
	v_cmp_lt_i16_e64 s[4:5], v25, v26
	s_and_saveexec_b64 s[12:13], s[4:5]
	s_cbranch_execz .LBB34_40
; %bb.39:
	ds_read_u8 v24, v22
	s_andn2_b64 s[10:11], s[10:11], exec
	s_waitcnt lgkmcnt(0)
	v_and_b32_e32 v24, 1, v24
	v_cmp_eq_u32_e64 s[4:5], 1, v24
	s_xor_b64 s[4:5], s[4:5], -1
	s_and_b64 s[4:5], s[4:5], exec
	s_or_b64 s[10:11], s[10:11], s[4:5]
.LBB34_40:
	s_or_b64 exec, exec, s[12:13]
	v_mov_b32_e32 v27, s16
	s_and_saveexec_b64 s[4:5], s[10:11]
	s_cbranch_execz .LBB34_42
; %bb.41:
	ds_read_u8 v24, v22 offset:8
	s_waitcnt lgkmcnt(0)
	v_xor_b32_e32 v27, 1, v24
.LBB34_42:
	s_or_b64 exec, exec, s[4:5]
	v_bfe_u32 v24, v3, 3, 1
	v_lshl_add_u32 v23, v23, 3, v13
	v_cmp_eq_u32_e64 s[4:5], v27, v24
	s_and_saveexec_b64 s[10:11], s[4:5]
	s_cbranch_execz .LBB34_44
; %bb.43:
	ds_read2_b64 v[28:31], v23 offset1:8
	ds_read_u8 v27, v22 offset:8
	ds_read_u8 v32, v22
	ds_write_b16 v21, v26
	ds_write_b16 v21, v25 offset:16
	s_waitcnt lgkmcnt(4)
	ds_write2_b64 v23, v[30:31], v[28:29] offset1:8
	s_waitcnt lgkmcnt(4)
	ds_write_b8 v22, v27
	s_waitcnt lgkmcnt(4)
	ds_write_b8 v22, v32 offset:8
.LBB34_44:
	s_or_b64 exec, exec, s[10:11]
	s_waitcnt lgkmcnt(0)
	s_barrier
	ds_read_u16 v25, v18
	ds_read_u16 v26, v18 offset:8
                                        ; implicit-def: $sgpr16
	s_waitcnt lgkmcnt(0)
	v_cmp_ge_i16_e64 s[10:11], v25, v26
	v_cmp_lt_i16_e64 s[4:5], v25, v26
	s_and_saveexec_b64 s[12:13], s[4:5]
	s_cbranch_execnz .LBB34_93
; %bb.45:
	s_or_b64 exec, exec, s[12:13]
	v_mov_b32_e32 v27, s16
	s_and_saveexec_b64 s[4:5], s[10:11]
	s_cbranch_execnz .LBB34_94
.LBB34_46:
	s_or_b64 exec, exec, s[4:5]
	v_cmp_eq_u32_e64 s[4:5], v27, v24
	s_and_saveexec_b64 s[10:11], s[4:5]
	s_cbranch_execz .LBB34_48
.LBB34_47:
	ds_read2_b64 v[28:31], v20 offset1:4
	ds_read_u8 v27, v19 offset:4
	ds_read_u8 v32, v19
	ds_write_b16 v18, v26
	ds_write_b16 v18, v25 offset:8
	s_waitcnt lgkmcnt(4)
	ds_write2_b64 v20, v[30:31], v[28:29] offset1:4
	s_waitcnt lgkmcnt(4)
	ds_write_b8 v19, v27
	s_waitcnt lgkmcnt(4)
	ds_write_b8 v19, v32 offset:4
.LBB34_48:
	s_or_b64 exec, exec, s[10:11]
	s_waitcnt lgkmcnt(0)
	s_barrier
	ds_read_u16 v25, v11
	ds_read_u16 v26, v11 offset:4
                                        ; implicit-def: $sgpr16
	s_waitcnt lgkmcnt(0)
	v_cmp_ge_i16_e64 s[10:11], v25, v26
	v_cmp_lt_i16_e64 s[4:5], v25, v26
	s_and_saveexec_b64 s[12:13], s[4:5]
	s_cbranch_execnz .LBB34_95
; %bb.49:
	s_or_b64 exec, exec, s[12:13]
	v_mov_b32_e32 v27, s16
	s_and_saveexec_b64 s[4:5], s[10:11]
	s_cbranch_execnz .LBB34_96
.LBB34_50:
	s_or_b64 exec, exec, s[4:5]
	v_cmp_eq_u32_e64 s[4:5], v27, v24
	s_and_saveexec_b64 s[10:11], s[4:5]
	s_cbranch_execz .LBB34_52
.LBB34_51:
	ds_read2_b64 v[28:31], v14 offset1:2
	ds_read_u8 v27, v12 offset:2
	ds_read_u8 v32, v12
	ds_write_b16 v11, v26
	ds_write_b16 v11, v25 offset:4
	s_waitcnt lgkmcnt(4)
	ds_write2_b64 v14, v[30:31], v[28:29] offset1:2
	s_waitcnt lgkmcnt(4)
	ds_write_b8 v12, v27
	s_waitcnt lgkmcnt(4)
	ds_write_b8 v12, v32 offset:2
.LBB34_52:
	s_or_b64 exec, exec, s[10:11]
	s_waitcnt lgkmcnt(0)
	s_barrier
	ds_read_b32 v25, v1
                                        ; implicit-def: $sgpr16
	s_waitcnt lgkmcnt(0)
	v_cmp_ge_i16_sdwa s[10:11], v25, v25 src0_sel:DWORD src1_sel:WORD_1
	v_cmp_lt_i16_sdwa s[4:5], v25, v25 src0_sel:DWORD src1_sel:WORD_1
	s_and_saveexec_b64 s[12:13], s[4:5]
	s_cbranch_execnz .LBB34_97
; %bb.53:
	s_or_b64 exec, exec, s[12:13]
	v_mov_b32_e32 v26, s16
	s_and_saveexec_b64 s[4:5], s[10:11]
	s_cbranch_execnz .LBB34_98
.LBB34_54:
	s_or_b64 exec, exec, s[4:5]
	v_cmp_eq_u32_e64 s[4:5], v26, v24
	s_and_saveexec_b64 s[10:11], s[4:5]
	s_cbranch_execz .LBB34_56
.LBB34_55:
	v_add_u32_e32 v30, v8, v10
	ds_read_b128 v[26:29], v30
	ds_read_u16 v31, v0
	v_alignbit_b32 v24, v25, v25, 16
	ds_write_b32 v1, v24
	s_mov_b32 s4, 0xc0c0001
	s_waitcnt lgkmcnt(2)
	v_mov_b32_e32 v24, v28
	v_mov_b32_e32 v25, v29
	ds_write_b128 v30, v[24:27]
	s_waitcnt lgkmcnt(2)
	v_perm_b32 v24, 0, v31, s4
	ds_write_b16 v0, v24
.LBB34_56:
	s_or_b64 exec, exec, s[10:11]
	v_and_b32_e32 v24, 15, v3
	v_sub_u32_e32 v25, v17, v24
	v_lshl_add_u32 v16, v25, 1, v16
	s_waitcnt lgkmcnt(0)
	s_barrier
	ds_read_u16 v17, v16
	ds_read_u16 v24, v16 offset:32
	v_add_u32_e32 v15, v15, v25
	s_waitcnt lgkmcnt(0)
	v_cmp_ge_i16_e64 s[12:13], v17, v24
	v_cmp_lt_i16_e64 s[4:5], v17, v24
	s_and_saveexec_b64 s[10:11], s[4:5]
	s_cbranch_execz .LBB34_58
; %bb.57:
	ds_read_u8 v26, v15
	s_andn2_b64 s[12:13], s[12:13], exec
	s_waitcnt lgkmcnt(0)
	v_and_b32_e32 v26, 1, v26
	v_cmp_eq_u32_e64 s[4:5], 1, v26
	s_xor_b64 s[4:5], s[4:5], -1
	s_and_b64 s[4:5], s[4:5], exec
	s_or_b64 s[12:13], s[12:13], s[4:5]
.LBB34_58:
	s_or_b64 exec, exec, s[10:11]
	s_and_saveexec_b64 s[10:11], s[12:13]
	s_cbranch_execz .LBB34_61
; %bb.59:
	ds_read_u8 v26, v15 offset:16
	s_waitcnt lgkmcnt(0)
	v_cmp_ne_u16_e64 s[4:5], 0, v26
	s_and_b64 exec, exec, s[4:5]
	s_cbranch_execz .LBB34_61
; %bb.60:
	v_lshl_add_u32 v13, v25, 3, v13
	ds_read2_b64 v[28:31], v13 offset1:16
	ds_read_u8 v25, v15
	ds_write_b16 v16, v24
	ds_write_b16 v16, v17 offset:32
	ds_write_b8 v15, v26
	s_waitcnt lgkmcnt(4)
	ds_write2_b64 v13, v[30:31], v[28:29] offset1:16
	s_waitcnt lgkmcnt(4)
	ds_write_b8 v15, v25 offset:16
.LBB34_61:
	s_or_b64 exec, exec, s[10:11]
	s_waitcnt lgkmcnt(0)
	s_barrier
	ds_read_u16 v13, v21
	ds_read_u16 v15, v21 offset:16
	s_waitcnt lgkmcnt(0)
	v_cmp_ge_i16_e64 s[12:13], v13, v15
	v_cmp_lt_i16_e64 s[4:5], v13, v15
	s_and_saveexec_b64 s[10:11], s[4:5]
	s_cbranch_execz .LBB34_63
; %bb.62:
	ds_read_u8 v16, v22
	s_andn2_b64 s[12:13], s[12:13], exec
	s_waitcnt lgkmcnt(0)
	v_and_b32_e32 v16, 1, v16
	v_cmp_eq_u32_e64 s[4:5], 1, v16
	s_xor_b64 s[4:5], s[4:5], -1
	s_and_b64 s[4:5], s[4:5], exec
	s_or_b64 s[12:13], s[12:13], s[4:5]
.LBB34_63:
	s_or_b64 exec, exec, s[10:11]
	s_and_saveexec_b64 s[10:11], s[12:13]
	s_cbranch_execz .LBB34_66
; %bb.64:
	ds_read_u8 v16, v22 offset:8
	s_waitcnt lgkmcnt(0)
	v_cmp_ne_u16_e64 s[4:5], 0, v16
	s_and_b64 exec, exec, s[4:5]
	s_cbranch_execz .LBB34_66
; %bb.65:
	ds_read2_b64 v[24:27], v23 offset1:8
	ds_read_u8 v17, v22
	ds_write_b16 v21, v15
	ds_write_b16 v21, v13 offset:16
	ds_write_b8 v22, v16
	s_waitcnt lgkmcnt(4)
	ds_write2_b64 v23, v[26:27], v[24:25] offset1:8
	s_waitcnt lgkmcnt(4)
	ds_write_b8 v22, v17 offset:8
.LBB34_66:
	s_or_b64 exec, exec, s[10:11]
	s_waitcnt lgkmcnt(0)
	s_barrier
	ds_read_u16 v13, v18
	ds_read_u16 v15, v18 offset:8
	s_waitcnt lgkmcnt(0)
	v_cmp_ge_i16_e64 s[12:13], v13, v15
	v_cmp_lt_i16_e64 s[4:5], v13, v15
	s_and_saveexec_b64 s[10:11], s[4:5]
	s_cbranch_execz .LBB34_68
; %bb.67:
	ds_read_u8 v16, v19
	s_andn2_b64 s[12:13], s[12:13], exec
	s_waitcnt lgkmcnt(0)
	v_and_b32_e32 v16, 1, v16
	v_cmp_eq_u32_e64 s[4:5], 1, v16
	s_xor_b64 s[4:5], s[4:5], -1
	s_and_b64 s[4:5], s[4:5], exec
	s_or_b64 s[12:13], s[12:13], s[4:5]
.LBB34_68:
	s_or_b64 exec, exec, s[10:11]
	s_and_saveexec_b64 s[10:11], s[12:13]
	s_cbranch_execz .LBB34_71
; %bb.69:
	ds_read_u8 v16, v19 offset:4
	s_waitcnt lgkmcnt(0)
	v_cmp_ne_u16_e64 s[4:5], 0, v16
	s_and_b64 exec, exec, s[4:5]
	s_cbranch_execz .LBB34_71
; %bb.70:
	ds_read2_b64 v[22:25], v20 offset1:4
	ds_read_u8 v17, v19
	ds_write_b16 v18, v15
	ds_write_b16 v18, v13 offset:8
	ds_write_b8 v19, v16
	s_waitcnt lgkmcnt(4)
	ds_write2_b64 v20, v[24:25], v[22:23] offset1:4
	s_waitcnt lgkmcnt(4)
	ds_write_b8 v19, v17 offset:4
.LBB34_71:
	;; [unrolled: 40-line block ×3, first 2 shown]
	s_or_b64 exec, exec, s[10:11]
	s_waitcnt lgkmcnt(0)
	s_barrier
	ds_read_b32 v11, v1
	s_waitcnt lgkmcnt(0)
	v_cmp_ge_i16_sdwa s[12:13], v11, v11 src0_sel:DWORD src1_sel:WORD_1
	v_cmp_lt_i16_sdwa s[4:5], v11, v11 src0_sel:DWORD src1_sel:WORD_1
	s_and_saveexec_b64 s[10:11], s[4:5]
	s_cbranch_execz .LBB34_78
; %bb.77:
	ds_read_u8 v12, v0
	s_andn2_b64 s[12:13], s[12:13], exec
	s_waitcnt lgkmcnt(0)
	v_and_b32_e32 v12, 1, v12
	v_cmp_eq_u32_e64 s[4:5], 1, v12
	s_xor_b64 s[4:5], s[4:5], -1
	s_and_b64 s[4:5], s[4:5], exec
	s_or_b64 s[12:13], s[12:13], s[4:5]
.LBB34_78:
	s_or_b64 exec, exec, s[10:11]
	s_and_saveexec_b64 s[10:11], s[12:13]
	s_cbranch_execz .LBB34_81
; %bb.79:
	ds_read_u8 v12, v0 offset:1
	s_waitcnt lgkmcnt(0)
	v_cmp_ne_u16_e64 s[4:5], 0, v12
	s_and_b64 exec, exec, s[4:5]
	s_cbranch_execz .LBB34_81
; %bb.80:
	v_add_u32_e32 v10, v8, v10
	v_alignbit_b32 v11, v11, v11, 16
	ds_read_b128 v[14:17], v10
	ds_write_b32 v1, v11
	ds_read_u8 v1, v0
	s_waitcnt lgkmcnt(2)
	v_mov_b32_e32 v18, v14
	v_mov_b32_e32 v19, v15
	s_waitcnt lgkmcnt(0)
	v_lshlrev_b16_e32 v1, 8, v1
	v_or_b32_e32 v1, v12, v1
	ds_write_b128 v10, v[16:19]
	ds_write_b16 v0, v1
.LBB34_81:
	s_or_b64 exec, exec, s[10:11]
	s_waitcnt lgkmcnt(0)
	s_barrier
	s_and_saveexec_b64 s[4:5], vcc
	s_cbranch_execz .LBB34_86
; %bb.82:
	s_and_saveexec_b64 s[4:5], s[0:1]
	s_cbranch_execz .LBB34_84
; %bb.83:
	ds_read_u16 v12, v9
	v_mad_u64_u32 v[0:1], s[0:1], v3, s14, v[4:5]
	v_mov_b32_e32 v1, 0
	v_lshlrev_b64 v[10:11], 1, v[0:1]
	v_mov_b32_e32 v0, s7
	v_add_co_u32_e32 v10, vcc, s6, v10
	v_addc_co_u32_e32 v11, vcc, v0, v11, vcc
	ds_read_b64 v[8:9], v8
	s_waitcnt lgkmcnt(1)
	global_store_short v[10:11], v12, off
	v_mad_u64_u32 v[10:11], s[0:1], v3, s15, v[2:3]
	v_mov_b32_e32 v11, v1
	v_lshlrev_b64 v[0:1], 3, v[10:11]
	v_mov_b32_e32 v3, s9
	v_add_co_u32_e32 v0, vcc, s8, v0
	v_addc_co_u32_e32 v1, vcc, v3, v1, vcc
	s_waitcnt lgkmcnt(0)
	global_store_dwordx2 v[0:1], v[8:9], off
.LBB34_84:
	s_or_b64 exec, exec, s[4:5]
	s_and_b64 exec, exec, s[2:3]
	s_cbranch_execz .LBB34_86
; %bb.85:
	ds_read_u16 v3, v7
	v_mad_u64_u32 v[0:1], s[0:1], v5, s14, v[4:5]
	v_mov_b32_e32 v1, 0
	v_lshlrev_b64 v[8:9], 1, v[0:1]
	v_mov_b32_e32 v0, s7
	v_add_co_u32_e32 v8, vcc, s6, v8
	v_addc_co_u32_e32 v9, vcc, v0, v9, vcc
	ds_read_b64 v[6:7], v6
	s_waitcnt lgkmcnt(1)
	global_store_short v[8:9], v3, off
	v_mad_u64_u32 v[2:3], s[0:1], v5, s15, v[2:3]
	v_mov_b32_e32 v3, v1
	v_lshlrev_b64 v[0:1], 3, v[2:3]
	v_mov_b32_e32 v2, s9
	v_add_co_u32_e32 v0, vcc, s8, v0
	v_addc_co_u32_e32 v1, vcc, v2, v1, vcc
	s_waitcnt lgkmcnt(0)
	global_store_dwordx2 v[0:1], v[6:7], off
.LBB34_86:
	s_endpgm
.LBB34_87:
	ds_read_u8 v20, v0
	s_andn2_b64 s[10:11], s[10:11], exec
	s_mov_b32 s16, 1
	s_waitcnt lgkmcnt(0)
	v_and_b32_e32 v20, 1, v20
	v_cmp_eq_u32_e64 s[4:5], 1, v20
	s_xor_b64 s[4:5], s[4:5], -1
	s_and_b64 s[4:5], s[4:5], exec
	s_or_b64 s[10:11], s[10:11], s[4:5]
	s_or_b64 exec, exec, s[12:13]
	v_mov_b32_e32 v20, s16
	s_and_saveexec_b64 s[4:5], s[10:11]
	s_cbranch_execz .LBB34_22
.LBB34_88:
	ds_read_u8 v20, v0 offset:1
	s_waitcnt lgkmcnt(0)
	v_xor_b32_e32 v20, 1, v20
	s_or_b64 exec, exec, s[4:5]
	v_cmp_eq_u32_e64 s[4:5], v20, v18
	s_and_saveexec_b64 s[10:11], s[4:5]
	s_cbranch_execnz .LBB34_23
	s_branch .LBB34_24
.LBB34_89:
	ds_read_u8 v24, v12
	s_andn2_b64 s[10:11], s[10:11], exec
	s_mov_b32 s16, 1
	s_waitcnt lgkmcnt(0)
	v_and_b32_e32 v24, 1, v24
	v_cmp_eq_u32_e64 s[4:5], 1, v24
	s_xor_b64 s[4:5], s[4:5], -1
	s_and_b64 s[4:5], s[4:5], exec
	s_or_b64 s[10:11], s[10:11], s[4:5]
	s_or_b64 exec, exec, s[12:13]
	v_mov_b32_e32 v24, s16
	s_and_saveexec_b64 s[4:5], s[10:11]
	s_cbranch_execz .LBB34_32
.LBB34_90:
	ds_read_u8 v24, v12 offset:2
	s_waitcnt lgkmcnt(0)
	v_xor_b32_e32 v24, 1, v24
	s_or_b64 exec, exec, s[4:5]
	v_cmp_eq_u32_e64 s[4:5], v24, v21
	s_and_saveexec_b64 s[10:11], s[4:5]
	s_cbranch_execnz .LBB34_33
	s_branch .LBB34_34
.LBB34_91:
	ds_read_u8 v23, v0
	s_andn2_b64 s[10:11], s[10:11], exec
	s_mov_b32 s16, 1
	s_waitcnt lgkmcnt(0)
	v_and_b32_e32 v23, 1, v23
	v_cmp_eq_u32_e64 s[4:5], 1, v23
	s_xor_b64 s[4:5], s[4:5], -1
	s_and_b64 s[4:5], s[4:5], exec
	s_or_b64 s[10:11], s[10:11], s[4:5]
	s_or_b64 exec, exec, s[12:13]
	v_mov_b32_e32 v23, s16
	s_and_saveexec_b64 s[4:5], s[10:11]
	s_cbranch_execz .LBB34_36
.LBB34_92:
	ds_read_u8 v23, v0 offset:1
	s_waitcnt lgkmcnt(0)
	v_xor_b32_e32 v23, 1, v23
	s_or_b64 exec, exec, s[4:5]
	v_cmp_eq_u32_e64 s[4:5], v23, v21
	s_and_saveexec_b64 s[10:11], s[4:5]
	s_cbranch_execnz .LBB34_37
	s_branch .LBB34_38
.LBB34_93:
	ds_read_u8 v27, v19
	s_andn2_b64 s[10:11], s[10:11], exec
	s_mov_b32 s16, 1
	s_waitcnt lgkmcnt(0)
	v_and_b32_e32 v27, 1, v27
	v_cmp_eq_u32_e64 s[4:5], 1, v27
	s_xor_b64 s[4:5], s[4:5], -1
	s_and_b64 s[4:5], s[4:5], exec
	s_or_b64 s[10:11], s[10:11], s[4:5]
	s_or_b64 exec, exec, s[12:13]
	v_mov_b32_e32 v27, s16
	s_and_saveexec_b64 s[4:5], s[10:11]
	s_cbranch_execz .LBB34_46
.LBB34_94:
	ds_read_u8 v27, v19 offset:4
	s_waitcnt lgkmcnt(0)
	v_xor_b32_e32 v27, 1, v27
	s_or_b64 exec, exec, s[4:5]
	v_cmp_eq_u32_e64 s[4:5], v27, v24
	s_and_saveexec_b64 s[10:11], s[4:5]
	s_cbranch_execnz .LBB34_47
	s_branch .LBB34_48
.LBB34_95:
	ds_read_u8 v27, v12
	s_andn2_b64 s[10:11], s[10:11], exec
	s_mov_b32 s16, 1
	s_waitcnt lgkmcnt(0)
	v_and_b32_e32 v27, 1, v27
	v_cmp_eq_u32_e64 s[4:5], 1, v27
	s_xor_b64 s[4:5], s[4:5], -1
	s_and_b64 s[4:5], s[4:5], exec
	s_or_b64 s[10:11], s[10:11], s[4:5]
	s_or_b64 exec, exec, s[12:13]
	v_mov_b32_e32 v27, s16
	s_and_saveexec_b64 s[4:5], s[10:11]
	s_cbranch_execz .LBB34_50
.LBB34_96:
	ds_read_u8 v27, v12 offset:2
	s_waitcnt lgkmcnt(0)
	v_xor_b32_e32 v27, 1, v27
	s_or_b64 exec, exec, s[4:5]
	v_cmp_eq_u32_e64 s[4:5], v27, v24
	s_and_saveexec_b64 s[10:11], s[4:5]
	s_cbranch_execnz .LBB34_51
	s_branch .LBB34_52
.LBB34_97:
	ds_read_u8 v26, v0
	s_andn2_b64 s[10:11], s[10:11], exec
	s_mov_b32 s16, 1
	s_waitcnt lgkmcnt(0)
	v_and_b32_e32 v26, 1, v26
	v_cmp_eq_u32_e64 s[4:5], 1, v26
	s_xor_b64 s[4:5], s[4:5], -1
	s_and_b64 s[4:5], s[4:5], exec
	s_or_b64 s[10:11], s[10:11], s[4:5]
	s_or_b64 exec, exec, s[12:13]
	v_mov_b32_e32 v26, s16
	s_and_saveexec_b64 s[4:5], s[10:11]
	s_cbranch_execz .LBB34_54
.LBB34_98:
	ds_read_u8 v26, v0 offset:1
	s_waitcnt lgkmcnt(0)
	v_xor_b32_e32 v26, 1, v26
	s_or_b64 exec, exec, s[4:5]
	v_cmp_eq_u32_e64 s[4:5], v26, v24
	s_and_saveexec_b64 s[10:11], s[4:5]
	s_cbranch_execnz .LBB34_55
	s_branch .LBB34_56
	.section	.rodata,"a",@progbits
	.p2align	6, 0x0
	.amdhsa_kernel _ZN2at6native20bitonicSortKVInPlaceILi2ELin1ELi16ELi16EslNS0_4LTOpIsLb1EEEjEEvNS_4cuda6detail10TensorInfoIT3_T6_EES8_S8_S8_NS6_IT4_S8_EES8_T5_
		.amdhsa_group_segment_fixed_size 5632
		.amdhsa_private_segment_fixed_size 0
		.amdhsa_kernarg_size 712
		.amdhsa_user_sgpr_count 6
		.amdhsa_user_sgpr_private_segment_buffer 1
		.amdhsa_user_sgpr_dispatch_ptr 0
		.amdhsa_user_sgpr_queue_ptr 0
		.amdhsa_user_sgpr_kernarg_segment_ptr 1
		.amdhsa_user_sgpr_dispatch_id 0
		.amdhsa_user_sgpr_flat_scratch_init 0
		.amdhsa_user_sgpr_kernarg_preload_length 0
		.amdhsa_user_sgpr_kernarg_preload_offset 0
		.amdhsa_user_sgpr_private_segment_size 0
		.amdhsa_uses_dynamic_stack 0
		.amdhsa_system_sgpr_private_segment_wavefront_offset 0
		.amdhsa_system_sgpr_workgroup_id_x 1
		.amdhsa_system_sgpr_workgroup_id_y 1
		.amdhsa_system_sgpr_workgroup_id_z 1
		.amdhsa_system_sgpr_workgroup_info 0
		.amdhsa_system_vgpr_workitem_id 1
		.amdhsa_next_free_vgpr 33
		.amdhsa_next_free_sgpr 20
		.amdhsa_accum_offset 36
		.amdhsa_reserve_vcc 1
		.amdhsa_reserve_flat_scratch 0
		.amdhsa_float_round_mode_32 0
		.amdhsa_float_round_mode_16_64 0
		.amdhsa_float_denorm_mode_32 3
		.amdhsa_float_denorm_mode_16_64 3
		.amdhsa_dx10_clamp 1
		.amdhsa_ieee_mode 1
		.amdhsa_fp16_overflow 0
		.amdhsa_tg_split 0
		.amdhsa_exception_fp_ieee_invalid_op 0
		.amdhsa_exception_fp_denorm_src 0
		.amdhsa_exception_fp_ieee_div_zero 0
		.amdhsa_exception_fp_ieee_overflow 0
		.amdhsa_exception_fp_ieee_underflow 0
		.amdhsa_exception_fp_ieee_inexact 0
		.amdhsa_exception_int_div_zero 0
	.end_amdhsa_kernel
	.section	.text._ZN2at6native20bitonicSortKVInPlaceILi2ELin1ELi16ELi16EslNS0_4LTOpIsLb1EEEjEEvNS_4cuda6detail10TensorInfoIT3_T6_EES8_S8_S8_NS6_IT4_S8_EES8_T5_,"axG",@progbits,_ZN2at6native20bitonicSortKVInPlaceILi2ELin1ELi16ELi16EslNS0_4LTOpIsLb1EEEjEEvNS_4cuda6detail10TensorInfoIT3_T6_EES8_S8_S8_NS6_IT4_S8_EES8_T5_,comdat
.Lfunc_end34:
	.size	_ZN2at6native20bitonicSortKVInPlaceILi2ELin1ELi16ELi16EslNS0_4LTOpIsLb1EEEjEEvNS_4cuda6detail10TensorInfoIT3_T6_EES8_S8_S8_NS6_IT4_S8_EES8_T5_, .Lfunc_end34-_ZN2at6native20bitonicSortKVInPlaceILi2ELin1ELi16ELi16EslNS0_4LTOpIsLb1EEEjEEvNS_4cuda6detail10TensorInfoIT3_T6_EES8_S8_S8_NS6_IT4_S8_EES8_T5_
                                        ; -- End function
	.section	.AMDGPU.csdata,"",@progbits
; Kernel info:
; codeLenInByte = 4900
; NumSgprs: 24
; NumVgprs: 33
; NumAgprs: 0
; TotalNumVgprs: 33
; ScratchSize: 0
; MemoryBound: 0
; FloatMode: 240
; IeeeMode: 1
; LDSByteSize: 5632 bytes/workgroup (compile time only)
; SGPRBlocks: 2
; VGPRBlocks: 4
; NumSGPRsForWavesPerEU: 24
; NumVGPRsForWavesPerEU: 33
; AccumOffset: 36
; Occupancy: 8
; WaveLimiterHint : 1
; COMPUTE_PGM_RSRC2:SCRATCH_EN: 0
; COMPUTE_PGM_RSRC2:USER_SGPR: 6
; COMPUTE_PGM_RSRC2:TRAP_HANDLER: 0
; COMPUTE_PGM_RSRC2:TGID_X_EN: 1
; COMPUTE_PGM_RSRC2:TGID_Y_EN: 1
; COMPUTE_PGM_RSRC2:TGID_Z_EN: 1
; COMPUTE_PGM_RSRC2:TIDIG_COMP_CNT: 1
; COMPUTE_PGM_RSRC3_GFX90A:ACCUM_OFFSET: 8
; COMPUTE_PGM_RSRC3_GFX90A:TG_SPLIT: 0
	.section	.text._ZN2at6native20bitonicSortKVInPlaceILi2ELin1ELi16ELi16EslNS0_4GTOpIsLb1EEEjEEvNS_4cuda6detail10TensorInfoIT3_T6_EES8_S8_S8_NS6_IT4_S8_EES8_T5_,"axG",@progbits,_ZN2at6native20bitonicSortKVInPlaceILi2ELin1ELi16ELi16EslNS0_4GTOpIsLb1EEEjEEvNS_4cuda6detail10TensorInfoIT3_T6_EES8_S8_S8_NS6_IT4_S8_EES8_T5_,comdat
	.protected	_ZN2at6native20bitonicSortKVInPlaceILi2ELin1ELi16ELi16EslNS0_4GTOpIsLb1EEEjEEvNS_4cuda6detail10TensorInfoIT3_T6_EES8_S8_S8_NS6_IT4_S8_EES8_T5_ ; -- Begin function _ZN2at6native20bitonicSortKVInPlaceILi2ELin1ELi16ELi16EslNS0_4GTOpIsLb1EEEjEEvNS_4cuda6detail10TensorInfoIT3_T6_EES8_S8_S8_NS6_IT4_S8_EES8_T5_
	.globl	_ZN2at6native20bitonicSortKVInPlaceILi2ELin1ELi16ELi16EslNS0_4GTOpIsLb1EEEjEEvNS_4cuda6detail10TensorInfoIT3_T6_EES8_S8_S8_NS6_IT4_S8_EES8_T5_
	.p2align	8
	.type	_ZN2at6native20bitonicSortKVInPlaceILi2ELin1ELi16ELi16EslNS0_4GTOpIsLb1EEEjEEvNS_4cuda6detail10TensorInfoIT3_T6_EES8_S8_S8_NS6_IT4_S8_EES8_T5_,@function
_ZN2at6native20bitonicSortKVInPlaceILi2ELin1ELi16ELi16EslNS0_4GTOpIsLb1EEEjEEvNS_4cuda6detail10TensorInfoIT3_T6_EES8_S8_S8_NS6_IT4_S8_EES8_T5_: ; @_ZN2at6native20bitonicSortKVInPlaceILi2ELin1ELi16ELi16EslNS0_4GTOpIsLb1EEEjEEvNS_4cuda6detail10TensorInfoIT3_T6_EES8_S8_S8_NS6_IT4_S8_EES8_T5_
; %bb.0:
	s_load_dwordx2 s[0:1], s[4:5], 0x1c8
	s_load_dwordx4 s[12:15], s[4:5], 0xd8
	s_load_dword s9, s[4:5], 0x1d4
	s_add_u32 s2, s4, 0x1c8
	s_addc_u32 s3, s5, 0
	s_waitcnt lgkmcnt(0)
	s_mul_i32 s1, s1, s8
	s_add_i32 s1, s1, s7
	s_mul_i32 s0, s1, s0
	s_add_i32 s0, s0, s6
	s_lshr_b32 s1, s9, 16
	s_mul_i32 s0, s0, s1
	s_cmp_ge_u32 s0, s12
	s_cbranch_scc1 .LBB35_86
; %bb.1:
	s_load_dword s15, s[4:5], 0xc
	s_load_dwordx2 s[8:9], s[4:5], 0x6c
	s_load_dword s17, s[4:5], 0x1b8
	s_add_u32 s10, s4, 0xe8
	v_bfe_u32 v8, v0, 10, 10
	s_waitcnt lgkmcnt(0)
	v_cvt_f32_u32_e32 v1, s15
	s_load_dwordx2 s[6:7], s[4:5], 0x0
	s_addc_u32 s11, s5, 0
	s_mov_b32 s1, 0
	v_rcp_iflag_f32_e32 v1, v1
	v_mov_b32_e32 v2, 0
	v_mul_f32_e32 v1, 0x4f7ffffe, v1
	v_cvt_u32_f32_e32 v3, v1
	v_add_u32_e32 v1, s0, v8
	s_sub_i32 s0, 0, s15
	s_cmp_lt_i32 s17, 2
	v_mul_lo_u32 v4, s0, v3
	v_mul_hi_u32 v4, v3, v4
	v_add_u32_e32 v3, v3, v4
	v_mad_u64_u32 v[4:5], s[18:19], v1, v3, 0
	v_mov_b32_e32 v6, v1
	s_cbranch_scc1 .LBB35_4
; %bb.2:
	s_add_i32 s0, s17, -1
	s_add_i32 s16, s17, 1
	s_lshl_b64 s[0:1], s[0:1], 2
	s_add_u32 s0, s0, s10
	s_addc_u32 s1, s1, s11
	s_add_u32 s0, s0, 8
	s_addc_u32 s1, s1, 0
	v_mov_b32_e32 v2, 0
	v_mov_b32_e32 v6, v1
.LBB35_3:                               ; =>This Inner Loop Header: Depth=1
	s_load_dword s17, s[0:1], 0x0
	s_load_dword s18, s[0:1], 0x64
	v_mov_b32_e32 v3, v6
	s_add_i32 s16, s16, -1
	s_waitcnt lgkmcnt(0)
	v_cvt_f32_u32_e32 v4, s17
	s_sub_i32 s19, 0, s17
	s_add_u32 s0, s0, -4
	s_addc_u32 s1, s1, -1
	v_rcp_iflag_f32_e32 v4, v4
	s_cmp_gt_u32 s16, 2
	v_mul_f32_e32 v4, 0x4f7ffffe, v4
	v_cvt_u32_f32_e32 v4, v4
	v_mul_lo_u32 v6, s19, v4
	v_mul_hi_u32 v6, v4, v6
	v_add_u32_e32 v4, v4, v6
	v_mul_hi_u32 v4, v3, v4
	v_mul_lo_u32 v6, v4, s17
	v_sub_u32_e32 v6, v3, v6
	v_add_u32_e32 v7, 1, v4
	v_cmp_le_u32_e32 vcc, s17, v6
	v_cndmask_b32_e32 v4, v4, v7, vcc
	v_subrev_u32_e32 v7, s17, v6
	v_cndmask_b32_e32 v6, v6, v7, vcc
	v_add_u32_e32 v7, 1, v4
	v_cmp_le_u32_e32 vcc, s17, v6
	v_cndmask_b32_e32 v6, v4, v7, vcc
	v_mul_lo_u32 v4, v6, s17
	v_sub_u32_e32 v3, v3, v4
	v_mad_u64_u32 v[2:3], s[18:19], s18, v3, v[2:3]
	s_cbranch_scc1 .LBB35_3
.LBB35_4:
	v_mul_lo_u32 v3, v5, s15
	v_sub_u32_e32 v3, v1, v3
	v_add_u32_e32 v4, 1, v5
	v_cmp_le_u32_e64 s[0:1], s15, v3
	v_cndmask_b32_e64 v4, v5, v4, s[0:1]
	v_subrev_u32_e32 v5, s15, v3
	v_cndmask_b32_e64 v3, v3, v5, s[0:1]
	v_add_u32_e32 v5, 1, v4
	v_cmp_le_u32_e64 s[0:1], s15, v3
	v_cndmask_b32_e64 v3, v4, v5, s[0:1]
	v_cmp_gt_u32_e32 vcc, s12, v1
	v_mul_lo_u32 v4, v3, s15
	s_load_dword s15, s[4:5], 0x1c0
	s_load_dword s12, s[10:11], 0x6c
	v_sub_u32_e32 v1, v1, v4
	v_mul_lo_u32 v4, v1, s9
	v_mad_u64_u32 v[4:5], s[0:1], v3, s8, v[4:5]
	s_load_dwordx2 s[8:9], s[10:11], 0x0
	s_waitcnt lgkmcnt(0)
	v_mad_u64_u32 v[2:3], s[0:1], s12, v6, v[2:3]
	s_load_dword s12, s[2:3], 0xc
	v_and_b32_e32 v3, 0x3ff, v0
	v_cmp_gt_u32_e64 s[0:1], s13, v3
	v_pk_mov_b32 v[0:1], 0, 0
	s_and_b64 s[4:5], vcc, s[0:1]
	v_mov_b32_e32 v10, 0
	v_mov_b32_e32 v5, 0
	v_pk_mov_b32 v[6:7], v[0:1], v[0:1] op_sel:[0,1]
	s_and_saveexec_b64 s[10:11], s[4:5]
	s_cbranch_execz .LBB35_6
; %bb.5:
	v_mad_u64_u32 v[6:7], s[2:3], v3, s14, v[4:5]
	v_mov_b32_e32 v7, 0
	v_lshlrev_b64 v[12:13], 1, v[6:7]
	v_mov_b32_e32 v5, s7
	v_add_co_u32_e64 v12, s[2:3], s6, v12
	v_addc_co_u32_e64 v13, s[2:3], v5, v13, s[2:3]
	global_load_ushort v5, v[12:13], off
	v_mad_u64_u32 v[12:13], s[2:3], v3, s15, v[2:3]
	v_mov_b32_e32 v13, v7
	v_lshlrev_b64 v[6:7], 3, v[12:13]
	v_mov_b32_e32 v9, s9
	v_add_co_u32_e64 v6, s[2:3], s8, v6
	v_addc_co_u32_e64 v7, s[2:3], v9, v7, s[2:3]
	global_load_dwordx2 v[6:7], v[6:7], off
.LBB35_6:
	s_or_b64 exec, exec, s[10:11]
	v_mov_b32_e32 v9, 0x1000
	v_lshl_add_u32 v16, v8, 6, v9
	v_mov_b32_e32 v9, 0x1400
	v_lshl_add_u32 v15, v8, 5, v9
	v_lshl_add_u32 v9, v3, 1, v16
	s_waitcnt lgkmcnt(0)
	s_and_b32 s16, 0xffff, s12
	v_cndmask_b32_e64 v11, 0, 1, s[4:5]
	s_waitcnt vmcnt(1)
	ds_write_b16 v9, v5
	v_add_u32_e32 v5, v15, v3
	ds_write_b8 v5, v11
	v_add_u32_e32 v5, s16, v3
	v_lshlrev_b32_e32 v13, 8, v8
	v_cmp_gt_u32_e64 s[2:3], s13, v5
	v_lshl_add_u32 v8, v3, 3, v13
	s_and_b64 s[10:11], vcc, s[2:3]
	s_waitcnt vmcnt(0)
	ds_write_b64 v8, v[6:7]
	s_and_saveexec_b64 s[12:13], s[10:11]
	s_cbranch_execz .LBB35_8
; %bb.7:
	v_mad_u64_u32 v[0:1], s[4:5], v5, s14, v[4:5]
	v_mov_b32_e32 v1, 0
	v_lshlrev_b64 v[6:7], 1, v[0:1]
	v_mov_b32_e32 v0, s7
	v_add_co_u32_e64 v6, s[4:5], s6, v6
	v_addc_co_u32_e64 v7, s[4:5], v0, v7, s[4:5]
	global_load_ushort v10, v[6:7], off
	v_mad_u64_u32 v[6:7], s[4:5], v5, s15, v[2:3]
	v_mov_b32_e32 v7, v1
	v_lshlrev_b64 v[0:1], 3, v[6:7]
	v_mov_b32_e32 v6, s9
	v_add_co_u32_e64 v0, s[4:5], s8, v0
	v_addc_co_u32_e64 v1, s[4:5], v6, v1, s[4:5]
	global_load_dwordx2 v[0:1], v[0:1], off
.LBB35_8:
	s_or_b64 exec, exec, s[12:13]
	v_lshl_add_u32 v6, s16, 3, v8
	v_lshlrev_b32_e32 v17, 1, v3
	v_cndmask_b32_e64 v11, 0, 1, s[10:11]
	v_lshl_add_u32 v7, s16, 1, v9
	s_waitcnt vmcnt(0)
	ds_write_b64 v6, v[0:1]
	v_add_u32_e32 v0, v15, v5
	v_add_u32_e32 v1, v9, v17
	ds_write_b16 v7, v10
	ds_write_b8 v0, v11
	s_waitcnt lgkmcnt(0)
	s_barrier
	ds_read_b32 v11, v1
	s_mov_b32 s16, 1
	v_add_u32_e32 v0, v15, v17
	s_waitcnt lgkmcnt(0)
	v_cmp_le_i16_sdwa s[10:11], v11, v11 src0_sel:DWORD src1_sel:WORD_1
	v_cmp_gt_i16_sdwa s[4:5], v11, v11 src0_sel:DWORD src1_sel:WORD_1
	s_and_saveexec_b64 s[12:13], s[4:5]
	s_xor_b64 s[12:13], exec, s[12:13]
	s_cbranch_execz .LBB35_10
; %bb.9:
	ds_read_u8 v10, v0
	s_andn2_b64 s[10:11], s[10:11], exec
	s_waitcnt lgkmcnt(0)
	v_and_b32_e32 v10, 1, v10
	v_cmp_eq_u32_e64 s[4:5], 1, v10
	s_xor_b64 s[4:5], s[4:5], -1
	s_and_b64 s[4:5], s[4:5], exec
	s_or_b64 s[10:11], s[10:11], s[4:5]
.LBB35_10:
	s_or_b64 exec, exec, s[12:13]
	v_mov_b32_e32 v14, s16
	s_and_saveexec_b64 s[4:5], s[10:11]
	s_cbranch_execz .LBB35_12
; %bb.11:
	ds_read_u8 v10, v0 offset:1
	s_waitcnt lgkmcnt(0)
	v_xor_b32_e32 v14, 1, v10
.LBB35_12:
	s_or_b64 exec, exec, s[4:5]
	v_and_b32_e32 v12, 1, v3
	v_lshlrev_b32_e32 v10, 3, v3
	v_cmp_eq_u32_e64 s[4:5], v14, v12
	s_and_saveexec_b64 s[10:11], s[4:5]
	s_cbranch_execz .LBB35_14
; %bb.13:
	v_add_u32_e32 v14, v8, v10
	v_alignbit_b32 v11, v11, v11, 16
	ds_read_b128 v[18:21], v14
	ds_write_b32 v1, v11
	ds_read_u16 v11, v0
	s_mov_b32 s4, 0xc0c0001
	s_waitcnt lgkmcnt(2)
	v_mov_b32_e32 v22, v18
	v_mov_b32_e32 v23, v19
	s_waitcnt lgkmcnt(0)
	v_perm_b32 v11, 0, v11, s4
	ds_write_b128 v14, v[20:23]
	ds_write_b16 v0, v11
.LBB35_14:
	s_or_b64 exec, exec, s[10:11]
	v_sub_u32_e32 v14, v17, v12
	v_lshl_add_u32 v11, v14, 1, v16
	s_waitcnt lgkmcnt(0)
	s_barrier
	ds_read_u16 v19, v11
	ds_read_u16 v20, v11 offset:4
	s_mov_b64 s[10:11], -1
	v_add_u32_e32 v12, v15, v14
                                        ; implicit-def: $sgpr16
	s_waitcnt lgkmcnt(0)
	v_cmp_gt_i16_e64 s[4:5], v19, v20
	s_and_saveexec_b64 s[12:13], s[4:5]
	s_xor_b64 s[12:13], exec, s[12:13]
	s_cbranch_execz .LBB35_16
; %bb.15:
	ds_read_u8 v18, v12
	s_mov_b32 s16, 1
	s_waitcnt lgkmcnt(0)
	v_and_b32_e32 v18, 1, v18
	v_cmp_eq_u32_e64 s[4:5], 1, v18
	s_xor_b64 s[4:5], s[4:5], -1
	s_orn2_b64 s[10:11], s[4:5], exec
.LBB35_16:
	s_or_b64 exec, exec, s[12:13]
	v_mov_b32_e32 v21, s16
	s_and_saveexec_b64 s[4:5], s[10:11]
	s_cbranch_execz .LBB35_18
; %bb.17:
	ds_read_u8 v18, v12 offset:2
	s_waitcnt lgkmcnt(0)
	v_xor_b32_e32 v21, 1, v18
.LBB35_18:
	s_or_b64 exec, exec, s[4:5]
	v_bfe_u32 v18, v3, 1, 1
	v_lshl_add_u32 v14, v14, 3, v13
	v_cmp_eq_u32_e64 s[4:5], v21, v18
	s_and_saveexec_b64 s[10:11], s[4:5]
	s_cbranch_execz .LBB35_20
; %bb.19:
	ds_read2_b64 v[22:25], v14 offset1:2
	ds_read_u8 v21, v12 offset:2
	ds_read_u8 v26, v12
	ds_write_b16 v11, v20
	ds_write_b16 v11, v19 offset:4
	s_waitcnt lgkmcnt(4)
	ds_write2_b64 v14, v[24:25], v[22:23] offset1:2
	s_waitcnt lgkmcnt(4)
	ds_write_b8 v12, v21
	s_waitcnt lgkmcnt(4)
	ds_write_b8 v12, v26 offset:2
.LBB35_20:
	s_or_b64 exec, exec, s[10:11]
	s_waitcnt lgkmcnt(0)
	s_barrier
	ds_read_b32 v19, v1
                                        ; implicit-def: $sgpr16
	s_waitcnt lgkmcnt(0)
	v_cmp_le_i16_sdwa s[10:11], v19, v19 src0_sel:DWORD src1_sel:WORD_1
	v_cmp_gt_i16_sdwa s[4:5], v19, v19 src0_sel:DWORD src1_sel:WORD_1
	s_and_saveexec_b64 s[12:13], s[4:5]
	s_cbranch_execnz .LBB35_87
; %bb.21:
	s_or_b64 exec, exec, s[12:13]
	v_mov_b32_e32 v20, s16
	s_and_saveexec_b64 s[4:5], s[10:11]
	s_cbranch_execnz .LBB35_88
.LBB35_22:
	s_or_b64 exec, exec, s[4:5]
	v_cmp_eq_u32_e64 s[4:5], v20, v18
	s_and_saveexec_b64 s[10:11], s[4:5]
	s_cbranch_execz .LBB35_24
.LBB35_23:
	v_add_u32_e32 v24, v8, v10
	ds_read_b128 v[20:23], v24
	ds_read_u16 v25, v0
	v_alignbit_b32 v18, v19, v19, 16
	ds_write_b32 v1, v18
	s_mov_b32 s4, 0xc0c0001
	s_waitcnt lgkmcnt(2)
	v_mov_b32_e32 v18, v22
	v_mov_b32_e32 v19, v23
	ds_write_b128 v24, v[18:21]
	s_waitcnt lgkmcnt(2)
	v_perm_b32 v18, 0, v25, s4
	ds_write_b16 v0, v18
.LBB35_24:
	s_or_b64 exec, exec, s[10:11]
	v_and_b32_e32 v18, 3, v3
	v_sub_u32_e32 v20, v17, v18
	v_lshl_add_u32 v18, v20, 1, v16
	s_waitcnt lgkmcnt(0)
	s_barrier
	ds_read_u16 v22, v18
	ds_read_u16 v23, v18 offset:8
	s_mov_b32 s16, 1
	v_add_u32_e32 v19, v15, v20
	s_waitcnt lgkmcnt(0)
	v_cmp_le_i16_e64 s[10:11], v22, v23
	v_cmp_gt_i16_e64 s[4:5], v22, v23
	s_and_saveexec_b64 s[12:13], s[4:5]
	s_cbranch_execz .LBB35_26
; %bb.25:
	ds_read_u8 v21, v19
	s_andn2_b64 s[10:11], s[10:11], exec
	s_waitcnt lgkmcnt(0)
	v_and_b32_e32 v21, 1, v21
	v_cmp_eq_u32_e64 s[4:5], 1, v21
	s_xor_b64 s[4:5], s[4:5], -1
	s_and_b64 s[4:5], s[4:5], exec
	s_or_b64 s[10:11], s[10:11], s[4:5]
.LBB35_26:
	s_or_b64 exec, exec, s[12:13]
	v_mov_b32_e32 v24, s16
	s_and_saveexec_b64 s[4:5], s[10:11]
	s_cbranch_execz .LBB35_28
; %bb.27:
	ds_read_u8 v21, v19 offset:4
	s_waitcnt lgkmcnt(0)
	v_xor_b32_e32 v24, 1, v21
.LBB35_28:
	s_or_b64 exec, exec, s[4:5]
	v_bfe_u32 v21, v3, 2, 1
	v_lshl_add_u32 v20, v20, 3, v13
	v_cmp_eq_u32_e64 s[4:5], v24, v21
	s_and_saveexec_b64 s[10:11], s[4:5]
	s_cbranch_execz .LBB35_30
; %bb.29:
	ds_read2_b64 v[24:27], v20 offset1:4
	ds_read_u8 v28, v19 offset:4
	ds_read_u8 v29, v19
	ds_write_b16 v18, v23
	ds_write_b16 v18, v22 offset:8
	s_waitcnt lgkmcnt(4)
	ds_write2_b64 v20, v[26:27], v[24:25] offset1:4
	s_waitcnt lgkmcnt(4)
	ds_write_b8 v19, v28
	s_waitcnt lgkmcnt(4)
	ds_write_b8 v19, v29 offset:4
.LBB35_30:
	s_or_b64 exec, exec, s[10:11]
	s_waitcnt lgkmcnt(0)
	s_barrier
	ds_read_u16 v22, v11
	ds_read_u16 v23, v11 offset:4
                                        ; implicit-def: $sgpr16
	s_waitcnt lgkmcnt(0)
	v_cmp_le_i16_e64 s[10:11], v22, v23
	v_cmp_gt_i16_e64 s[4:5], v22, v23
	s_and_saveexec_b64 s[12:13], s[4:5]
	s_cbranch_execnz .LBB35_89
; %bb.31:
	s_or_b64 exec, exec, s[12:13]
	v_mov_b32_e32 v24, s16
	s_and_saveexec_b64 s[4:5], s[10:11]
	s_cbranch_execnz .LBB35_90
.LBB35_32:
	s_or_b64 exec, exec, s[4:5]
	v_cmp_eq_u32_e64 s[4:5], v24, v21
	s_and_saveexec_b64 s[10:11], s[4:5]
	s_cbranch_execz .LBB35_34
.LBB35_33:
	ds_read2_b64 v[24:27], v14 offset1:2
	ds_read_u8 v28, v12 offset:2
	ds_read_u8 v29, v12
	ds_write_b16 v11, v23
	ds_write_b16 v11, v22 offset:4
	s_waitcnt lgkmcnt(4)
	ds_write2_b64 v14, v[26:27], v[24:25] offset1:2
	s_waitcnt lgkmcnt(4)
	ds_write_b8 v12, v28
	s_waitcnt lgkmcnt(4)
	ds_write_b8 v12, v29 offset:2
.LBB35_34:
	s_or_b64 exec, exec, s[10:11]
	s_waitcnt lgkmcnt(0)
	s_barrier
	ds_read_b32 v22, v1
                                        ; implicit-def: $sgpr16
	s_waitcnt lgkmcnt(0)
	v_cmp_le_i16_sdwa s[10:11], v22, v22 src0_sel:DWORD src1_sel:WORD_1
	v_cmp_gt_i16_sdwa s[4:5], v22, v22 src0_sel:DWORD src1_sel:WORD_1
	s_and_saveexec_b64 s[12:13], s[4:5]
	s_cbranch_execnz .LBB35_91
; %bb.35:
	s_or_b64 exec, exec, s[12:13]
	v_mov_b32_e32 v23, s16
	s_and_saveexec_b64 s[4:5], s[10:11]
	s_cbranch_execnz .LBB35_92
.LBB35_36:
	s_or_b64 exec, exec, s[4:5]
	v_cmp_eq_u32_e64 s[4:5], v23, v21
	s_and_saveexec_b64 s[10:11], s[4:5]
	s_cbranch_execz .LBB35_38
.LBB35_37:
	v_add_u32_e32 v21, v8, v10
	ds_read_b128 v[24:27], v21
	ds_read_u16 v28, v0
	v_alignbit_b32 v22, v22, v22, 16
	ds_write_b32 v1, v22
	s_mov_b32 s4, 0xc0c0001
	s_waitcnt lgkmcnt(2)
	v_mov_b32_e32 v22, v26
	v_mov_b32_e32 v23, v27
	ds_write_b128 v21, v[22:25]
	s_waitcnt lgkmcnt(2)
	v_perm_b32 v21, 0, v28, s4
	ds_write_b16 v0, v21
.LBB35_38:
	s_or_b64 exec, exec, s[10:11]
	v_and_b32_e32 v21, 7, v3
	v_sub_u32_e32 v23, v17, v21
	v_lshl_add_u32 v21, v23, 1, v16
	s_waitcnt lgkmcnt(0)
	s_barrier
	ds_read_u16 v25, v21
	ds_read_u16 v26, v21 offset:16
	s_mov_b32 s16, 1
	v_add_u32_e32 v22, v15, v23
	s_waitcnt lgkmcnt(0)
	v_cmp_le_i16_e64 s[10:11], v25, v26
	v_cmp_gt_i16_e64 s[4:5], v25, v26
	s_and_saveexec_b64 s[12:13], s[4:5]
	s_cbranch_execz .LBB35_40
; %bb.39:
	ds_read_u8 v24, v22
	s_andn2_b64 s[10:11], s[10:11], exec
	s_waitcnt lgkmcnt(0)
	v_and_b32_e32 v24, 1, v24
	v_cmp_eq_u32_e64 s[4:5], 1, v24
	s_xor_b64 s[4:5], s[4:5], -1
	s_and_b64 s[4:5], s[4:5], exec
	s_or_b64 s[10:11], s[10:11], s[4:5]
.LBB35_40:
	s_or_b64 exec, exec, s[12:13]
	v_mov_b32_e32 v27, s16
	s_and_saveexec_b64 s[4:5], s[10:11]
	s_cbranch_execz .LBB35_42
; %bb.41:
	ds_read_u8 v24, v22 offset:8
	s_waitcnt lgkmcnt(0)
	v_xor_b32_e32 v27, 1, v24
.LBB35_42:
	s_or_b64 exec, exec, s[4:5]
	v_bfe_u32 v24, v3, 3, 1
	v_lshl_add_u32 v23, v23, 3, v13
	v_cmp_eq_u32_e64 s[4:5], v27, v24
	s_and_saveexec_b64 s[10:11], s[4:5]
	s_cbranch_execz .LBB35_44
; %bb.43:
	ds_read2_b64 v[28:31], v23 offset1:8
	ds_read_u8 v27, v22 offset:8
	ds_read_u8 v32, v22
	ds_write_b16 v21, v26
	ds_write_b16 v21, v25 offset:16
	s_waitcnt lgkmcnt(4)
	ds_write2_b64 v23, v[30:31], v[28:29] offset1:8
	s_waitcnt lgkmcnt(4)
	ds_write_b8 v22, v27
	s_waitcnt lgkmcnt(4)
	ds_write_b8 v22, v32 offset:8
.LBB35_44:
	s_or_b64 exec, exec, s[10:11]
	s_waitcnt lgkmcnt(0)
	s_barrier
	ds_read_u16 v25, v18
	ds_read_u16 v26, v18 offset:8
                                        ; implicit-def: $sgpr16
	s_waitcnt lgkmcnt(0)
	v_cmp_le_i16_e64 s[10:11], v25, v26
	v_cmp_gt_i16_e64 s[4:5], v25, v26
	s_and_saveexec_b64 s[12:13], s[4:5]
	s_cbranch_execnz .LBB35_93
; %bb.45:
	s_or_b64 exec, exec, s[12:13]
	v_mov_b32_e32 v27, s16
	s_and_saveexec_b64 s[4:5], s[10:11]
	s_cbranch_execnz .LBB35_94
.LBB35_46:
	s_or_b64 exec, exec, s[4:5]
	v_cmp_eq_u32_e64 s[4:5], v27, v24
	s_and_saveexec_b64 s[10:11], s[4:5]
	s_cbranch_execz .LBB35_48
.LBB35_47:
	ds_read2_b64 v[28:31], v20 offset1:4
	ds_read_u8 v27, v19 offset:4
	ds_read_u8 v32, v19
	ds_write_b16 v18, v26
	ds_write_b16 v18, v25 offset:8
	s_waitcnt lgkmcnt(4)
	ds_write2_b64 v20, v[30:31], v[28:29] offset1:4
	s_waitcnt lgkmcnt(4)
	ds_write_b8 v19, v27
	s_waitcnt lgkmcnt(4)
	ds_write_b8 v19, v32 offset:4
.LBB35_48:
	s_or_b64 exec, exec, s[10:11]
	s_waitcnt lgkmcnt(0)
	s_barrier
	ds_read_u16 v25, v11
	ds_read_u16 v26, v11 offset:4
                                        ; implicit-def: $sgpr16
	s_waitcnt lgkmcnt(0)
	v_cmp_le_i16_e64 s[10:11], v25, v26
	v_cmp_gt_i16_e64 s[4:5], v25, v26
	s_and_saveexec_b64 s[12:13], s[4:5]
	s_cbranch_execnz .LBB35_95
; %bb.49:
	s_or_b64 exec, exec, s[12:13]
	v_mov_b32_e32 v27, s16
	s_and_saveexec_b64 s[4:5], s[10:11]
	s_cbranch_execnz .LBB35_96
.LBB35_50:
	s_or_b64 exec, exec, s[4:5]
	v_cmp_eq_u32_e64 s[4:5], v27, v24
	s_and_saveexec_b64 s[10:11], s[4:5]
	s_cbranch_execz .LBB35_52
.LBB35_51:
	ds_read2_b64 v[28:31], v14 offset1:2
	ds_read_u8 v27, v12 offset:2
	ds_read_u8 v32, v12
	ds_write_b16 v11, v26
	ds_write_b16 v11, v25 offset:4
	s_waitcnt lgkmcnt(4)
	ds_write2_b64 v14, v[30:31], v[28:29] offset1:2
	s_waitcnt lgkmcnt(4)
	ds_write_b8 v12, v27
	s_waitcnt lgkmcnt(4)
	ds_write_b8 v12, v32 offset:2
.LBB35_52:
	s_or_b64 exec, exec, s[10:11]
	s_waitcnt lgkmcnt(0)
	s_barrier
	ds_read_b32 v25, v1
                                        ; implicit-def: $sgpr16
	s_waitcnt lgkmcnt(0)
	v_cmp_le_i16_sdwa s[10:11], v25, v25 src0_sel:DWORD src1_sel:WORD_1
	v_cmp_gt_i16_sdwa s[4:5], v25, v25 src0_sel:DWORD src1_sel:WORD_1
	s_and_saveexec_b64 s[12:13], s[4:5]
	s_cbranch_execnz .LBB35_97
; %bb.53:
	s_or_b64 exec, exec, s[12:13]
	v_mov_b32_e32 v26, s16
	s_and_saveexec_b64 s[4:5], s[10:11]
	s_cbranch_execnz .LBB35_98
.LBB35_54:
	s_or_b64 exec, exec, s[4:5]
	v_cmp_eq_u32_e64 s[4:5], v26, v24
	s_and_saveexec_b64 s[10:11], s[4:5]
	s_cbranch_execz .LBB35_56
.LBB35_55:
	v_add_u32_e32 v30, v8, v10
	ds_read_b128 v[26:29], v30
	ds_read_u16 v31, v0
	v_alignbit_b32 v24, v25, v25, 16
	ds_write_b32 v1, v24
	s_mov_b32 s4, 0xc0c0001
	s_waitcnt lgkmcnt(2)
	v_mov_b32_e32 v24, v28
	v_mov_b32_e32 v25, v29
	ds_write_b128 v30, v[24:27]
	s_waitcnt lgkmcnt(2)
	v_perm_b32 v24, 0, v31, s4
	ds_write_b16 v0, v24
.LBB35_56:
	s_or_b64 exec, exec, s[10:11]
	v_and_b32_e32 v24, 15, v3
	v_sub_u32_e32 v25, v17, v24
	v_lshl_add_u32 v16, v25, 1, v16
	s_waitcnt lgkmcnt(0)
	s_barrier
	ds_read_u16 v17, v16
	ds_read_u16 v24, v16 offset:32
	v_add_u32_e32 v15, v15, v25
	s_waitcnt lgkmcnt(0)
	v_cmp_le_i16_e64 s[12:13], v17, v24
	v_cmp_gt_i16_e64 s[4:5], v17, v24
	s_and_saveexec_b64 s[10:11], s[4:5]
	s_cbranch_execz .LBB35_58
; %bb.57:
	ds_read_u8 v26, v15
	s_andn2_b64 s[12:13], s[12:13], exec
	s_waitcnt lgkmcnt(0)
	v_and_b32_e32 v26, 1, v26
	v_cmp_eq_u32_e64 s[4:5], 1, v26
	s_xor_b64 s[4:5], s[4:5], -1
	s_and_b64 s[4:5], s[4:5], exec
	s_or_b64 s[12:13], s[12:13], s[4:5]
.LBB35_58:
	s_or_b64 exec, exec, s[10:11]
	s_and_saveexec_b64 s[10:11], s[12:13]
	s_cbranch_execz .LBB35_61
; %bb.59:
	ds_read_u8 v26, v15 offset:16
	s_waitcnt lgkmcnt(0)
	v_cmp_ne_u16_e64 s[4:5], 0, v26
	s_and_b64 exec, exec, s[4:5]
	s_cbranch_execz .LBB35_61
; %bb.60:
	v_lshl_add_u32 v13, v25, 3, v13
	ds_read2_b64 v[28:31], v13 offset1:16
	ds_read_u8 v25, v15
	ds_write_b16 v16, v24
	ds_write_b16 v16, v17 offset:32
	ds_write_b8 v15, v26
	s_waitcnt lgkmcnt(4)
	ds_write2_b64 v13, v[30:31], v[28:29] offset1:16
	s_waitcnt lgkmcnt(4)
	ds_write_b8 v15, v25 offset:16
.LBB35_61:
	s_or_b64 exec, exec, s[10:11]
	s_waitcnt lgkmcnt(0)
	s_barrier
	ds_read_u16 v13, v21
	ds_read_u16 v15, v21 offset:16
	s_waitcnt lgkmcnt(0)
	v_cmp_le_i16_e64 s[12:13], v13, v15
	v_cmp_gt_i16_e64 s[4:5], v13, v15
	s_and_saveexec_b64 s[10:11], s[4:5]
	s_cbranch_execz .LBB35_63
; %bb.62:
	ds_read_u8 v16, v22
	s_andn2_b64 s[12:13], s[12:13], exec
	s_waitcnt lgkmcnt(0)
	v_and_b32_e32 v16, 1, v16
	v_cmp_eq_u32_e64 s[4:5], 1, v16
	s_xor_b64 s[4:5], s[4:5], -1
	s_and_b64 s[4:5], s[4:5], exec
	s_or_b64 s[12:13], s[12:13], s[4:5]
.LBB35_63:
	s_or_b64 exec, exec, s[10:11]
	s_and_saveexec_b64 s[10:11], s[12:13]
	s_cbranch_execz .LBB35_66
; %bb.64:
	ds_read_u8 v16, v22 offset:8
	s_waitcnt lgkmcnt(0)
	v_cmp_ne_u16_e64 s[4:5], 0, v16
	s_and_b64 exec, exec, s[4:5]
	s_cbranch_execz .LBB35_66
; %bb.65:
	ds_read2_b64 v[24:27], v23 offset1:8
	ds_read_u8 v17, v22
	ds_write_b16 v21, v15
	ds_write_b16 v21, v13 offset:16
	ds_write_b8 v22, v16
	s_waitcnt lgkmcnt(4)
	ds_write2_b64 v23, v[26:27], v[24:25] offset1:8
	s_waitcnt lgkmcnt(4)
	ds_write_b8 v22, v17 offset:8
.LBB35_66:
	s_or_b64 exec, exec, s[10:11]
	s_waitcnt lgkmcnt(0)
	s_barrier
	ds_read_u16 v13, v18
	ds_read_u16 v15, v18 offset:8
	s_waitcnt lgkmcnt(0)
	v_cmp_le_i16_e64 s[12:13], v13, v15
	v_cmp_gt_i16_e64 s[4:5], v13, v15
	s_and_saveexec_b64 s[10:11], s[4:5]
	s_cbranch_execz .LBB35_68
; %bb.67:
	ds_read_u8 v16, v19
	s_andn2_b64 s[12:13], s[12:13], exec
	s_waitcnt lgkmcnt(0)
	v_and_b32_e32 v16, 1, v16
	v_cmp_eq_u32_e64 s[4:5], 1, v16
	s_xor_b64 s[4:5], s[4:5], -1
	s_and_b64 s[4:5], s[4:5], exec
	s_or_b64 s[12:13], s[12:13], s[4:5]
.LBB35_68:
	s_or_b64 exec, exec, s[10:11]
	s_and_saveexec_b64 s[10:11], s[12:13]
	s_cbranch_execz .LBB35_71
; %bb.69:
	ds_read_u8 v16, v19 offset:4
	s_waitcnt lgkmcnt(0)
	v_cmp_ne_u16_e64 s[4:5], 0, v16
	s_and_b64 exec, exec, s[4:5]
	s_cbranch_execz .LBB35_71
; %bb.70:
	ds_read2_b64 v[22:25], v20 offset1:4
	ds_read_u8 v17, v19
	ds_write_b16 v18, v15
	ds_write_b16 v18, v13 offset:8
	ds_write_b8 v19, v16
	s_waitcnt lgkmcnt(4)
	ds_write2_b64 v20, v[24:25], v[22:23] offset1:4
	s_waitcnt lgkmcnt(4)
	ds_write_b8 v19, v17 offset:4
.LBB35_71:
	;; [unrolled: 40-line block ×3, first 2 shown]
	s_or_b64 exec, exec, s[10:11]
	s_waitcnt lgkmcnt(0)
	s_barrier
	ds_read_b32 v11, v1
	s_waitcnt lgkmcnt(0)
	v_cmp_le_i16_sdwa s[12:13], v11, v11 src0_sel:DWORD src1_sel:WORD_1
	v_cmp_gt_i16_sdwa s[4:5], v11, v11 src0_sel:DWORD src1_sel:WORD_1
	s_and_saveexec_b64 s[10:11], s[4:5]
	s_cbranch_execz .LBB35_78
; %bb.77:
	ds_read_u8 v12, v0
	s_andn2_b64 s[12:13], s[12:13], exec
	s_waitcnt lgkmcnt(0)
	v_and_b32_e32 v12, 1, v12
	v_cmp_eq_u32_e64 s[4:5], 1, v12
	s_xor_b64 s[4:5], s[4:5], -1
	s_and_b64 s[4:5], s[4:5], exec
	s_or_b64 s[12:13], s[12:13], s[4:5]
.LBB35_78:
	s_or_b64 exec, exec, s[10:11]
	s_and_saveexec_b64 s[10:11], s[12:13]
	s_cbranch_execz .LBB35_81
; %bb.79:
	ds_read_u8 v12, v0 offset:1
	s_waitcnt lgkmcnt(0)
	v_cmp_ne_u16_e64 s[4:5], 0, v12
	s_and_b64 exec, exec, s[4:5]
	s_cbranch_execz .LBB35_81
; %bb.80:
	v_add_u32_e32 v10, v8, v10
	v_alignbit_b32 v11, v11, v11, 16
	ds_read_b128 v[14:17], v10
	ds_write_b32 v1, v11
	ds_read_u8 v1, v0
	s_waitcnt lgkmcnt(2)
	v_mov_b32_e32 v18, v14
	v_mov_b32_e32 v19, v15
	s_waitcnt lgkmcnt(0)
	v_lshlrev_b16_e32 v1, 8, v1
	v_or_b32_e32 v1, v12, v1
	ds_write_b128 v10, v[16:19]
	ds_write_b16 v0, v1
.LBB35_81:
	s_or_b64 exec, exec, s[10:11]
	s_waitcnt lgkmcnt(0)
	s_barrier
	s_and_saveexec_b64 s[4:5], vcc
	s_cbranch_execz .LBB35_86
; %bb.82:
	s_and_saveexec_b64 s[4:5], s[0:1]
	s_cbranch_execz .LBB35_84
; %bb.83:
	ds_read_u16 v12, v9
	v_mad_u64_u32 v[0:1], s[0:1], v3, s14, v[4:5]
	v_mov_b32_e32 v1, 0
	v_lshlrev_b64 v[10:11], 1, v[0:1]
	v_mov_b32_e32 v0, s7
	v_add_co_u32_e32 v10, vcc, s6, v10
	v_addc_co_u32_e32 v11, vcc, v0, v11, vcc
	ds_read_b64 v[8:9], v8
	s_waitcnt lgkmcnt(1)
	global_store_short v[10:11], v12, off
	v_mad_u64_u32 v[10:11], s[0:1], v3, s15, v[2:3]
	v_mov_b32_e32 v11, v1
	v_lshlrev_b64 v[0:1], 3, v[10:11]
	v_mov_b32_e32 v3, s9
	v_add_co_u32_e32 v0, vcc, s8, v0
	v_addc_co_u32_e32 v1, vcc, v3, v1, vcc
	s_waitcnt lgkmcnt(0)
	global_store_dwordx2 v[0:1], v[8:9], off
.LBB35_84:
	s_or_b64 exec, exec, s[4:5]
	s_and_b64 exec, exec, s[2:3]
	s_cbranch_execz .LBB35_86
; %bb.85:
	ds_read_u16 v3, v7
	v_mad_u64_u32 v[0:1], s[0:1], v5, s14, v[4:5]
	v_mov_b32_e32 v1, 0
	v_lshlrev_b64 v[8:9], 1, v[0:1]
	v_mov_b32_e32 v0, s7
	v_add_co_u32_e32 v8, vcc, s6, v8
	v_addc_co_u32_e32 v9, vcc, v0, v9, vcc
	ds_read_b64 v[6:7], v6
	s_waitcnt lgkmcnt(1)
	global_store_short v[8:9], v3, off
	v_mad_u64_u32 v[2:3], s[0:1], v5, s15, v[2:3]
	v_mov_b32_e32 v3, v1
	v_lshlrev_b64 v[0:1], 3, v[2:3]
	v_mov_b32_e32 v2, s9
	v_add_co_u32_e32 v0, vcc, s8, v0
	v_addc_co_u32_e32 v1, vcc, v2, v1, vcc
	s_waitcnt lgkmcnt(0)
	global_store_dwordx2 v[0:1], v[6:7], off
.LBB35_86:
	s_endpgm
.LBB35_87:
	ds_read_u8 v20, v0
	s_andn2_b64 s[10:11], s[10:11], exec
	s_mov_b32 s16, 1
	s_waitcnt lgkmcnt(0)
	v_and_b32_e32 v20, 1, v20
	v_cmp_eq_u32_e64 s[4:5], 1, v20
	s_xor_b64 s[4:5], s[4:5], -1
	s_and_b64 s[4:5], s[4:5], exec
	s_or_b64 s[10:11], s[10:11], s[4:5]
	s_or_b64 exec, exec, s[12:13]
	v_mov_b32_e32 v20, s16
	s_and_saveexec_b64 s[4:5], s[10:11]
	s_cbranch_execz .LBB35_22
.LBB35_88:
	ds_read_u8 v20, v0 offset:1
	s_waitcnt lgkmcnt(0)
	v_xor_b32_e32 v20, 1, v20
	s_or_b64 exec, exec, s[4:5]
	v_cmp_eq_u32_e64 s[4:5], v20, v18
	s_and_saveexec_b64 s[10:11], s[4:5]
	s_cbranch_execnz .LBB35_23
	s_branch .LBB35_24
.LBB35_89:
	ds_read_u8 v24, v12
	s_andn2_b64 s[10:11], s[10:11], exec
	s_mov_b32 s16, 1
	s_waitcnt lgkmcnt(0)
	v_and_b32_e32 v24, 1, v24
	v_cmp_eq_u32_e64 s[4:5], 1, v24
	s_xor_b64 s[4:5], s[4:5], -1
	s_and_b64 s[4:5], s[4:5], exec
	s_or_b64 s[10:11], s[10:11], s[4:5]
	s_or_b64 exec, exec, s[12:13]
	v_mov_b32_e32 v24, s16
	s_and_saveexec_b64 s[4:5], s[10:11]
	s_cbranch_execz .LBB35_32
.LBB35_90:
	ds_read_u8 v24, v12 offset:2
	s_waitcnt lgkmcnt(0)
	v_xor_b32_e32 v24, 1, v24
	s_or_b64 exec, exec, s[4:5]
	v_cmp_eq_u32_e64 s[4:5], v24, v21
	s_and_saveexec_b64 s[10:11], s[4:5]
	s_cbranch_execnz .LBB35_33
	s_branch .LBB35_34
.LBB35_91:
	ds_read_u8 v23, v0
	s_andn2_b64 s[10:11], s[10:11], exec
	s_mov_b32 s16, 1
	s_waitcnt lgkmcnt(0)
	v_and_b32_e32 v23, 1, v23
	v_cmp_eq_u32_e64 s[4:5], 1, v23
	s_xor_b64 s[4:5], s[4:5], -1
	s_and_b64 s[4:5], s[4:5], exec
	s_or_b64 s[10:11], s[10:11], s[4:5]
	s_or_b64 exec, exec, s[12:13]
	v_mov_b32_e32 v23, s16
	s_and_saveexec_b64 s[4:5], s[10:11]
	s_cbranch_execz .LBB35_36
.LBB35_92:
	ds_read_u8 v23, v0 offset:1
	s_waitcnt lgkmcnt(0)
	v_xor_b32_e32 v23, 1, v23
	s_or_b64 exec, exec, s[4:5]
	v_cmp_eq_u32_e64 s[4:5], v23, v21
	s_and_saveexec_b64 s[10:11], s[4:5]
	s_cbranch_execnz .LBB35_37
	s_branch .LBB35_38
.LBB35_93:
	ds_read_u8 v27, v19
	s_andn2_b64 s[10:11], s[10:11], exec
	s_mov_b32 s16, 1
	s_waitcnt lgkmcnt(0)
	v_and_b32_e32 v27, 1, v27
	v_cmp_eq_u32_e64 s[4:5], 1, v27
	s_xor_b64 s[4:5], s[4:5], -1
	s_and_b64 s[4:5], s[4:5], exec
	s_or_b64 s[10:11], s[10:11], s[4:5]
	s_or_b64 exec, exec, s[12:13]
	v_mov_b32_e32 v27, s16
	s_and_saveexec_b64 s[4:5], s[10:11]
	s_cbranch_execz .LBB35_46
.LBB35_94:
	ds_read_u8 v27, v19 offset:4
	s_waitcnt lgkmcnt(0)
	v_xor_b32_e32 v27, 1, v27
	s_or_b64 exec, exec, s[4:5]
	v_cmp_eq_u32_e64 s[4:5], v27, v24
	s_and_saveexec_b64 s[10:11], s[4:5]
	s_cbranch_execnz .LBB35_47
	s_branch .LBB35_48
.LBB35_95:
	ds_read_u8 v27, v12
	s_andn2_b64 s[10:11], s[10:11], exec
	s_mov_b32 s16, 1
	s_waitcnt lgkmcnt(0)
	v_and_b32_e32 v27, 1, v27
	v_cmp_eq_u32_e64 s[4:5], 1, v27
	s_xor_b64 s[4:5], s[4:5], -1
	s_and_b64 s[4:5], s[4:5], exec
	s_or_b64 s[10:11], s[10:11], s[4:5]
	s_or_b64 exec, exec, s[12:13]
	v_mov_b32_e32 v27, s16
	s_and_saveexec_b64 s[4:5], s[10:11]
	s_cbranch_execz .LBB35_50
.LBB35_96:
	ds_read_u8 v27, v12 offset:2
	s_waitcnt lgkmcnt(0)
	v_xor_b32_e32 v27, 1, v27
	s_or_b64 exec, exec, s[4:5]
	v_cmp_eq_u32_e64 s[4:5], v27, v24
	s_and_saveexec_b64 s[10:11], s[4:5]
	s_cbranch_execnz .LBB35_51
	s_branch .LBB35_52
.LBB35_97:
	ds_read_u8 v26, v0
	s_andn2_b64 s[10:11], s[10:11], exec
	s_mov_b32 s16, 1
	s_waitcnt lgkmcnt(0)
	v_and_b32_e32 v26, 1, v26
	v_cmp_eq_u32_e64 s[4:5], 1, v26
	s_xor_b64 s[4:5], s[4:5], -1
	s_and_b64 s[4:5], s[4:5], exec
	s_or_b64 s[10:11], s[10:11], s[4:5]
	s_or_b64 exec, exec, s[12:13]
	v_mov_b32_e32 v26, s16
	s_and_saveexec_b64 s[4:5], s[10:11]
	s_cbranch_execz .LBB35_54
.LBB35_98:
	ds_read_u8 v26, v0 offset:1
	s_waitcnt lgkmcnt(0)
	v_xor_b32_e32 v26, 1, v26
	s_or_b64 exec, exec, s[4:5]
	v_cmp_eq_u32_e64 s[4:5], v26, v24
	s_and_saveexec_b64 s[10:11], s[4:5]
	s_cbranch_execnz .LBB35_55
	s_branch .LBB35_56
	.section	.rodata,"a",@progbits
	.p2align	6, 0x0
	.amdhsa_kernel _ZN2at6native20bitonicSortKVInPlaceILi2ELin1ELi16ELi16EslNS0_4GTOpIsLb1EEEjEEvNS_4cuda6detail10TensorInfoIT3_T6_EES8_S8_S8_NS6_IT4_S8_EES8_T5_
		.amdhsa_group_segment_fixed_size 5632
		.amdhsa_private_segment_fixed_size 0
		.amdhsa_kernarg_size 712
		.amdhsa_user_sgpr_count 6
		.amdhsa_user_sgpr_private_segment_buffer 1
		.amdhsa_user_sgpr_dispatch_ptr 0
		.amdhsa_user_sgpr_queue_ptr 0
		.amdhsa_user_sgpr_kernarg_segment_ptr 1
		.amdhsa_user_sgpr_dispatch_id 0
		.amdhsa_user_sgpr_flat_scratch_init 0
		.amdhsa_user_sgpr_kernarg_preload_length 0
		.amdhsa_user_sgpr_kernarg_preload_offset 0
		.amdhsa_user_sgpr_private_segment_size 0
		.amdhsa_uses_dynamic_stack 0
		.amdhsa_system_sgpr_private_segment_wavefront_offset 0
		.amdhsa_system_sgpr_workgroup_id_x 1
		.amdhsa_system_sgpr_workgroup_id_y 1
		.amdhsa_system_sgpr_workgroup_id_z 1
		.amdhsa_system_sgpr_workgroup_info 0
		.amdhsa_system_vgpr_workitem_id 1
		.amdhsa_next_free_vgpr 33
		.amdhsa_next_free_sgpr 20
		.amdhsa_accum_offset 36
		.amdhsa_reserve_vcc 1
		.amdhsa_reserve_flat_scratch 0
		.amdhsa_float_round_mode_32 0
		.amdhsa_float_round_mode_16_64 0
		.amdhsa_float_denorm_mode_32 3
		.amdhsa_float_denorm_mode_16_64 3
		.amdhsa_dx10_clamp 1
		.amdhsa_ieee_mode 1
		.amdhsa_fp16_overflow 0
		.amdhsa_tg_split 0
		.amdhsa_exception_fp_ieee_invalid_op 0
		.amdhsa_exception_fp_denorm_src 0
		.amdhsa_exception_fp_ieee_div_zero 0
		.amdhsa_exception_fp_ieee_overflow 0
		.amdhsa_exception_fp_ieee_underflow 0
		.amdhsa_exception_fp_ieee_inexact 0
		.amdhsa_exception_int_div_zero 0
	.end_amdhsa_kernel
	.section	.text._ZN2at6native20bitonicSortKVInPlaceILi2ELin1ELi16ELi16EslNS0_4GTOpIsLb1EEEjEEvNS_4cuda6detail10TensorInfoIT3_T6_EES8_S8_S8_NS6_IT4_S8_EES8_T5_,"axG",@progbits,_ZN2at6native20bitonicSortKVInPlaceILi2ELin1ELi16ELi16EslNS0_4GTOpIsLb1EEEjEEvNS_4cuda6detail10TensorInfoIT3_T6_EES8_S8_S8_NS6_IT4_S8_EES8_T5_,comdat
.Lfunc_end35:
	.size	_ZN2at6native20bitonicSortKVInPlaceILi2ELin1ELi16ELi16EslNS0_4GTOpIsLb1EEEjEEvNS_4cuda6detail10TensorInfoIT3_T6_EES8_S8_S8_NS6_IT4_S8_EES8_T5_, .Lfunc_end35-_ZN2at6native20bitonicSortKVInPlaceILi2ELin1ELi16ELi16EslNS0_4GTOpIsLb1EEEjEEvNS_4cuda6detail10TensorInfoIT3_T6_EES8_S8_S8_NS6_IT4_S8_EES8_T5_
                                        ; -- End function
	.section	.AMDGPU.csdata,"",@progbits
; Kernel info:
; codeLenInByte = 4900
; NumSgprs: 24
; NumVgprs: 33
; NumAgprs: 0
; TotalNumVgprs: 33
; ScratchSize: 0
; MemoryBound: 0
; FloatMode: 240
; IeeeMode: 1
; LDSByteSize: 5632 bytes/workgroup (compile time only)
; SGPRBlocks: 2
; VGPRBlocks: 4
; NumSGPRsForWavesPerEU: 24
; NumVGPRsForWavesPerEU: 33
; AccumOffset: 36
; Occupancy: 8
; WaveLimiterHint : 1
; COMPUTE_PGM_RSRC2:SCRATCH_EN: 0
; COMPUTE_PGM_RSRC2:USER_SGPR: 6
; COMPUTE_PGM_RSRC2:TRAP_HANDLER: 0
; COMPUTE_PGM_RSRC2:TGID_X_EN: 1
; COMPUTE_PGM_RSRC2:TGID_Y_EN: 1
; COMPUTE_PGM_RSRC2:TGID_Z_EN: 1
; COMPUTE_PGM_RSRC2:TIDIG_COMP_CNT: 1
; COMPUTE_PGM_RSRC3_GFX90A:ACCUM_OFFSET: 8
; COMPUTE_PGM_RSRC3_GFX90A:TG_SPLIT: 0
	.section	.text._ZN2at6native20bitonicSortKVInPlaceILin1ELin1ELi16ELi16EslNS0_4LTOpIsLb1EEEjEEvNS_4cuda6detail10TensorInfoIT3_T6_EES8_S8_S8_NS6_IT4_S8_EES8_T5_,"axG",@progbits,_ZN2at6native20bitonicSortKVInPlaceILin1ELin1ELi16ELi16EslNS0_4LTOpIsLb1EEEjEEvNS_4cuda6detail10TensorInfoIT3_T6_EES8_S8_S8_NS6_IT4_S8_EES8_T5_,comdat
	.protected	_ZN2at6native20bitonicSortKVInPlaceILin1ELin1ELi16ELi16EslNS0_4LTOpIsLb1EEEjEEvNS_4cuda6detail10TensorInfoIT3_T6_EES8_S8_S8_NS6_IT4_S8_EES8_T5_ ; -- Begin function _ZN2at6native20bitonicSortKVInPlaceILin1ELin1ELi16ELi16EslNS0_4LTOpIsLb1EEEjEEvNS_4cuda6detail10TensorInfoIT3_T6_EES8_S8_S8_NS6_IT4_S8_EES8_T5_
	.globl	_ZN2at6native20bitonicSortKVInPlaceILin1ELin1ELi16ELi16EslNS0_4LTOpIsLb1EEEjEEvNS_4cuda6detail10TensorInfoIT3_T6_EES8_S8_S8_NS6_IT4_S8_EES8_T5_
	.p2align	8
	.type	_ZN2at6native20bitonicSortKVInPlaceILin1ELin1ELi16ELi16EslNS0_4LTOpIsLb1EEEjEEvNS_4cuda6detail10TensorInfoIT3_T6_EES8_S8_S8_NS6_IT4_S8_EES8_T5_,@function
_ZN2at6native20bitonicSortKVInPlaceILin1ELin1ELi16ELi16EslNS0_4LTOpIsLb1EEEjEEvNS_4cuda6detail10TensorInfoIT3_T6_EES8_S8_S8_NS6_IT4_S8_EES8_T5_: ; @_ZN2at6native20bitonicSortKVInPlaceILin1ELin1ELi16ELi16EslNS0_4LTOpIsLb1EEEjEEvNS_4cuda6detail10TensorInfoIT3_T6_EES8_S8_S8_NS6_IT4_S8_EES8_T5_
; %bb.0:
	s_load_dwordx2 s[2:3], s[4:5], 0x1c8
	s_load_dwordx4 s[12:15], s[4:5], 0xd8
	s_load_dword s9, s[4:5], 0x1d4
	s_add_u32 s0, s4, 0x1c8
	s_addc_u32 s1, s5, 0
	s_waitcnt lgkmcnt(0)
	s_mul_i32 s3, s3, s8
	s_add_i32 s3, s3, s7
	s_mul_i32 s2, s3, s2
	s_add_i32 s3, s2, s6
	s_lshr_b32 s2, s9, 16
	s_mul_i32 s3, s3, s2
	s_cmp_ge_u32 s3, s12
	s_cbranch_scc1 .LBB36_89
; %bb.1:
	s_load_dword s2, s[4:5], 0xd0
	v_bfe_u32 v8, v0, 10, 10
	v_add_u32_e32 v1, s3, v8
	v_mov_b32_e32 v2, 0
	v_mov_b32_e32 v4, v1
	s_waitcnt lgkmcnt(0)
	s_cmp_lt_i32 s2, 2
	s_cbranch_scc1 .LBB36_4
; %bb.2:
	s_add_i32 s6, s2, 1
	s_add_i32 s2, s2, -1
	s_mov_b32 s3, 0
	s_lshl_b64 s[2:3], s[2:3], 2
	s_add_u32 s2, s2, s4
	s_addc_u32 s3, s3, s5
	s_add_u32 s2, s2, 8
	s_addc_u32 s3, s3, 0
	v_mov_b32_e32 v2, 0
	v_mov_b32_e32 v4, v1
.LBB36_3:                               ; =>This Inner Loop Header: Depth=1
	s_load_dword s7, s[2:3], 0x0
	s_load_dword s8, s[2:3], 0x64
	v_mov_b32_e32 v3, v4
	s_add_i32 s6, s6, -1
	s_waitcnt lgkmcnt(0)
	v_cvt_f32_u32_e32 v4, s7
	s_sub_i32 s9, 0, s7
	s_add_u32 s2, s2, -4
	s_addc_u32 s3, s3, -1
	v_rcp_iflag_f32_e32 v4, v4
	s_cmp_gt_u32 s6, 2
	v_mul_f32_e32 v4, 0x4f7ffffe, v4
	v_cvt_u32_f32_e32 v4, v4
	v_mul_lo_u32 v5, s9, v4
	v_mul_hi_u32 v5, v4, v5
	v_add_u32_e32 v4, v4, v5
	v_mul_hi_u32 v4, v3, v4
	v_mul_lo_u32 v5, v4, s7
	v_sub_u32_e32 v5, v3, v5
	v_add_u32_e32 v6, 1, v4
	v_cmp_le_u32_e32 vcc, s7, v5
	v_cndmask_b32_e32 v4, v4, v6, vcc
	v_subrev_u32_e32 v6, s7, v5
	v_cndmask_b32_e32 v5, v5, v6, vcc
	v_add_u32_e32 v6, 1, v4
	v_cmp_le_u32_e32 vcc, s7, v5
	v_cndmask_b32_e32 v4, v4, v6, vcc
	v_mul_lo_u32 v5, v4, s7
	v_sub_u32_e32 v3, v3, v5
	v_mad_u64_u32 v[2:3], s[8:9], s8, v3, v[2:3]
	s_cbranch_scc1 .LBB36_3
.LBB36_4:
	s_load_dword s2, s[4:5], 0x1b8
	v_mov_b32_e32 v6, 0
	v_mov_b32_e32 v3, v1
	s_waitcnt lgkmcnt(0)
	s_cmp_lt_i32 s2, 2
	s_cbranch_scc1 .LBB36_7
; %bb.5:
	s_add_i32 s6, s2, 1
	s_add_i32 s2, s2, -1
	s_mov_b32 s3, 0
	s_lshl_b64 s[2:3], s[2:3], 2
	s_add_u32 s2, s2, s4
	s_addc_u32 s3, s3, s5
	s_add_u32 s2, s2, 0xf0
	s_addc_u32 s3, s3, 0
	v_mov_b32_e32 v6, 0
	v_mov_b32_e32 v3, v1
.LBB36_6:                               ; =>This Inner Loop Header: Depth=1
	s_load_dword s7, s[2:3], 0x0
	s_load_dword s8, s[2:3], 0x64
	v_mov_b32_e32 v5, v3
	s_add_i32 s6, s6, -1
	s_waitcnt lgkmcnt(0)
	v_cvt_f32_u32_e32 v3, s7
	s_sub_i32 s9, 0, s7
	s_add_u32 s2, s2, -4
	s_addc_u32 s3, s3, -1
	v_rcp_iflag_f32_e32 v3, v3
	s_cmp_gt_u32 s6, 2
	v_mul_f32_e32 v3, 0x4f7ffffe, v3
	v_cvt_u32_f32_e32 v3, v3
	v_mul_lo_u32 v7, s9, v3
	v_mul_hi_u32 v7, v3, v7
	v_add_u32_e32 v3, v3, v7
	v_mul_hi_u32 v3, v5, v3
	v_mul_lo_u32 v7, v3, s7
	v_sub_u32_e32 v7, v5, v7
	v_add_u32_e32 v9, 1, v3
	v_cmp_le_u32_e32 vcc, s7, v7
	v_cndmask_b32_e32 v3, v3, v9, vcc
	v_subrev_u32_e32 v9, s7, v7
	v_cndmask_b32_e32 v7, v7, v9, vcc
	v_add_u32_e32 v9, 1, v3
	v_cmp_le_u32_e32 vcc, s7, v7
	v_cndmask_b32_e32 v3, v3, v9, vcc
	v_mul_lo_u32 v7, v3, s7
	v_sub_u32_e32 v5, v5, v7
	v_mad_u64_u32 v[6:7], s[8:9], s8, v5, v[6:7]
	s_cbranch_scc1 .LBB36_6
.LBB36_7:
	s_load_dword s2, s[4:5], 0x6c
	v_cmp_gt_u32_e32 vcc, s12, v1
	v_mov_b32_e32 v10, 0
	s_waitcnt lgkmcnt(0)
	v_mad_u64_u32 v[4:5], s[2:3], s2, v4, v[2:3]
	s_load_dword s15, s[4:5], 0x1c0
	s_load_dword s2, s[4:5], 0x154
	s_load_dwordx2 s[8:9], s[4:5], 0x0
	s_load_dwordx2 s[6:7], s[4:5], 0xe8
	s_load_dword s12, s[0:1], 0xc
	v_mov_b32_e32 v5, 0
	s_waitcnt lgkmcnt(0)
	v_mad_u64_u32 v[2:3], s[2:3], s2, v3, v[6:7]
	v_and_b32_e32 v3, 0x3ff, v0
	v_cmp_gt_u32_e64 s[0:1], s13, v3
	v_pk_mov_b32 v[0:1], 0, 0
	s_and_b64 s[4:5], vcc, s[0:1]
	v_pk_mov_b32 v[6:7], v[0:1], v[0:1] op_sel:[0,1]
	s_and_saveexec_b64 s[10:11], s[4:5]
	s_cbranch_execz .LBB36_9
; %bb.8:
	v_mad_u64_u32 v[6:7], s[2:3], v3, s14, v[4:5]
	v_mov_b32_e32 v7, 0
	v_lshlrev_b64 v[12:13], 1, v[6:7]
	v_mov_b32_e32 v5, s9
	v_add_co_u32_e64 v12, s[2:3], s8, v12
	v_addc_co_u32_e64 v13, s[2:3], v5, v13, s[2:3]
	global_load_ushort v5, v[12:13], off
	v_mad_u64_u32 v[12:13], s[2:3], v3, s15, v[2:3]
	v_mov_b32_e32 v13, v7
	v_lshlrev_b64 v[6:7], 3, v[12:13]
	v_mov_b32_e32 v9, s7
	v_add_co_u32_e64 v6, s[2:3], s6, v6
	v_addc_co_u32_e64 v7, s[2:3], v9, v7, s[2:3]
	global_load_dwordx2 v[6:7], v[6:7], off
.LBB36_9:
	s_or_b64 exec, exec, s[10:11]
	v_mov_b32_e32 v9, 0x1000
	v_lshl_add_u32 v16, v8, 6, v9
	v_mov_b32_e32 v9, 0x1400
	v_lshl_add_u32 v15, v8, 5, v9
	v_lshl_add_u32 v9, v3, 1, v16
	s_and_b32 s16, 0xffff, s12
	v_cndmask_b32_e64 v11, 0, 1, s[4:5]
	s_waitcnt vmcnt(1)
	ds_write_b16 v9, v5
	v_add_u32_e32 v5, v15, v3
	ds_write_b8 v5, v11
	v_add_u32_e32 v5, s16, v3
	v_lshlrev_b32_e32 v13, 8, v8
	v_cmp_gt_u32_e64 s[2:3], s13, v5
	v_lshl_add_u32 v8, v3, 3, v13
	s_and_b64 s[10:11], vcc, s[2:3]
	s_waitcnt vmcnt(0)
	ds_write_b64 v8, v[6:7]
	s_and_saveexec_b64 s[12:13], s[10:11]
	s_cbranch_execz .LBB36_11
; %bb.10:
	v_mad_u64_u32 v[0:1], s[4:5], v5, s14, v[4:5]
	v_mov_b32_e32 v1, 0
	v_lshlrev_b64 v[6:7], 1, v[0:1]
	v_mov_b32_e32 v0, s9
	v_add_co_u32_e64 v6, s[4:5], s8, v6
	v_addc_co_u32_e64 v7, s[4:5], v0, v7, s[4:5]
	global_load_ushort v10, v[6:7], off
	v_mad_u64_u32 v[6:7], s[4:5], v5, s15, v[2:3]
	v_mov_b32_e32 v7, v1
	v_lshlrev_b64 v[0:1], 3, v[6:7]
	v_mov_b32_e32 v6, s7
	v_add_co_u32_e64 v0, s[4:5], s6, v0
	v_addc_co_u32_e64 v1, s[4:5], v6, v1, s[4:5]
	global_load_dwordx2 v[0:1], v[0:1], off
.LBB36_11:
	s_or_b64 exec, exec, s[12:13]
	v_lshl_add_u32 v6, s16, 3, v8
	v_lshlrev_b32_e32 v17, 1, v3
	v_cndmask_b32_e64 v11, 0, 1, s[10:11]
	v_lshl_add_u32 v7, s16, 1, v9
	s_waitcnt vmcnt(0)
	ds_write_b64 v6, v[0:1]
	v_add_u32_e32 v0, v15, v5
	v_add_u32_e32 v1, v9, v17
	ds_write_b16 v7, v10
	ds_write_b8 v0, v11
	s_waitcnt lgkmcnt(0)
	s_barrier
	ds_read_b32 v11, v1
	v_add_u32_e32 v0, v15, v17
                                        ; implicit-def: $sgpr16
	s_waitcnt lgkmcnt(0)
	v_cmp_ge_i16_sdwa s[10:11], v11, v11 src0_sel:DWORD src1_sel:WORD_1
	v_cmp_lt_i16_sdwa s[4:5], v11, v11 src0_sel:DWORD src1_sel:WORD_1
	s_and_saveexec_b64 s[12:13], s[4:5]
	s_xor_b64 s[12:13], exec, s[12:13]
	s_cbranch_execz .LBB36_13
; %bb.12:
	ds_read_u8 v10, v0
	s_andn2_b64 s[10:11], s[10:11], exec
	s_mov_b32 s16, 1
	s_waitcnt lgkmcnt(0)
	v_and_b32_e32 v10, 1, v10
	v_cmp_eq_u32_e64 s[4:5], 1, v10
	s_xor_b64 s[4:5], s[4:5], -1
	s_and_b64 s[4:5], s[4:5], exec
	s_or_b64 s[10:11], s[10:11], s[4:5]
.LBB36_13:
	s_or_b64 exec, exec, s[12:13]
	v_mov_b32_e32 v14, s16
	s_and_saveexec_b64 s[4:5], s[10:11]
	s_cbranch_execz .LBB36_15
; %bb.14:
	ds_read_u8 v10, v0 offset:1
	s_waitcnt lgkmcnt(0)
	v_xor_b32_e32 v14, 1, v10
.LBB36_15:
	s_or_b64 exec, exec, s[4:5]
	v_and_b32_e32 v12, 1, v3
	v_lshlrev_b32_e32 v10, 3, v3
	v_cmp_eq_u32_e64 s[4:5], v14, v12
	s_and_saveexec_b64 s[10:11], s[4:5]
	s_cbranch_execz .LBB36_17
; %bb.16:
	v_add_u32_e32 v14, v8, v10
	v_alignbit_b32 v11, v11, v11, 16
	ds_read_b128 v[18:21], v14
	ds_write_b32 v1, v11
	ds_read_u16 v11, v0
	s_mov_b32 s4, 0xc0c0001
	s_waitcnt lgkmcnt(2)
	v_mov_b32_e32 v22, v18
	v_mov_b32_e32 v23, v19
	s_waitcnt lgkmcnt(0)
	v_perm_b32 v11, 0, v11, s4
	ds_write_b128 v14, v[20:23]
	ds_write_b16 v0, v11
.LBB36_17:
	s_or_b64 exec, exec, s[10:11]
	v_sub_u32_e32 v14, v17, v12
	v_lshl_add_u32 v11, v14, 1, v16
	s_waitcnt lgkmcnt(0)
	s_barrier
	ds_read_u16 v19, v11
	ds_read_u16 v20, v11 offset:4
	s_mov_b64 s[10:11], -1
	v_add_u32_e32 v12, v15, v14
                                        ; implicit-def: $sgpr16
	s_waitcnt lgkmcnt(0)
	v_cmp_lt_i16_e64 s[4:5], v19, v20
	s_and_saveexec_b64 s[12:13], s[4:5]
	s_xor_b64 s[12:13], exec, s[12:13]
	s_cbranch_execz .LBB36_19
; %bb.18:
	ds_read_u8 v18, v12
	s_mov_b32 s16, 1
	s_waitcnt lgkmcnt(0)
	v_and_b32_e32 v18, 1, v18
	v_cmp_eq_u32_e64 s[4:5], 1, v18
	s_xor_b64 s[4:5], s[4:5], -1
	s_orn2_b64 s[10:11], s[4:5], exec
.LBB36_19:
	s_or_b64 exec, exec, s[12:13]
	v_mov_b32_e32 v21, s16
	s_and_saveexec_b64 s[4:5], s[10:11]
	s_cbranch_execz .LBB36_21
; %bb.20:
	ds_read_u8 v18, v12 offset:2
	s_waitcnt lgkmcnt(0)
	v_xor_b32_e32 v21, 1, v18
.LBB36_21:
	s_or_b64 exec, exec, s[4:5]
	v_bfe_u32 v18, v3, 1, 1
	v_lshl_add_u32 v14, v14, 3, v13
	v_cmp_eq_u32_e64 s[4:5], v21, v18
	s_and_saveexec_b64 s[10:11], s[4:5]
	s_cbranch_execz .LBB36_23
; %bb.22:
	ds_read2_b64 v[22:25], v14 offset1:2
	ds_read_u8 v21, v12 offset:2
	ds_read_u8 v26, v12
	ds_write_b16 v11, v20
	ds_write_b16 v11, v19 offset:4
	s_waitcnt lgkmcnt(4)
	ds_write2_b64 v14, v[24:25], v[22:23] offset1:2
	s_waitcnt lgkmcnt(4)
	ds_write_b8 v12, v21
	s_waitcnt lgkmcnt(4)
	ds_write_b8 v12, v26 offset:2
.LBB36_23:
	s_or_b64 exec, exec, s[10:11]
	s_waitcnt lgkmcnt(0)
	s_barrier
	ds_read_b32 v19, v1
                                        ; implicit-def: $sgpr16
	s_waitcnt lgkmcnt(0)
	v_cmp_ge_i16_sdwa s[10:11], v19, v19 src0_sel:DWORD src1_sel:WORD_1
	v_cmp_lt_i16_sdwa s[4:5], v19, v19 src0_sel:DWORD src1_sel:WORD_1
	s_and_saveexec_b64 s[12:13], s[4:5]
	s_cbranch_execnz .LBB36_90
; %bb.24:
	s_or_b64 exec, exec, s[12:13]
	v_mov_b32_e32 v20, s16
	s_and_saveexec_b64 s[4:5], s[10:11]
	s_cbranch_execnz .LBB36_91
.LBB36_25:
	s_or_b64 exec, exec, s[4:5]
	v_cmp_eq_u32_e64 s[4:5], v20, v18
	s_and_saveexec_b64 s[10:11], s[4:5]
	s_cbranch_execz .LBB36_27
.LBB36_26:
	v_add_u32_e32 v24, v8, v10
	ds_read_b128 v[20:23], v24
	ds_read_u16 v25, v0
	v_alignbit_b32 v18, v19, v19, 16
	ds_write_b32 v1, v18
	s_mov_b32 s4, 0xc0c0001
	s_waitcnt lgkmcnt(2)
	v_mov_b32_e32 v18, v22
	v_mov_b32_e32 v19, v23
	ds_write_b128 v24, v[18:21]
	s_waitcnt lgkmcnt(2)
	v_perm_b32 v18, 0, v25, s4
	ds_write_b16 v0, v18
.LBB36_27:
	s_or_b64 exec, exec, s[10:11]
	v_and_b32_e32 v18, 3, v3
	v_sub_u32_e32 v20, v17, v18
	v_lshl_add_u32 v18, v20, 1, v16
	s_waitcnt lgkmcnt(0)
	s_barrier
	ds_read_u16 v22, v18
	ds_read_u16 v23, v18 offset:8
	s_mov_b32 s16, 1
	v_add_u32_e32 v19, v15, v20
	s_waitcnt lgkmcnt(0)
	v_cmp_ge_i16_e64 s[10:11], v22, v23
	v_cmp_lt_i16_e64 s[4:5], v22, v23
	s_and_saveexec_b64 s[12:13], s[4:5]
	s_cbranch_execz .LBB36_29
; %bb.28:
	ds_read_u8 v21, v19
	s_andn2_b64 s[10:11], s[10:11], exec
	s_waitcnt lgkmcnt(0)
	v_and_b32_e32 v21, 1, v21
	v_cmp_eq_u32_e64 s[4:5], 1, v21
	s_xor_b64 s[4:5], s[4:5], -1
	s_and_b64 s[4:5], s[4:5], exec
	s_or_b64 s[10:11], s[10:11], s[4:5]
.LBB36_29:
	s_or_b64 exec, exec, s[12:13]
	v_mov_b32_e32 v24, s16
	s_and_saveexec_b64 s[4:5], s[10:11]
	s_cbranch_execz .LBB36_31
; %bb.30:
	ds_read_u8 v21, v19 offset:4
	s_waitcnt lgkmcnt(0)
	v_xor_b32_e32 v24, 1, v21
.LBB36_31:
	s_or_b64 exec, exec, s[4:5]
	v_bfe_u32 v21, v3, 2, 1
	v_lshl_add_u32 v20, v20, 3, v13
	v_cmp_eq_u32_e64 s[4:5], v24, v21
	s_and_saveexec_b64 s[10:11], s[4:5]
	s_cbranch_execz .LBB36_33
; %bb.32:
	ds_read2_b64 v[24:27], v20 offset1:4
	ds_read_u8 v28, v19 offset:4
	ds_read_u8 v29, v19
	ds_write_b16 v18, v23
	ds_write_b16 v18, v22 offset:8
	s_waitcnt lgkmcnt(4)
	ds_write2_b64 v20, v[26:27], v[24:25] offset1:4
	s_waitcnt lgkmcnt(4)
	ds_write_b8 v19, v28
	s_waitcnt lgkmcnt(4)
	ds_write_b8 v19, v29 offset:4
.LBB36_33:
	s_or_b64 exec, exec, s[10:11]
	s_waitcnt lgkmcnt(0)
	s_barrier
	ds_read_u16 v22, v11
	ds_read_u16 v23, v11 offset:4
                                        ; implicit-def: $sgpr16
	s_waitcnt lgkmcnt(0)
	v_cmp_ge_i16_e64 s[10:11], v22, v23
	v_cmp_lt_i16_e64 s[4:5], v22, v23
	s_and_saveexec_b64 s[12:13], s[4:5]
	s_cbranch_execnz .LBB36_92
; %bb.34:
	s_or_b64 exec, exec, s[12:13]
	v_mov_b32_e32 v24, s16
	s_and_saveexec_b64 s[4:5], s[10:11]
	s_cbranch_execnz .LBB36_93
.LBB36_35:
	s_or_b64 exec, exec, s[4:5]
	v_cmp_eq_u32_e64 s[4:5], v24, v21
	s_and_saveexec_b64 s[10:11], s[4:5]
	s_cbranch_execz .LBB36_37
.LBB36_36:
	ds_read2_b64 v[24:27], v14 offset1:2
	ds_read_u8 v28, v12 offset:2
	ds_read_u8 v29, v12
	ds_write_b16 v11, v23
	ds_write_b16 v11, v22 offset:4
	s_waitcnt lgkmcnt(4)
	ds_write2_b64 v14, v[26:27], v[24:25] offset1:2
	s_waitcnt lgkmcnt(4)
	ds_write_b8 v12, v28
	s_waitcnt lgkmcnt(4)
	ds_write_b8 v12, v29 offset:2
.LBB36_37:
	s_or_b64 exec, exec, s[10:11]
	s_waitcnt lgkmcnt(0)
	s_barrier
	ds_read_b32 v22, v1
                                        ; implicit-def: $sgpr16
	s_waitcnt lgkmcnt(0)
	v_cmp_ge_i16_sdwa s[10:11], v22, v22 src0_sel:DWORD src1_sel:WORD_1
	v_cmp_lt_i16_sdwa s[4:5], v22, v22 src0_sel:DWORD src1_sel:WORD_1
	s_and_saveexec_b64 s[12:13], s[4:5]
	s_cbranch_execnz .LBB36_94
; %bb.38:
	s_or_b64 exec, exec, s[12:13]
	v_mov_b32_e32 v23, s16
	s_and_saveexec_b64 s[4:5], s[10:11]
	s_cbranch_execnz .LBB36_95
.LBB36_39:
	s_or_b64 exec, exec, s[4:5]
	v_cmp_eq_u32_e64 s[4:5], v23, v21
	s_and_saveexec_b64 s[10:11], s[4:5]
	s_cbranch_execz .LBB36_41
.LBB36_40:
	v_add_u32_e32 v21, v8, v10
	ds_read_b128 v[24:27], v21
	ds_read_u16 v28, v0
	v_alignbit_b32 v22, v22, v22, 16
	ds_write_b32 v1, v22
	s_mov_b32 s4, 0xc0c0001
	s_waitcnt lgkmcnt(2)
	v_mov_b32_e32 v22, v26
	v_mov_b32_e32 v23, v27
	ds_write_b128 v21, v[22:25]
	s_waitcnt lgkmcnt(2)
	v_perm_b32 v21, 0, v28, s4
	ds_write_b16 v0, v21
.LBB36_41:
	s_or_b64 exec, exec, s[10:11]
	v_and_b32_e32 v21, 7, v3
	v_sub_u32_e32 v23, v17, v21
	v_lshl_add_u32 v21, v23, 1, v16
	s_waitcnt lgkmcnt(0)
	s_barrier
	ds_read_u16 v25, v21
	ds_read_u16 v26, v21 offset:16
	s_mov_b32 s16, 1
	v_add_u32_e32 v22, v15, v23
	s_waitcnt lgkmcnt(0)
	v_cmp_ge_i16_e64 s[10:11], v25, v26
	v_cmp_lt_i16_e64 s[4:5], v25, v26
	s_and_saveexec_b64 s[12:13], s[4:5]
	s_cbranch_execz .LBB36_43
; %bb.42:
	ds_read_u8 v24, v22
	s_andn2_b64 s[10:11], s[10:11], exec
	s_waitcnt lgkmcnt(0)
	v_and_b32_e32 v24, 1, v24
	v_cmp_eq_u32_e64 s[4:5], 1, v24
	s_xor_b64 s[4:5], s[4:5], -1
	s_and_b64 s[4:5], s[4:5], exec
	s_or_b64 s[10:11], s[10:11], s[4:5]
.LBB36_43:
	s_or_b64 exec, exec, s[12:13]
	v_mov_b32_e32 v27, s16
	s_and_saveexec_b64 s[4:5], s[10:11]
	s_cbranch_execz .LBB36_45
; %bb.44:
	ds_read_u8 v24, v22 offset:8
	s_waitcnt lgkmcnt(0)
	v_xor_b32_e32 v27, 1, v24
.LBB36_45:
	s_or_b64 exec, exec, s[4:5]
	v_bfe_u32 v24, v3, 3, 1
	v_lshl_add_u32 v23, v23, 3, v13
	v_cmp_eq_u32_e64 s[4:5], v27, v24
	s_and_saveexec_b64 s[10:11], s[4:5]
	s_cbranch_execz .LBB36_47
; %bb.46:
	ds_read2_b64 v[28:31], v23 offset1:8
	ds_read_u8 v27, v22 offset:8
	ds_read_u8 v32, v22
	ds_write_b16 v21, v26
	ds_write_b16 v21, v25 offset:16
	s_waitcnt lgkmcnt(4)
	ds_write2_b64 v23, v[30:31], v[28:29] offset1:8
	s_waitcnt lgkmcnt(4)
	ds_write_b8 v22, v27
	s_waitcnt lgkmcnt(4)
	ds_write_b8 v22, v32 offset:8
.LBB36_47:
	s_or_b64 exec, exec, s[10:11]
	s_waitcnt lgkmcnt(0)
	s_barrier
	ds_read_u16 v25, v18
	ds_read_u16 v26, v18 offset:8
                                        ; implicit-def: $sgpr16
	s_waitcnt lgkmcnt(0)
	v_cmp_ge_i16_e64 s[10:11], v25, v26
	v_cmp_lt_i16_e64 s[4:5], v25, v26
	s_and_saveexec_b64 s[12:13], s[4:5]
	s_cbranch_execnz .LBB36_96
; %bb.48:
	s_or_b64 exec, exec, s[12:13]
	v_mov_b32_e32 v27, s16
	s_and_saveexec_b64 s[4:5], s[10:11]
	s_cbranch_execnz .LBB36_97
.LBB36_49:
	s_or_b64 exec, exec, s[4:5]
	v_cmp_eq_u32_e64 s[4:5], v27, v24
	s_and_saveexec_b64 s[10:11], s[4:5]
	s_cbranch_execz .LBB36_51
.LBB36_50:
	ds_read2_b64 v[28:31], v20 offset1:4
	ds_read_u8 v27, v19 offset:4
	ds_read_u8 v32, v19
	ds_write_b16 v18, v26
	ds_write_b16 v18, v25 offset:8
	s_waitcnt lgkmcnt(4)
	ds_write2_b64 v20, v[30:31], v[28:29] offset1:4
	s_waitcnt lgkmcnt(4)
	ds_write_b8 v19, v27
	s_waitcnt lgkmcnt(4)
	ds_write_b8 v19, v32 offset:4
.LBB36_51:
	s_or_b64 exec, exec, s[10:11]
	s_waitcnt lgkmcnt(0)
	s_barrier
	ds_read_u16 v25, v11
	ds_read_u16 v26, v11 offset:4
                                        ; implicit-def: $sgpr16
	s_waitcnt lgkmcnt(0)
	v_cmp_ge_i16_e64 s[10:11], v25, v26
	v_cmp_lt_i16_e64 s[4:5], v25, v26
	s_and_saveexec_b64 s[12:13], s[4:5]
	s_cbranch_execnz .LBB36_98
; %bb.52:
	s_or_b64 exec, exec, s[12:13]
	v_mov_b32_e32 v27, s16
	s_and_saveexec_b64 s[4:5], s[10:11]
	s_cbranch_execnz .LBB36_99
.LBB36_53:
	s_or_b64 exec, exec, s[4:5]
	v_cmp_eq_u32_e64 s[4:5], v27, v24
	s_and_saveexec_b64 s[10:11], s[4:5]
	s_cbranch_execz .LBB36_55
.LBB36_54:
	ds_read2_b64 v[28:31], v14 offset1:2
	ds_read_u8 v27, v12 offset:2
	ds_read_u8 v32, v12
	ds_write_b16 v11, v26
	ds_write_b16 v11, v25 offset:4
	s_waitcnt lgkmcnt(4)
	ds_write2_b64 v14, v[30:31], v[28:29] offset1:2
	s_waitcnt lgkmcnt(4)
	ds_write_b8 v12, v27
	s_waitcnt lgkmcnt(4)
	ds_write_b8 v12, v32 offset:2
.LBB36_55:
	s_or_b64 exec, exec, s[10:11]
	s_waitcnt lgkmcnt(0)
	s_barrier
	ds_read_b32 v25, v1
                                        ; implicit-def: $sgpr16
	s_waitcnt lgkmcnt(0)
	v_cmp_ge_i16_sdwa s[10:11], v25, v25 src0_sel:DWORD src1_sel:WORD_1
	v_cmp_lt_i16_sdwa s[4:5], v25, v25 src0_sel:DWORD src1_sel:WORD_1
	s_and_saveexec_b64 s[12:13], s[4:5]
	s_cbranch_execnz .LBB36_100
; %bb.56:
	s_or_b64 exec, exec, s[12:13]
	v_mov_b32_e32 v26, s16
	s_and_saveexec_b64 s[4:5], s[10:11]
	s_cbranch_execnz .LBB36_101
.LBB36_57:
	s_or_b64 exec, exec, s[4:5]
	v_cmp_eq_u32_e64 s[4:5], v26, v24
	s_and_saveexec_b64 s[10:11], s[4:5]
	s_cbranch_execz .LBB36_59
.LBB36_58:
	v_add_u32_e32 v30, v8, v10
	ds_read_b128 v[26:29], v30
	ds_read_u16 v31, v0
	v_alignbit_b32 v24, v25, v25, 16
	ds_write_b32 v1, v24
	s_mov_b32 s4, 0xc0c0001
	s_waitcnt lgkmcnt(2)
	v_mov_b32_e32 v24, v28
	v_mov_b32_e32 v25, v29
	ds_write_b128 v30, v[24:27]
	s_waitcnt lgkmcnt(2)
	v_perm_b32 v24, 0, v31, s4
	ds_write_b16 v0, v24
.LBB36_59:
	s_or_b64 exec, exec, s[10:11]
	v_and_b32_e32 v24, 15, v3
	v_sub_u32_e32 v25, v17, v24
	v_lshl_add_u32 v16, v25, 1, v16
	s_waitcnt lgkmcnt(0)
	s_barrier
	ds_read_u16 v17, v16
	ds_read_u16 v24, v16 offset:32
	v_add_u32_e32 v15, v15, v25
	s_waitcnt lgkmcnt(0)
	v_cmp_ge_i16_e64 s[12:13], v17, v24
	v_cmp_lt_i16_e64 s[4:5], v17, v24
	s_and_saveexec_b64 s[10:11], s[4:5]
	s_cbranch_execz .LBB36_61
; %bb.60:
	ds_read_u8 v26, v15
	s_andn2_b64 s[12:13], s[12:13], exec
	s_waitcnt lgkmcnt(0)
	v_and_b32_e32 v26, 1, v26
	v_cmp_eq_u32_e64 s[4:5], 1, v26
	s_xor_b64 s[4:5], s[4:5], -1
	s_and_b64 s[4:5], s[4:5], exec
	s_or_b64 s[12:13], s[12:13], s[4:5]
.LBB36_61:
	s_or_b64 exec, exec, s[10:11]
	s_and_saveexec_b64 s[10:11], s[12:13]
	s_cbranch_execz .LBB36_64
; %bb.62:
	ds_read_u8 v26, v15 offset:16
	s_waitcnt lgkmcnt(0)
	v_cmp_ne_u16_e64 s[4:5], 0, v26
	s_and_b64 exec, exec, s[4:5]
	s_cbranch_execz .LBB36_64
; %bb.63:
	v_lshl_add_u32 v13, v25, 3, v13
	ds_read2_b64 v[28:31], v13 offset1:16
	ds_read_u8 v25, v15
	ds_write_b16 v16, v24
	ds_write_b16 v16, v17 offset:32
	ds_write_b8 v15, v26
	s_waitcnt lgkmcnt(4)
	ds_write2_b64 v13, v[30:31], v[28:29] offset1:16
	s_waitcnt lgkmcnt(4)
	ds_write_b8 v15, v25 offset:16
.LBB36_64:
	s_or_b64 exec, exec, s[10:11]
	s_waitcnt lgkmcnt(0)
	s_barrier
	ds_read_u16 v13, v21
	ds_read_u16 v15, v21 offset:16
	s_waitcnt lgkmcnt(0)
	v_cmp_ge_i16_e64 s[12:13], v13, v15
	v_cmp_lt_i16_e64 s[4:5], v13, v15
	s_and_saveexec_b64 s[10:11], s[4:5]
	s_cbranch_execz .LBB36_66
; %bb.65:
	ds_read_u8 v16, v22
	s_andn2_b64 s[12:13], s[12:13], exec
	s_waitcnt lgkmcnt(0)
	v_and_b32_e32 v16, 1, v16
	v_cmp_eq_u32_e64 s[4:5], 1, v16
	s_xor_b64 s[4:5], s[4:5], -1
	s_and_b64 s[4:5], s[4:5], exec
	s_or_b64 s[12:13], s[12:13], s[4:5]
.LBB36_66:
	s_or_b64 exec, exec, s[10:11]
	s_and_saveexec_b64 s[10:11], s[12:13]
	s_cbranch_execz .LBB36_69
; %bb.67:
	ds_read_u8 v16, v22 offset:8
	s_waitcnt lgkmcnt(0)
	v_cmp_ne_u16_e64 s[4:5], 0, v16
	s_and_b64 exec, exec, s[4:5]
	s_cbranch_execz .LBB36_69
; %bb.68:
	ds_read2_b64 v[24:27], v23 offset1:8
	ds_read_u8 v17, v22
	ds_write_b16 v21, v15
	ds_write_b16 v21, v13 offset:16
	ds_write_b8 v22, v16
	s_waitcnt lgkmcnt(4)
	ds_write2_b64 v23, v[26:27], v[24:25] offset1:8
	s_waitcnt lgkmcnt(4)
	ds_write_b8 v22, v17 offset:8
.LBB36_69:
	s_or_b64 exec, exec, s[10:11]
	s_waitcnt lgkmcnt(0)
	s_barrier
	ds_read_u16 v13, v18
	ds_read_u16 v15, v18 offset:8
	s_waitcnt lgkmcnt(0)
	v_cmp_ge_i16_e64 s[12:13], v13, v15
	v_cmp_lt_i16_e64 s[4:5], v13, v15
	s_and_saveexec_b64 s[10:11], s[4:5]
	s_cbranch_execz .LBB36_71
; %bb.70:
	ds_read_u8 v16, v19
	s_andn2_b64 s[12:13], s[12:13], exec
	s_waitcnt lgkmcnt(0)
	v_and_b32_e32 v16, 1, v16
	v_cmp_eq_u32_e64 s[4:5], 1, v16
	s_xor_b64 s[4:5], s[4:5], -1
	s_and_b64 s[4:5], s[4:5], exec
	s_or_b64 s[12:13], s[12:13], s[4:5]
.LBB36_71:
	s_or_b64 exec, exec, s[10:11]
	s_and_saveexec_b64 s[10:11], s[12:13]
	s_cbranch_execz .LBB36_74
; %bb.72:
	ds_read_u8 v16, v19 offset:4
	s_waitcnt lgkmcnt(0)
	v_cmp_ne_u16_e64 s[4:5], 0, v16
	s_and_b64 exec, exec, s[4:5]
	s_cbranch_execz .LBB36_74
; %bb.73:
	ds_read2_b64 v[22:25], v20 offset1:4
	ds_read_u8 v17, v19
	ds_write_b16 v18, v15
	ds_write_b16 v18, v13 offset:8
	ds_write_b8 v19, v16
	s_waitcnt lgkmcnt(4)
	ds_write2_b64 v20, v[24:25], v[22:23] offset1:4
	s_waitcnt lgkmcnt(4)
	ds_write_b8 v19, v17 offset:4
.LBB36_74:
	;; [unrolled: 40-line block ×3, first 2 shown]
	s_or_b64 exec, exec, s[10:11]
	s_waitcnt lgkmcnt(0)
	s_barrier
	ds_read_b32 v11, v1
	s_waitcnt lgkmcnt(0)
	v_cmp_ge_i16_sdwa s[12:13], v11, v11 src0_sel:DWORD src1_sel:WORD_1
	v_cmp_lt_i16_sdwa s[4:5], v11, v11 src0_sel:DWORD src1_sel:WORD_1
	s_and_saveexec_b64 s[10:11], s[4:5]
	s_cbranch_execz .LBB36_81
; %bb.80:
	ds_read_u8 v12, v0
	s_andn2_b64 s[12:13], s[12:13], exec
	s_waitcnt lgkmcnt(0)
	v_and_b32_e32 v12, 1, v12
	v_cmp_eq_u32_e64 s[4:5], 1, v12
	s_xor_b64 s[4:5], s[4:5], -1
	s_and_b64 s[4:5], s[4:5], exec
	s_or_b64 s[12:13], s[12:13], s[4:5]
.LBB36_81:
	s_or_b64 exec, exec, s[10:11]
	s_and_saveexec_b64 s[10:11], s[12:13]
	s_cbranch_execz .LBB36_84
; %bb.82:
	ds_read_u8 v12, v0 offset:1
	s_waitcnt lgkmcnt(0)
	v_cmp_ne_u16_e64 s[4:5], 0, v12
	s_and_b64 exec, exec, s[4:5]
	s_cbranch_execz .LBB36_84
; %bb.83:
	v_add_u32_e32 v10, v8, v10
	v_alignbit_b32 v11, v11, v11, 16
	ds_read_b128 v[14:17], v10
	ds_write_b32 v1, v11
	ds_read_u8 v1, v0
	s_waitcnt lgkmcnt(2)
	v_mov_b32_e32 v18, v14
	v_mov_b32_e32 v19, v15
	s_waitcnt lgkmcnt(0)
	v_lshlrev_b16_e32 v1, 8, v1
	v_or_b32_e32 v1, v12, v1
	ds_write_b128 v10, v[16:19]
	ds_write_b16 v0, v1
.LBB36_84:
	s_or_b64 exec, exec, s[10:11]
	s_waitcnt lgkmcnt(0)
	s_barrier
	s_and_saveexec_b64 s[4:5], vcc
	s_cbranch_execz .LBB36_89
; %bb.85:
	s_and_saveexec_b64 s[4:5], s[0:1]
	s_cbranch_execz .LBB36_87
; %bb.86:
	ds_read_u16 v12, v9
	v_mad_u64_u32 v[0:1], s[0:1], v3, s14, v[4:5]
	v_mov_b32_e32 v1, 0
	v_lshlrev_b64 v[10:11], 1, v[0:1]
	v_mov_b32_e32 v0, s9
	v_add_co_u32_e32 v10, vcc, s8, v10
	v_addc_co_u32_e32 v11, vcc, v0, v11, vcc
	ds_read_b64 v[8:9], v8
	s_waitcnt lgkmcnt(1)
	global_store_short v[10:11], v12, off
	v_mad_u64_u32 v[10:11], s[0:1], v3, s15, v[2:3]
	v_mov_b32_e32 v11, v1
	v_lshlrev_b64 v[0:1], 3, v[10:11]
	v_mov_b32_e32 v3, s7
	v_add_co_u32_e32 v0, vcc, s6, v0
	v_addc_co_u32_e32 v1, vcc, v3, v1, vcc
	s_waitcnt lgkmcnt(0)
	global_store_dwordx2 v[0:1], v[8:9], off
.LBB36_87:
	s_or_b64 exec, exec, s[4:5]
	s_and_b64 exec, exec, s[2:3]
	s_cbranch_execz .LBB36_89
; %bb.88:
	ds_read_u16 v3, v7
	v_mad_u64_u32 v[0:1], s[0:1], v5, s14, v[4:5]
	v_mov_b32_e32 v1, 0
	v_lshlrev_b64 v[8:9], 1, v[0:1]
	v_mov_b32_e32 v0, s9
	v_add_co_u32_e32 v8, vcc, s8, v8
	v_addc_co_u32_e32 v9, vcc, v0, v9, vcc
	ds_read_b64 v[6:7], v6
	s_waitcnt lgkmcnt(1)
	global_store_short v[8:9], v3, off
	v_mad_u64_u32 v[2:3], s[0:1], v5, s15, v[2:3]
	v_mov_b32_e32 v3, v1
	v_lshlrev_b64 v[0:1], 3, v[2:3]
	v_mov_b32_e32 v2, s7
	v_add_co_u32_e32 v0, vcc, s6, v0
	v_addc_co_u32_e32 v1, vcc, v2, v1, vcc
	s_waitcnt lgkmcnt(0)
	global_store_dwordx2 v[0:1], v[6:7], off
.LBB36_89:
	s_endpgm
.LBB36_90:
	ds_read_u8 v20, v0
	s_andn2_b64 s[10:11], s[10:11], exec
	s_mov_b32 s16, 1
	s_waitcnt lgkmcnt(0)
	v_and_b32_e32 v20, 1, v20
	v_cmp_eq_u32_e64 s[4:5], 1, v20
	s_xor_b64 s[4:5], s[4:5], -1
	s_and_b64 s[4:5], s[4:5], exec
	s_or_b64 s[10:11], s[10:11], s[4:5]
	s_or_b64 exec, exec, s[12:13]
	v_mov_b32_e32 v20, s16
	s_and_saveexec_b64 s[4:5], s[10:11]
	s_cbranch_execz .LBB36_25
.LBB36_91:
	ds_read_u8 v20, v0 offset:1
	s_waitcnt lgkmcnt(0)
	v_xor_b32_e32 v20, 1, v20
	s_or_b64 exec, exec, s[4:5]
	v_cmp_eq_u32_e64 s[4:5], v20, v18
	s_and_saveexec_b64 s[10:11], s[4:5]
	s_cbranch_execnz .LBB36_26
	s_branch .LBB36_27
.LBB36_92:
	ds_read_u8 v24, v12
	s_andn2_b64 s[10:11], s[10:11], exec
	s_mov_b32 s16, 1
	s_waitcnt lgkmcnt(0)
	v_and_b32_e32 v24, 1, v24
	v_cmp_eq_u32_e64 s[4:5], 1, v24
	s_xor_b64 s[4:5], s[4:5], -1
	s_and_b64 s[4:5], s[4:5], exec
	s_or_b64 s[10:11], s[10:11], s[4:5]
	s_or_b64 exec, exec, s[12:13]
	v_mov_b32_e32 v24, s16
	s_and_saveexec_b64 s[4:5], s[10:11]
	s_cbranch_execz .LBB36_35
.LBB36_93:
	ds_read_u8 v24, v12 offset:2
	s_waitcnt lgkmcnt(0)
	v_xor_b32_e32 v24, 1, v24
	s_or_b64 exec, exec, s[4:5]
	v_cmp_eq_u32_e64 s[4:5], v24, v21
	s_and_saveexec_b64 s[10:11], s[4:5]
	s_cbranch_execnz .LBB36_36
	s_branch .LBB36_37
.LBB36_94:
	ds_read_u8 v23, v0
	s_andn2_b64 s[10:11], s[10:11], exec
	s_mov_b32 s16, 1
	s_waitcnt lgkmcnt(0)
	v_and_b32_e32 v23, 1, v23
	v_cmp_eq_u32_e64 s[4:5], 1, v23
	s_xor_b64 s[4:5], s[4:5], -1
	s_and_b64 s[4:5], s[4:5], exec
	s_or_b64 s[10:11], s[10:11], s[4:5]
	s_or_b64 exec, exec, s[12:13]
	v_mov_b32_e32 v23, s16
	s_and_saveexec_b64 s[4:5], s[10:11]
	s_cbranch_execz .LBB36_39
.LBB36_95:
	ds_read_u8 v23, v0 offset:1
	s_waitcnt lgkmcnt(0)
	v_xor_b32_e32 v23, 1, v23
	s_or_b64 exec, exec, s[4:5]
	v_cmp_eq_u32_e64 s[4:5], v23, v21
	s_and_saveexec_b64 s[10:11], s[4:5]
	s_cbranch_execnz .LBB36_40
	s_branch .LBB36_41
.LBB36_96:
	ds_read_u8 v27, v19
	s_andn2_b64 s[10:11], s[10:11], exec
	s_mov_b32 s16, 1
	s_waitcnt lgkmcnt(0)
	v_and_b32_e32 v27, 1, v27
	v_cmp_eq_u32_e64 s[4:5], 1, v27
	s_xor_b64 s[4:5], s[4:5], -1
	s_and_b64 s[4:5], s[4:5], exec
	s_or_b64 s[10:11], s[10:11], s[4:5]
	s_or_b64 exec, exec, s[12:13]
	v_mov_b32_e32 v27, s16
	s_and_saveexec_b64 s[4:5], s[10:11]
	s_cbranch_execz .LBB36_49
.LBB36_97:
	ds_read_u8 v27, v19 offset:4
	s_waitcnt lgkmcnt(0)
	v_xor_b32_e32 v27, 1, v27
	s_or_b64 exec, exec, s[4:5]
	v_cmp_eq_u32_e64 s[4:5], v27, v24
	s_and_saveexec_b64 s[10:11], s[4:5]
	s_cbranch_execnz .LBB36_50
	s_branch .LBB36_51
.LBB36_98:
	ds_read_u8 v27, v12
	s_andn2_b64 s[10:11], s[10:11], exec
	s_mov_b32 s16, 1
	s_waitcnt lgkmcnt(0)
	v_and_b32_e32 v27, 1, v27
	v_cmp_eq_u32_e64 s[4:5], 1, v27
	s_xor_b64 s[4:5], s[4:5], -1
	s_and_b64 s[4:5], s[4:5], exec
	s_or_b64 s[10:11], s[10:11], s[4:5]
	s_or_b64 exec, exec, s[12:13]
	v_mov_b32_e32 v27, s16
	s_and_saveexec_b64 s[4:5], s[10:11]
	s_cbranch_execz .LBB36_53
.LBB36_99:
	ds_read_u8 v27, v12 offset:2
	s_waitcnt lgkmcnt(0)
	v_xor_b32_e32 v27, 1, v27
	s_or_b64 exec, exec, s[4:5]
	v_cmp_eq_u32_e64 s[4:5], v27, v24
	s_and_saveexec_b64 s[10:11], s[4:5]
	s_cbranch_execnz .LBB36_54
	s_branch .LBB36_55
.LBB36_100:
	ds_read_u8 v26, v0
	s_andn2_b64 s[10:11], s[10:11], exec
	s_mov_b32 s16, 1
	s_waitcnt lgkmcnt(0)
	v_and_b32_e32 v26, 1, v26
	v_cmp_eq_u32_e64 s[4:5], 1, v26
	s_xor_b64 s[4:5], s[4:5], -1
	s_and_b64 s[4:5], s[4:5], exec
	s_or_b64 s[10:11], s[10:11], s[4:5]
	s_or_b64 exec, exec, s[12:13]
	v_mov_b32_e32 v26, s16
	s_and_saveexec_b64 s[4:5], s[10:11]
	s_cbranch_execz .LBB36_57
.LBB36_101:
	ds_read_u8 v26, v0 offset:1
	s_waitcnt lgkmcnt(0)
	v_xor_b32_e32 v26, 1, v26
	s_or_b64 exec, exec, s[4:5]
	v_cmp_eq_u32_e64 s[4:5], v26, v24
	s_and_saveexec_b64 s[10:11], s[4:5]
	s_cbranch_execnz .LBB36_58
	s_branch .LBB36_59
	.section	.rodata,"a",@progbits
	.p2align	6, 0x0
	.amdhsa_kernel _ZN2at6native20bitonicSortKVInPlaceILin1ELin1ELi16ELi16EslNS0_4LTOpIsLb1EEEjEEvNS_4cuda6detail10TensorInfoIT3_T6_EES8_S8_S8_NS6_IT4_S8_EES8_T5_
		.amdhsa_group_segment_fixed_size 5632
		.amdhsa_private_segment_fixed_size 0
		.amdhsa_kernarg_size 712
		.amdhsa_user_sgpr_count 6
		.amdhsa_user_sgpr_private_segment_buffer 1
		.amdhsa_user_sgpr_dispatch_ptr 0
		.amdhsa_user_sgpr_queue_ptr 0
		.amdhsa_user_sgpr_kernarg_segment_ptr 1
		.amdhsa_user_sgpr_dispatch_id 0
		.amdhsa_user_sgpr_flat_scratch_init 0
		.amdhsa_user_sgpr_kernarg_preload_length 0
		.amdhsa_user_sgpr_kernarg_preload_offset 0
		.amdhsa_user_sgpr_private_segment_size 0
		.amdhsa_uses_dynamic_stack 0
		.amdhsa_system_sgpr_private_segment_wavefront_offset 0
		.amdhsa_system_sgpr_workgroup_id_x 1
		.amdhsa_system_sgpr_workgroup_id_y 1
		.amdhsa_system_sgpr_workgroup_id_z 1
		.amdhsa_system_sgpr_workgroup_info 0
		.amdhsa_system_vgpr_workitem_id 1
		.amdhsa_next_free_vgpr 33
		.amdhsa_next_free_sgpr 17
		.amdhsa_accum_offset 36
		.amdhsa_reserve_vcc 1
		.amdhsa_reserve_flat_scratch 0
		.amdhsa_float_round_mode_32 0
		.amdhsa_float_round_mode_16_64 0
		.amdhsa_float_denorm_mode_32 3
		.amdhsa_float_denorm_mode_16_64 3
		.amdhsa_dx10_clamp 1
		.amdhsa_ieee_mode 1
		.amdhsa_fp16_overflow 0
		.amdhsa_tg_split 0
		.amdhsa_exception_fp_ieee_invalid_op 0
		.amdhsa_exception_fp_denorm_src 0
		.amdhsa_exception_fp_ieee_div_zero 0
		.amdhsa_exception_fp_ieee_overflow 0
		.amdhsa_exception_fp_ieee_underflow 0
		.amdhsa_exception_fp_ieee_inexact 0
		.amdhsa_exception_int_div_zero 0
	.end_amdhsa_kernel
	.section	.text._ZN2at6native20bitonicSortKVInPlaceILin1ELin1ELi16ELi16EslNS0_4LTOpIsLb1EEEjEEvNS_4cuda6detail10TensorInfoIT3_T6_EES8_S8_S8_NS6_IT4_S8_EES8_T5_,"axG",@progbits,_ZN2at6native20bitonicSortKVInPlaceILin1ELin1ELi16ELi16EslNS0_4LTOpIsLb1EEEjEEvNS_4cuda6detail10TensorInfoIT3_T6_EES8_S8_S8_NS6_IT4_S8_EES8_T5_,comdat
.Lfunc_end36:
	.size	_ZN2at6native20bitonicSortKVInPlaceILin1ELin1ELi16ELi16EslNS0_4LTOpIsLb1EEEjEEvNS_4cuda6detail10TensorInfoIT3_T6_EES8_S8_S8_NS6_IT4_S8_EES8_T5_, .Lfunc_end36-_ZN2at6native20bitonicSortKVInPlaceILin1ELin1ELi16ELi16EslNS0_4LTOpIsLb1EEEjEEvNS_4cuda6detail10TensorInfoIT3_T6_EES8_S8_S8_NS6_IT4_S8_EES8_T5_
                                        ; -- End function
	.section	.AMDGPU.csdata,"",@progbits
; Kernel info:
; codeLenInByte = 4976
; NumSgprs: 21
; NumVgprs: 33
; NumAgprs: 0
; TotalNumVgprs: 33
; ScratchSize: 0
; MemoryBound: 0
; FloatMode: 240
; IeeeMode: 1
; LDSByteSize: 5632 bytes/workgroup (compile time only)
; SGPRBlocks: 2
; VGPRBlocks: 4
; NumSGPRsForWavesPerEU: 21
; NumVGPRsForWavesPerEU: 33
; AccumOffset: 36
; Occupancy: 8
; WaveLimiterHint : 1
; COMPUTE_PGM_RSRC2:SCRATCH_EN: 0
; COMPUTE_PGM_RSRC2:USER_SGPR: 6
; COMPUTE_PGM_RSRC2:TRAP_HANDLER: 0
; COMPUTE_PGM_RSRC2:TGID_X_EN: 1
; COMPUTE_PGM_RSRC2:TGID_Y_EN: 1
; COMPUTE_PGM_RSRC2:TGID_Z_EN: 1
; COMPUTE_PGM_RSRC2:TIDIG_COMP_CNT: 1
; COMPUTE_PGM_RSRC3_GFX90A:ACCUM_OFFSET: 8
; COMPUTE_PGM_RSRC3_GFX90A:TG_SPLIT: 0
	.section	.text._ZN2at6native20bitonicSortKVInPlaceILin1ELin1ELi16ELi16EslNS0_4GTOpIsLb1EEEjEEvNS_4cuda6detail10TensorInfoIT3_T6_EES8_S8_S8_NS6_IT4_S8_EES8_T5_,"axG",@progbits,_ZN2at6native20bitonicSortKVInPlaceILin1ELin1ELi16ELi16EslNS0_4GTOpIsLb1EEEjEEvNS_4cuda6detail10TensorInfoIT3_T6_EES8_S8_S8_NS6_IT4_S8_EES8_T5_,comdat
	.protected	_ZN2at6native20bitonicSortKVInPlaceILin1ELin1ELi16ELi16EslNS0_4GTOpIsLb1EEEjEEvNS_4cuda6detail10TensorInfoIT3_T6_EES8_S8_S8_NS6_IT4_S8_EES8_T5_ ; -- Begin function _ZN2at6native20bitonicSortKVInPlaceILin1ELin1ELi16ELi16EslNS0_4GTOpIsLb1EEEjEEvNS_4cuda6detail10TensorInfoIT3_T6_EES8_S8_S8_NS6_IT4_S8_EES8_T5_
	.globl	_ZN2at6native20bitonicSortKVInPlaceILin1ELin1ELi16ELi16EslNS0_4GTOpIsLb1EEEjEEvNS_4cuda6detail10TensorInfoIT3_T6_EES8_S8_S8_NS6_IT4_S8_EES8_T5_
	.p2align	8
	.type	_ZN2at6native20bitonicSortKVInPlaceILin1ELin1ELi16ELi16EslNS0_4GTOpIsLb1EEEjEEvNS_4cuda6detail10TensorInfoIT3_T6_EES8_S8_S8_NS6_IT4_S8_EES8_T5_,@function
_ZN2at6native20bitonicSortKVInPlaceILin1ELin1ELi16ELi16EslNS0_4GTOpIsLb1EEEjEEvNS_4cuda6detail10TensorInfoIT3_T6_EES8_S8_S8_NS6_IT4_S8_EES8_T5_: ; @_ZN2at6native20bitonicSortKVInPlaceILin1ELin1ELi16ELi16EslNS0_4GTOpIsLb1EEEjEEvNS_4cuda6detail10TensorInfoIT3_T6_EES8_S8_S8_NS6_IT4_S8_EES8_T5_
; %bb.0:
	s_load_dwordx2 s[2:3], s[4:5], 0x1c8
	s_load_dwordx4 s[12:15], s[4:5], 0xd8
	s_load_dword s9, s[4:5], 0x1d4
	s_add_u32 s0, s4, 0x1c8
	s_addc_u32 s1, s5, 0
	s_waitcnt lgkmcnt(0)
	s_mul_i32 s3, s3, s8
	s_add_i32 s3, s3, s7
	s_mul_i32 s2, s3, s2
	s_add_i32 s3, s2, s6
	s_lshr_b32 s2, s9, 16
	s_mul_i32 s3, s3, s2
	s_cmp_ge_u32 s3, s12
	s_cbranch_scc1 .LBB37_89
; %bb.1:
	s_load_dword s2, s[4:5], 0xd0
	v_bfe_u32 v8, v0, 10, 10
	v_add_u32_e32 v1, s3, v8
	v_mov_b32_e32 v2, 0
	v_mov_b32_e32 v4, v1
	s_waitcnt lgkmcnt(0)
	s_cmp_lt_i32 s2, 2
	s_cbranch_scc1 .LBB37_4
; %bb.2:
	s_add_i32 s6, s2, 1
	s_add_i32 s2, s2, -1
	s_mov_b32 s3, 0
	s_lshl_b64 s[2:3], s[2:3], 2
	s_add_u32 s2, s2, s4
	s_addc_u32 s3, s3, s5
	s_add_u32 s2, s2, 8
	s_addc_u32 s3, s3, 0
	v_mov_b32_e32 v2, 0
	v_mov_b32_e32 v4, v1
.LBB37_3:                               ; =>This Inner Loop Header: Depth=1
	s_load_dword s7, s[2:3], 0x0
	s_load_dword s8, s[2:3], 0x64
	v_mov_b32_e32 v3, v4
	s_add_i32 s6, s6, -1
	s_waitcnt lgkmcnt(0)
	v_cvt_f32_u32_e32 v4, s7
	s_sub_i32 s9, 0, s7
	s_add_u32 s2, s2, -4
	s_addc_u32 s3, s3, -1
	v_rcp_iflag_f32_e32 v4, v4
	s_cmp_gt_u32 s6, 2
	v_mul_f32_e32 v4, 0x4f7ffffe, v4
	v_cvt_u32_f32_e32 v4, v4
	v_mul_lo_u32 v5, s9, v4
	v_mul_hi_u32 v5, v4, v5
	v_add_u32_e32 v4, v4, v5
	v_mul_hi_u32 v4, v3, v4
	v_mul_lo_u32 v5, v4, s7
	v_sub_u32_e32 v5, v3, v5
	v_add_u32_e32 v6, 1, v4
	v_cmp_le_u32_e32 vcc, s7, v5
	v_cndmask_b32_e32 v4, v4, v6, vcc
	v_subrev_u32_e32 v6, s7, v5
	v_cndmask_b32_e32 v5, v5, v6, vcc
	v_add_u32_e32 v6, 1, v4
	v_cmp_le_u32_e32 vcc, s7, v5
	v_cndmask_b32_e32 v4, v4, v6, vcc
	v_mul_lo_u32 v5, v4, s7
	v_sub_u32_e32 v3, v3, v5
	v_mad_u64_u32 v[2:3], s[8:9], s8, v3, v[2:3]
	s_cbranch_scc1 .LBB37_3
.LBB37_4:
	s_load_dword s2, s[4:5], 0x1b8
	v_mov_b32_e32 v6, 0
	v_mov_b32_e32 v3, v1
	s_waitcnt lgkmcnt(0)
	s_cmp_lt_i32 s2, 2
	s_cbranch_scc1 .LBB37_7
; %bb.5:
	s_add_i32 s6, s2, 1
	s_add_i32 s2, s2, -1
	s_mov_b32 s3, 0
	s_lshl_b64 s[2:3], s[2:3], 2
	s_add_u32 s2, s2, s4
	s_addc_u32 s3, s3, s5
	s_add_u32 s2, s2, 0xf0
	s_addc_u32 s3, s3, 0
	v_mov_b32_e32 v6, 0
	v_mov_b32_e32 v3, v1
.LBB37_6:                               ; =>This Inner Loop Header: Depth=1
	s_load_dword s7, s[2:3], 0x0
	s_load_dword s8, s[2:3], 0x64
	v_mov_b32_e32 v5, v3
	s_add_i32 s6, s6, -1
	s_waitcnt lgkmcnt(0)
	v_cvt_f32_u32_e32 v3, s7
	s_sub_i32 s9, 0, s7
	s_add_u32 s2, s2, -4
	s_addc_u32 s3, s3, -1
	v_rcp_iflag_f32_e32 v3, v3
	s_cmp_gt_u32 s6, 2
	v_mul_f32_e32 v3, 0x4f7ffffe, v3
	v_cvt_u32_f32_e32 v3, v3
	v_mul_lo_u32 v7, s9, v3
	v_mul_hi_u32 v7, v3, v7
	v_add_u32_e32 v3, v3, v7
	v_mul_hi_u32 v3, v5, v3
	v_mul_lo_u32 v7, v3, s7
	v_sub_u32_e32 v7, v5, v7
	v_add_u32_e32 v9, 1, v3
	v_cmp_le_u32_e32 vcc, s7, v7
	v_cndmask_b32_e32 v3, v3, v9, vcc
	v_subrev_u32_e32 v9, s7, v7
	v_cndmask_b32_e32 v7, v7, v9, vcc
	v_add_u32_e32 v9, 1, v3
	v_cmp_le_u32_e32 vcc, s7, v7
	v_cndmask_b32_e32 v3, v3, v9, vcc
	v_mul_lo_u32 v7, v3, s7
	v_sub_u32_e32 v5, v5, v7
	v_mad_u64_u32 v[6:7], s[8:9], s8, v5, v[6:7]
	s_cbranch_scc1 .LBB37_6
.LBB37_7:
	s_load_dword s2, s[4:5], 0x6c
	v_cmp_gt_u32_e32 vcc, s12, v1
	v_mov_b32_e32 v10, 0
	s_waitcnt lgkmcnt(0)
	v_mad_u64_u32 v[4:5], s[2:3], s2, v4, v[2:3]
	s_load_dword s15, s[4:5], 0x1c0
	s_load_dword s2, s[4:5], 0x154
	s_load_dwordx2 s[8:9], s[4:5], 0x0
	s_load_dwordx2 s[6:7], s[4:5], 0xe8
	s_load_dword s12, s[0:1], 0xc
	v_mov_b32_e32 v5, 0
	s_waitcnt lgkmcnt(0)
	v_mad_u64_u32 v[2:3], s[2:3], s2, v3, v[6:7]
	v_and_b32_e32 v3, 0x3ff, v0
	v_cmp_gt_u32_e64 s[0:1], s13, v3
	v_pk_mov_b32 v[0:1], 0, 0
	s_and_b64 s[4:5], vcc, s[0:1]
	v_pk_mov_b32 v[6:7], v[0:1], v[0:1] op_sel:[0,1]
	s_and_saveexec_b64 s[10:11], s[4:5]
	s_cbranch_execz .LBB37_9
; %bb.8:
	v_mad_u64_u32 v[6:7], s[2:3], v3, s14, v[4:5]
	v_mov_b32_e32 v7, 0
	v_lshlrev_b64 v[12:13], 1, v[6:7]
	v_mov_b32_e32 v5, s9
	v_add_co_u32_e64 v12, s[2:3], s8, v12
	v_addc_co_u32_e64 v13, s[2:3], v5, v13, s[2:3]
	global_load_ushort v5, v[12:13], off
	v_mad_u64_u32 v[12:13], s[2:3], v3, s15, v[2:3]
	v_mov_b32_e32 v13, v7
	v_lshlrev_b64 v[6:7], 3, v[12:13]
	v_mov_b32_e32 v9, s7
	v_add_co_u32_e64 v6, s[2:3], s6, v6
	v_addc_co_u32_e64 v7, s[2:3], v9, v7, s[2:3]
	global_load_dwordx2 v[6:7], v[6:7], off
.LBB37_9:
	s_or_b64 exec, exec, s[10:11]
	v_mov_b32_e32 v9, 0x1000
	v_lshl_add_u32 v16, v8, 6, v9
	v_mov_b32_e32 v9, 0x1400
	v_lshl_add_u32 v15, v8, 5, v9
	v_lshl_add_u32 v9, v3, 1, v16
	s_and_b32 s16, 0xffff, s12
	v_cndmask_b32_e64 v11, 0, 1, s[4:5]
	s_waitcnt vmcnt(1)
	ds_write_b16 v9, v5
	v_add_u32_e32 v5, v15, v3
	ds_write_b8 v5, v11
	v_add_u32_e32 v5, s16, v3
	v_lshlrev_b32_e32 v13, 8, v8
	v_cmp_gt_u32_e64 s[2:3], s13, v5
	v_lshl_add_u32 v8, v3, 3, v13
	s_and_b64 s[10:11], vcc, s[2:3]
	s_waitcnt vmcnt(0)
	ds_write_b64 v8, v[6:7]
	s_and_saveexec_b64 s[12:13], s[10:11]
	s_cbranch_execz .LBB37_11
; %bb.10:
	v_mad_u64_u32 v[0:1], s[4:5], v5, s14, v[4:5]
	v_mov_b32_e32 v1, 0
	v_lshlrev_b64 v[6:7], 1, v[0:1]
	v_mov_b32_e32 v0, s9
	v_add_co_u32_e64 v6, s[4:5], s8, v6
	v_addc_co_u32_e64 v7, s[4:5], v0, v7, s[4:5]
	global_load_ushort v10, v[6:7], off
	v_mad_u64_u32 v[6:7], s[4:5], v5, s15, v[2:3]
	v_mov_b32_e32 v7, v1
	v_lshlrev_b64 v[0:1], 3, v[6:7]
	v_mov_b32_e32 v6, s7
	v_add_co_u32_e64 v0, s[4:5], s6, v0
	v_addc_co_u32_e64 v1, s[4:5], v6, v1, s[4:5]
	global_load_dwordx2 v[0:1], v[0:1], off
.LBB37_11:
	s_or_b64 exec, exec, s[12:13]
	v_lshl_add_u32 v6, s16, 3, v8
	v_lshlrev_b32_e32 v17, 1, v3
	v_cndmask_b32_e64 v11, 0, 1, s[10:11]
	v_lshl_add_u32 v7, s16, 1, v9
	s_waitcnt vmcnt(0)
	ds_write_b64 v6, v[0:1]
	v_add_u32_e32 v0, v15, v5
	v_add_u32_e32 v1, v9, v17
	ds_write_b16 v7, v10
	ds_write_b8 v0, v11
	s_waitcnt lgkmcnt(0)
	s_barrier
	ds_read_b32 v11, v1
	v_add_u32_e32 v0, v15, v17
                                        ; implicit-def: $sgpr16
	s_waitcnt lgkmcnt(0)
	v_cmp_le_i16_sdwa s[10:11], v11, v11 src0_sel:DWORD src1_sel:WORD_1
	v_cmp_gt_i16_sdwa s[4:5], v11, v11 src0_sel:DWORD src1_sel:WORD_1
	s_and_saveexec_b64 s[12:13], s[4:5]
	s_xor_b64 s[12:13], exec, s[12:13]
	s_cbranch_execz .LBB37_13
; %bb.12:
	ds_read_u8 v10, v0
	s_andn2_b64 s[10:11], s[10:11], exec
	s_mov_b32 s16, 1
	s_waitcnt lgkmcnt(0)
	v_and_b32_e32 v10, 1, v10
	v_cmp_eq_u32_e64 s[4:5], 1, v10
	s_xor_b64 s[4:5], s[4:5], -1
	s_and_b64 s[4:5], s[4:5], exec
	s_or_b64 s[10:11], s[10:11], s[4:5]
.LBB37_13:
	s_or_b64 exec, exec, s[12:13]
	v_mov_b32_e32 v14, s16
	s_and_saveexec_b64 s[4:5], s[10:11]
	s_cbranch_execz .LBB37_15
; %bb.14:
	ds_read_u8 v10, v0 offset:1
	s_waitcnt lgkmcnt(0)
	v_xor_b32_e32 v14, 1, v10
.LBB37_15:
	s_or_b64 exec, exec, s[4:5]
	v_and_b32_e32 v12, 1, v3
	v_lshlrev_b32_e32 v10, 3, v3
	v_cmp_eq_u32_e64 s[4:5], v14, v12
	s_and_saveexec_b64 s[10:11], s[4:5]
	s_cbranch_execz .LBB37_17
; %bb.16:
	v_add_u32_e32 v14, v8, v10
	v_alignbit_b32 v11, v11, v11, 16
	ds_read_b128 v[18:21], v14
	ds_write_b32 v1, v11
	ds_read_u16 v11, v0
	s_mov_b32 s4, 0xc0c0001
	s_waitcnt lgkmcnt(2)
	v_mov_b32_e32 v22, v18
	v_mov_b32_e32 v23, v19
	s_waitcnt lgkmcnt(0)
	v_perm_b32 v11, 0, v11, s4
	ds_write_b128 v14, v[20:23]
	ds_write_b16 v0, v11
.LBB37_17:
	s_or_b64 exec, exec, s[10:11]
	v_sub_u32_e32 v14, v17, v12
	v_lshl_add_u32 v11, v14, 1, v16
	s_waitcnt lgkmcnt(0)
	s_barrier
	ds_read_u16 v19, v11
	ds_read_u16 v20, v11 offset:4
	s_mov_b64 s[10:11], -1
	v_add_u32_e32 v12, v15, v14
                                        ; implicit-def: $sgpr16
	s_waitcnt lgkmcnt(0)
	v_cmp_gt_i16_e64 s[4:5], v19, v20
	s_and_saveexec_b64 s[12:13], s[4:5]
	s_xor_b64 s[12:13], exec, s[12:13]
	s_cbranch_execz .LBB37_19
; %bb.18:
	ds_read_u8 v18, v12
	s_mov_b32 s16, 1
	s_waitcnt lgkmcnt(0)
	v_and_b32_e32 v18, 1, v18
	v_cmp_eq_u32_e64 s[4:5], 1, v18
	s_xor_b64 s[4:5], s[4:5], -1
	s_orn2_b64 s[10:11], s[4:5], exec
.LBB37_19:
	s_or_b64 exec, exec, s[12:13]
	v_mov_b32_e32 v21, s16
	s_and_saveexec_b64 s[4:5], s[10:11]
	s_cbranch_execz .LBB37_21
; %bb.20:
	ds_read_u8 v18, v12 offset:2
	s_waitcnt lgkmcnt(0)
	v_xor_b32_e32 v21, 1, v18
.LBB37_21:
	s_or_b64 exec, exec, s[4:5]
	v_bfe_u32 v18, v3, 1, 1
	v_lshl_add_u32 v14, v14, 3, v13
	v_cmp_eq_u32_e64 s[4:5], v21, v18
	s_and_saveexec_b64 s[10:11], s[4:5]
	s_cbranch_execz .LBB37_23
; %bb.22:
	ds_read2_b64 v[22:25], v14 offset1:2
	ds_read_u8 v21, v12 offset:2
	ds_read_u8 v26, v12
	ds_write_b16 v11, v20
	ds_write_b16 v11, v19 offset:4
	s_waitcnt lgkmcnt(4)
	ds_write2_b64 v14, v[24:25], v[22:23] offset1:2
	s_waitcnt lgkmcnt(4)
	ds_write_b8 v12, v21
	s_waitcnt lgkmcnt(4)
	ds_write_b8 v12, v26 offset:2
.LBB37_23:
	s_or_b64 exec, exec, s[10:11]
	s_waitcnt lgkmcnt(0)
	s_barrier
	ds_read_b32 v19, v1
                                        ; implicit-def: $sgpr16
	s_waitcnt lgkmcnt(0)
	v_cmp_le_i16_sdwa s[10:11], v19, v19 src0_sel:DWORD src1_sel:WORD_1
	v_cmp_gt_i16_sdwa s[4:5], v19, v19 src0_sel:DWORD src1_sel:WORD_1
	s_and_saveexec_b64 s[12:13], s[4:5]
	s_cbranch_execnz .LBB37_90
; %bb.24:
	s_or_b64 exec, exec, s[12:13]
	v_mov_b32_e32 v20, s16
	s_and_saveexec_b64 s[4:5], s[10:11]
	s_cbranch_execnz .LBB37_91
.LBB37_25:
	s_or_b64 exec, exec, s[4:5]
	v_cmp_eq_u32_e64 s[4:5], v20, v18
	s_and_saveexec_b64 s[10:11], s[4:5]
	s_cbranch_execz .LBB37_27
.LBB37_26:
	v_add_u32_e32 v24, v8, v10
	ds_read_b128 v[20:23], v24
	ds_read_u16 v25, v0
	v_alignbit_b32 v18, v19, v19, 16
	ds_write_b32 v1, v18
	s_mov_b32 s4, 0xc0c0001
	s_waitcnt lgkmcnt(2)
	v_mov_b32_e32 v18, v22
	v_mov_b32_e32 v19, v23
	ds_write_b128 v24, v[18:21]
	s_waitcnt lgkmcnt(2)
	v_perm_b32 v18, 0, v25, s4
	ds_write_b16 v0, v18
.LBB37_27:
	s_or_b64 exec, exec, s[10:11]
	v_and_b32_e32 v18, 3, v3
	v_sub_u32_e32 v20, v17, v18
	v_lshl_add_u32 v18, v20, 1, v16
	s_waitcnt lgkmcnt(0)
	s_barrier
	ds_read_u16 v22, v18
	ds_read_u16 v23, v18 offset:8
	s_mov_b32 s16, 1
	v_add_u32_e32 v19, v15, v20
	s_waitcnt lgkmcnt(0)
	v_cmp_le_i16_e64 s[10:11], v22, v23
	v_cmp_gt_i16_e64 s[4:5], v22, v23
	s_and_saveexec_b64 s[12:13], s[4:5]
	s_cbranch_execz .LBB37_29
; %bb.28:
	ds_read_u8 v21, v19
	s_andn2_b64 s[10:11], s[10:11], exec
	s_waitcnt lgkmcnt(0)
	v_and_b32_e32 v21, 1, v21
	v_cmp_eq_u32_e64 s[4:5], 1, v21
	s_xor_b64 s[4:5], s[4:5], -1
	s_and_b64 s[4:5], s[4:5], exec
	s_or_b64 s[10:11], s[10:11], s[4:5]
.LBB37_29:
	s_or_b64 exec, exec, s[12:13]
	v_mov_b32_e32 v24, s16
	s_and_saveexec_b64 s[4:5], s[10:11]
	s_cbranch_execz .LBB37_31
; %bb.30:
	ds_read_u8 v21, v19 offset:4
	s_waitcnt lgkmcnt(0)
	v_xor_b32_e32 v24, 1, v21
.LBB37_31:
	s_or_b64 exec, exec, s[4:5]
	v_bfe_u32 v21, v3, 2, 1
	v_lshl_add_u32 v20, v20, 3, v13
	v_cmp_eq_u32_e64 s[4:5], v24, v21
	s_and_saveexec_b64 s[10:11], s[4:5]
	s_cbranch_execz .LBB37_33
; %bb.32:
	ds_read2_b64 v[24:27], v20 offset1:4
	ds_read_u8 v28, v19 offset:4
	ds_read_u8 v29, v19
	ds_write_b16 v18, v23
	ds_write_b16 v18, v22 offset:8
	s_waitcnt lgkmcnt(4)
	ds_write2_b64 v20, v[26:27], v[24:25] offset1:4
	s_waitcnt lgkmcnt(4)
	ds_write_b8 v19, v28
	s_waitcnt lgkmcnt(4)
	ds_write_b8 v19, v29 offset:4
.LBB37_33:
	s_or_b64 exec, exec, s[10:11]
	s_waitcnt lgkmcnt(0)
	s_barrier
	ds_read_u16 v22, v11
	ds_read_u16 v23, v11 offset:4
                                        ; implicit-def: $sgpr16
	s_waitcnt lgkmcnt(0)
	v_cmp_le_i16_e64 s[10:11], v22, v23
	v_cmp_gt_i16_e64 s[4:5], v22, v23
	s_and_saveexec_b64 s[12:13], s[4:5]
	s_cbranch_execnz .LBB37_92
; %bb.34:
	s_or_b64 exec, exec, s[12:13]
	v_mov_b32_e32 v24, s16
	s_and_saveexec_b64 s[4:5], s[10:11]
	s_cbranch_execnz .LBB37_93
.LBB37_35:
	s_or_b64 exec, exec, s[4:5]
	v_cmp_eq_u32_e64 s[4:5], v24, v21
	s_and_saveexec_b64 s[10:11], s[4:5]
	s_cbranch_execz .LBB37_37
.LBB37_36:
	ds_read2_b64 v[24:27], v14 offset1:2
	ds_read_u8 v28, v12 offset:2
	ds_read_u8 v29, v12
	ds_write_b16 v11, v23
	ds_write_b16 v11, v22 offset:4
	s_waitcnt lgkmcnt(4)
	ds_write2_b64 v14, v[26:27], v[24:25] offset1:2
	s_waitcnt lgkmcnt(4)
	ds_write_b8 v12, v28
	s_waitcnt lgkmcnt(4)
	ds_write_b8 v12, v29 offset:2
.LBB37_37:
	s_or_b64 exec, exec, s[10:11]
	s_waitcnt lgkmcnt(0)
	s_barrier
	ds_read_b32 v22, v1
                                        ; implicit-def: $sgpr16
	s_waitcnt lgkmcnt(0)
	v_cmp_le_i16_sdwa s[10:11], v22, v22 src0_sel:DWORD src1_sel:WORD_1
	v_cmp_gt_i16_sdwa s[4:5], v22, v22 src0_sel:DWORD src1_sel:WORD_1
	s_and_saveexec_b64 s[12:13], s[4:5]
	s_cbranch_execnz .LBB37_94
; %bb.38:
	s_or_b64 exec, exec, s[12:13]
	v_mov_b32_e32 v23, s16
	s_and_saveexec_b64 s[4:5], s[10:11]
	s_cbranch_execnz .LBB37_95
.LBB37_39:
	s_or_b64 exec, exec, s[4:5]
	v_cmp_eq_u32_e64 s[4:5], v23, v21
	s_and_saveexec_b64 s[10:11], s[4:5]
	s_cbranch_execz .LBB37_41
.LBB37_40:
	v_add_u32_e32 v21, v8, v10
	ds_read_b128 v[24:27], v21
	ds_read_u16 v28, v0
	v_alignbit_b32 v22, v22, v22, 16
	ds_write_b32 v1, v22
	s_mov_b32 s4, 0xc0c0001
	s_waitcnt lgkmcnt(2)
	v_mov_b32_e32 v22, v26
	v_mov_b32_e32 v23, v27
	ds_write_b128 v21, v[22:25]
	s_waitcnt lgkmcnt(2)
	v_perm_b32 v21, 0, v28, s4
	ds_write_b16 v0, v21
.LBB37_41:
	s_or_b64 exec, exec, s[10:11]
	v_and_b32_e32 v21, 7, v3
	v_sub_u32_e32 v23, v17, v21
	v_lshl_add_u32 v21, v23, 1, v16
	s_waitcnt lgkmcnt(0)
	s_barrier
	ds_read_u16 v25, v21
	ds_read_u16 v26, v21 offset:16
	s_mov_b32 s16, 1
	v_add_u32_e32 v22, v15, v23
	s_waitcnt lgkmcnt(0)
	v_cmp_le_i16_e64 s[10:11], v25, v26
	v_cmp_gt_i16_e64 s[4:5], v25, v26
	s_and_saveexec_b64 s[12:13], s[4:5]
	s_cbranch_execz .LBB37_43
; %bb.42:
	ds_read_u8 v24, v22
	s_andn2_b64 s[10:11], s[10:11], exec
	s_waitcnt lgkmcnt(0)
	v_and_b32_e32 v24, 1, v24
	v_cmp_eq_u32_e64 s[4:5], 1, v24
	s_xor_b64 s[4:5], s[4:5], -1
	s_and_b64 s[4:5], s[4:5], exec
	s_or_b64 s[10:11], s[10:11], s[4:5]
.LBB37_43:
	s_or_b64 exec, exec, s[12:13]
	v_mov_b32_e32 v27, s16
	s_and_saveexec_b64 s[4:5], s[10:11]
	s_cbranch_execz .LBB37_45
; %bb.44:
	ds_read_u8 v24, v22 offset:8
	s_waitcnt lgkmcnt(0)
	v_xor_b32_e32 v27, 1, v24
.LBB37_45:
	s_or_b64 exec, exec, s[4:5]
	v_bfe_u32 v24, v3, 3, 1
	v_lshl_add_u32 v23, v23, 3, v13
	v_cmp_eq_u32_e64 s[4:5], v27, v24
	s_and_saveexec_b64 s[10:11], s[4:5]
	s_cbranch_execz .LBB37_47
; %bb.46:
	ds_read2_b64 v[28:31], v23 offset1:8
	ds_read_u8 v27, v22 offset:8
	ds_read_u8 v32, v22
	ds_write_b16 v21, v26
	ds_write_b16 v21, v25 offset:16
	s_waitcnt lgkmcnt(4)
	ds_write2_b64 v23, v[30:31], v[28:29] offset1:8
	s_waitcnt lgkmcnt(4)
	ds_write_b8 v22, v27
	s_waitcnt lgkmcnt(4)
	ds_write_b8 v22, v32 offset:8
.LBB37_47:
	s_or_b64 exec, exec, s[10:11]
	s_waitcnt lgkmcnt(0)
	s_barrier
	ds_read_u16 v25, v18
	ds_read_u16 v26, v18 offset:8
                                        ; implicit-def: $sgpr16
	s_waitcnt lgkmcnt(0)
	v_cmp_le_i16_e64 s[10:11], v25, v26
	v_cmp_gt_i16_e64 s[4:5], v25, v26
	s_and_saveexec_b64 s[12:13], s[4:5]
	s_cbranch_execnz .LBB37_96
; %bb.48:
	s_or_b64 exec, exec, s[12:13]
	v_mov_b32_e32 v27, s16
	s_and_saveexec_b64 s[4:5], s[10:11]
	s_cbranch_execnz .LBB37_97
.LBB37_49:
	s_or_b64 exec, exec, s[4:5]
	v_cmp_eq_u32_e64 s[4:5], v27, v24
	s_and_saveexec_b64 s[10:11], s[4:5]
	s_cbranch_execz .LBB37_51
.LBB37_50:
	ds_read2_b64 v[28:31], v20 offset1:4
	ds_read_u8 v27, v19 offset:4
	ds_read_u8 v32, v19
	ds_write_b16 v18, v26
	ds_write_b16 v18, v25 offset:8
	s_waitcnt lgkmcnt(4)
	ds_write2_b64 v20, v[30:31], v[28:29] offset1:4
	s_waitcnt lgkmcnt(4)
	ds_write_b8 v19, v27
	s_waitcnt lgkmcnt(4)
	ds_write_b8 v19, v32 offset:4
.LBB37_51:
	s_or_b64 exec, exec, s[10:11]
	s_waitcnt lgkmcnt(0)
	s_barrier
	ds_read_u16 v25, v11
	ds_read_u16 v26, v11 offset:4
                                        ; implicit-def: $sgpr16
	s_waitcnt lgkmcnt(0)
	v_cmp_le_i16_e64 s[10:11], v25, v26
	v_cmp_gt_i16_e64 s[4:5], v25, v26
	s_and_saveexec_b64 s[12:13], s[4:5]
	s_cbranch_execnz .LBB37_98
; %bb.52:
	s_or_b64 exec, exec, s[12:13]
	v_mov_b32_e32 v27, s16
	s_and_saveexec_b64 s[4:5], s[10:11]
	s_cbranch_execnz .LBB37_99
.LBB37_53:
	s_or_b64 exec, exec, s[4:5]
	v_cmp_eq_u32_e64 s[4:5], v27, v24
	s_and_saveexec_b64 s[10:11], s[4:5]
	s_cbranch_execz .LBB37_55
.LBB37_54:
	ds_read2_b64 v[28:31], v14 offset1:2
	ds_read_u8 v27, v12 offset:2
	ds_read_u8 v32, v12
	ds_write_b16 v11, v26
	ds_write_b16 v11, v25 offset:4
	s_waitcnt lgkmcnt(4)
	ds_write2_b64 v14, v[30:31], v[28:29] offset1:2
	s_waitcnt lgkmcnt(4)
	ds_write_b8 v12, v27
	s_waitcnt lgkmcnt(4)
	ds_write_b8 v12, v32 offset:2
.LBB37_55:
	s_or_b64 exec, exec, s[10:11]
	s_waitcnt lgkmcnt(0)
	s_barrier
	ds_read_b32 v25, v1
                                        ; implicit-def: $sgpr16
	s_waitcnt lgkmcnt(0)
	v_cmp_le_i16_sdwa s[10:11], v25, v25 src0_sel:DWORD src1_sel:WORD_1
	v_cmp_gt_i16_sdwa s[4:5], v25, v25 src0_sel:DWORD src1_sel:WORD_1
	s_and_saveexec_b64 s[12:13], s[4:5]
	s_cbranch_execnz .LBB37_100
; %bb.56:
	s_or_b64 exec, exec, s[12:13]
	v_mov_b32_e32 v26, s16
	s_and_saveexec_b64 s[4:5], s[10:11]
	s_cbranch_execnz .LBB37_101
.LBB37_57:
	s_or_b64 exec, exec, s[4:5]
	v_cmp_eq_u32_e64 s[4:5], v26, v24
	s_and_saveexec_b64 s[10:11], s[4:5]
	s_cbranch_execz .LBB37_59
.LBB37_58:
	v_add_u32_e32 v30, v8, v10
	ds_read_b128 v[26:29], v30
	ds_read_u16 v31, v0
	v_alignbit_b32 v24, v25, v25, 16
	ds_write_b32 v1, v24
	s_mov_b32 s4, 0xc0c0001
	s_waitcnt lgkmcnt(2)
	v_mov_b32_e32 v24, v28
	v_mov_b32_e32 v25, v29
	ds_write_b128 v30, v[24:27]
	s_waitcnt lgkmcnt(2)
	v_perm_b32 v24, 0, v31, s4
	ds_write_b16 v0, v24
.LBB37_59:
	s_or_b64 exec, exec, s[10:11]
	v_and_b32_e32 v24, 15, v3
	v_sub_u32_e32 v25, v17, v24
	v_lshl_add_u32 v16, v25, 1, v16
	s_waitcnt lgkmcnt(0)
	s_barrier
	ds_read_u16 v17, v16
	ds_read_u16 v24, v16 offset:32
	v_add_u32_e32 v15, v15, v25
	s_waitcnt lgkmcnt(0)
	v_cmp_le_i16_e64 s[12:13], v17, v24
	v_cmp_gt_i16_e64 s[4:5], v17, v24
	s_and_saveexec_b64 s[10:11], s[4:5]
	s_cbranch_execz .LBB37_61
; %bb.60:
	ds_read_u8 v26, v15
	s_andn2_b64 s[12:13], s[12:13], exec
	s_waitcnt lgkmcnt(0)
	v_and_b32_e32 v26, 1, v26
	v_cmp_eq_u32_e64 s[4:5], 1, v26
	s_xor_b64 s[4:5], s[4:5], -1
	s_and_b64 s[4:5], s[4:5], exec
	s_or_b64 s[12:13], s[12:13], s[4:5]
.LBB37_61:
	s_or_b64 exec, exec, s[10:11]
	s_and_saveexec_b64 s[10:11], s[12:13]
	s_cbranch_execz .LBB37_64
; %bb.62:
	ds_read_u8 v26, v15 offset:16
	s_waitcnt lgkmcnt(0)
	v_cmp_ne_u16_e64 s[4:5], 0, v26
	s_and_b64 exec, exec, s[4:5]
	s_cbranch_execz .LBB37_64
; %bb.63:
	v_lshl_add_u32 v13, v25, 3, v13
	ds_read2_b64 v[28:31], v13 offset1:16
	ds_read_u8 v25, v15
	ds_write_b16 v16, v24
	ds_write_b16 v16, v17 offset:32
	ds_write_b8 v15, v26
	s_waitcnt lgkmcnt(4)
	ds_write2_b64 v13, v[30:31], v[28:29] offset1:16
	s_waitcnt lgkmcnt(4)
	ds_write_b8 v15, v25 offset:16
.LBB37_64:
	s_or_b64 exec, exec, s[10:11]
	s_waitcnt lgkmcnt(0)
	s_barrier
	ds_read_u16 v13, v21
	ds_read_u16 v15, v21 offset:16
	s_waitcnt lgkmcnt(0)
	v_cmp_le_i16_e64 s[12:13], v13, v15
	v_cmp_gt_i16_e64 s[4:5], v13, v15
	s_and_saveexec_b64 s[10:11], s[4:5]
	s_cbranch_execz .LBB37_66
; %bb.65:
	ds_read_u8 v16, v22
	s_andn2_b64 s[12:13], s[12:13], exec
	s_waitcnt lgkmcnt(0)
	v_and_b32_e32 v16, 1, v16
	v_cmp_eq_u32_e64 s[4:5], 1, v16
	s_xor_b64 s[4:5], s[4:5], -1
	s_and_b64 s[4:5], s[4:5], exec
	s_or_b64 s[12:13], s[12:13], s[4:5]
.LBB37_66:
	s_or_b64 exec, exec, s[10:11]
	s_and_saveexec_b64 s[10:11], s[12:13]
	s_cbranch_execz .LBB37_69
; %bb.67:
	ds_read_u8 v16, v22 offset:8
	s_waitcnt lgkmcnt(0)
	v_cmp_ne_u16_e64 s[4:5], 0, v16
	s_and_b64 exec, exec, s[4:5]
	s_cbranch_execz .LBB37_69
; %bb.68:
	ds_read2_b64 v[24:27], v23 offset1:8
	ds_read_u8 v17, v22
	ds_write_b16 v21, v15
	ds_write_b16 v21, v13 offset:16
	ds_write_b8 v22, v16
	s_waitcnt lgkmcnt(4)
	ds_write2_b64 v23, v[26:27], v[24:25] offset1:8
	s_waitcnt lgkmcnt(4)
	ds_write_b8 v22, v17 offset:8
.LBB37_69:
	s_or_b64 exec, exec, s[10:11]
	s_waitcnt lgkmcnt(0)
	s_barrier
	ds_read_u16 v13, v18
	ds_read_u16 v15, v18 offset:8
	s_waitcnt lgkmcnt(0)
	v_cmp_le_i16_e64 s[12:13], v13, v15
	v_cmp_gt_i16_e64 s[4:5], v13, v15
	s_and_saveexec_b64 s[10:11], s[4:5]
	s_cbranch_execz .LBB37_71
; %bb.70:
	ds_read_u8 v16, v19
	s_andn2_b64 s[12:13], s[12:13], exec
	s_waitcnt lgkmcnt(0)
	v_and_b32_e32 v16, 1, v16
	v_cmp_eq_u32_e64 s[4:5], 1, v16
	s_xor_b64 s[4:5], s[4:5], -1
	s_and_b64 s[4:5], s[4:5], exec
	s_or_b64 s[12:13], s[12:13], s[4:5]
.LBB37_71:
	s_or_b64 exec, exec, s[10:11]
	s_and_saveexec_b64 s[10:11], s[12:13]
	s_cbranch_execz .LBB37_74
; %bb.72:
	ds_read_u8 v16, v19 offset:4
	s_waitcnt lgkmcnt(0)
	v_cmp_ne_u16_e64 s[4:5], 0, v16
	s_and_b64 exec, exec, s[4:5]
	s_cbranch_execz .LBB37_74
; %bb.73:
	ds_read2_b64 v[22:25], v20 offset1:4
	ds_read_u8 v17, v19
	ds_write_b16 v18, v15
	ds_write_b16 v18, v13 offset:8
	ds_write_b8 v19, v16
	s_waitcnt lgkmcnt(4)
	ds_write2_b64 v20, v[24:25], v[22:23] offset1:4
	s_waitcnt lgkmcnt(4)
	ds_write_b8 v19, v17 offset:4
.LBB37_74:
	;; [unrolled: 40-line block ×3, first 2 shown]
	s_or_b64 exec, exec, s[10:11]
	s_waitcnt lgkmcnt(0)
	s_barrier
	ds_read_b32 v11, v1
	s_waitcnt lgkmcnt(0)
	v_cmp_le_i16_sdwa s[12:13], v11, v11 src0_sel:DWORD src1_sel:WORD_1
	v_cmp_gt_i16_sdwa s[4:5], v11, v11 src0_sel:DWORD src1_sel:WORD_1
	s_and_saveexec_b64 s[10:11], s[4:5]
	s_cbranch_execz .LBB37_81
; %bb.80:
	ds_read_u8 v12, v0
	s_andn2_b64 s[12:13], s[12:13], exec
	s_waitcnt lgkmcnt(0)
	v_and_b32_e32 v12, 1, v12
	v_cmp_eq_u32_e64 s[4:5], 1, v12
	s_xor_b64 s[4:5], s[4:5], -1
	s_and_b64 s[4:5], s[4:5], exec
	s_or_b64 s[12:13], s[12:13], s[4:5]
.LBB37_81:
	s_or_b64 exec, exec, s[10:11]
	s_and_saveexec_b64 s[10:11], s[12:13]
	s_cbranch_execz .LBB37_84
; %bb.82:
	ds_read_u8 v12, v0 offset:1
	s_waitcnt lgkmcnt(0)
	v_cmp_ne_u16_e64 s[4:5], 0, v12
	s_and_b64 exec, exec, s[4:5]
	s_cbranch_execz .LBB37_84
; %bb.83:
	v_add_u32_e32 v10, v8, v10
	v_alignbit_b32 v11, v11, v11, 16
	ds_read_b128 v[14:17], v10
	ds_write_b32 v1, v11
	ds_read_u8 v1, v0
	s_waitcnt lgkmcnt(2)
	v_mov_b32_e32 v18, v14
	v_mov_b32_e32 v19, v15
	s_waitcnt lgkmcnt(0)
	v_lshlrev_b16_e32 v1, 8, v1
	v_or_b32_e32 v1, v12, v1
	ds_write_b128 v10, v[16:19]
	ds_write_b16 v0, v1
.LBB37_84:
	s_or_b64 exec, exec, s[10:11]
	s_waitcnt lgkmcnt(0)
	s_barrier
	s_and_saveexec_b64 s[4:5], vcc
	s_cbranch_execz .LBB37_89
; %bb.85:
	s_and_saveexec_b64 s[4:5], s[0:1]
	s_cbranch_execz .LBB37_87
; %bb.86:
	ds_read_u16 v12, v9
	v_mad_u64_u32 v[0:1], s[0:1], v3, s14, v[4:5]
	v_mov_b32_e32 v1, 0
	v_lshlrev_b64 v[10:11], 1, v[0:1]
	v_mov_b32_e32 v0, s9
	v_add_co_u32_e32 v10, vcc, s8, v10
	v_addc_co_u32_e32 v11, vcc, v0, v11, vcc
	ds_read_b64 v[8:9], v8
	s_waitcnt lgkmcnt(1)
	global_store_short v[10:11], v12, off
	v_mad_u64_u32 v[10:11], s[0:1], v3, s15, v[2:3]
	v_mov_b32_e32 v11, v1
	v_lshlrev_b64 v[0:1], 3, v[10:11]
	v_mov_b32_e32 v3, s7
	v_add_co_u32_e32 v0, vcc, s6, v0
	v_addc_co_u32_e32 v1, vcc, v3, v1, vcc
	s_waitcnt lgkmcnt(0)
	global_store_dwordx2 v[0:1], v[8:9], off
.LBB37_87:
	s_or_b64 exec, exec, s[4:5]
	s_and_b64 exec, exec, s[2:3]
	s_cbranch_execz .LBB37_89
; %bb.88:
	ds_read_u16 v3, v7
	v_mad_u64_u32 v[0:1], s[0:1], v5, s14, v[4:5]
	v_mov_b32_e32 v1, 0
	v_lshlrev_b64 v[8:9], 1, v[0:1]
	v_mov_b32_e32 v0, s9
	v_add_co_u32_e32 v8, vcc, s8, v8
	v_addc_co_u32_e32 v9, vcc, v0, v9, vcc
	ds_read_b64 v[6:7], v6
	s_waitcnt lgkmcnt(1)
	global_store_short v[8:9], v3, off
	v_mad_u64_u32 v[2:3], s[0:1], v5, s15, v[2:3]
	v_mov_b32_e32 v3, v1
	v_lshlrev_b64 v[0:1], 3, v[2:3]
	v_mov_b32_e32 v2, s7
	v_add_co_u32_e32 v0, vcc, s6, v0
	v_addc_co_u32_e32 v1, vcc, v2, v1, vcc
	s_waitcnt lgkmcnt(0)
	global_store_dwordx2 v[0:1], v[6:7], off
.LBB37_89:
	s_endpgm
.LBB37_90:
	ds_read_u8 v20, v0
	s_andn2_b64 s[10:11], s[10:11], exec
	s_mov_b32 s16, 1
	s_waitcnt lgkmcnt(0)
	v_and_b32_e32 v20, 1, v20
	v_cmp_eq_u32_e64 s[4:5], 1, v20
	s_xor_b64 s[4:5], s[4:5], -1
	s_and_b64 s[4:5], s[4:5], exec
	s_or_b64 s[10:11], s[10:11], s[4:5]
	s_or_b64 exec, exec, s[12:13]
	v_mov_b32_e32 v20, s16
	s_and_saveexec_b64 s[4:5], s[10:11]
	s_cbranch_execz .LBB37_25
.LBB37_91:
	ds_read_u8 v20, v0 offset:1
	s_waitcnt lgkmcnt(0)
	v_xor_b32_e32 v20, 1, v20
	s_or_b64 exec, exec, s[4:5]
	v_cmp_eq_u32_e64 s[4:5], v20, v18
	s_and_saveexec_b64 s[10:11], s[4:5]
	s_cbranch_execnz .LBB37_26
	s_branch .LBB37_27
.LBB37_92:
	ds_read_u8 v24, v12
	s_andn2_b64 s[10:11], s[10:11], exec
	s_mov_b32 s16, 1
	s_waitcnt lgkmcnt(0)
	v_and_b32_e32 v24, 1, v24
	v_cmp_eq_u32_e64 s[4:5], 1, v24
	s_xor_b64 s[4:5], s[4:5], -1
	s_and_b64 s[4:5], s[4:5], exec
	s_or_b64 s[10:11], s[10:11], s[4:5]
	s_or_b64 exec, exec, s[12:13]
	v_mov_b32_e32 v24, s16
	s_and_saveexec_b64 s[4:5], s[10:11]
	s_cbranch_execz .LBB37_35
.LBB37_93:
	ds_read_u8 v24, v12 offset:2
	s_waitcnt lgkmcnt(0)
	v_xor_b32_e32 v24, 1, v24
	s_or_b64 exec, exec, s[4:5]
	v_cmp_eq_u32_e64 s[4:5], v24, v21
	s_and_saveexec_b64 s[10:11], s[4:5]
	s_cbranch_execnz .LBB37_36
	s_branch .LBB37_37
.LBB37_94:
	ds_read_u8 v23, v0
	s_andn2_b64 s[10:11], s[10:11], exec
	s_mov_b32 s16, 1
	s_waitcnt lgkmcnt(0)
	v_and_b32_e32 v23, 1, v23
	v_cmp_eq_u32_e64 s[4:5], 1, v23
	s_xor_b64 s[4:5], s[4:5], -1
	s_and_b64 s[4:5], s[4:5], exec
	s_or_b64 s[10:11], s[10:11], s[4:5]
	s_or_b64 exec, exec, s[12:13]
	v_mov_b32_e32 v23, s16
	s_and_saveexec_b64 s[4:5], s[10:11]
	s_cbranch_execz .LBB37_39
.LBB37_95:
	ds_read_u8 v23, v0 offset:1
	s_waitcnt lgkmcnt(0)
	v_xor_b32_e32 v23, 1, v23
	s_or_b64 exec, exec, s[4:5]
	v_cmp_eq_u32_e64 s[4:5], v23, v21
	s_and_saveexec_b64 s[10:11], s[4:5]
	s_cbranch_execnz .LBB37_40
	s_branch .LBB37_41
.LBB37_96:
	ds_read_u8 v27, v19
	s_andn2_b64 s[10:11], s[10:11], exec
	s_mov_b32 s16, 1
	s_waitcnt lgkmcnt(0)
	v_and_b32_e32 v27, 1, v27
	v_cmp_eq_u32_e64 s[4:5], 1, v27
	s_xor_b64 s[4:5], s[4:5], -1
	s_and_b64 s[4:5], s[4:5], exec
	s_or_b64 s[10:11], s[10:11], s[4:5]
	s_or_b64 exec, exec, s[12:13]
	v_mov_b32_e32 v27, s16
	s_and_saveexec_b64 s[4:5], s[10:11]
	s_cbranch_execz .LBB37_49
.LBB37_97:
	ds_read_u8 v27, v19 offset:4
	s_waitcnt lgkmcnt(0)
	v_xor_b32_e32 v27, 1, v27
	s_or_b64 exec, exec, s[4:5]
	v_cmp_eq_u32_e64 s[4:5], v27, v24
	s_and_saveexec_b64 s[10:11], s[4:5]
	s_cbranch_execnz .LBB37_50
	s_branch .LBB37_51
.LBB37_98:
	ds_read_u8 v27, v12
	s_andn2_b64 s[10:11], s[10:11], exec
	s_mov_b32 s16, 1
	s_waitcnt lgkmcnt(0)
	v_and_b32_e32 v27, 1, v27
	v_cmp_eq_u32_e64 s[4:5], 1, v27
	s_xor_b64 s[4:5], s[4:5], -1
	s_and_b64 s[4:5], s[4:5], exec
	s_or_b64 s[10:11], s[10:11], s[4:5]
	s_or_b64 exec, exec, s[12:13]
	v_mov_b32_e32 v27, s16
	s_and_saveexec_b64 s[4:5], s[10:11]
	s_cbranch_execz .LBB37_53
.LBB37_99:
	ds_read_u8 v27, v12 offset:2
	s_waitcnt lgkmcnt(0)
	v_xor_b32_e32 v27, 1, v27
	s_or_b64 exec, exec, s[4:5]
	v_cmp_eq_u32_e64 s[4:5], v27, v24
	s_and_saveexec_b64 s[10:11], s[4:5]
	s_cbranch_execnz .LBB37_54
	s_branch .LBB37_55
.LBB37_100:
	ds_read_u8 v26, v0
	s_andn2_b64 s[10:11], s[10:11], exec
	s_mov_b32 s16, 1
	s_waitcnt lgkmcnt(0)
	v_and_b32_e32 v26, 1, v26
	v_cmp_eq_u32_e64 s[4:5], 1, v26
	s_xor_b64 s[4:5], s[4:5], -1
	s_and_b64 s[4:5], s[4:5], exec
	s_or_b64 s[10:11], s[10:11], s[4:5]
	s_or_b64 exec, exec, s[12:13]
	v_mov_b32_e32 v26, s16
	s_and_saveexec_b64 s[4:5], s[10:11]
	s_cbranch_execz .LBB37_57
.LBB37_101:
	ds_read_u8 v26, v0 offset:1
	s_waitcnt lgkmcnt(0)
	v_xor_b32_e32 v26, 1, v26
	s_or_b64 exec, exec, s[4:5]
	v_cmp_eq_u32_e64 s[4:5], v26, v24
	s_and_saveexec_b64 s[10:11], s[4:5]
	s_cbranch_execnz .LBB37_58
	s_branch .LBB37_59
	.section	.rodata,"a",@progbits
	.p2align	6, 0x0
	.amdhsa_kernel _ZN2at6native20bitonicSortKVInPlaceILin1ELin1ELi16ELi16EslNS0_4GTOpIsLb1EEEjEEvNS_4cuda6detail10TensorInfoIT3_T6_EES8_S8_S8_NS6_IT4_S8_EES8_T5_
		.amdhsa_group_segment_fixed_size 5632
		.amdhsa_private_segment_fixed_size 0
		.amdhsa_kernarg_size 712
		.amdhsa_user_sgpr_count 6
		.amdhsa_user_sgpr_private_segment_buffer 1
		.amdhsa_user_sgpr_dispatch_ptr 0
		.amdhsa_user_sgpr_queue_ptr 0
		.amdhsa_user_sgpr_kernarg_segment_ptr 1
		.amdhsa_user_sgpr_dispatch_id 0
		.amdhsa_user_sgpr_flat_scratch_init 0
		.amdhsa_user_sgpr_kernarg_preload_length 0
		.amdhsa_user_sgpr_kernarg_preload_offset 0
		.amdhsa_user_sgpr_private_segment_size 0
		.amdhsa_uses_dynamic_stack 0
		.amdhsa_system_sgpr_private_segment_wavefront_offset 0
		.amdhsa_system_sgpr_workgroup_id_x 1
		.amdhsa_system_sgpr_workgroup_id_y 1
		.amdhsa_system_sgpr_workgroup_id_z 1
		.amdhsa_system_sgpr_workgroup_info 0
		.amdhsa_system_vgpr_workitem_id 1
		.amdhsa_next_free_vgpr 33
		.amdhsa_next_free_sgpr 17
		.amdhsa_accum_offset 36
		.amdhsa_reserve_vcc 1
		.amdhsa_reserve_flat_scratch 0
		.amdhsa_float_round_mode_32 0
		.amdhsa_float_round_mode_16_64 0
		.amdhsa_float_denorm_mode_32 3
		.amdhsa_float_denorm_mode_16_64 3
		.amdhsa_dx10_clamp 1
		.amdhsa_ieee_mode 1
		.amdhsa_fp16_overflow 0
		.amdhsa_tg_split 0
		.amdhsa_exception_fp_ieee_invalid_op 0
		.amdhsa_exception_fp_denorm_src 0
		.amdhsa_exception_fp_ieee_div_zero 0
		.amdhsa_exception_fp_ieee_overflow 0
		.amdhsa_exception_fp_ieee_underflow 0
		.amdhsa_exception_fp_ieee_inexact 0
		.amdhsa_exception_int_div_zero 0
	.end_amdhsa_kernel
	.section	.text._ZN2at6native20bitonicSortKVInPlaceILin1ELin1ELi16ELi16EslNS0_4GTOpIsLb1EEEjEEvNS_4cuda6detail10TensorInfoIT3_T6_EES8_S8_S8_NS6_IT4_S8_EES8_T5_,"axG",@progbits,_ZN2at6native20bitonicSortKVInPlaceILin1ELin1ELi16ELi16EslNS0_4GTOpIsLb1EEEjEEvNS_4cuda6detail10TensorInfoIT3_T6_EES8_S8_S8_NS6_IT4_S8_EES8_T5_,comdat
.Lfunc_end37:
	.size	_ZN2at6native20bitonicSortKVInPlaceILin1ELin1ELi16ELi16EslNS0_4GTOpIsLb1EEEjEEvNS_4cuda6detail10TensorInfoIT3_T6_EES8_S8_S8_NS6_IT4_S8_EES8_T5_, .Lfunc_end37-_ZN2at6native20bitonicSortKVInPlaceILin1ELin1ELi16ELi16EslNS0_4GTOpIsLb1EEEjEEvNS_4cuda6detail10TensorInfoIT3_T6_EES8_S8_S8_NS6_IT4_S8_EES8_T5_
                                        ; -- End function
	.section	.AMDGPU.csdata,"",@progbits
; Kernel info:
; codeLenInByte = 4976
; NumSgprs: 21
; NumVgprs: 33
; NumAgprs: 0
; TotalNumVgprs: 33
; ScratchSize: 0
; MemoryBound: 0
; FloatMode: 240
; IeeeMode: 1
; LDSByteSize: 5632 bytes/workgroup (compile time only)
; SGPRBlocks: 2
; VGPRBlocks: 4
; NumSGPRsForWavesPerEU: 21
; NumVGPRsForWavesPerEU: 33
; AccumOffset: 36
; Occupancy: 8
; WaveLimiterHint : 1
; COMPUTE_PGM_RSRC2:SCRATCH_EN: 0
; COMPUTE_PGM_RSRC2:USER_SGPR: 6
; COMPUTE_PGM_RSRC2:TRAP_HANDLER: 0
; COMPUTE_PGM_RSRC2:TGID_X_EN: 1
; COMPUTE_PGM_RSRC2:TGID_Y_EN: 1
; COMPUTE_PGM_RSRC2:TGID_Z_EN: 1
; COMPUTE_PGM_RSRC2:TIDIG_COMP_CNT: 1
; COMPUTE_PGM_RSRC3_GFX90A:ACCUM_OFFSET: 8
; COMPUTE_PGM_RSRC3_GFX90A:TG_SPLIT: 0
	.section	.text._ZN2at6native20bitonicSortKVInPlaceILin1ELin1ELi16ELi16EslNS0_4LTOpIsLb1EEEmEEvNS_4cuda6detail10TensorInfoIT3_T6_EES8_S8_S8_NS6_IT4_S8_EES8_T5_,"axG",@progbits,_ZN2at6native20bitonicSortKVInPlaceILin1ELin1ELi16ELi16EslNS0_4LTOpIsLb1EEEmEEvNS_4cuda6detail10TensorInfoIT3_T6_EES8_S8_S8_NS6_IT4_S8_EES8_T5_,comdat
	.protected	_ZN2at6native20bitonicSortKVInPlaceILin1ELin1ELi16ELi16EslNS0_4LTOpIsLb1EEEmEEvNS_4cuda6detail10TensorInfoIT3_T6_EES8_S8_S8_NS6_IT4_S8_EES8_T5_ ; -- Begin function _ZN2at6native20bitonicSortKVInPlaceILin1ELin1ELi16ELi16EslNS0_4LTOpIsLb1EEEmEEvNS_4cuda6detail10TensorInfoIT3_T6_EES8_S8_S8_NS6_IT4_S8_EES8_T5_
	.globl	_ZN2at6native20bitonicSortKVInPlaceILin1ELin1ELi16ELi16EslNS0_4LTOpIsLb1EEEmEEvNS_4cuda6detail10TensorInfoIT3_T6_EES8_S8_S8_NS6_IT4_S8_EES8_T5_
	.p2align	8
	.type	_ZN2at6native20bitonicSortKVInPlaceILin1ELin1ELi16ELi16EslNS0_4LTOpIsLb1EEEmEEvNS_4cuda6detail10TensorInfoIT3_T6_EES8_S8_S8_NS6_IT4_S8_EES8_T5_,@function
_ZN2at6native20bitonicSortKVInPlaceILin1ELin1ELi16ELi16EslNS0_4LTOpIsLb1EEEmEEvNS_4cuda6detail10TensorInfoIT3_T6_EES8_S8_S8_NS6_IT4_S8_EES8_T5_: ; @_ZN2at6native20bitonicSortKVInPlaceILin1ELin1ELi16ELi16EslNS0_4LTOpIsLb1EEEmEEvNS_4cuda6detail10TensorInfoIT3_T6_EES8_S8_S8_NS6_IT4_S8_EES8_T5_
; %bb.0:
	s_load_dwordx2 s[0:1], s[4:5], 0x368
	s_load_dwordx4 s[12:15], s[4:5], 0x1a0
	s_load_dword s9, s[4:5], 0x374
	s_add_u32 s2, s4, 0x368
	s_addc_u32 s3, s5, 0
	s_waitcnt lgkmcnt(0)
	s_mul_i32 s1, s1, s8
	s_add_i32 s1, s1, s7
	s_mul_i32 s0, s1, s0
	s_add_i32 s0, s0, s6
	s_lshr_b32 s6, s9, 16
	s_mul_hi_u32 s1, s0, s6
	s_mul_i32 s0, s0, s6
	v_pk_mov_b32 v[2:3], s[12:13], s[12:13] op_sel:[0,1]
	v_cmp_ge_u64_e32 vcc, s[0:1], v[2:3]
	s_cbranch_vccnz .LBB38_99
; %bb.1:
	v_mov_b32_e32 v1, s1
	s_load_dwordx2 s[6:7], s[4:5], 0x1b0
	s_load_dword s1, s[4:5], 0x198
	v_bfe_u32 v16, v0, 10, 10
	v_add_co_u32_e32 v4, vcc, s0, v16
	v_addc_co_u32_e32 v5, vcc, 0, v1, vcc
	v_mov_b32_e32 v8, 0
	s_waitcnt lgkmcnt(0)
	s_cmp_lt_i32 s1, 2
	v_pk_mov_b32 v[2:3], 0, 0
	v_pk_mov_b32 v[6:7], v[4:5], v[4:5] op_sel:[0,1]
	s_cbranch_scc1 .LBB38_9
; %bb.2:
	s_add_i32 s18, s1, 1
	s_add_i32 s0, s1, -1
	s_mov_b32 s1, 0
	s_lshl_b64 s[0:1], s[0:1], 3
	s_add_u32 s0, s0, s4
	s_addc_u32 s1, s1, s5
	s_add_u32 s8, s0, 8
	s_addc_u32 s9, s1, 0
	v_pk_mov_b32 v[2:3], 0, 0
	v_pk_mov_b32 v[10:11], v[4:5], v[4:5] op_sel:[0,1]
.LBB38_3:                               ; =>This Inner Loop Header: Depth=1
	s_load_dwordx2 s[10:11], s[8:9], 0x0
                                        ; implicit-def: $vgpr6_vgpr7
	s_waitcnt lgkmcnt(0)
	v_or_b32_e32 v9, s11, v11
	v_cmp_ne_u64_e32 vcc, 0, v[8:9]
	s_and_saveexec_b64 s[0:1], vcc
	s_xor_b64 s[16:17], exec, s[0:1]
	s_cbranch_execz .LBB38_5
; %bb.4:                                ;   in Loop: Header=BB38_3 Depth=1
	v_cvt_f32_u32_e32 v1, s10
	v_cvt_f32_u32_e32 v6, s11
	s_sub_u32 s0, 0, s10
	s_subb_u32 s1, 0, s11
	v_mac_f32_e32 v1, 0x4f800000, v6
	v_rcp_f32_e32 v1, v1
	v_mul_f32_e32 v1, 0x5f7ffffc, v1
	v_mul_f32_e32 v6, 0x2f800000, v1
	v_trunc_f32_e32 v6, v6
	v_mac_f32_e32 v1, 0xcf800000, v6
	v_cvt_u32_f32_e32 v6, v6
	v_cvt_u32_f32_e32 v1, v1
	v_mul_lo_u32 v7, s0, v6
	v_mul_hi_u32 v12, s0, v1
	v_mul_lo_u32 v9, s1, v1
	v_add_u32_e32 v7, v12, v7
	v_mul_lo_u32 v13, s0, v1
	v_add_u32_e32 v7, v7, v9
	v_mul_hi_u32 v12, v1, v13
	v_mul_lo_u32 v14, v1, v7
	v_mul_hi_u32 v9, v1, v7
	v_add_co_u32_e32 v12, vcc, v12, v14
	v_addc_co_u32_e32 v9, vcc, 0, v9, vcc
	v_mul_hi_u32 v15, v6, v13
	v_mul_lo_u32 v13, v6, v13
	v_add_co_u32_e32 v12, vcc, v12, v13
	v_mul_hi_u32 v14, v6, v7
	v_addc_co_u32_e32 v9, vcc, v9, v15, vcc
	v_addc_co_u32_e32 v12, vcc, 0, v14, vcc
	v_mul_lo_u32 v7, v6, v7
	v_add_co_u32_e32 v7, vcc, v9, v7
	v_addc_co_u32_e32 v9, vcc, 0, v12, vcc
	v_add_co_u32_e32 v1, vcc, v1, v7
	v_addc_co_u32_e32 v6, vcc, v6, v9, vcc
	v_mul_lo_u32 v7, s0, v6
	v_mul_hi_u32 v9, s0, v1
	v_add_u32_e32 v7, v9, v7
	v_mul_lo_u32 v9, s1, v1
	v_add_u32_e32 v7, v7, v9
	v_mul_lo_u32 v12, s0, v1
	v_mul_hi_u32 v13, v6, v12
	v_mul_lo_u32 v14, v6, v12
	v_mul_lo_u32 v17, v1, v7
	v_mul_hi_u32 v12, v1, v12
	v_mul_hi_u32 v15, v1, v7
	v_add_co_u32_e32 v12, vcc, v12, v17
	v_addc_co_u32_e32 v15, vcc, 0, v15, vcc
	v_add_co_u32_e32 v12, vcc, v12, v14
	v_mul_hi_u32 v9, v6, v7
	v_addc_co_u32_e32 v12, vcc, v15, v13, vcc
	v_addc_co_u32_e32 v9, vcc, 0, v9, vcc
	v_mul_lo_u32 v7, v6, v7
	v_add_co_u32_e32 v7, vcc, v12, v7
	v_addc_co_u32_e32 v9, vcc, 0, v9, vcc
	v_add_co_u32_e32 v1, vcc, v1, v7
	v_addc_co_u32_e32 v9, vcc, v6, v9, vcc
	v_mad_u64_u32 v[6:7], s[0:1], v10, v9, 0
	v_mul_hi_u32 v12, v10, v1
	v_add_co_u32_e32 v14, vcc, v12, v6
	v_addc_co_u32_e32 v15, vcc, 0, v7, vcc
	v_mad_u64_u32 v[12:13], s[0:1], v11, v1, 0
	v_add_co_u32_e32 v1, vcc, v14, v12
	v_mad_u64_u32 v[6:7], s[0:1], v11, v9, 0
	v_addc_co_u32_e32 v1, vcc, v15, v13, vcc
	v_addc_co_u32_e32 v7, vcc, 0, v7, vcc
	v_add_co_u32_e32 v1, vcc, v1, v6
	v_addc_co_u32_e32 v9, vcc, 0, v7, vcc
	v_mul_lo_u32 v12, s11, v1
	v_mul_lo_u32 v13, s10, v9
	v_mad_u64_u32 v[6:7], s[0:1], s10, v1, 0
	v_add3_u32 v7, v7, v13, v12
	v_sub_u32_e32 v12, v11, v7
	v_mov_b32_e32 v13, s11
	v_sub_co_u32_e32 v6, vcc, v10, v6
	v_subb_co_u32_e64 v12, s[0:1], v12, v13, vcc
	v_subrev_co_u32_e64 v13, s[0:1], s10, v6
	v_subbrev_co_u32_e64 v12, s[0:1], 0, v12, s[0:1]
	v_cmp_le_u32_e64 s[0:1], s11, v12
	v_cndmask_b32_e64 v14, 0, -1, s[0:1]
	v_cmp_le_u32_e64 s[0:1], s10, v13
	v_cndmask_b32_e64 v13, 0, -1, s[0:1]
	v_cmp_eq_u32_e64 s[0:1], s11, v12
	v_cndmask_b32_e64 v12, v14, v13, s[0:1]
	v_add_co_u32_e64 v13, s[0:1], 2, v1
	v_addc_co_u32_e64 v14, s[0:1], 0, v9, s[0:1]
	v_add_co_u32_e64 v15, s[0:1], 1, v1
	v_addc_co_u32_e64 v17, s[0:1], 0, v9, s[0:1]
	v_subb_co_u32_e32 v7, vcc, v11, v7, vcc
	v_cmp_ne_u32_e64 s[0:1], 0, v12
	v_cmp_le_u32_e32 vcc, s11, v7
	v_cndmask_b32_e64 v12, v17, v14, s[0:1]
	v_cndmask_b32_e64 v14, 0, -1, vcc
	v_cmp_le_u32_e32 vcc, s10, v6
	v_cndmask_b32_e64 v6, 0, -1, vcc
	v_cmp_eq_u32_e32 vcc, s11, v7
	v_cndmask_b32_e32 v6, v14, v6, vcc
	v_cmp_ne_u32_e32 vcc, 0, v6
	v_cndmask_b32_e64 v6, v15, v13, s[0:1]
	v_cndmask_b32_e32 v7, v9, v12, vcc
	v_cndmask_b32_e32 v6, v1, v6, vcc
.LBB38_5:                               ;   in Loop: Header=BB38_3 Depth=1
	s_andn2_saveexec_b64 s[0:1], s[16:17]
	s_cbranch_execz .LBB38_7
; %bb.6:                                ;   in Loop: Header=BB38_3 Depth=1
	v_cvt_f32_u32_e32 v1, s10
	s_sub_i32 s16, 0, s10
	v_rcp_iflag_f32_e32 v1, v1
	v_mul_f32_e32 v1, 0x4f7ffffe, v1
	v_cvt_u32_f32_e32 v1, v1
	v_mul_lo_u32 v6, s16, v1
	v_mul_hi_u32 v6, v1, v6
	v_add_u32_e32 v1, v1, v6
	v_mul_hi_u32 v1, v10, v1
	v_mul_lo_u32 v6, v1, s10
	v_sub_u32_e32 v6, v10, v6
	v_add_u32_e32 v7, 1, v1
	v_subrev_u32_e32 v9, s10, v6
	v_cmp_le_u32_e32 vcc, s10, v6
	v_cndmask_b32_e32 v6, v6, v9, vcc
	v_cndmask_b32_e32 v1, v1, v7, vcc
	v_add_u32_e32 v7, 1, v1
	v_cmp_le_u32_e32 vcc, s10, v6
	v_cndmask_b32_e32 v6, v1, v7, vcc
	v_mov_b32_e32 v7, v8
.LBB38_7:                               ;   in Loop: Header=BB38_3 Depth=1
	s_or_b64 exec, exec, s[0:1]
	v_mad_u64_u32 v[12:13], s[0:1], v6, s10, 0
	s_load_dwordx2 s[0:1], s[8:9], 0xc8
	v_mul_lo_u32 v1, v7, s10
	v_mul_lo_u32 v9, v6, s11
	v_add3_u32 v1, v13, v9, v1
	v_sub_co_u32_e32 v9, vcc, v10, v12
	s_add_i32 s18, s18, -1
	v_subb_co_u32_e32 v1, vcc, v11, v1, vcc
	s_add_u32 s8, s8, -8
	s_waitcnt lgkmcnt(0)
	v_mul_lo_u32 v1, s0, v1
	v_mul_lo_u32 v10, s1, v9
	v_mad_u64_u32 v[2:3], s[0:1], s0, v9, v[2:3]
	s_addc_u32 s9, s9, -1
	s_cmp_gt_u32 s18, 2
	v_add3_u32 v3, v10, v3, v1
	s_cbranch_scc0 .LBB38_9
; %bb.8:                                ;   in Loop: Header=BB38_3 Depth=1
	v_pk_mov_b32 v[10:11], v[6:7], v[6:7] op_sel:[0,1]
	s_branch .LBB38_3
.LBB38_9:
	s_load_dword s0, s[4:5], 0x350
	s_load_dwordx2 s[8:9], s[4:5], 0xd0
	v_pk_mov_b32 v[8:9], 0, 0
	v_pk_mov_b32 v[14:15], v[4:5], v[4:5] op_sel:[0,1]
	s_waitcnt lgkmcnt(0)
	s_cmp_lt_i32 s0, 2
	s_cbranch_scc1 .LBB38_17
; %bb.10:
	s_add_i32 s20, s0, 1
	s_add_i32 s0, s0, -1
	s_mov_b32 s1, 0
	s_lshl_b64 s[0:1], s[0:1], 3
	s_add_u32 s0, s0, s4
	s_addc_u32 s1, s1, s5
	s_add_u32 s10, s0, 0x1c0
	s_addc_u32 s11, s1, 0
	v_pk_mov_b32 v[8:9], 0, 0
	v_mov_b32_e32 v10, 0
	v_pk_mov_b32 v[12:13], v[4:5], v[4:5] op_sel:[0,1]
.LBB38_11:                              ; =>This Inner Loop Header: Depth=1
	s_load_dwordx2 s[16:17], s[10:11], 0x0
                                        ; implicit-def: $vgpr14_vgpr15
	s_waitcnt lgkmcnt(0)
	v_or_b32_e32 v11, s17, v13
	v_cmp_ne_u64_e32 vcc, 0, v[10:11]
	s_and_saveexec_b64 s[0:1], vcc
	s_xor_b64 s[18:19], exec, s[0:1]
	s_cbranch_execz .LBB38_13
; %bb.12:                               ;   in Loop: Header=BB38_11 Depth=1
	v_cvt_f32_u32_e32 v1, s16
	v_cvt_f32_u32_e32 v11, s17
	s_sub_u32 s0, 0, s16
	s_subb_u32 s1, 0, s17
	v_mac_f32_e32 v1, 0x4f800000, v11
	v_rcp_f32_e32 v1, v1
	v_mul_f32_e32 v1, 0x5f7ffffc, v1
	v_mul_f32_e32 v11, 0x2f800000, v1
	v_trunc_f32_e32 v11, v11
	v_mac_f32_e32 v1, 0xcf800000, v11
	v_cvt_u32_f32_e32 v11, v11
	v_cvt_u32_f32_e32 v1, v1
	v_mul_lo_u32 v14, s0, v11
	v_mul_hi_u32 v17, s0, v1
	v_mul_lo_u32 v15, s1, v1
	v_add_u32_e32 v14, v17, v14
	v_mul_lo_u32 v18, s0, v1
	v_add_u32_e32 v14, v14, v15
	v_mul_hi_u32 v17, v1, v18
	v_mul_lo_u32 v19, v1, v14
	v_mul_hi_u32 v15, v1, v14
	v_add_co_u32_e32 v17, vcc, v17, v19
	v_addc_co_u32_e32 v15, vcc, 0, v15, vcc
	v_mul_hi_u32 v20, v11, v18
	v_mul_lo_u32 v18, v11, v18
	v_add_co_u32_e32 v17, vcc, v17, v18
	v_mul_hi_u32 v19, v11, v14
	v_addc_co_u32_e32 v15, vcc, v15, v20, vcc
	v_addc_co_u32_e32 v17, vcc, 0, v19, vcc
	v_mul_lo_u32 v14, v11, v14
	v_add_co_u32_e32 v14, vcc, v15, v14
	v_addc_co_u32_e32 v15, vcc, 0, v17, vcc
	v_add_co_u32_e32 v1, vcc, v1, v14
	v_addc_co_u32_e32 v11, vcc, v11, v15, vcc
	v_mul_lo_u32 v14, s0, v11
	v_mul_hi_u32 v15, s0, v1
	v_add_u32_e32 v14, v15, v14
	v_mul_lo_u32 v15, s1, v1
	v_add_u32_e32 v14, v14, v15
	v_mul_lo_u32 v17, s0, v1
	v_mul_hi_u32 v18, v11, v17
	v_mul_lo_u32 v19, v11, v17
	v_mul_lo_u32 v21, v1, v14
	v_mul_hi_u32 v17, v1, v17
	v_mul_hi_u32 v20, v1, v14
	v_add_co_u32_e32 v17, vcc, v17, v21
	v_addc_co_u32_e32 v20, vcc, 0, v20, vcc
	v_add_co_u32_e32 v17, vcc, v17, v19
	v_mul_hi_u32 v15, v11, v14
	v_addc_co_u32_e32 v17, vcc, v20, v18, vcc
	v_addc_co_u32_e32 v15, vcc, 0, v15, vcc
	v_mul_lo_u32 v14, v11, v14
	v_add_co_u32_e32 v14, vcc, v17, v14
	v_addc_co_u32_e32 v15, vcc, 0, v15, vcc
	v_add_co_u32_e32 v1, vcc, v1, v14
	v_addc_co_u32_e32 v11, vcc, v11, v15, vcc
	v_mad_u64_u32 v[14:15], s[0:1], v12, v11, 0
	v_mul_hi_u32 v17, v12, v1
	v_add_co_u32_e32 v17, vcc, v17, v14
	v_addc_co_u32_e32 v20, vcc, 0, v15, vcc
	v_mad_u64_u32 v[18:19], s[0:1], v13, v1, 0
	v_add_co_u32_e32 v1, vcc, v17, v18
	v_mad_u64_u32 v[14:15], s[0:1], v13, v11, 0
	v_addc_co_u32_e32 v1, vcc, v20, v19, vcc
	v_addc_co_u32_e32 v11, vcc, 0, v15, vcc
	v_add_co_u32_e32 v1, vcc, v1, v14
	v_addc_co_u32_e32 v11, vcc, 0, v11, vcc
	v_mul_lo_u32 v17, s17, v1
	v_mul_lo_u32 v18, s16, v11
	v_mad_u64_u32 v[14:15], s[0:1], s16, v1, 0
	v_add3_u32 v15, v15, v18, v17
	v_sub_u32_e32 v17, v13, v15
	v_mov_b32_e32 v18, s17
	v_sub_co_u32_e32 v14, vcc, v12, v14
	v_subb_co_u32_e64 v17, s[0:1], v17, v18, vcc
	v_subrev_co_u32_e64 v18, s[0:1], s16, v14
	v_subbrev_co_u32_e64 v17, s[0:1], 0, v17, s[0:1]
	v_cmp_le_u32_e64 s[0:1], s17, v17
	v_cndmask_b32_e64 v19, 0, -1, s[0:1]
	v_cmp_le_u32_e64 s[0:1], s16, v18
	v_cndmask_b32_e64 v18, 0, -1, s[0:1]
	v_cmp_eq_u32_e64 s[0:1], s17, v17
	v_cndmask_b32_e64 v17, v19, v18, s[0:1]
	v_add_co_u32_e64 v18, s[0:1], 2, v1
	v_addc_co_u32_e64 v19, s[0:1], 0, v11, s[0:1]
	v_add_co_u32_e64 v20, s[0:1], 1, v1
	v_addc_co_u32_e64 v21, s[0:1], 0, v11, s[0:1]
	v_subb_co_u32_e32 v15, vcc, v13, v15, vcc
	v_cmp_ne_u32_e64 s[0:1], 0, v17
	v_cmp_le_u32_e32 vcc, s17, v15
	v_cndmask_b32_e64 v17, v21, v19, s[0:1]
	v_cndmask_b32_e64 v19, 0, -1, vcc
	v_cmp_le_u32_e32 vcc, s16, v14
	v_cndmask_b32_e64 v14, 0, -1, vcc
	v_cmp_eq_u32_e32 vcc, s17, v15
	v_cndmask_b32_e32 v14, v19, v14, vcc
	v_cmp_ne_u32_e32 vcc, 0, v14
	v_cndmask_b32_e32 v15, v11, v17, vcc
	v_cndmask_b32_e64 v11, v20, v18, s[0:1]
	v_cndmask_b32_e32 v14, v1, v11, vcc
.LBB38_13:                              ;   in Loop: Header=BB38_11 Depth=1
	s_andn2_saveexec_b64 s[0:1], s[18:19]
	s_cbranch_execz .LBB38_15
; %bb.14:                               ;   in Loop: Header=BB38_11 Depth=1
	v_cvt_f32_u32_e32 v1, s16
	s_sub_i32 s18, 0, s16
	v_rcp_iflag_f32_e32 v1, v1
	v_mul_f32_e32 v1, 0x4f7ffffe, v1
	v_cvt_u32_f32_e32 v1, v1
	v_mul_lo_u32 v11, s18, v1
	v_mul_hi_u32 v11, v1, v11
	v_add_u32_e32 v1, v1, v11
	v_mul_hi_u32 v1, v12, v1
	v_mul_lo_u32 v11, v1, s16
	v_sub_u32_e32 v11, v12, v11
	v_add_u32_e32 v14, 1, v1
	v_subrev_u32_e32 v15, s16, v11
	v_cmp_le_u32_e32 vcc, s16, v11
	v_cndmask_b32_e32 v11, v11, v15, vcc
	v_cndmask_b32_e32 v1, v1, v14, vcc
	v_add_u32_e32 v14, 1, v1
	v_cmp_le_u32_e32 vcc, s16, v11
	v_cndmask_b32_e32 v14, v1, v14, vcc
	v_mov_b32_e32 v15, v10
.LBB38_15:                              ;   in Loop: Header=BB38_11 Depth=1
	s_or_b64 exec, exec, s[0:1]
	v_mad_u64_u32 v[18:19], s[0:1], v14, s16, 0
	s_load_dwordx2 s[0:1], s[10:11], 0xc8
	v_mul_lo_u32 v1, v15, s16
	v_mul_lo_u32 v11, v14, s17
	v_add3_u32 v1, v19, v11, v1
	v_sub_co_u32_e32 v11, vcc, v12, v18
	s_add_i32 s20, s20, -1
	v_subb_co_u32_e32 v1, vcc, v13, v1, vcc
	s_add_u32 s10, s10, -8
	s_waitcnt lgkmcnt(0)
	v_mul_lo_u32 v1, s0, v1
	v_mul_lo_u32 v12, s1, v11
	v_mad_u64_u32 v[8:9], s[0:1], s0, v11, v[8:9]
	s_addc_u32 s11, s11, -1
	s_cmp_gt_u32 s20, 2
	v_add3_u32 v9, v12, v9, v1
	s_cbranch_scc0 .LBB38_17
; %bb.16:                               ;   in Loop: Header=BB38_11 Depth=1
	v_pk_mov_b32 v[12:13], v[14:15], v[14:15] op_sel:[0,1]
	s_branch .LBB38_11
.LBB38_17:
	v_mul_lo_u32 v1, s9, v6
	v_mul_lo_u32 v10, s8, v7
	v_mad_u64_u32 v[6:7], s[0:1], s8, v6, 0
	s_load_dwordx2 s[8:9], s[4:5], 0x358
	s_load_dwordx2 s[0:1], s[4:5], 0x288
	s_load_dwordx2 s[10:11], s[4:5], 0x0
	s_load_dwordx2 s[16:17], s[4:5], 0x1b8
	v_add3_u32 v7, v7, v10, v1
	v_cmp_gt_u64_e32 vcc, s[12:13], v[4:5]
	v_lshlrev_b64 v[6:7], 1, v[6:7]
	s_waitcnt lgkmcnt(0)
	v_mul_lo_u32 v1, s1, v14
	v_mul_lo_u32 v10, s0, v15
	v_mad_u64_u32 v[4:5], s[0:1], s0, v14, 0
	v_add3_u32 v5, v5, v10, v1
	v_mov_b32_e32 v1, s11
	v_add_co_u32_e64 v6, s[0:1], s10, v6
	v_addc_co_u32_e64 v1, s[0:1], v1, v7, s[0:1]
	v_lshlrev_b64 v[2:3], 1, v[2:3]
	v_add_co_u32_e64 v10, s[0:1], v6, v2
	v_addc_co_u32_e64 v11, s[0:1], v1, v3, s[0:1]
	v_lshlrev_b64 v[2:3], 3, v[4:5]
	v_mov_b32_e32 v1, s17
	v_add_co_u32_e64 v4, s[0:1], s16, v2
	v_addc_co_u32_e64 v1, s[0:1], v1, v3, s[0:1]
	v_lshlrev_b64 v[2:3], 3, v[8:9]
	s_load_dword s12, s[2:3], 0xc
	v_add_co_u32_e64 v8, s[0:1], v4, v2
	v_addc_co_u32_e64 v9, s[0:1], v1, v3, s[0:1]
	v_mov_b32_e32 v1, 0
	v_and_b32_e32 v2, 0x3ff, v0
	v_mov_b32_e32 v3, v1
	v_cmp_gt_u64_e64 s[0:1], s[14:15], v[2:3]
	v_pk_mov_b32 v[4:5], 0, 0
	s_and_b64 s[4:5], vcc, s[0:1]
	v_mov_b32_e32 v0, 0
	v_pk_mov_b32 v[6:7], v[4:5], v[4:5] op_sel:[0,1]
	s_and_saveexec_b64 s[10:11], s[4:5]
	s_cbranch_execz .LBB38_19
; %bb.18:
	v_mad_u64_u32 v[6:7], s[2:3], v2, s6, 0
	v_mov_b32_e32 v0, v7
	v_mad_u64_u32 v[12:13], s[2:3], v2, s7, v[0:1]
	v_mov_b32_e32 v7, v12
	v_lshlrev_b64 v[6:7], 1, v[6:7]
	v_add_co_u32_e64 v6, s[2:3], v10, v6
	v_addc_co_u32_e64 v7, s[2:3], v11, v7, s[2:3]
	global_load_ushort v0, v[6:7], off
	v_mad_u64_u32 v[6:7], s[2:3], v2, s8, 0
	v_mov_b32_e32 v12, v7
	v_mad_u64_u32 v[12:13], s[2:3], v2, s9, v[12:13]
	v_mov_b32_e32 v7, v12
	v_lshlrev_b64 v[6:7], 3, v[6:7]
	v_add_co_u32_e64 v6, s[2:3], v8, v6
	v_addc_co_u32_e64 v7, s[2:3], v9, v7, s[2:3]
	global_load_dwordx2 v[6:7], v[6:7], off
.LBB38_19:
	s_or_b64 exec, exec, s[10:11]
	v_mov_b32_e32 v3, 0x1000
	v_lshl_add_u32 v18, v16, 6, v3
	v_mov_b32_e32 v3, 0x1400
	v_lshl_add_u32 v17, v16, 5, v3
	v_lshl_add_u32 v12, v2, 1, v18
	s_waitcnt lgkmcnt(0)
	s_and_b32 s16, 0xffff, s12
	v_cndmask_b32_e64 v13, 0, 1, s[4:5]
	s_waitcnt vmcnt(1)
	ds_write_b16 v12, v0
	v_add_u32_e32 v0, v17, v2
	ds_write_b8 v0, v13
	v_add_u32_e32 v0, s16, v2
	v_lshlrev_b32_e32 v15, 8, v16
	v_cmp_gt_u64_e64 s[2:3], s[14:15], v[0:1]
	v_lshl_add_u32 v3, v2, 3, v15
	s_and_b64 s[10:11], vcc, s[2:3]
	s_waitcnt vmcnt(0)
	ds_write_b64 v3, v[6:7]
	s_and_saveexec_b64 s[12:13], s[10:11]
	s_cbranch_execz .LBB38_21
; %bb.20:
	v_mad_u64_u32 v[4:5], s[4:5], v0, s6, 0
	v_mov_b32_e32 v6, v5
	v_mad_u64_u32 v[6:7], s[4:5], v0, s7, v[6:7]
	v_mov_b32_e32 v5, v6
	v_lshlrev_b64 v[4:5], 1, v[4:5]
	v_add_co_u32_e64 v4, s[4:5], v10, v4
	v_addc_co_u32_e64 v5, s[4:5], v11, v5, s[4:5]
	global_load_ushort v1, v[4:5], off
	v_mad_u64_u32 v[4:5], s[4:5], v0, s8, 0
	v_mov_b32_e32 v6, v5
	v_mad_u64_u32 v[6:7], s[4:5], v0, s9, v[6:7]
	v_mov_b32_e32 v5, v6
	v_lshlrev_b64 v[4:5], 3, v[4:5]
	v_add_co_u32_e64 v4, s[4:5], v8, v4
	v_addc_co_u32_e64 v5, s[4:5], v9, v5, s[4:5]
	global_load_dwordx2 v[4:5], v[4:5], off
.LBB38_21:
	s_or_b64 exec, exec, s[12:13]
	v_lshl_add_u32 v6, s16, 1, v12
	s_waitcnt vmcnt(1)
	ds_write_b16 v6, v1
	v_lshl_add_u32 v1, s16, 3, v3
	v_lshlrev_b32_e32 v19, 1, v2
	v_cndmask_b32_e64 v7, 0, 1, s[10:11]
	s_waitcnt vmcnt(0)
	ds_write_b64 v1, v[4:5]
	v_add_u32_e32 v4, v17, v0
	v_add_u32_e32 v5, v12, v19
	ds_write_b8 v4, v7
	s_waitcnt lgkmcnt(0)
	s_barrier
	ds_read_b32 v13, v5
	s_mov_b32 s14, 1
	v_add_u32_e32 v4, v17, v19
	s_waitcnt lgkmcnt(0)
	v_cmp_ge_i16_sdwa s[10:11], v13, v13 src0_sel:DWORD src1_sel:WORD_1
	v_cmp_lt_i16_sdwa s[4:5], v13, v13 src0_sel:DWORD src1_sel:WORD_1
	s_and_saveexec_b64 s[12:13], s[4:5]
	s_xor_b64 s[12:13], exec, s[12:13]
	s_cbranch_execz .LBB38_23
; %bb.22:
	ds_read_u8 v7, v4
	s_andn2_b64 s[10:11], s[10:11], exec
	s_waitcnt lgkmcnt(0)
	v_and_b32_e32 v7, 1, v7
	v_cmp_eq_u32_e64 s[4:5], 1, v7
	s_xor_b64 s[4:5], s[4:5], -1
	s_and_b64 s[4:5], s[4:5], exec
	s_or_b64 s[10:11], s[10:11], s[4:5]
.LBB38_23:
	s_or_b64 exec, exec, s[12:13]
	v_mov_b32_e32 v16, s14
	s_and_saveexec_b64 s[4:5], s[10:11]
	s_cbranch_execz .LBB38_25
; %bb.24:
	ds_read_u8 v7, v4 offset:1
	s_waitcnt lgkmcnt(0)
	v_xor_b32_e32 v16, 1, v7
.LBB38_25:
	s_or_b64 exec, exec, s[4:5]
	v_and_b32_e32 v14, 1, v2
	v_lshlrev_b32_e32 v7, 3, v2
	v_cmp_eq_u32_e64 s[4:5], v16, v14
	s_and_saveexec_b64 s[10:11], s[4:5]
	s_cbranch_execz .LBB38_27
; %bb.26:
	v_add_u32_e32 v16, v3, v7
	v_alignbit_b32 v13, v13, v13, 16
	ds_read_b128 v[20:23], v16
	ds_write_b32 v5, v13
	ds_read_u16 v13, v4
	s_mov_b32 s4, 0xc0c0001
	s_waitcnt lgkmcnt(2)
	v_mov_b32_e32 v24, v20
	v_mov_b32_e32 v25, v21
	s_waitcnt lgkmcnt(0)
	v_perm_b32 v13, 0, v13, s4
	ds_write_b128 v16, v[22:25]
	ds_write_b16 v4, v13
.LBB38_27:
	s_or_b64 exec, exec, s[10:11]
	v_sub_u32_e32 v16, v19, v14
	v_lshl_add_u32 v13, v16, 1, v18
	s_waitcnt lgkmcnt(0)
	s_barrier
	ds_read_u16 v21, v13
	ds_read_u16 v22, v13 offset:4
	s_mov_b64 s[10:11], -1
	v_add_u32_e32 v14, v17, v16
                                        ; implicit-def: $sgpr14
	s_waitcnt lgkmcnt(0)
	v_cmp_lt_i16_e64 s[4:5], v21, v22
	s_and_saveexec_b64 s[12:13], s[4:5]
	s_xor_b64 s[12:13], exec, s[12:13]
	s_cbranch_execz .LBB38_29
; %bb.28:
	ds_read_u8 v20, v14
	s_mov_b32 s14, 1
	s_waitcnt lgkmcnt(0)
	v_and_b32_e32 v20, 1, v20
	v_cmp_eq_u32_e64 s[4:5], 1, v20
	s_xor_b64 s[4:5], s[4:5], -1
	s_orn2_b64 s[10:11], s[4:5], exec
.LBB38_29:
	s_or_b64 exec, exec, s[12:13]
	v_mov_b32_e32 v23, s14
	s_and_saveexec_b64 s[4:5], s[10:11]
	s_cbranch_execz .LBB38_31
; %bb.30:
	ds_read_u8 v20, v14 offset:2
	s_waitcnt lgkmcnt(0)
	v_xor_b32_e32 v23, 1, v20
.LBB38_31:
	s_or_b64 exec, exec, s[4:5]
	v_bfe_u32 v20, v2, 1, 1
	v_lshl_add_u32 v16, v16, 3, v15
	v_cmp_eq_u32_e64 s[4:5], v23, v20
	s_and_saveexec_b64 s[10:11], s[4:5]
	s_cbranch_execz .LBB38_33
; %bb.32:
	ds_read2_b64 v[24:27], v16 offset1:2
	ds_read_u8 v23, v14 offset:2
	ds_read_u8 v28, v14
	ds_write_b16 v13, v22
	ds_write_b16 v13, v21 offset:4
	s_waitcnt lgkmcnt(4)
	ds_write2_b64 v16, v[26:27], v[24:25] offset1:2
	s_waitcnt lgkmcnt(4)
	ds_write_b8 v14, v23
	s_waitcnt lgkmcnt(4)
	ds_write_b8 v14, v28 offset:2
.LBB38_33:
	s_or_b64 exec, exec, s[10:11]
	s_waitcnt lgkmcnt(0)
	s_barrier
	ds_read_b32 v21, v5
                                        ; implicit-def: $sgpr14
	s_waitcnt lgkmcnt(0)
	v_cmp_ge_i16_sdwa s[10:11], v21, v21 src0_sel:DWORD src1_sel:WORD_1
	v_cmp_lt_i16_sdwa s[4:5], v21, v21 src0_sel:DWORD src1_sel:WORD_1
	s_and_saveexec_b64 s[12:13], s[4:5]
	s_cbranch_execnz .LBB38_100
; %bb.34:
	s_or_b64 exec, exec, s[12:13]
	v_mov_b32_e32 v22, s14
	s_and_saveexec_b64 s[4:5], s[10:11]
	s_cbranch_execnz .LBB38_101
.LBB38_35:
	s_or_b64 exec, exec, s[4:5]
	v_cmp_eq_u32_e64 s[4:5], v22, v20
	s_and_saveexec_b64 s[10:11], s[4:5]
	s_cbranch_execz .LBB38_37
.LBB38_36:
	v_add_u32_e32 v26, v3, v7
	ds_read_b128 v[22:25], v26
	ds_read_u16 v27, v4
	v_alignbit_b32 v20, v21, v21, 16
	ds_write_b32 v5, v20
	s_mov_b32 s4, 0xc0c0001
	s_waitcnt lgkmcnt(2)
	v_mov_b32_e32 v20, v24
	v_mov_b32_e32 v21, v25
	ds_write_b128 v26, v[20:23]
	s_waitcnt lgkmcnt(2)
	v_perm_b32 v20, 0, v27, s4
	ds_write_b16 v4, v20
.LBB38_37:
	s_or_b64 exec, exec, s[10:11]
	v_and_b32_e32 v20, 3, v2
	v_sub_u32_e32 v22, v19, v20
	v_lshl_add_u32 v20, v22, 1, v18
	s_waitcnt lgkmcnt(0)
	s_barrier
	ds_read_u16 v24, v20
	ds_read_u16 v25, v20 offset:8
	s_mov_b32 s14, 1
	v_add_u32_e32 v21, v17, v22
	s_waitcnt lgkmcnt(0)
	v_cmp_ge_i16_e64 s[10:11], v24, v25
	v_cmp_lt_i16_e64 s[4:5], v24, v25
	s_and_saveexec_b64 s[12:13], s[4:5]
	s_cbranch_execz .LBB38_39
; %bb.38:
	ds_read_u8 v23, v21
	s_andn2_b64 s[10:11], s[10:11], exec
	s_waitcnt lgkmcnt(0)
	v_and_b32_e32 v23, 1, v23
	v_cmp_eq_u32_e64 s[4:5], 1, v23
	s_xor_b64 s[4:5], s[4:5], -1
	s_and_b64 s[4:5], s[4:5], exec
	s_or_b64 s[10:11], s[10:11], s[4:5]
.LBB38_39:
	s_or_b64 exec, exec, s[12:13]
	v_mov_b32_e32 v26, s14
	s_and_saveexec_b64 s[4:5], s[10:11]
	s_cbranch_execz .LBB38_41
; %bb.40:
	ds_read_u8 v23, v21 offset:4
	s_waitcnt lgkmcnt(0)
	v_xor_b32_e32 v26, 1, v23
.LBB38_41:
	s_or_b64 exec, exec, s[4:5]
	v_bfe_u32 v23, v2, 2, 1
	v_lshl_add_u32 v22, v22, 3, v15
	v_cmp_eq_u32_e64 s[4:5], v26, v23
	s_and_saveexec_b64 s[10:11], s[4:5]
	s_cbranch_execz .LBB38_43
; %bb.42:
	ds_read2_b64 v[26:29], v22 offset1:4
	ds_read_u8 v30, v21 offset:4
	ds_read_u8 v31, v21
	ds_write_b16 v20, v25
	ds_write_b16 v20, v24 offset:8
	s_waitcnt lgkmcnt(4)
	ds_write2_b64 v22, v[28:29], v[26:27] offset1:4
	s_waitcnt lgkmcnt(4)
	ds_write_b8 v21, v30
	s_waitcnt lgkmcnt(4)
	ds_write_b8 v21, v31 offset:4
.LBB38_43:
	s_or_b64 exec, exec, s[10:11]
	s_waitcnt lgkmcnt(0)
	s_barrier
	ds_read_u16 v24, v13
	ds_read_u16 v25, v13 offset:4
                                        ; implicit-def: $sgpr14
	s_waitcnt lgkmcnt(0)
	v_cmp_ge_i16_e64 s[10:11], v24, v25
	v_cmp_lt_i16_e64 s[4:5], v24, v25
	s_and_saveexec_b64 s[12:13], s[4:5]
	s_cbranch_execnz .LBB38_102
; %bb.44:
	s_or_b64 exec, exec, s[12:13]
	v_mov_b32_e32 v26, s14
	s_and_saveexec_b64 s[4:5], s[10:11]
	s_cbranch_execnz .LBB38_103
.LBB38_45:
	s_or_b64 exec, exec, s[4:5]
	v_cmp_eq_u32_e64 s[4:5], v26, v23
	s_and_saveexec_b64 s[10:11], s[4:5]
	s_cbranch_execz .LBB38_47
.LBB38_46:
	ds_read2_b64 v[26:29], v16 offset1:2
	ds_read_u8 v30, v14 offset:2
	ds_read_u8 v31, v14
	ds_write_b16 v13, v25
	ds_write_b16 v13, v24 offset:4
	s_waitcnt lgkmcnt(4)
	ds_write2_b64 v16, v[28:29], v[26:27] offset1:2
	s_waitcnt lgkmcnt(4)
	ds_write_b8 v14, v30
	s_waitcnt lgkmcnt(4)
	ds_write_b8 v14, v31 offset:2
.LBB38_47:
	s_or_b64 exec, exec, s[10:11]
	s_waitcnt lgkmcnt(0)
	s_barrier
	ds_read_b32 v24, v5
                                        ; implicit-def: $sgpr14
	s_waitcnt lgkmcnt(0)
	v_cmp_ge_i16_sdwa s[10:11], v24, v24 src0_sel:DWORD src1_sel:WORD_1
	v_cmp_lt_i16_sdwa s[4:5], v24, v24 src0_sel:DWORD src1_sel:WORD_1
	s_and_saveexec_b64 s[12:13], s[4:5]
	s_cbranch_execnz .LBB38_104
; %bb.48:
	s_or_b64 exec, exec, s[12:13]
	v_mov_b32_e32 v25, s14
	s_and_saveexec_b64 s[4:5], s[10:11]
	s_cbranch_execnz .LBB38_105
.LBB38_49:
	s_or_b64 exec, exec, s[4:5]
	v_cmp_eq_u32_e64 s[4:5], v25, v23
	s_and_saveexec_b64 s[10:11], s[4:5]
	s_cbranch_execz .LBB38_51
.LBB38_50:
	v_add_u32_e32 v23, v3, v7
	ds_read_b128 v[26:29], v23
	ds_read_u16 v30, v4
	v_alignbit_b32 v24, v24, v24, 16
	ds_write_b32 v5, v24
	s_mov_b32 s4, 0xc0c0001
	s_waitcnt lgkmcnt(2)
	v_mov_b32_e32 v24, v28
	v_mov_b32_e32 v25, v29
	ds_write_b128 v23, v[24:27]
	s_waitcnt lgkmcnt(2)
	v_perm_b32 v23, 0, v30, s4
	ds_write_b16 v4, v23
.LBB38_51:
	s_or_b64 exec, exec, s[10:11]
	v_and_b32_e32 v23, 7, v2
	v_sub_u32_e32 v25, v19, v23
	v_lshl_add_u32 v23, v25, 1, v18
	s_waitcnt lgkmcnt(0)
	s_barrier
	ds_read_u16 v27, v23
	ds_read_u16 v28, v23 offset:16
	s_mov_b32 s14, 1
	v_add_u32_e32 v24, v17, v25
	s_waitcnt lgkmcnt(0)
	v_cmp_ge_i16_e64 s[10:11], v27, v28
	v_cmp_lt_i16_e64 s[4:5], v27, v28
	s_and_saveexec_b64 s[12:13], s[4:5]
	s_cbranch_execz .LBB38_53
; %bb.52:
	ds_read_u8 v26, v24
	s_andn2_b64 s[10:11], s[10:11], exec
	s_waitcnt lgkmcnt(0)
	v_and_b32_e32 v26, 1, v26
	v_cmp_eq_u32_e64 s[4:5], 1, v26
	s_xor_b64 s[4:5], s[4:5], -1
	s_and_b64 s[4:5], s[4:5], exec
	s_or_b64 s[10:11], s[10:11], s[4:5]
.LBB38_53:
	s_or_b64 exec, exec, s[12:13]
	v_mov_b32_e32 v29, s14
	s_and_saveexec_b64 s[4:5], s[10:11]
	s_cbranch_execz .LBB38_55
; %bb.54:
	ds_read_u8 v26, v24 offset:8
	s_waitcnt lgkmcnt(0)
	v_xor_b32_e32 v29, 1, v26
.LBB38_55:
	s_or_b64 exec, exec, s[4:5]
	v_bfe_u32 v26, v2, 3, 1
	v_lshl_add_u32 v25, v25, 3, v15
	v_cmp_eq_u32_e64 s[4:5], v29, v26
	s_and_saveexec_b64 s[10:11], s[4:5]
	s_cbranch_execz .LBB38_57
; %bb.56:
	ds_read2_b64 v[30:33], v25 offset1:8
	ds_read_u8 v29, v24 offset:8
	ds_read_u8 v34, v24
	ds_write_b16 v23, v28
	ds_write_b16 v23, v27 offset:16
	s_waitcnt lgkmcnt(4)
	ds_write2_b64 v25, v[32:33], v[30:31] offset1:8
	s_waitcnt lgkmcnt(4)
	ds_write_b8 v24, v29
	s_waitcnt lgkmcnt(4)
	ds_write_b8 v24, v34 offset:8
.LBB38_57:
	s_or_b64 exec, exec, s[10:11]
	s_waitcnt lgkmcnt(0)
	s_barrier
	ds_read_u16 v27, v20
	ds_read_u16 v28, v20 offset:8
                                        ; implicit-def: $sgpr14
	s_waitcnt lgkmcnt(0)
	v_cmp_ge_i16_e64 s[10:11], v27, v28
	v_cmp_lt_i16_e64 s[4:5], v27, v28
	s_and_saveexec_b64 s[12:13], s[4:5]
	s_cbranch_execnz .LBB38_106
; %bb.58:
	s_or_b64 exec, exec, s[12:13]
	v_mov_b32_e32 v29, s14
	s_and_saveexec_b64 s[4:5], s[10:11]
	s_cbranch_execnz .LBB38_107
.LBB38_59:
	s_or_b64 exec, exec, s[4:5]
	v_cmp_eq_u32_e64 s[4:5], v29, v26
	s_and_saveexec_b64 s[10:11], s[4:5]
	s_cbranch_execz .LBB38_61
.LBB38_60:
	ds_read2_b64 v[30:33], v22 offset1:4
	ds_read_u8 v29, v21 offset:4
	ds_read_u8 v34, v21
	ds_write_b16 v20, v28
	ds_write_b16 v20, v27 offset:8
	s_waitcnt lgkmcnt(4)
	ds_write2_b64 v22, v[32:33], v[30:31] offset1:4
	s_waitcnt lgkmcnt(4)
	ds_write_b8 v21, v29
	s_waitcnt lgkmcnt(4)
	ds_write_b8 v21, v34 offset:4
.LBB38_61:
	s_or_b64 exec, exec, s[10:11]
	s_waitcnt lgkmcnt(0)
	s_barrier
	ds_read_u16 v27, v13
	ds_read_u16 v28, v13 offset:4
                                        ; implicit-def: $sgpr14
	s_waitcnt lgkmcnt(0)
	v_cmp_ge_i16_e64 s[10:11], v27, v28
	v_cmp_lt_i16_e64 s[4:5], v27, v28
	s_and_saveexec_b64 s[12:13], s[4:5]
	s_cbranch_execnz .LBB38_108
; %bb.62:
	s_or_b64 exec, exec, s[12:13]
	v_mov_b32_e32 v29, s14
	s_and_saveexec_b64 s[4:5], s[10:11]
	s_cbranch_execnz .LBB38_109
.LBB38_63:
	s_or_b64 exec, exec, s[4:5]
	v_cmp_eq_u32_e64 s[4:5], v29, v26
	s_and_saveexec_b64 s[10:11], s[4:5]
	s_cbranch_execz .LBB38_65
.LBB38_64:
	ds_read2_b64 v[30:33], v16 offset1:2
	ds_read_u8 v29, v14 offset:2
	ds_read_u8 v34, v14
	ds_write_b16 v13, v28
	ds_write_b16 v13, v27 offset:4
	s_waitcnt lgkmcnt(4)
	ds_write2_b64 v16, v[32:33], v[30:31] offset1:2
	s_waitcnt lgkmcnt(4)
	ds_write_b8 v14, v29
	s_waitcnt lgkmcnt(4)
	ds_write_b8 v14, v34 offset:2
.LBB38_65:
	s_or_b64 exec, exec, s[10:11]
	s_waitcnt lgkmcnt(0)
	s_barrier
	ds_read_b32 v27, v5
                                        ; implicit-def: $sgpr14
	s_waitcnt lgkmcnt(0)
	v_cmp_ge_i16_sdwa s[10:11], v27, v27 src0_sel:DWORD src1_sel:WORD_1
	v_cmp_lt_i16_sdwa s[4:5], v27, v27 src0_sel:DWORD src1_sel:WORD_1
	s_and_saveexec_b64 s[12:13], s[4:5]
	s_cbranch_execnz .LBB38_110
; %bb.66:
	s_or_b64 exec, exec, s[12:13]
	v_mov_b32_e32 v28, s14
	s_and_saveexec_b64 s[4:5], s[10:11]
	s_cbranch_execnz .LBB38_111
.LBB38_67:
	s_or_b64 exec, exec, s[4:5]
	v_cmp_eq_u32_e64 s[4:5], v28, v26
	s_and_saveexec_b64 s[10:11], s[4:5]
	s_cbranch_execz .LBB38_69
.LBB38_68:
	v_add_u32_e32 v32, v3, v7
	ds_read_b128 v[28:31], v32
	ds_read_u16 v33, v4
	v_alignbit_b32 v26, v27, v27, 16
	ds_write_b32 v5, v26
	s_mov_b32 s4, 0xc0c0001
	s_waitcnt lgkmcnt(2)
	v_mov_b32_e32 v26, v30
	v_mov_b32_e32 v27, v31
	ds_write_b128 v32, v[26:29]
	s_waitcnt lgkmcnt(2)
	v_perm_b32 v26, 0, v33, s4
	ds_write_b16 v4, v26
.LBB38_69:
	s_or_b64 exec, exec, s[10:11]
	v_and_b32_e32 v26, 15, v2
	v_sub_u32_e32 v27, v19, v26
	v_lshl_add_u32 v18, v27, 1, v18
	s_waitcnt lgkmcnt(0)
	s_barrier
	ds_read_u16 v19, v18
	ds_read_u16 v26, v18 offset:32
	v_add_u32_e32 v17, v17, v27
	s_waitcnt lgkmcnt(0)
	v_cmp_ge_i16_e64 s[12:13], v19, v26
	v_cmp_lt_i16_e64 s[4:5], v19, v26
	s_and_saveexec_b64 s[10:11], s[4:5]
	s_cbranch_execz .LBB38_71
; %bb.70:
	ds_read_u8 v28, v17
	s_andn2_b64 s[12:13], s[12:13], exec
	s_waitcnt lgkmcnt(0)
	v_and_b32_e32 v28, 1, v28
	v_cmp_eq_u32_e64 s[4:5], 1, v28
	s_xor_b64 s[4:5], s[4:5], -1
	s_and_b64 s[4:5], s[4:5], exec
	s_or_b64 s[12:13], s[12:13], s[4:5]
.LBB38_71:
	s_or_b64 exec, exec, s[10:11]
	s_and_saveexec_b64 s[10:11], s[12:13]
	s_cbranch_execz .LBB38_74
; %bb.72:
	ds_read_u8 v28, v17 offset:16
	s_waitcnt lgkmcnt(0)
	v_cmp_ne_u16_e64 s[4:5], 0, v28
	s_and_b64 exec, exec, s[4:5]
	s_cbranch_execz .LBB38_74
; %bb.73:
	v_lshl_add_u32 v15, v27, 3, v15
	ds_read2_b64 v[30:33], v15 offset1:16
	ds_read_u8 v27, v17
	ds_write_b16 v18, v26
	ds_write_b16 v18, v19 offset:32
	ds_write_b8 v17, v28
	s_waitcnt lgkmcnt(4)
	ds_write2_b64 v15, v[32:33], v[30:31] offset1:16
	s_waitcnt lgkmcnt(4)
	ds_write_b8 v17, v27 offset:16
.LBB38_74:
	s_or_b64 exec, exec, s[10:11]
	s_waitcnt lgkmcnt(0)
	s_barrier
	ds_read_u16 v15, v23
	ds_read_u16 v17, v23 offset:16
	s_waitcnt lgkmcnt(0)
	v_cmp_ge_i16_e64 s[12:13], v15, v17
	v_cmp_lt_i16_e64 s[4:5], v15, v17
	s_and_saveexec_b64 s[10:11], s[4:5]
	s_cbranch_execz .LBB38_76
; %bb.75:
	ds_read_u8 v18, v24
	s_andn2_b64 s[12:13], s[12:13], exec
	s_waitcnt lgkmcnt(0)
	v_and_b32_e32 v18, 1, v18
	v_cmp_eq_u32_e64 s[4:5], 1, v18
	s_xor_b64 s[4:5], s[4:5], -1
	s_and_b64 s[4:5], s[4:5], exec
	s_or_b64 s[12:13], s[12:13], s[4:5]
.LBB38_76:
	s_or_b64 exec, exec, s[10:11]
	s_and_saveexec_b64 s[10:11], s[12:13]
	s_cbranch_execz .LBB38_79
; %bb.77:
	ds_read_u8 v18, v24 offset:8
	s_waitcnt lgkmcnt(0)
	v_cmp_ne_u16_e64 s[4:5], 0, v18
	s_and_b64 exec, exec, s[4:5]
	s_cbranch_execz .LBB38_79
; %bb.78:
	ds_read2_b64 v[26:29], v25 offset1:8
	ds_read_u8 v19, v24
	ds_write_b16 v23, v17
	ds_write_b16 v23, v15 offset:16
	ds_write_b8 v24, v18
	s_waitcnt lgkmcnt(4)
	ds_write2_b64 v25, v[28:29], v[26:27] offset1:8
	s_waitcnt lgkmcnt(4)
	ds_write_b8 v24, v19 offset:8
.LBB38_79:
	s_or_b64 exec, exec, s[10:11]
	s_waitcnt lgkmcnt(0)
	s_barrier
	ds_read_u16 v15, v20
	ds_read_u16 v17, v20 offset:8
	s_waitcnt lgkmcnt(0)
	v_cmp_ge_i16_e64 s[12:13], v15, v17
	v_cmp_lt_i16_e64 s[4:5], v15, v17
	s_and_saveexec_b64 s[10:11], s[4:5]
	s_cbranch_execz .LBB38_81
; %bb.80:
	ds_read_u8 v18, v21
	s_andn2_b64 s[12:13], s[12:13], exec
	s_waitcnt lgkmcnt(0)
	v_and_b32_e32 v18, 1, v18
	v_cmp_eq_u32_e64 s[4:5], 1, v18
	s_xor_b64 s[4:5], s[4:5], -1
	s_and_b64 s[4:5], s[4:5], exec
	s_or_b64 s[12:13], s[12:13], s[4:5]
.LBB38_81:
	s_or_b64 exec, exec, s[10:11]
	s_and_saveexec_b64 s[10:11], s[12:13]
	s_cbranch_execz .LBB38_84
; %bb.82:
	ds_read_u8 v18, v21 offset:4
	s_waitcnt lgkmcnt(0)
	v_cmp_ne_u16_e64 s[4:5], 0, v18
	s_and_b64 exec, exec, s[4:5]
	s_cbranch_execz .LBB38_84
; %bb.83:
	ds_read2_b64 v[24:27], v22 offset1:4
	ds_read_u8 v19, v21
	ds_write_b16 v20, v17
	ds_write_b16 v20, v15 offset:8
	ds_write_b8 v21, v18
	s_waitcnt lgkmcnt(4)
	ds_write2_b64 v22, v[26:27], v[24:25] offset1:4
	s_waitcnt lgkmcnt(4)
	ds_write_b8 v21, v19 offset:4
.LBB38_84:
	;; [unrolled: 40-line block ×3, first 2 shown]
	s_or_b64 exec, exec, s[10:11]
	s_waitcnt lgkmcnt(0)
	s_barrier
	ds_read_b32 v13, v5
	s_waitcnt lgkmcnt(0)
	v_cmp_ge_i16_sdwa s[12:13], v13, v13 src0_sel:DWORD src1_sel:WORD_1
	v_cmp_lt_i16_sdwa s[4:5], v13, v13 src0_sel:DWORD src1_sel:WORD_1
	s_and_saveexec_b64 s[10:11], s[4:5]
	s_cbranch_execz .LBB38_91
; %bb.90:
	ds_read_u8 v14, v4
	s_andn2_b64 s[12:13], s[12:13], exec
	s_waitcnt lgkmcnt(0)
	v_and_b32_e32 v14, 1, v14
	v_cmp_eq_u32_e64 s[4:5], 1, v14
	s_xor_b64 s[4:5], s[4:5], -1
	s_and_b64 s[4:5], s[4:5], exec
	s_or_b64 s[12:13], s[12:13], s[4:5]
.LBB38_91:
	s_or_b64 exec, exec, s[10:11]
	s_and_saveexec_b64 s[10:11], s[12:13]
	s_cbranch_execz .LBB38_94
; %bb.92:
	ds_read_u8 v14, v4 offset:1
	s_waitcnt lgkmcnt(0)
	v_cmp_ne_u16_e64 s[4:5], 0, v14
	s_and_b64 exec, exec, s[4:5]
	s_cbranch_execz .LBB38_94
; %bb.93:
	v_add_u32_e32 v7, v3, v7
	v_alignbit_b32 v13, v13, v13, 16
	ds_read_b128 v[16:19], v7
	ds_write_b32 v5, v13
	ds_read_u8 v5, v4
	s_waitcnt lgkmcnt(2)
	v_mov_b32_e32 v20, v16
	v_mov_b32_e32 v21, v17
	s_waitcnt lgkmcnt(0)
	v_lshlrev_b16_e32 v5, 8, v5
	v_or_b32_e32 v5, v14, v5
	ds_write_b128 v7, v[18:21]
	ds_write_b16 v4, v5
.LBB38_94:
	s_or_b64 exec, exec, s[10:11]
	s_waitcnt lgkmcnt(0)
	s_barrier
	s_and_saveexec_b64 s[4:5], vcc
	s_cbranch_execz .LBB38_99
; %bb.95:
	s_and_saveexec_b64 s[4:5], s[0:1]
	s_cbranch_execz .LBB38_97
; %bb.96:
	v_mad_u64_u32 v[4:5], s[0:1], v2, s6, 0
	ds_read_u16 v7, v12
	v_mov_b32_e32 v12, v5
	v_mad_u64_u32 v[12:13], s[0:1], v2, s7, v[12:13]
	v_mov_b32_e32 v5, v12
	v_lshlrev_b64 v[4:5], 1, v[4:5]
	v_add_co_u32_e32 v4, vcc, v10, v4
	v_addc_co_u32_e32 v5, vcc, v11, v5, vcc
	s_waitcnt lgkmcnt(0)
	global_store_short v[4:5], v7, off
	v_mad_u64_u32 v[4:5], s[0:1], v2, s8, 0
	v_mov_b32_e32 v14, v5
	ds_read_b64 v[12:13], v3
	v_mad_u64_u32 v[2:3], s[0:1], v2, s9, v[14:15]
	v_mov_b32_e32 v5, v2
	v_lshlrev_b64 v[2:3], 3, v[4:5]
	v_add_co_u32_e32 v2, vcc, v8, v2
	v_addc_co_u32_e32 v3, vcc, v9, v3, vcc
	s_waitcnt lgkmcnt(0)
	global_store_dwordx2 v[2:3], v[12:13], off
.LBB38_97:
	s_or_b64 exec, exec, s[4:5]
	s_and_b64 exec, exec, s[2:3]
	s_cbranch_execz .LBB38_99
; %bb.98:
	v_mad_u64_u32 v[2:3], s[0:1], v0, s6, 0
	v_mov_b32_e32 v4, v3
	ds_read_u16 v6, v6
	v_mad_u64_u32 v[4:5], s[0:1], v0, s7, v[4:5]
	v_mov_b32_e32 v3, v4
	ds_read_b64 v[4:5], v1
	v_lshlrev_b64 v[2:3], 1, v[2:3]
	v_add_co_u32_e32 v2, vcc, v10, v2
	v_addc_co_u32_e32 v3, vcc, v11, v3, vcc
	s_waitcnt lgkmcnt(1)
	global_store_short v[2:3], v6, off
	v_mad_u64_u32 v[2:3], s[0:1], v0, s8, 0
	v_mov_b32_e32 v6, v3
	v_mad_u64_u32 v[0:1], s[0:1], v0, s9, v[6:7]
	v_mov_b32_e32 v3, v0
	v_lshlrev_b64 v[0:1], 3, v[2:3]
	v_add_co_u32_e32 v0, vcc, v8, v0
	v_addc_co_u32_e32 v1, vcc, v9, v1, vcc
	s_waitcnt lgkmcnt(0)
	global_store_dwordx2 v[0:1], v[4:5], off
.LBB38_99:
	s_endpgm
.LBB38_100:
	ds_read_u8 v22, v4
	s_andn2_b64 s[10:11], s[10:11], exec
	s_mov_b32 s14, 1
	s_waitcnt lgkmcnt(0)
	v_and_b32_e32 v22, 1, v22
	v_cmp_eq_u32_e64 s[4:5], 1, v22
	s_xor_b64 s[4:5], s[4:5], -1
	s_and_b64 s[4:5], s[4:5], exec
	s_or_b64 s[10:11], s[10:11], s[4:5]
	s_or_b64 exec, exec, s[12:13]
	v_mov_b32_e32 v22, s14
	s_and_saveexec_b64 s[4:5], s[10:11]
	s_cbranch_execz .LBB38_35
.LBB38_101:
	ds_read_u8 v22, v4 offset:1
	s_waitcnt lgkmcnt(0)
	v_xor_b32_e32 v22, 1, v22
	s_or_b64 exec, exec, s[4:5]
	v_cmp_eq_u32_e64 s[4:5], v22, v20
	s_and_saveexec_b64 s[10:11], s[4:5]
	s_cbranch_execnz .LBB38_36
	s_branch .LBB38_37
.LBB38_102:
	ds_read_u8 v26, v14
	s_andn2_b64 s[10:11], s[10:11], exec
	s_mov_b32 s14, 1
	s_waitcnt lgkmcnt(0)
	v_and_b32_e32 v26, 1, v26
	v_cmp_eq_u32_e64 s[4:5], 1, v26
	s_xor_b64 s[4:5], s[4:5], -1
	s_and_b64 s[4:5], s[4:5], exec
	s_or_b64 s[10:11], s[10:11], s[4:5]
	s_or_b64 exec, exec, s[12:13]
	v_mov_b32_e32 v26, s14
	s_and_saveexec_b64 s[4:5], s[10:11]
	s_cbranch_execz .LBB38_45
.LBB38_103:
	ds_read_u8 v26, v14 offset:2
	s_waitcnt lgkmcnt(0)
	v_xor_b32_e32 v26, 1, v26
	s_or_b64 exec, exec, s[4:5]
	v_cmp_eq_u32_e64 s[4:5], v26, v23
	s_and_saveexec_b64 s[10:11], s[4:5]
	s_cbranch_execnz .LBB38_46
	s_branch .LBB38_47
.LBB38_104:
	ds_read_u8 v25, v4
	s_andn2_b64 s[10:11], s[10:11], exec
	s_mov_b32 s14, 1
	s_waitcnt lgkmcnt(0)
	v_and_b32_e32 v25, 1, v25
	v_cmp_eq_u32_e64 s[4:5], 1, v25
	s_xor_b64 s[4:5], s[4:5], -1
	s_and_b64 s[4:5], s[4:5], exec
	s_or_b64 s[10:11], s[10:11], s[4:5]
	s_or_b64 exec, exec, s[12:13]
	v_mov_b32_e32 v25, s14
	s_and_saveexec_b64 s[4:5], s[10:11]
	s_cbranch_execz .LBB38_49
.LBB38_105:
	ds_read_u8 v25, v4 offset:1
	s_waitcnt lgkmcnt(0)
	v_xor_b32_e32 v25, 1, v25
	s_or_b64 exec, exec, s[4:5]
	v_cmp_eq_u32_e64 s[4:5], v25, v23
	s_and_saveexec_b64 s[10:11], s[4:5]
	s_cbranch_execnz .LBB38_50
	s_branch .LBB38_51
.LBB38_106:
	ds_read_u8 v29, v21
	s_andn2_b64 s[10:11], s[10:11], exec
	s_mov_b32 s14, 1
	s_waitcnt lgkmcnt(0)
	v_and_b32_e32 v29, 1, v29
	v_cmp_eq_u32_e64 s[4:5], 1, v29
	s_xor_b64 s[4:5], s[4:5], -1
	s_and_b64 s[4:5], s[4:5], exec
	s_or_b64 s[10:11], s[10:11], s[4:5]
	s_or_b64 exec, exec, s[12:13]
	v_mov_b32_e32 v29, s14
	s_and_saveexec_b64 s[4:5], s[10:11]
	s_cbranch_execz .LBB38_59
.LBB38_107:
	ds_read_u8 v29, v21 offset:4
	s_waitcnt lgkmcnt(0)
	v_xor_b32_e32 v29, 1, v29
	s_or_b64 exec, exec, s[4:5]
	v_cmp_eq_u32_e64 s[4:5], v29, v26
	s_and_saveexec_b64 s[10:11], s[4:5]
	s_cbranch_execnz .LBB38_60
	s_branch .LBB38_61
.LBB38_108:
	ds_read_u8 v29, v14
	s_andn2_b64 s[10:11], s[10:11], exec
	s_mov_b32 s14, 1
	s_waitcnt lgkmcnt(0)
	v_and_b32_e32 v29, 1, v29
	v_cmp_eq_u32_e64 s[4:5], 1, v29
	s_xor_b64 s[4:5], s[4:5], -1
	s_and_b64 s[4:5], s[4:5], exec
	s_or_b64 s[10:11], s[10:11], s[4:5]
	s_or_b64 exec, exec, s[12:13]
	v_mov_b32_e32 v29, s14
	s_and_saveexec_b64 s[4:5], s[10:11]
	s_cbranch_execz .LBB38_63
.LBB38_109:
	ds_read_u8 v29, v14 offset:2
	s_waitcnt lgkmcnt(0)
	v_xor_b32_e32 v29, 1, v29
	s_or_b64 exec, exec, s[4:5]
	v_cmp_eq_u32_e64 s[4:5], v29, v26
	s_and_saveexec_b64 s[10:11], s[4:5]
	s_cbranch_execnz .LBB38_64
	s_branch .LBB38_65
.LBB38_110:
	ds_read_u8 v28, v4
	s_andn2_b64 s[10:11], s[10:11], exec
	s_mov_b32 s14, 1
	s_waitcnt lgkmcnt(0)
	v_and_b32_e32 v28, 1, v28
	v_cmp_eq_u32_e64 s[4:5], 1, v28
	s_xor_b64 s[4:5], s[4:5], -1
	s_and_b64 s[4:5], s[4:5], exec
	s_or_b64 s[10:11], s[10:11], s[4:5]
	s_or_b64 exec, exec, s[12:13]
	v_mov_b32_e32 v28, s14
	s_and_saveexec_b64 s[4:5], s[10:11]
	s_cbranch_execz .LBB38_67
.LBB38_111:
	ds_read_u8 v28, v4 offset:1
	s_waitcnt lgkmcnt(0)
	v_xor_b32_e32 v28, 1, v28
	s_or_b64 exec, exec, s[4:5]
	v_cmp_eq_u32_e64 s[4:5], v28, v26
	s_and_saveexec_b64 s[10:11], s[4:5]
	s_cbranch_execnz .LBB38_68
	s_branch .LBB38_69
	.section	.rodata,"a",@progbits
	.p2align	6, 0x0
	.amdhsa_kernel _ZN2at6native20bitonicSortKVInPlaceILin1ELin1ELi16ELi16EslNS0_4LTOpIsLb1EEEmEEvNS_4cuda6detail10TensorInfoIT3_T6_EES8_S8_S8_NS6_IT4_S8_EES8_T5_
		.amdhsa_group_segment_fixed_size 5632
		.amdhsa_private_segment_fixed_size 0
		.amdhsa_kernarg_size 1128
		.amdhsa_user_sgpr_count 6
		.amdhsa_user_sgpr_private_segment_buffer 1
		.amdhsa_user_sgpr_dispatch_ptr 0
		.amdhsa_user_sgpr_queue_ptr 0
		.amdhsa_user_sgpr_kernarg_segment_ptr 1
		.amdhsa_user_sgpr_dispatch_id 0
		.amdhsa_user_sgpr_flat_scratch_init 0
		.amdhsa_user_sgpr_kernarg_preload_length 0
		.amdhsa_user_sgpr_kernarg_preload_offset 0
		.amdhsa_user_sgpr_private_segment_size 0
		.amdhsa_uses_dynamic_stack 0
		.amdhsa_system_sgpr_private_segment_wavefront_offset 0
		.amdhsa_system_sgpr_workgroup_id_x 1
		.amdhsa_system_sgpr_workgroup_id_y 1
		.amdhsa_system_sgpr_workgroup_id_z 1
		.amdhsa_system_sgpr_workgroup_info 0
		.amdhsa_system_vgpr_workitem_id 1
		.amdhsa_next_free_vgpr 35
		.amdhsa_next_free_sgpr 21
		.amdhsa_accum_offset 36
		.amdhsa_reserve_vcc 1
		.amdhsa_reserve_flat_scratch 0
		.amdhsa_float_round_mode_32 0
		.amdhsa_float_round_mode_16_64 0
		.amdhsa_float_denorm_mode_32 3
		.amdhsa_float_denorm_mode_16_64 3
		.amdhsa_dx10_clamp 1
		.amdhsa_ieee_mode 1
		.amdhsa_fp16_overflow 0
		.amdhsa_tg_split 0
		.amdhsa_exception_fp_ieee_invalid_op 0
		.amdhsa_exception_fp_denorm_src 0
		.amdhsa_exception_fp_ieee_div_zero 0
		.amdhsa_exception_fp_ieee_overflow 0
		.amdhsa_exception_fp_ieee_underflow 0
		.amdhsa_exception_fp_ieee_inexact 0
		.amdhsa_exception_int_div_zero 0
	.end_amdhsa_kernel
	.section	.text._ZN2at6native20bitonicSortKVInPlaceILin1ELin1ELi16ELi16EslNS0_4LTOpIsLb1EEEmEEvNS_4cuda6detail10TensorInfoIT3_T6_EES8_S8_S8_NS6_IT4_S8_EES8_T5_,"axG",@progbits,_ZN2at6native20bitonicSortKVInPlaceILin1ELin1ELi16ELi16EslNS0_4LTOpIsLb1EEEmEEvNS_4cuda6detail10TensorInfoIT3_T6_EES8_S8_S8_NS6_IT4_S8_EES8_T5_,comdat
.Lfunc_end38:
	.size	_ZN2at6native20bitonicSortKVInPlaceILin1ELin1ELi16ELi16EslNS0_4LTOpIsLb1EEEmEEvNS_4cuda6detail10TensorInfoIT3_T6_EES8_S8_S8_NS6_IT4_S8_EES8_T5_, .Lfunc_end38-_ZN2at6native20bitonicSortKVInPlaceILin1ELin1ELi16ELi16EslNS0_4LTOpIsLb1EEEmEEvNS_4cuda6detail10TensorInfoIT3_T6_EES8_S8_S8_NS6_IT4_S8_EES8_T5_
                                        ; -- End function
	.section	.AMDGPU.csdata,"",@progbits
; Kernel info:
; codeLenInByte = 6684
; NumSgprs: 25
; NumVgprs: 35
; NumAgprs: 0
; TotalNumVgprs: 35
; ScratchSize: 0
; MemoryBound: 0
; FloatMode: 240
; IeeeMode: 1
; LDSByteSize: 5632 bytes/workgroup (compile time only)
; SGPRBlocks: 3
; VGPRBlocks: 4
; NumSGPRsForWavesPerEU: 25
; NumVGPRsForWavesPerEU: 35
; AccumOffset: 36
; Occupancy: 8
; WaveLimiterHint : 1
; COMPUTE_PGM_RSRC2:SCRATCH_EN: 0
; COMPUTE_PGM_RSRC2:USER_SGPR: 6
; COMPUTE_PGM_RSRC2:TRAP_HANDLER: 0
; COMPUTE_PGM_RSRC2:TGID_X_EN: 1
; COMPUTE_PGM_RSRC2:TGID_Y_EN: 1
; COMPUTE_PGM_RSRC2:TGID_Z_EN: 1
; COMPUTE_PGM_RSRC2:TIDIG_COMP_CNT: 1
; COMPUTE_PGM_RSRC3_GFX90A:ACCUM_OFFSET: 8
; COMPUTE_PGM_RSRC3_GFX90A:TG_SPLIT: 0
	.section	.text._ZN2at6native20bitonicSortKVInPlaceILin1ELin1ELi16ELi16EslNS0_4GTOpIsLb1EEEmEEvNS_4cuda6detail10TensorInfoIT3_T6_EES8_S8_S8_NS6_IT4_S8_EES8_T5_,"axG",@progbits,_ZN2at6native20bitonicSortKVInPlaceILin1ELin1ELi16ELi16EslNS0_4GTOpIsLb1EEEmEEvNS_4cuda6detail10TensorInfoIT3_T6_EES8_S8_S8_NS6_IT4_S8_EES8_T5_,comdat
	.protected	_ZN2at6native20bitonicSortKVInPlaceILin1ELin1ELi16ELi16EslNS0_4GTOpIsLb1EEEmEEvNS_4cuda6detail10TensorInfoIT3_T6_EES8_S8_S8_NS6_IT4_S8_EES8_T5_ ; -- Begin function _ZN2at6native20bitonicSortKVInPlaceILin1ELin1ELi16ELi16EslNS0_4GTOpIsLb1EEEmEEvNS_4cuda6detail10TensorInfoIT3_T6_EES8_S8_S8_NS6_IT4_S8_EES8_T5_
	.globl	_ZN2at6native20bitonicSortKVInPlaceILin1ELin1ELi16ELi16EslNS0_4GTOpIsLb1EEEmEEvNS_4cuda6detail10TensorInfoIT3_T6_EES8_S8_S8_NS6_IT4_S8_EES8_T5_
	.p2align	8
	.type	_ZN2at6native20bitonicSortKVInPlaceILin1ELin1ELi16ELi16EslNS0_4GTOpIsLb1EEEmEEvNS_4cuda6detail10TensorInfoIT3_T6_EES8_S8_S8_NS6_IT4_S8_EES8_T5_,@function
_ZN2at6native20bitonicSortKVInPlaceILin1ELin1ELi16ELi16EslNS0_4GTOpIsLb1EEEmEEvNS_4cuda6detail10TensorInfoIT3_T6_EES8_S8_S8_NS6_IT4_S8_EES8_T5_: ; @_ZN2at6native20bitonicSortKVInPlaceILin1ELin1ELi16ELi16EslNS0_4GTOpIsLb1EEEmEEvNS_4cuda6detail10TensorInfoIT3_T6_EES8_S8_S8_NS6_IT4_S8_EES8_T5_
; %bb.0:
	s_load_dwordx2 s[0:1], s[4:5], 0x368
	s_load_dwordx4 s[12:15], s[4:5], 0x1a0
	s_load_dword s9, s[4:5], 0x374
	s_add_u32 s2, s4, 0x368
	s_addc_u32 s3, s5, 0
	s_waitcnt lgkmcnt(0)
	s_mul_i32 s1, s1, s8
	s_add_i32 s1, s1, s7
	s_mul_i32 s0, s1, s0
	s_add_i32 s0, s0, s6
	s_lshr_b32 s6, s9, 16
	s_mul_hi_u32 s1, s0, s6
	s_mul_i32 s0, s0, s6
	v_pk_mov_b32 v[2:3], s[12:13], s[12:13] op_sel:[0,1]
	v_cmp_ge_u64_e32 vcc, s[0:1], v[2:3]
	s_cbranch_vccnz .LBB39_99
; %bb.1:
	v_mov_b32_e32 v1, s1
	s_load_dwordx2 s[6:7], s[4:5], 0x1b0
	s_load_dword s1, s[4:5], 0x198
	v_bfe_u32 v16, v0, 10, 10
	v_add_co_u32_e32 v4, vcc, s0, v16
	v_addc_co_u32_e32 v5, vcc, 0, v1, vcc
	v_mov_b32_e32 v8, 0
	s_waitcnt lgkmcnt(0)
	s_cmp_lt_i32 s1, 2
	v_pk_mov_b32 v[2:3], 0, 0
	v_pk_mov_b32 v[6:7], v[4:5], v[4:5] op_sel:[0,1]
	s_cbranch_scc1 .LBB39_9
; %bb.2:
	s_add_i32 s18, s1, 1
	s_add_i32 s0, s1, -1
	s_mov_b32 s1, 0
	s_lshl_b64 s[0:1], s[0:1], 3
	s_add_u32 s0, s0, s4
	s_addc_u32 s1, s1, s5
	s_add_u32 s8, s0, 8
	s_addc_u32 s9, s1, 0
	v_pk_mov_b32 v[2:3], 0, 0
	v_pk_mov_b32 v[10:11], v[4:5], v[4:5] op_sel:[0,1]
.LBB39_3:                               ; =>This Inner Loop Header: Depth=1
	s_load_dwordx2 s[10:11], s[8:9], 0x0
                                        ; implicit-def: $vgpr6_vgpr7
	s_waitcnt lgkmcnt(0)
	v_or_b32_e32 v9, s11, v11
	v_cmp_ne_u64_e32 vcc, 0, v[8:9]
	s_and_saveexec_b64 s[0:1], vcc
	s_xor_b64 s[16:17], exec, s[0:1]
	s_cbranch_execz .LBB39_5
; %bb.4:                                ;   in Loop: Header=BB39_3 Depth=1
	v_cvt_f32_u32_e32 v1, s10
	v_cvt_f32_u32_e32 v6, s11
	s_sub_u32 s0, 0, s10
	s_subb_u32 s1, 0, s11
	v_mac_f32_e32 v1, 0x4f800000, v6
	v_rcp_f32_e32 v1, v1
	v_mul_f32_e32 v1, 0x5f7ffffc, v1
	v_mul_f32_e32 v6, 0x2f800000, v1
	v_trunc_f32_e32 v6, v6
	v_mac_f32_e32 v1, 0xcf800000, v6
	v_cvt_u32_f32_e32 v6, v6
	v_cvt_u32_f32_e32 v1, v1
	v_mul_lo_u32 v7, s0, v6
	v_mul_hi_u32 v12, s0, v1
	v_mul_lo_u32 v9, s1, v1
	v_add_u32_e32 v7, v12, v7
	v_mul_lo_u32 v13, s0, v1
	v_add_u32_e32 v7, v7, v9
	v_mul_hi_u32 v12, v1, v13
	v_mul_lo_u32 v14, v1, v7
	v_mul_hi_u32 v9, v1, v7
	v_add_co_u32_e32 v12, vcc, v12, v14
	v_addc_co_u32_e32 v9, vcc, 0, v9, vcc
	v_mul_hi_u32 v15, v6, v13
	v_mul_lo_u32 v13, v6, v13
	v_add_co_u32_e32 v12, vcc, v12, v13
	v_mul_hi_u32 v14, v6, v7
	v_addc_co_u32_e32 v9, vcc, v9, v15, vcc
	v_addc_co_u32_e32 v12, vcc, 0, v14, vcc
	v_mul_lo_u32 v7, v6, v7
	v_add_co_u32_e32 v7, vcc, v9, v7
	v_addc_co_u32_e32 v9, vcc, 0, v12, vcc
	v_add_co_u32_e32 v1, vcc, v1, v7
	v_addc_co_u32_e32 v6, vcc, v6, v9, vcc
	v_mul_lo_u32 v7, s0, v6
	v_mul_hi_u32 v9, s0, v1
	v_add_u32_e32 v7, v9, v7
	v_mul_lo_u32 v9, s1, v1
	v_add_u32_e32 v7, v7, v9
	v_mul_lo_u32 v12, s0, v1
	v_mul_hi_u32 v13, v6, v12
	v_mul_lo_u32 v14, v6, v12
	v_mul_lo_u32 v17, v1, v7
	v_mul_hi_u32 v12, v1, v12
	v_mul_hi_u32 v15, v1, v7
	v_add_co_u32_e32 v12, vcc, v12, v17
	v_addc_co_u32_e32 v15, vcc, 0, v15, vcc
	v_add_co_u32_e32 v12, vcc, v12, v14
	v_mul_hi_u32 v9, v6, v7
	v_addc_co_u32_e32 v12, vcc, v15, v13, vcc
	v_addc_co_u32_e32 v9, vcc, 0, v9, vcc
	v_mul_lo_u32 v7, v6, v7
	v_add_co_u32_e32 v7, vcc, v12, v7
	v_addc_co_u32_e32 v9, vcc, 0, v9, vcc
	v_add_co_u32_e32 v1, vcc, v1, v7
	v_addc_co_u32_e32 v9, vcc, v6, v9, vcc
	v_mad_u64_u32 v[6:7], s[0:1], v10, v9, 0
	v_mul_hi_u32 v12, v10, v1
	v_add_co_u32_e32 v14, vcc, v12, v6
	v_addc_co_u32_e32 v15, vcc, 0, v7, vcc
	v_mad_u64_u32 v[12:13], s[0:1], v11, v1, 0
	v_add_co_u32_e32 v1, vcc, v14, v12
	v_mad_u64_u32 v[6:7], s[0:1], v11, v9, 0
	v_addc_co_u32_e32 v1, vcc, v15, v13, vcc
	v_addc_co_u32_e32 v7, vcc, 0, v7, vcc
	v_add_co_u32_e32 v1, vcc, v1, v6
	v_addc_co_u32_e32 v9, vcc, 0, v7, vcc
	v_mul_lo_u32 v12, s11, v1
	v_mul_lo_u32 v13, s10, v9
	v_mad_u64_u32 v[6:7], s[0:1], s10, v1, 0
	v_add3_u32 v7, v7, v13, v12
	v_sub_u32_e32 v12, v11, v7
	v_mov_b32_e32 v13, s11
	v_sub_co_u32_e32 v6, vcc, v10, v6
	v_subb_co_u32_e64 v12, s[0:1], v12, v13, vcc
	v_subrev_co_u32_e64 v13, s[0:1], s10, v6
	v_subbrev_co_u32_e64 v12, s[0:1], 0, v12, s[0:1]
	v_cmp_le_u32_e64 s[0:1], s11, v12
	v_cndmask_b32_e64 v14, 0, -1, s[0:1]
	v_cmp_le_u32_e64 s[0:1], s10, v13
	v_cndmask_b32_e64 v13, 0, -1, s[0:1]
	v_cmp_eq_u32_e64 s[0:1], s11, v12
	v_cndmask_b32_e64 v12, v14, v13, s[0:1]
	v_add_co_u32_e64 v13, s[0:1], 2, v1
	v_addc_co_u32_e64 v14, s[0:1], 0, v9, s[0:1]
	v_add_co_u32_e64 v15, s[0:1], 1, v1
	v_addc_co_u32_e64 v17, s[0:1], 0, v9, s[0:1]
	v_subb_co_u32_e32 v7, vcc, v11, v7, vcc
	v_cmp_ne_u32_e64 s[0:1], 0, v12
	v_cmp_le_u32_e32 vcc, s11, v7
	v_cndmask_b32_e64 v12, v17, v14, s[0:1]
	v_cndmask_b32_e64 v14, 0, -1, vcc
	v_cmp_le_u32_e32 vcc, s10, v6
	v_cndmask_b32_e64 v6, 0, -1, vcc
	v_cmp_eq_u32_e32 vcc, s11, v7
	v_cndmask_b32_e32 v6, v14, v6, vcc
	v_cmp_ne_u32_e32 vcc, 0, v6
	v_cndmask_b32_e64 v6, v15, v13, s[0:1]
	v_cndmask_b32_e32 v7, v9, v12, vcc
	v_cndmask_b32_e32 v6, v1, v6, vcc
.LBB39_5:                               ;   in Loop: Header=BB39_3 Depth=1
	s_andn2_saveexec_b64 s[0:1], s[16:17]
	s_cbranch_execz .LBB39_7
; %bb.6:                                ;   in Loop: Header=BB39_3 Depth=1
	v_cvt_f32_u32_e32 v1, s10
	s_sub_i32 s16, 0, s10
	v_rcp_iflag_f32_e32 v1, v1
	v_mul_f32_e32 v1, 0x4f7ffffe, v1
	v_cvt_u32_f32_e32 v1, v1
	v_mul_lo_u32 v6, s16, v1
	v_mul_hi_u32 v6, v1, v6
	v_add_u32_e32 v1, v1, v6
	v_mul_hi_u32 v1, v10, v1
	v_mul_lo_u32 v6, v1, s10
	v_sub_u32_e32 v6, v10, v6
	v_add_u32_e32 v7, 1, v1
	v_subrev_u32_e32 v9, s10, v6
	v_cmp_le_u32_e32 vcc, s10, v6
	v_cndmask_b32_e32 v6, v6, v9, vcc
	v_cndmask_b32_e32 v1, v1, v7, vcc
	v_add_u32_e32 v7, 1, v1
	v_cmp_le_u32_e32 vcc, s10, v6
	v_cndmask_b32_e32 v6, v1, v7, vcc
	v_mov_b32_e32 v7, v8
.LBB39_7:                               ;   in Loop: Header=BB39_3 Depth=1
	s_or_b64 exec, exec, s[0:1]
	v_mad_u64_u32 v[12:13], s[0:1], v6, s10, 0
	s_load_dwordx2 s[0:1], s[8:9], 0xc8
	v_mul_lo_u32 v1, v7, s10
	v_mul_lo_u32 v9, v6, s11
	v_add3_u32 v1, v13, v9, v1
	v_sub_co_u32_e32 v9, vcc, v10, v12
	s_add_i32 s18, s18, -1
	v_subb_co_u32_e32 v1, vcc, v11, v1, vcc
	s_add_u32 s8, s8, -8
	s_waitcnt lgkmcnt(0)
	v_mul_lo_u32 v1, s0, v1
	v_mul_lo_u32 v10, s1, v9
	v_mad_u64_u32 v[2:3], s[0:1], s0, v9, v[2:3]
	s_addc_u32 s9, s9, -1
	s_cmp_gt_u32 s18, 2
	v_add3_u32 v3, v10, v3, v1
	s_cbranch_scc0 .LBB39_9
; %bb.8:                                ;   in Loop: Header=BB39_3 Depth=1
	v_pk_mov_b32 v[10:11], v[6:7], v[6:7] op_sel:[0,1]
	s_branch .LBB39_3
.LBB39_9:
	s_load_dword s0, s[4:5], 0x350
	s_load_dwordx2 s[8:9], s[4:5], 0xd0
	v_pk_mov_b32 v[8:9], 0, 0
	v_pk_mov_b32 v[14:15], v[4:5], v[4:5] op_sel:[0,1]
	s_waitcnt lgkmcnt(0)
	s_cmp_lt_i32 s0, 2
	s_cbranch_scc1 .LBB39_17
; %bb.10:
	s_add_i32 s20, s0, 1
	s_add_i32 s0, s0, -1
	s_mov_b32 s1, 0
	s_lshl_b64 s[0:1], s[0:1], 3
	s_add_u32 s0, s0, s4
	s_addc_u32 s1, s1, s5
	s_add_u32 s10, s0, 0x1c0
	s_addc_u32 s11, s1, 0
	v_pk_mov_b32 v[8:9], 0, 0
	v_mov_b32_e32 v10, 0
	v_pk_mov_b32 v[12:13], v[4:5], v[4:5] op_sel:[0,1]
.LBB39_11:                              ; =>This Inner Loop Header: Depth=1
	s_load_dwordx2 s[16:17], s[10:11], 0x0
                                        ; implicit-def: $vgpr14_vgpr15
	s_waitcnt lgkmcnt(0)
	v_or_b32_e32 v11, s17, v13
	v_cmp_ne_u64_e32 vcc, 0, v[10:11]
	s_and_saveexec_b64 s[0:1], vcc
	s_xor_b64 s[18:19], exec, s[0:1]
	s_cbranch_execz .LBB39_13
; %bb.12:                               ;   in Loop: Header=BB39_11 Depth=1
	v_cvt_f32_u32_e32 v1, s16
	v_cvt_f32_u32_e32 v11, s17
	s_sub_u32 s0, 0, s16
	s_subb_u32 s1, 0, s17
	v_mac_f32_e32 v1, 0x4f800000, v11
	v_rcp_f32_e32 v1, v1
	v_mul_f32_e32 v1, 0x5f7ffffc, v1
	v_mul_f32_e32 v11, 0x2f800000, v1
	v_trunc_f32_e32 v11, v11
	v_mac_f32_e32 v1, 0xcf800000, v11
	v_cvt_u32_f32_e32 v11, v11
	v_cvt_u32_f32_e32 v1, v1
	v_mul_lo_u32 v14, s0, v11
	v_mul_hi_u32 v17, s0, v1
	v_mul_lo_u32 v15, s1, v1
	v_add_u32_e32 v14, v17, v14
	v_mul_lo_u32 v18, s0, v1
	v_add_u32_e32 v14, v14, v15
	v_mul_hi_u32 v17, v1, v18
	v_mul_lo_u32 v19, v1, v14
	v_mul_hi_u32 v15, v1, v14
	v_add_co_u32_e32 v17, vcc, v17, v19
	v_addc_co_u32_e32 v15, vcc, 0, v15, vcc
	v_mul_hi_u32 v20, v11, v18
	v_mul_lo_u32 v18, v11, v18
	v_add_co_u32_e32 v17, vcc, v17, v18
	v_mul_hi_u32 v19, v11, v14
	v_addc_co_u32_e32 v15, vcc, v15, v20, vcc
	v_addc_co_u32_e32 v17, vcc, 0, v19, vcc
	v_mul_lo_u32 v14, v11, v14
	v_add_co_u32_e32 v14, vcc, v15, v14
	v_addc_co_u32_e32 v15, vcc, 0, v17, vcc
	v_add_co_u32_e32 v1, vcc, v1, v14
	v_addc_co_u32_e32 v11, vcc, v11, v15, vcc
	v_mul_lo_u32 v14, s0, v11
	v_mul_hi_u32 v15, s0, v1
	v_add_u32_e32 v14, v15, v14
	v_mul_lo_u32 v15, s1, v1
	v_add_u32_e32 v14, v14, v15
	v_mul_lo_u32 v17, s0, v1
	v_mul_hi_u32 v18, v11, v17
	v_mul_lo_u32 v19, v11, v17
	v_mul_lo_u32 v21, v1, v14
	v_mul_hi_u32 v17, v1, v17
	v_mul_hi_u32 v20, v1, v14
	v_add_co_u32_e32 v17, vcc, v17, v21
	v_addc_co_u32_e32 v20, vcc, 0, v20, vcc
	v_add_co_u32_e32 v17, vcc, v17, v19
	v_mul_hi_u32 v15, v11, v14
	v_addc_co_u32_e32 v17, vcc, v20, v18, vcc
	v_addc_co_u32_e32 v15, vcc, 0, v15, vcc
	v_mul_lo_u32 v14, v11, v14
	v_add_co_u32_e32 v14, vcc, v17, v14
	v_addc_co_u32_e32 v15, vcc, 0, v15, vcc
	v_add_co_u32_e32 v1, vcc, v1, v14
	v_addc_co_u32_e32 v11, vcc, v11, v15, vcc
	v_mad_u64_u32 v[14:15], s[0:1], v12, v11, 0
	v_mul_hi_u32 v17, v12, v1
	v_add_co_u32_e32 v17, vcc, v17, v14
	v_addc_co_u32_e32 v20, vcc, 0, v15, vcc
	v_mad_u64_u32 v[18:19], s[0:1], v13, v1, 0
	v_add_co_u32_e32 v1, vcc, v17, v18
	v_mad_u64_u32 v[14:15], s[0:1], v13, v11, 0
	v_addc_co_u32_e32 v1, vcc, v20, v19, vcc
	v_addc_co_u32_e32 v11, vcc, 0, v15, vcc
	v_add_co_u32_e32 v1, vcc, v1, v14
	v_addc_co_u32_e32 v11, vcc, 0, v11, vcc
	v_mul_lo_u32 v17, s17, v1
	v_mul_lo_u32 v18, s16, v11
	v_mad_u64_u32 v[14:15], s[0:1], s16, v1, 0
	v_add3_u32 v15, v15, v18, v17
	v_sub_u32_e32 v17, v13, v15
	v_mov_b32_e32 v18, s17
	v_sub_co_u32_e32 v14, vcc, v12, v14
	v_subb_co_u32_e64 v17, s[0:1], v17, v18, vcc
	v_subrev_co_u32_e64 v18, s[0:1], s16, v14
	v_subbrev_co_u32_e64 v17, s[0:1], 0, v17, s[0:1]
	v_cmp_le_u32_e64 s[0:1], s17, v17
	v_cndmask_b32_e64 v19, 0, -1, s[0:1]
	v_cmp_le_u32_e64 s[0:1], s16, v18
	v_cndmask_b32_e64 v18, 0, -1, s[0:1]
	v_cmp_eq_u32_e64 s[0:1], s17, v17
	v_cndmask_b32_e64 v17, v19, v18, s[0:1]
	v_add_co_u32_e64 v18, s[0:1], 2, v1
	v_addc_co_u32_e64 v19, s[0:1], 0, v11, s[0:1]
	v_add_co_u32_e64 v20, s[0:1], 1, v1
	v_addc_co_u32_e64 v21, s[0:1], 0, v11, s[0:1]
	v_subb_co_u32_e32 v15, vcc, v13, v15, vcc
	v_cmp_ne_u32_e64 s[0:1], 0, v17
	v_cmp_le_u32_e32 vcc, s17, v15
	v_cndmask_b32_e64 v17, v21, v19, s[0:1]
	v_cndmask_b32_e64 v19, 0, -1, vcc
	v_cmp_le_u32_e32 vcc, s16, v14
	v_cndmask_b32_e64 v14, 0, -1, vcc
	v_cmp_eq_u32_e32 vcc, s17, v15
	v_cndmask_b32_e32 v14, v19, v14, vcc
	v_cmp_ne_u32_e32 vcc, 0, v14
	v_cndmask_b32_e32 v15, v11, v17, vcc
	v_cndmask_b32_e64 v11, v20, v18, s[0:1]
	v_cndmask_b32_e32 v14, v1, v11, vcc
.LBB39_13:                              ;   in Loop: Header=BB39_11 Depth=1
	s_andn2_saveexec_b64 s[0:1], s[18:19]
	s_cbranch_execz .LBB39_15
; %bb.14:                               ;   in Loop: Header=BB39_11 Depth=1
	v_cvt_f32_u32_e32 v1, s16
	s_sub_i32 s18, 0, s16
	v_rcp_iflag_f32_e32 v1, v1
	v_mul_f32_e32 v1, 0x4f7ffffe, v1
	v_cvt_u32_f32_e32 v1, v1
	v_mul_lo_u32 v11, s18, v1
	v_mul_hi_u32 v11, v1, v11
	v_add_u32_e32 v1, v1, v11
	v_mul_hi_u32 v1, v12, v1
	v_mul_lo_u32 v11, v1, s16
	v_sub_u32_e32 v11, v12, v11
	v_add_u32_e32 v14, 1, v1
	v_subrev_u32_e32 v15, s16, v11
	v_cmp_le_u32_e32 vcc, s16, v11
	v_cndmask_b32_e32 v11, v11, v15, vcc
	v_cndmask_b32_e32 v1, v1, v14, vcc
	v_add_u32_e32 v14, 1, v1
	v_cmp_le_u32_e32 vcc, s16, v11
	v_cndmask_b32_e32 v14, v1, v14, vcc
	v_mov_b32_e32 v15, v10
.LBB39_15:                              ;   in Loop: Header=BB39_11 Depth=1
	s_or_b64 exec, exec, s[0:1]
	v_mad_u64_u32 v[18:19], s[0:1], v14, s16, 0
	s_load_dwordx2 s[0:1], s[10:11], 0xc8
	v_mul_lo_u32 v1, v15, s16
	v_mul_lo_u32 v11, v14, s17
	v_add3_u32 v1, v19, v11, v1
	v_sub_co_u32_e32 v11, vcc, v12, v18
	s_add_i32 s20, s20, -1
	v_subb_co_u32_e32 v1, vcc, v13, v1, vcc
	s_add_u32 s10, s10, -8
	s_waitcnt lgkmcnt(0)
	v_mul_lo_u32 v1, s0, v1
	v_mul_lo_u32 v12, s1, v11
	v_mad_u64_u32 v[8:9], s[0:1], s0, v11, v[8:9]
	s_addc_u32 s11, s11, -1
	s_cmp_gt_u32 s20, 2
	v_add3_u32 v9, v12, v9, v1
	s_cbranch_scc0 .LBB39_17
; %bb.16:                               ;   in Loop: Header=BB39_11 Depth=1
	v_pk_mov_b32 v[12:13], v[14:15], v[14:15] op_sel:[0,1]
	s_branch .LBB39_11
.LBB39_17:
	v_mul_lo_u32 v1, s9, v6
	v_mul_lo_u32 v10, s8, v7
	v_mad_u64_u32 v[6:7], s[0:1], s8, v6, 0
	s_load_dwordx2 s[8:9], s[4:5], 0x358
	s_load_dwordx2 s[0:1], s[4:5], 0x288
	;; [unrolled: 1-line block ×4, first 2 shown]
	v_add3_u32 v7, v7, v10, v1
	v_cmp_gt_u64_e32 vcc, s[12:13], v[4:5]
	v_lshlrev_b64 v[6:7], 1, v[6:7]
	s_waitcnt lgkmcnt(0)
	v_mul_lo_u32 v1, s1, v14
	v_mul_lo_u32 v10, s0, v15
	v_mad_u64_u32 v[4:5], s[0:1], s0, v14, 0
	v_add3_u32 v5, v5, v10, v1
	v_mov_b32_e32 v1, s11
	v_add_co_u32_e64 v6, s[0:1], s10, v6
	v_addc_co_u32_e64 v1, s[0:1], v1, v7, s[0:1]
	v_lshlrev_b64 v[2:3], 1, v[2:3]
	v_add_co_u32_e64 v10, s[0:1], v6, v2
	v_addc_co_u32_e64 v11, s[0:1], v1, v3, s[0:1]
	v_lshlrev_b64 v[2:3], 3, v[4:5]
	v_mov_b32_e32 v1, s17
	v_add_co_u32_e64 v4, s[0:1], s16, v2
	v_addc_co_u32_e64 v1, s[0:1], v1, v3, s[0:1]
	v_lshlrev_b64 v[2:3], 3, v[8:9]
	s_load_dword s12, s[2:3], 0xc
	v_add_co_u32_e64 v8, s[0:1], v4, v2
	v_addc_co_u32_e64 v9, s[0:1], v1, v3, s[0:1]
	v_mov_b32_e32 v1, 0
	v_and_b32_e32 v2, 0x3ff, v0
	v_mov_b32_e32 v3, v1
	v_cmp_gt_u64_e64 s[0:1], s[14:15], v[2:3]
	v_pk_mov_b32 v[4:5], 0, 0
	s_and_b64 s[4:5], vcc, s[0:1]
	v_mov_b32_e32 v0, 0
	v_pk_mov_b32 v[6:7], v[4:5], v[4:5] op_sel:[0,1]
	s_and_saveexec_b64 s[10:11], s[4:5]
	s_cbranch_execz .LBB39_19
; %bb.18:
	v_mad_u64_u32 v[6:7], s[2:3], v2, s6, 0
	v_mov_b32_e32 v0, v7
	v_mad_u64_u32 v[12:13], s[2:3], v2, s7, v[0:1]
	v_mov_b32_e32 v7, v12
	v_lshlrev_b64 v[6:7], 1, v[6:7]
	v_add_co_u32_e64 v6, s[2:3], v10, v6
	v_addc_co_u32_e64 v7, s[2:3], v11, v7, s[2:3]
	global_load_ushort v0, v[6:7], off
	v_mad_u64_u32 v[6:7], s[2:3], v2, s8, 0
	v_mov_b32_e32 v12, v7
	v_mad_u64_u32 v[12:13], s[2:3], v2, s9, v[12:13]
	v_mov_b32_e32 v7, v12
	v_lshlrev_b64 v[6:7], 3, v[6:7]
	v_add_co_u32_e64 v6, s[2:3], v8, v6
	v_addc_co_u32_e64 v7, s[2:3], v9, v7, s[2:3]
	global_load_dwordx2 v[6:7], v[6:7], off
.LBB39_19:
	s_or_b64 exec, exec, s[10:11]
	v_mov_b32_e32 v3, 0x1000
	v_lshl_add_u32 v18, v16, 6, v3
	v_mov_b32_e32 v3, 0x1400
	v_lshl_add_u32 v17, v16, 5, v3
	v_lshl_add_u32 v12, v2, 1, v18
	s_waitcnt lgkmcnt(0)
	s_and_b32 s16, 0xffff, s12
	v_cndmask_b32_e64 v13, 0, 1, s[4:5]
	s_waitcnt vmcnt(1)
	ds_write_b16 v12, v0
	v_add_u32_e32 v0, v17, v2
	ds_write_b8 v0, v13
	v_add_u32_e32 v0, s16, v2
	v_lshlrev_b32_e32 v15, 8, v16
	v_cmp_gt_u64_e64 s[2:3], s[14:15], v[0:1]
	v_lshl_add_u32 v3, v2, 3, v15
	s_and_b64 s[10:11], vcc, s[2:3]
	s_waitcnt vmcnt(0)
	ds_write_b64 v3, v[6:7]
	s_and_saveexec_b64 s[12:13], s[10:11]
	s_cbranch_execz .LBB39_21
; %bb.20:
	v_mad_u64_u32 v[4:5], s[4:5], v0, s6, 0
	v_mov_b32_e32 v6, v5
	v_mad_u64_u32 v[6:7], s[4:5], v0, s7, v[6:7]
	v_mov_b32_e32 v5, v6
	v_lshlrev_b64 v[4:5], 1, v[4:5]
	v_add_co_u32_e64 v4, s[4:5], v10, v4
	v_addc_co_u32_e64 v5, s[4:5], v11, v5, s[4:5]
	global_load_ushort v1, v[4:5], off
	v_mad_u64_u32 v[4:5], s[4:5], v0, s8, 0
	v_mov_b32_e32 v6, v5
	v_mad_u64_u32 v[6:7], s[4:5], v0, s9, v[6:7]
	v_mov_b32_e32 v5, v6
	v_lshlrev_b64 v[4:5], 3, v[4:5]
	v_add_co_u32_e64 v4, s[4:5], v8, v4
	v_addc_co_u32_e64 v5, s[4:5], v9, v5, s[4:5]
	global_load_dwordx2 v[4:5], v[4:5], off
.LBB39_21:
	s_or_b64 exec, exec, s[12:13]
	v_lshl_add_u32 v6, s16, 1, v12
	s_waitcnt vmcnt(1)
	ds_write_b16 v6, v1
	v_lshl_add_u32 v1, s16, 3, v3
	v_lshlrev_b32_e32 v19, 1, v2
	v_cndmask_b32_e64 v7, 0, 1, s[10:11]
	s_waitcnt vmcnt(0)
	ds_write_b64 v1, v[4:5]
	v_add_u32_e32 v4, v17, v0
	v_add_u32_e32 v5, v12, v19
	ds_write_b8 v4, v7
	s_waitcnt lgkmcnt(0)
	s_barrier
	ds_read_b32 v13, v5
	s_mov_b32 s14, 1
	v_add_u32_e32 v4, v17, v19
	s_waitcnt lgkmcnt(0)
	v_cmp_le_i16_sdwa s[10:11], v13, v13 src0_sel:DWORD src1_sel:WORD_1
	v_cmp_gt_i16_sdwa s[4:5], v13, v13 src0_sel:DWORD src1_sel:WORD_1
	s_and_saveexec_b64 s[12:13], s[4:5]
	s_xor_b64 s[12:13], exec, s[12:13]
	s_cbranch_execz .LBB39_23
; %bb.22:
	ds_read_u8 v7, v4
	s_andn2_b64 s[10:11], s[10:11], exec
	s_waitcnt lgkmcnt(0)
	v_and_b32_e32 v7, 1, v7
	v_cmp_eq_u32_e64 s[4:5], 1, v7
	s_xor_b64 s[4:5], s[4:5], -1
	s_and_b64 s[4:5], s[4:5], exec
	s_or_b64 s[10:11], s[10:11], s[4:5]
.LBB39_23:
	s_or_b64 exec, exec, s[12:13]
	v_mov_b32_e32 v16, s14
	s_and_saveexec_b64 s[4:5], s[10:11]
	s_cbranch_execz .LBB39_25
; %bb.24:
	ds_read_u8 v7, v4 offset:1
	s_waitcnt lgkmcnt(0)
	v_xor_b32_e32 v16, 1, v7
.LBB39_25:
	s_or_b64 exec, exec, s[4:5]
	v_and_b32_e32 v14, 1, v2
	v_lshlrev_b32_e32 v7, 3, v2
	v_cmp_eq_u32_e64 s[4:5], v16, v14
	s_and_saveexec_b64 s[10:11], s[4:5]
	s_cbranch_execz .LBB39_27
; %bb.26:
	v_add_u32_e32 v16, v3, v7
	v_alignbit_b32 v13, v13, v13, 16
	ds_read_b128 v[20:23], v16
	ds_write_b32 v5, v13
	ds_read_u16 v13, v4
	s_mov_b32 s4, 0xc0c0001
	s_waitcnt lgkmcnt(2)
	v_mov_b32_e32 v24, v20
	v_mov_b32_e32 v25, v21
	s_waitcnt lgkmcnt(0)
	v_perm_b32 v13, 0, v13, s4
	ds_write_b128 v16, v[22:25]
	ds_write_b16 v4, v13
.LBB39_27:
	s_or_b64 exec, exec, s[10:11]
	v_sub_u32_e32 v16, v19, v14
	v_lshl_add_u32 v13, v16, 1, v18
	s_waitcnt lgkmcnt(0)
	s_barrier
	ds_read_u16 v21, v13
	ds_read_u16 v22, v13 offset:4
	s_mov_b64 s[10:11], -1
	v_add_u32_e32 v14, v17, v16
                                        ; implicit-def: $sgpr14
	s_waitcnt lgkmcnt(0)
	v_cmp_gt_i16_e64 s[4:5], v21, v22
	s_and_saveexec_b64 s[12:13], s[4:5]
	s_xor_b64 s[12:13], exec, s[12:13]
	s_cbranch_execz .LBB39_29
; %bb.28:
	ds_read_u8 v20, v14
	s_mov_b32 s14, 1
	s_waitcnt lgkmcnt(0)
	v_and_b32_e32 v20, 1, v20
	v_cmp_eq_u32_e64 s[4:5], 1, v20
	s_xor_b64 s[4:5], s[4:5], -1
	s_orn2_b64 s[10:11], s[4:5], exec
.LBB39_29:
	s_or_b64 exec, exec, s[12:13]
	v_mov_b32_e32 v23, s14
	s_and_saveexec_b64 s[4:5], s[10:11]
	s_cbranch_execz .LBB39_31
; %bb.30:
	ds_read_u8 v20, v14 offset:2
	s_waitcnt lgkmcnt(0)
	v_xor_b32_e32 v23, 1, v20
.LBB39_31:
	s_or_b64 exec, exec, s[4:5]
	v_bfe_u32 v20, v2, 1, 1
	v_lshl_add_u32 v16, v16, 3, v15
	v_cmp_eq_u32_e64 s[4:5], v23, v20
	s_and_saveexec_b64 s[10:11], s[4:5]
	s_cbranch_execz .LBB39_33
; %bb.32:
	ds_read2_b64 v[24:27], v16 offset1:2
	ds_read_u8 v23, v14 offset:2
	ds_read_u8 v28, v14
	ds_write_b16 v13, v22
	ds_write_b16 v13, v21 offset:4
	s_waitcnt lgkmcnt(4)
	ds_write2_b64 v16, v[26:27], v[24:25] offset1:2
	s_waitcnt lgkmcnt(4)
	ds_write_b8 v14, v23
	s_waitcnt lgkmcnt(4)
	ds_write_b8 v14, v28 offset:2
.LBB39_33:
	s_or_b64 exec, exec, s[10:11]
	s_waitcnt lgkmcnt(0)
	s_barrier
	ds_read_b32 v21, v5
                                        ; implicit-def: $sgpr14
	s_waitcnt lgkmcnt(0)
	v_cmp_le_i16_sdwa s[10:11], v21, v21 src0_sel:DWORD src1_sel:WORD_1
	v_cmp_gt_i16_sdwa s[4:5], v21, v21 src0_sel:DWORD src1_sel:WORD_1
	s_and_saveexec_b64 s[12:13], s[4:5]
	s_cbranch_execnz .LBB39_100
; %bb.34:
	s_or_b64 exec, exec, s[12:13]
	v_mov_b32_e32 v22, s14
	s_and_saveexec_b64 s[4:5], s[10:11]
	s_cbranch_execnz .LBB39_101
.LBB39_35:
	s_or_b64 exec, exec, s[4:5]
	v_cmp_eq_u32_e64 s[4:5], v22, v20
	s_and_saveexec_b64 s[10:11], s[4:5]
	s_cbranch_execz .LBB39_37
.LBB39_36:
	v_add_u32_e32 v26, v3, v7
	ds_read_b128 v[22:25], v26
	ds_read_u16 v27, v4
	v_alignbit_b32 v20, v21, v21, 16
	ds_write_b32 v5, v20
	s_mov_b32 s4, 0xc0c0001
	s_waitcnt lgkmcnt(2)
	v_mov_b32_e32 v20, v24
	v_mov_b32_e32 v21, v25
	ds_write_b128 v26, v[20:23]
	s_waitcnt lgkmcnt(2)
	v_perm_b32 v20, 0, v27, s4
	ds_write_b16 v4, v20
.LBB39_37:
	s_or_b64 exec, exec, s[10:11]
	v_and_b32_e32 v20, 3, v2
	v_sub_u32_e32 v22, v19, v20
	v_lshl_add_u32 v20, v22, 1, v18
	s_waitcnt lgkmcnt(0)
	s_barrier
	ds_read_u16 v24, v20
	ds_read_u16 v25, v20 offset:8
	s_mov_b32 s14, 1
	v_add_u32_e32 v21, v17, v22
	s_waitcnt lgkmcnt(0)
	v_cmp_le_i16_e64 s[10:11], v24, v25
	v_cmp_gt_i16_e64 s[4:5], v24, v25
	s_and_saveexec_b64 s[12:13], s[4:5]
	s_cbranch_execz .LBB39_39
; %bb.38:
	ds_read_u8 v23, v21
	s_andn2_b64 s[10:11], s[10:11], exec
	s_waitcnt lgkmcnt(0)
	v_and_b32_e32 v23, 1, v23
	v_cmp_eq_u32_e64 s[4:5], 1, v23
	s_xor_b64 s[4:5], s[4:5], -1
	s_and_b64 s[4:5], s[4:5], exec
	s_or_b64 s[10:11], s[10:11], s[4:5]
.LBB39_39:
	s_or_b64 exec, exec, s[12:13]
	v_mov_b32_e32 v26, s14
	s_and_saveexec_b64 s[4:5], s[10:11]
	s_cbranch_execz .LBB39_41
; %bb.40:
	ds_read_u8 v23, v21 offset:4
	s_waitcnt lgkmcnt(0)
	v_xor_b32_e32 v26, 1, v23
.LBB39_41:
	s_or_b64 exec, exec, s[4:5]
	v_bfe_u32 v23, v2, 2, 1
	v_lshl_add_u32 v22, v22, 3, v15
	v_cmp_eq_u32_e64 s[4:5], v26, v23
	s_and_saveexec_b64 s[10:11], s[4:5]
	s_cbranch_execz .LBB39_43
; %bb.42:
	ds_read2_b64 v[26:29], v22 offset1:4
	ds_read_u8 v30, v21 offset:4
	ds_read_u8 v31, v21
	ds_write_b16 v20, v25
	ds_write_b16 v20, v24 offset:8
	s_waitcnt lgkmcnt(4)
	ds_write2_b64 v22, v[28:29], v[26:27] offset1:4
	s_waitcnt lgkmcnt(4)
	ds_write_b8 v21, v30
	s_waitcnt lgkmcnt(4)
	ds_write_b8 v21, v31 offset:4
.LBB39_43:
	s_or_b64 exec, exec, s[10:11]
	s_waitcnt lgkmcnt(0)
	s_barrier
	ds_read_u16 v24, v13
	ds_read_u16 v25, v13 offset:4
                                        ; implicit-def: $sgpr14
	s_waitcnt lgkmcnt(0)
	v_cmp_le_i16_e64 s[10:11], v24, v25
	v_cmp_gt_i16_e64 s[4:5], v24, v25
	s_and_saveexec_b64 s[12:13], s[4:5]
	s_cbranch_execnz .LBB39_102
; %bb.44:
	s_or_b64 exec, exec, s[12:13]
	v_mov_b32_e32 v26, s14
	s_and_saveexec_b64 s[4:5], s[10:11]
	s_cbranch_execnz .LBB39_103
.LBB39_45:
	s_or_b64 exec, exec, s[4:5]
	v_cmp_eq_u32_e64 s[4:5], v26, v23
	s_and_saveexec_b64 s[10:11], s[4:5]
	s_cbranch_execz .LBB39_47
.LBB39_46:
	ds_read2_b64 v[26:29], v16 offset1:2
	ds_read_u8 v30, v14 offset:2
	ds_read_u8 v31, v14
	ds_write_b16 v13, v25
	ds_write_b16 v13, v24 offset:4
	s_waitcnt lgkmcnt(4)
	ds_write2_b64 v16, v[28:29], v[26:27] offset1:2
	s_waitcnt lgkmcnt(4)
	ds_write_b8 v14, v30
	s_waitcnt lgkmcnt(4)
	ds_write_b8 v14, v31 offset:2
.LBB39_47:
	s_or_b64 exec, exec, s[10:11]
	s_waitcnt lgkmcnt(0)
	s_barrier
	ds_read_b32 v24, v5
                                        ; implicit-def: $sgpr14
	s_waitcnt lgkmcnt(0)
	v_cmp_le_i16_sdwa s[10:11], v24, v24 src0_sel:DWORD src1_sel:WORD_1
	v_cmp_gt_i16_sdwa s[4:5], v24, v24 src0_sel:DWORD src1_sel:WORD_1
	s_and_saveexec_b64 s[12:13], s[4:5]
	s_cbranch_execnz .LBB39_104
; %bb.48:
	s_or_b64 exec, exec, s[12:13]
	v_mov_b32_e32 v25, s14
	s_and_saveexec_b64 s[4:5], s[10:11]
	s_cbranch_execnz .LBB39_105
.LBB39_49:
	s_or_b64 exec, exec, s[4:5]
	v_cmp_eq_u32_e64 s[4:5], v25, v23
	s_and_saveexec_b64 s[10:11], s[4:5]
	s_cbranch_execz .LBB39_51
.LBB39_50:
	v_add_u32_e32 v23, v3, v7
	ds_read_b128 v[26:29], v23
	ds_read_u16 v30, v4
	v_alignbit_b32 v24, v24, v24, 16
	ds_write_b32 v5, v24
	s_mov_b32 s4, 0xc0c0001
	s_waitcnt lgkmcnt(2)
	v_mov_b32_e32 v24, v28
	v_mov_b32_e32 v25, v29
	ds_write_b128 v23, v[24:27]
	s_waitcnt lgkmcnt(2)
	v_perm_b32 v23, 0, v30, s4
	ds_write_b16 v4, v23
.LBB39_51:
	s_or_b64 exec, exec, s[10:11]
	v_and_b32_e32 v23, 7, v2
	v_sub_u32_e32 v25, v19, v23
	v_lshl_add_u32 v23, v25, 1, v18
	s_waitcnt lgkmcnt(0)
	s_barrier
	ds_read_u16 v27, v23
	ds_read_u16 v28, v23 offset:16
	s_mov_b32 s14, 1
	v_add_u32_e32 v24, v17, v25
	s_waitcnt lgkmcnt(0)
	v_cmp_le_i16_e64 s[10:11], v27, v28
	v_cmp_gt_i16_e64 s[4:5], v27, v28
	s_and_saveexec_b64 s[12:13], s[4:5]
	s_cbranch_execz .LBB39_53
; %bb.52:
	ds_read_u8 v26, v24
	s_andn2_b64 s[10:11], s[10:11], exec
	s_waitcnt lgkmcnt(0)
	v_and_b32_e32 v26, 1, v26
	v_cmp_eq_u32_e64 s[4:5], 1, v26
	s_xor_b64 s[4:5], s[4:5], -1
	s_and_b64 s[4:5], s[4:5], exec
	s_or_b64 s[10:11], s[10:11], s[4:5]
.LBB39_53:
	s_or_b64 exec, exec, s[12:13]
	v_mov_b32_e32 v29, s14
	s_and_saveexec_b64 s[4:5], s[10:11]
	s_cbranch_execz .LBB39_55
; %bb.54:
	ds_read_u8 v26, v24 offset:8
	s_waitcnt lgkmcnt(0)
	v_xor_b32_e32 v29, 1, v26
.LBB39_55:
	s_or_b64 exec, exec, s[4:5]
	v_bfe_u32 v26, v2, 3, 1
	v_lshl_add_u32 v25, v25, 3, v15
	v_cmp_eq_u32_e64 s[4:5], v29, v26
	s_and_saveexec_b64 s[10:11], s[4:5]
	s_cbranch_execz .LBB39_57
; %bb.56:
	ds_read2_b64 v[30:33], v25 offset1:8
	ds_read_u8 v29, v24 offset:8
	ds_read_u8 v34, v24
	ds_write_b16 v23, v28
	ds_write_b16 v23, v27 offset:16
	s_waitcnt lgkmcnt(4)
	ds_write2_b64 v25, v[32:33], v[30:31] offset1:8
	s_waitcnt lgkmcnt(4)
	ds_write_b8 v24, v29
	s_waitcnt lgkmcnt(4)
	ds_write_b8 v24, v34 offset:8
.LBB39_57:
	s_or_b64 exec, exec, s[10:11]
	s_waitcnt lgkmcnt(0)
	s_barrier
	ds_read_u16 v27, v20
	ds_read_u16 v28, v20 offset:8
                                        ; implicit-def: $sgpr14
	s_waitcnt lgkmcnt(0)
	v_cmp_le_i16_e64 s[10:11], v27, v28
	v_cmp_gt_i16_e64 s[4:5], v27, v28
	s_and_saveexec_b64 s[12:13], s[4:5]
	s_cbranch_execnz .LBB39_106
; %bb.58:
	s_or_b64 exec, exec, s[12:13]
	v_mov_b32_e32 v29, s14
	s_and_saveexec_b64 s[4:5], s[10:11]
	s_cbranch_execnz .LBB39_107
.LBB39_59:
	s_or_b64 exec, exec, s[4:5]
	v_cmp_eq_u32_e64 s[4:5], v29, v26
	s_and_saveexec_b64 s[10:11], s[4:5]
	s_cbranch_execz .LBB39_61
.LBB39_60:
	ds_read2_b64 v[30:33], v22 offset1:4
	ds_read_u8 v29, v21 offset:4
	ds_read_u8 v34, v21
	ds_write_b16 v20, v28
	ds_write_b16 v20, v27 offset:8
	s_waitcnt lgkmcnt(4)
	ds_write2_b64 v22, v[32:33], v[30:31] offset1:4
	s_waitcnt lgkmcnt(4)
	ds_write_b8 v21, v29
	s_waitcnt lgkmcnt(4)
	ds_write_b8 v21, v34 offset:4
.LBB39_61:
	s_or_b64 exec, exec, s[10:11]
	s_waitcnt lgkmcnt(0)
	s_barrier
	ds_read_u16 v27, v13
	ds_read_u16 v28, v13 offset:4
                                        ; implicit-def: $sgpr14
	s_waitcnt lgkmcnt(0)
	v_cmp_le_i16_e64 s[10:11], v27, v28
	v_cmp_gt_i16_e64 s[4:5], v27, v28
	s_and_saveexec_b64 s[12:13], s[4:5]
	s_cbranch_execnz .LBB39_108
; %bb.62:
	s_or_b64 exec, exec, s[12:13]
	v_mov_b32_e32 v29, s14
	s_and_saveexec_b64 s[4:5], s[10:11]
	s_cbranch_execnz .LBB39_109
.LBB39_63:
	s_or_b64 exec, exec, s[4:5]
	v_cmp_eq_u32_e64 s[4:5], v29, v26
	s_and_saveexec_b64 s[10:11], s[4:5]
	s_cbranch_execz .LBB39_65
.LBB39_64:
	ds_read2_b64 v[30:33], v16 offset1:2
	ds_read_u8 v29, v14 offset:2
	ds_read_u8 v34, v14
	ds_write_b16 v13, v28
	ds_write_b16 v13, v27 offset:4
	s_waitcnt lgkmcnt(4)
	ds_write2_b64 v16, v[32:33], v[30:31] offset1:2
	s_waitcnt lgkmcnt(4)
	ds_write_b8 v14, v29
	s_waitcnt lgkmcnt(4)
	ds_write_b8 v14, v34 offset:2
.LBB39_65:
	s_or_b64 exec, exec, s[10:11]
	s_waitcnt lgkmcnt(0)
	s_barrier
	ds_read_b32 v27, v5
                                        ; implicit-def: $sgpr14
	s_waitcnt lgkmcnt(0)
	v_cmp_le_i16_sdwa s[10:11], v27, v27 src0_sel:DWORD src1_sel:WORD_1
	v_cmp_gt_i16_sdwa s[4:5], v27, v27 src0_sel:DWORD src1_sel:WORD_1
	s_and_saveexec_b64 s[12:13], s[4:5]
	s_cbranch_execnz .LBB39_110
; %bb.66:
	s_or_b64 exec, exec, s[12:13]
	v_mov_b32_e32 v28, s14
	s_and_saveexec_b64 s[4:5], s[10:11]
	s_cbranch_execnz .LBB39_111
.LBB39_67:
	s_or_b64 exec, exec, s[4:5]
	v_cmp_eq_u32_e64 s[4:5], v28, v26
	s_and_saveexec_b64 s[10:11], s[4:5]
	s_cbranch_execz .LBB39_69
.LBB39_68:
	v_add_u32_e32 v32, v3, v7
	ds_read_b128 v[28:31], v32
	ds_read_u16 v33, v4
	v_alignbit_b32 v26, v27, v27, 16
	ds_write_b32 v5, v26
	s_mov_b32 s4, 0xc0c0001
	s_waitcnt lgkmcnt(2)
	v_mov_b32_e32 v26, v30
	v_mov_b32_e32 v27, v31
	ds_write_b128 v32, v[26:29]
	s_waitcnt lgkmcnt(2)
	v_perm_b32 v26, 0, v33, s4
	ds_write_b16 v4, v26
.LBB39_69:
	s_or_b64 exec, exec, s[10:11]
	v_and_b32_e32 v26, 15, v2
	v_sub_u32_e32 v27, v19, v26
	v_lshl_add_u32 v18, v27, 1, v18
	s_waitcnt lgkmcnt(0)
	s_barrier
	ds_read_u16 v19, v18
	ds_read_u16 v26, v18 offset:32
	v_add_u32_e32 v17, v17, v27
	s_waitcnt lgkmcnt(0)
	v_cmp_le_i16_e64 s[12:13], v19, v26
	v_cmp_gt_i16_e64 s[4:5], v19, v26
	s_and_saveexec_b64 s[10:11], s[4:5]
	s_cbranch_execz .LBB39_71
; %bb.70:
	ds_read_u8 v28, v17
	s_andn2_b64 s[12:13], s[12:13], exec
	s_waitcnt lgkmcnt(0)
	v_and_b32_e32 v28, 1, v28
	v_cmp_eq_u32_e64 s[4:5], 1, v28
	s_xor_b64 s[4:5], s[4:5], -1
	s_and_b64 s[4:5], s[4:5], exec
	s_or_b64 s[12:13], s[12:13], s[4:5]
.LBB39_71:
	s_or_b64 exec, exec, s[10:11]
	s_and_saveexec_b64 s[10:11], s[12:13]
	s_cbranch_execz .LBB39_74
; %bb.72:
	ds_read_u8 v28, v17 offset:16
	s_waitcnt lgkmcnt(0)
	v_cmp_ne_u16_e64 s[4:5], 0, v28
	s_and_b64 exec, exec, s[4:5]
	s_cbranch_execz .LBB39_74
; %bb.73:
	v_lshl_add_u32 v15, v27, 3, v15
	ds_read2_b64 v[30:33], v15 offset1:16
	ds_read_u8 v27, v17
	ds_write_b16 v18, v26
	ds_write_b16 v18, v19 offset:32
	ds_write_b8 v17, v28
	s_waitcnt lgkmcnt(4)
	ds_write2_b64 v15, v[32:33], v[30:31] offset1:16
	s_waitcnt lgkmcnt(4)
	ds_write_b8 v17, v27 offset:16
.LBB39_74:
	s_or_b64 exec, exec, s[10:11]
	s_waitcnt lgkmcnt(0)
	s_barrier
	ds_read_u16 v15, v23
	ds_read_u16 v17, v23 offset:16
	s_waitcnt lgkmcnt(0)
	v_cmp_le_i16_e64 s[12:13], v15, v17
	v_cmp_gt_i16_e64 s[4:5], v15, v17
	s_and_saveexec_b64 s[10:11], s[4:5]
	s_cbranch_execz .LBB39_76
; %bb.75:
	ds_read_u8 v18, v24
	s_andn2_b64 s[12:13], s[12:13], exec
	s_waitcnt lgkmcnt(0)
	v_and_b32_e32 v18, 1, v18
	v_cmp_eq_u32_e64 s[4:5], 1, v18
	s_xor_b64 s[4:5], s[4:5], -1
	s_and_b64 s[4:5], s[4:5], exec
	s_or_b64 s[12:13], s[12:13], s[4:5]
.LBB39_76:
	s_or_b64 exec, exec, s[10:11]
	s_and_saveexec_b64 s[10:11], s[12:13]
	s_cbranch_execz .LBB39_79
; %bb.77:
	ds_read_u8 v18, v24 offset:8
	s_waitcnt lgkmcnt(0)
	v_cmp_ne_u16_e64 s[4:5], 0, v18
	s_and_b64 exec, exec, s[4:5]
	s_cbranch_execz .LBB39_79
; %bb.78:
	ds_read2_b64 v[26:29], v25 offset1:8
	ds_read_u8 v19, v24
	ds_write_b16 v23, v17
	ds_write_b16 v23, v15 offset:16
	ds_write_b8 v24, v18
	s_waitcnt lgkmcnt(4)
	ds_write2_b64 v25, v[28:29], v[26:27] offset1:8
	s_waitcnt lgkmcnt(4)
	ds_write_b8 v24, v19 offset:8
.LBB39_79:
	s_or_b64 exec, exec, s[10:11]
	s_waitcnt lgkmcnt(0)
	s_barrier
	ds_read_u16 v15, v20
	ds_read_u16 v17, v20 offset:8
	s_waitcnt lgkmcnt(0)
	v_cmp_le_i16_e64 s[12:13], v15, v17
	v_cmp_gt_i16_e64 s[4:5], v15, v17
	s_and_saveexec_b64 s[10:11], s[4:5]
	s_cbranch_execz .LBB39_81
; %bb.80:
	ds_read_u8 v18, v21
	s_andn2_b64 s[12:13], s[12:13], exec
	s_waitcnt lgkmcnt(0)
	v_and_b32_e32 v18, 1, v18
	v_cmp_eq_u32_e64 s[4:5], 1, v18
	s_xor_b64 s[4:5], s[4:5], -1
	s_and_b64 s[4:5], s[4:5], exec
	s_or_b64 s[12:13], s[12:13], s[4:5]
.LBB39_81:
	s_or_b64 exec, exec, s[10:11]
	s_and_saveexec_b64 s[10:11], s[12:13]
	s_cbranch_execz .LBB39_84
; %bb.82:
	ds_read_u8 v18, v21 offset:4
	s_waitcnt lgkmcnt(0)
	v_cmp_ne_u16_e64 s[4:5], 0, v18
	s_and_b64 exec, exec, s[4:5]
	s_cbranch_execz .LBB39_84
; %bb.83:
	ds_read2_b64 v[24:27], v22 offset1:4
	ds_read_u8 v19, v21
	ds_write_b16 v20, v17
	ds_write_b16 v20, v15 offset:8
	ds_write_b8 v21, v18
	s_waitcnt lgkmcnt(4)
	ds_write2_b64 v22, v[26:27], v[24:25] offset1:4
	s_waitcnt lgkmcnt(4)
	ds_write_b8 v21, v19 offset:4
.LBB39_84:
	;; [unrolled: 40-line block ×3, first 2 shown]
	s_or_b64 exec, exec, s[10:11]
	s_waitcnt lgkmcnt(0)
	s_barrier
	ds_read_b32 v13, v5
	s_waitcnt lgkmcnt(0)
	v_cmp_le_i16_sdwa s[12:13], v13, v13 src0_sel:DWORD src1_sel:WORD_1
	v_cmp_gt_i16_sdwa s[4:5], v13, v13 src0_sel:DWORD src1_sel:WORD_1
	s_and_saveexec_b64 s[10:11], s[4:5]
	s_cbranch_execz .LBB39_91
; %bb.90:
	ds_read_u8 v14, v4
	s_andn2_b64 s[12:13], s[12:13], exec
	s_waitcnt lgkmcnt(0)
	v_and_b32_e32 v14, 1, v14
	v_cmp_eq_u32_e64 s[4:5], 1, v14
	s_xor_b64 s[4:5], s[4:5], -1
	s_and_b64 s[4:5], s[4:5], exec
	s_or_b64 s[12:13], s[12:13], s[4:5]
.LBB39_91:
	s_or_b64 exec, exec, s[10:11]
	s_and_saveexec_b64 s[10:11], s[12:13]
	s_cbranch_execz .LBB39_94
; %bb.92:
	ds_read_u8 v14, v4 offset:1
	s_waitcnt lgkmcnt(0)
	v_cmp_ne_u16_e64 s[4:5], 0, v14
	s_and_b64 exec, exec, s[4:5]
	s_cbranch_execz .LBB39_94
; %bb.93:
	v_add_u32_e32 v7, v3, v7
	v_alignbit_b32 v13, v13, v13, 16
	ds_read_b128 v[16:19], v7
	ds_write_b32 v5, v13
	ds_read_u8 v5, v4
	s_waitcnt lgkmcnt(2)
	v_mov_b32_e32 v20, v16
	v_mov_b32_e32 v21, v17
	s_waitcnt lgkmcnt(0)
	v_lshlrev_b16_e32 v5, 8, v5
	v_or_b32_e32 v5, v14, v5
	ds_write_b128 v7, v[18:21]
	ds_write_b16 v4, v5
.LBB39_94:
	s_or_b64 exec, exec, s[10:11]
	s_waitcnt lgkmcnt(0)
	s_barrier
	s_and_saveexec_b64 s[4:5], vcc
	s_cbranch_execz .LBB39_99
; %bb.95:
	s_and_saveexec_b64 s[4:5], s[0:1]
	s_cbranch_execz .LBB39_97
; %bb.96:
	v_mad_u64_u32 v[4:5], s[0:1], v2, s6, 0
	ds_read_u16 v7, v12
	v_mov_b32_e32 v12, v5
	v_mad_u64_u32 v[12:13], s[0:1], v2, s7, v[12:13]
	v_mov_b32_e32 v5, v12
	v_lshlrev_b64 v[4:5], 1, v[4:5]
	v_add_co_u32_e32 v4, vcc, v10, v4
	v_addc_co_u32_e32 v5, vcc, v11, v5, vcc
	s_waitcnt lgkmcnt(0)
	global_store_short v[4:5], v7, off
	v_mad_u64_u32 v[4:5], s[0:1], v2, s8, 0
	v_mov_b32_e32 v14, v5
	ds_read_b64 v[12:13], v3
	v_mad_u64_u32 v[2:3], s[0:1], v2, s9, v[14:15]
	v_mov_b32_e32 v5, v2
	v_lshlrev_b64 v[2:3], 3, v[4:5]
	v_add_co_u32_e32 v2, vcc, v8, v2
	v_addc_co_u32_e32 v3, vcc, v9, v3, vcc
	s_waitcnt lgkmcnt(0)
	global_store_dwordx2 v[2:3], v[12:13], off
.LBB39_97:
	s_or_b64 exec, exec, s[4:5]
	s_and_b64 exec, exec, s[2:3]
	s_cbranch_execz .LBB39_99
; %bb.98:
	v_mad_u64_u32 v[2:3], s[0:1], v0, s6, 0
	v_mov_b32_e32 v4, v3
	ds_read_u16 v6, v6
	v_mad_u64_u32 v[4:5], s[0:1], v0, s7, v[4:5]
	v_mov_b32_e32 v3, v4
	ds_read_b64 v[4:5], v1
	v_lshlrev_b64 v[2:3], 1, v[2:3]
	v_add_co_u32_e32 v2, vcc, v10, v2
	v_addc_co_u32_e32 v3, vcc, v11, v3, vcc
	s_waitcnt lgkmcnt(1)
	global_store_short v[2:3], v6, off
	v_mad_u64_u32 v[2:3], s[0:1], v0, s8, 0
	v_mov_b32_e32 v6, v3
	v_mad_u64_u32 v[0:1], s[0:1], v0, s9, v[6:7]
	v_mov_b32_e32 v3, v0
	v_lshlrev_b64 v[0:1], 3, v[2:3]
	v_add_co_u32_e32 v0, vcc, v8, v0
	v_addc_co_u32_e32 v1, vcc, v9, v1, vcc
	s_waitcnt lgkmcnt(0)
	global_store_dwordx2 v[0:1], v[4:5], off
.LBB39_99:
	s_endpgm
.LBB39_100:
	ds_read_u8 v22, v4
	s_andn2_b64 s[10:11], s[10:11], exec
	s_mov_b32 s14, 1
	s_waitcnt lgkmcnt(0)
	v_and_b32_e32 v22, 1, v22
	v_cmp_eq_u32_e64 s[4:5], 1, v22
	s_xor_b64 s[4:5], s[4:5], -1
	s_and_b64 s[4:5], s[4:5], exec
	s_or_b64 s[10:11], s[10:11], s[4:5]
	s_or_b64 exec, exec, s[12:13]
	v_mov_b32_e32 v22, s14
	s_and_saveexec_b64 s[4:5], s[10:11]
	s_cbranch_execz .LBB39_35
.LBB39_101:
	ds_read_u8 v22, v4 offset:1
	s_waitcnt lgkmcnt(0)
	v_xor_b32_e32 v22, 1, v22
	s_or_b64 exec, exec, s[4:5]
	v_cmp_eq_u32_e64 s[4:5], v22, v20
	s_and_saveexec_b64 s[10:11], s[4:5]
	s_cbranch_execnz .LBB39_36
	s_branch .LBB39_37
.LBB39_102:
	ds_read_u8 v26, v14
	s_andn2_b64 s[10:11], s[10:11], exec
	s_mov_b32 s14, 1
	s_waitcnt lgkmcnt(0)
	v_and_b32_e32 v26, 1, v26
	v_cmp_eq_u32_e64 s[4:5], 1, v26
	s_xor_b64 s[4:5], s[4:5], -1
	s_and_b64 s[4:5], s[4:5], exec
	s_or_b64 s[10:11], s[10:11], s[4:5]
	s_or_b64 exec, exec, s[12:13]
	v_mov_b32_e32 v26, s14
	s_and_saveexec_b64 s[4:5], s[10:11]
	s_cbranch_execz .LBB39_45
.LBB39_103:
	ds_read_u8 v26, v14 offset:2
	s_waitcnt lgkmcnt(0)
	v_xor_b32_e32 v26, 1, v26
	s_or_b64 exec, exec, s[4:5]
	v_cmp_eq_u32_e64 s[4:5], v26, v23
	s_and_saveexec_b64 s[10:11], s[4:5]
	s_cbranch_execnz .LBB39_46
	s_branch .LBB39_47
.LBB39_104:
	ds_read_u8 v25, v4
	s_andn2_b64 s[10:11], s[10:11], exec
	s_mov_b32 s14, 1
	s_waitcnt lgkmcnt(0)
	v_and_b32_e32 v25, 1, v25
	v_cmp_eq_u32_e64 s[4:5], 1, v25
	s_xor_b64 s[4:5], s[4:5], -1
	s_and_b64 s[4:5], s[4:5], exec
	s_or_b64 s[10:11], s[10:11], s[4:5]
	s_or_b64 exec, exec, s[12:13]
	v_mov_b32_e32 v25, s14
	s_and_saveexec_b64 s[4:5], s[10:11]
	s_cbranch_execz .LBB39_49
.LBB39_105:
	ds_read_u8 v25, v4 offset:1
	s_waitcnt lgkmcnt(0)
	v_xor_b32_e32 v25, 1, v25
	s_or_b64 exec, exec, s[4:5]
	v_cmp_eq_u32_e64 s[4:5], v25, v23
	s_and_saveexec_b64 s[10:11], s[4:5]
	s_cbranch_execnz .LBB39_50
	s_branch .LBB39_51
.LBB39_106:
	ds_read_u8 v29, v21
	s_andn2_b64 s[10:11], s[10:11], exec
	s_mov_b32 s14, 1
	s_waitcnt lgkmcnt(0)
	v_and_b32_e32 v29, 1, v29
	v_cmp_eq_u32_e64 s[4:5], 1, v29
	s_xor_b64 s[4:5], s[4:5], -1
	s_and_b64 s[4:5], s[4:5], exec
	s_or_b64 s[10:11], s[10:11], s[4:5]
	s_or_b64 exec, exec, s[12:13]
	v_mov_b32_e32 v29, s14
	s_and_saveexec_b64 s[4:5], s[10:11]
	s_cbranch_execz .LBB39_59
.LBB39_107:
	ds_read_u8 v29, v21 offset:4
	s_waitcnt lgkmcnt(0)
	v_xor_b32_e32 v29, 1, v29
	s_or_b64 exec, exec, s[4:5]
	v_cmp_eq_u32_e64 s[4:5], v29, v26
	s_and_saveexec_b64 s[10:11], s[4:5]
	s_cbranch_execnz .LBB39_60
	s_branch .LBB39_61
.LBB39_108:
	ds_read_u8 v29, v14
	s_andn2_b64 s[10:11], s[10:11], exec
	s_mov_b32 s14, 1
	s_waitcnt lgkmcnt(0)
	v_and_b32_e32 v29, 1, v29
	v_cmp_eq_u32_e64 s[4:5], 1, v29
	s_xor_b64 s[4:5], s[4:5], -1
	s_and_b64 s[4:5], s[4:5], exec
	s_or_b64 s[10:11], s[10:11], s[4:5]
	s_or_b64 exec, exec, s[12:13]
	v_mov_b32_e32 v29, s14
	s_and_saveexec_b64 s[4:5], s[10:11]
	s_cbranch_execz .LBB39_63
.LBB39_109:
	ds_read_u8 v29, v14 offset:2
	s_waitcnt lgkmcnt(0)
	v_xor_b32_e32 v29, 1, v29
	s_or_b64 exec, exec, s[4:5]
	v_cmp_eq_u32_e64 s[4:5], v29, v26
	s_and_saveexec_b64 s[10:11], s[4:5]
	s_cbranch_execnz .LBB39_64
	s_branch .LBB39_65
.LBB39_110:
	ds_read_u8 v28, v4
	s_andn2_b64 s[10:11], s[10:11], exec
	s_mov_b32 s14, 1
	s_waitcnt lgkmcnt(0)
	v_and_b32_e32 v28, 1, v28
	v_cmp_eq_u32_e64 s[4:5], 1, v28
	s_xor_b64 s[4:5], s[4:5], -1
	s_and_b64 s[4:5], s[4:5], exec
	s_or_b64 s[10:11], s[10:11], s[4:5]
	s_or_b64 exec, exec, s[12:13]
	v_mov_b32_e32 v28, s14
	s_and_saveexec_b64 s[4:5], s[10:11]
	s_cbranch_execz .LBB39_67
.LBB39_111:
	ds_read_u8 v28, v4 offset:1
	s_waitcnt lgkmcnt(0)
	v_xor_b32_e32 v28, 1, v28
	s_or_b64 exec, exec, s[4:5]
	v_cmp_eq_u32_e64 s[4:5], v28, v26
	s_and_saveexec_b64 s[10:11], s[4:5]
	s_cbranch_execnz .LBB39_68
	s_branch .LBB39_69
	.section	.rodata,"a",@progbits
	.p2align	6, 0x0
	.amdhsa_kernel _ZN2at6native20bitonicSortKVInPlaceILin1ELin1ELi16ELi16EslNS0_4GTOpIsLb1EEEmEEvNS_4cuda6detail10TensorInfoIT3_T6_EES8_S8_S8_NS6_IT4_S8_EES8_T5_
		.amdhsa_group_segment_fixed_size 5632
		.amdhsa_private_segment_fixed_size 0
		.amdhsa_kernarg_size 1128
		.amdhsa_user_sgpr_count 6
		.amdhsa_user_sgpr_private_segment_buffer 1
		.amdhsa_user_sgpr_dispatch_ptr 0
		.amdhsa_user_sgpr_queue_ptr 0
		.amdhsa_user_sgpr_kernarg_segment_ptr 1
		.amdhsa_user_sgpr_dispatch_id 0
		.amdhsa_user_sgpr_flat_scratch_init 0
		.amdhsa_user_sgpr_kernarg_preload_length 0
		.amdhsa_user_sgpr_kernarg_preload_offset 0
		.amdhsa_user_sgpr_private_segment_size 0
		.amdhsa_uses_dynamic_stack 0
		.amdhsa_system_sgpr_private_segment_wavefront_offset 0
		.amdhsa_system_sgpr_workgroup_id_x 1
		.amdhsa_system_sgpr_workgroup_id_y 1
		.amdhsa_system_sgpr_workgroup_id_z 1
		.amdhsa_system_sgpr_workgroup_info 0
		.amdhsa_system_vgpr_workitem_id 1
		.amdhsa_next_free_vgpr 35
		.amdhsa_next_free_sgpr 21
		.amdhsa_accum_offset 36
		.amdhsa_reserve_vcc 1
		.amdhsa_reserve_flat_scratch 0
		.amdhsa_float_round_mode_32 0
		.amdhsa_float_round_mode_16_64 0
		.amdhsa_float_denorm_mode_32 3
		.amdhsa_float_denorm_mode_16_64 3
		.amdhsa_dx10_clamp 1
		.amdhsa_ieee_mode 1
		.amdhsa_fp16_overflow 0
		.amdhsa_tg_split 0
		.amdhsa_exception_fp_ieee_invalid_op 0
		.amdhsa_exception_fp_denorm_src 0
		.amdhsa_exception_fp_ieee_div_zero 0
		.amdhsa_exception_fp_ieee_overflow 0
		.amdhsa_exception_fp_ieee_underflow 0
		.amdhsa_exception_fp_ieee_inexact 0
		.amdhsa_exception_int_div_zero 0
	.end_amdhsa_kernel
	.section	.text._ZN2at6native20bitonicSortKVInPlaceILin1ELin1ELi16ELi16EslNS0_4GTOpIsLb1EEEmEEvNS_4cuda6detail10TensorInfoIT3_T6_EES8_S8_S8_NS6_IT4_S8_EES8_T5_,"axG",@progbits,_ZN2at6native20bitonicSortKVInPlaceILin1ELin1ELi16ELi16EslNS0_4GTOpIsLb1EEEmEEvNS_4cuda6detail10TensorInfoIT3_T6_EES8_S8_S8_NS6_IT4_S8_EES8_T5_,comdat
.Lfunc_end39:
	.size	_ZN2at6native20bitonicSortKVInPlaceILin1ELin1ELi16ELi16EslNS0_4GTOpIsLb1EEEmEEvNS_4cuda6detail10TensorInfoIT3_T6_EES8_S8_S8_NS6_IT4_S8_EES8_T5_, .Lfunc_end39-_ZN2at6native20bitonicSortKVInPlaceILin1ELin1ELi16ELi16EslNS0_4GTOpIsLb1EEEmEEvNS_4cuda6detail10TensorInfoIT3_T6_EES8_S8_S8_NS6_IT4_S8_EES8_T5_
                                        ; -- End function
	.section	.AMDGPU.csdata,"",@progbits
; Kernel info:
; codeLenInByte = 6684
; NumSgprs: 25
; NumVgprs: 35
; NumAgprs: 0
; TotalNumVgprs: 35
; ScratchSize: 0
; MemoryBound: 0
; FloatMode: 240
; IeeeMode: 1
; LDSByteSize: 5632 bytes/workgroup (compile time only)
; SGPRBlocks: 3
; VGPRBlocks: 4
; NumSGPRsForWavesPerEU: 25
; NumVGPRsForWavesPerEU: 35
; AccumOffset: 36
; Occupancy: 8
; WaveLimiterHint : 1
; COMPUTE_PGM_RSRC2:SCRATCH_EN: 0
; COMPUTE_PGM_RSRC2:USER_SGPR: 6
; COMPUTE_PGM_RSRC2:TRAP_HANDLER: 0
; COMPUTE_PGM_RSRC2:TGID_X_EN: 1
; COMPUTE_PGM_RSRC2:TGID_Y_EN: 1
; COMPUTE_PGM_RSRC2:TGID_Z_EN: 1
; COMPUTE_PGM_RSRC2:TIDIG_COMP_CNT: 1
; COMPUTE_PGM_RSRC3_GFX90A:ACCUM_OFFSET: 8
; COMPUTE_PGM_RSRC3_GFX90A:TG_SPLIT: 0
	.section	.text._ZN2at6native20bitonicSortKVInPlaceILin2ELin1ELi16ELi16EdlNS0_4LTOpIdLb1EEEjEEvNS_4cuda6detail10TensorInfoIT3_T6_EES8_S8_S8_NS6_IT4_S8_EES8_T5_,"axG",@progbits,_ZN2at6native20bitonicSortKVInPlaceILin2ELin1ELi16ELi16EdlNS0_4LTOpIdLb1EEEjEEvNS_4cuda6detail10TensorInfoIT3_T6_EES8_S8_S8_NS6_IT4_S8_EES8_T5_,comdat
	.protected	_ZN2at6native20bitonicSortKVInPlaceILin2ELin1ELi16ELi16EdlNS0_4LTOpIdLb1EEEjEEvNS_4cuda6detail10TensorInfoIT3_T6_EES8_S8_S8_NS6_IT4_S8_EES8_T5_ ; -- Begin function _ZN2at6native20bitonicSortKVInPlaceILin2ELin1ELi16ELi16EdlNS0_4LTOpIdLb1EEEjEEvNS_4cuda6detail10TensorInfoIT3_T6_EES8_S8_S8_NS6_IT4_S8_EES8_T5_
	.globl	_ZN2at6native20bitonicSortKVInPlaceILin2ELin1ELi16ELi16EdlNS0_4LTOpIdLb1EEEjEEvNS_4cuda6detail10TensorInfoIT3_T6_EES8_S8_S8_NS6_IT4_S8_EES8_T5_
	.p2align	8
	.type	_ZN2at6native20bitonicSortKVInPlaceILin2ELin1ELi16ELi16EdlNS0_4LTOpIdLb1EEEjEEvNS_4cuda6detail10TensorInfoIT3_T6_EES8_S8_S8_NS6_IT4_S8_EES8_T5_,@function
_ZN2at6native20bitonicSortKVInPlaceILin2ELin1ELi16ELi16EdlNS0_4LTOpIdLb1EEEjEEvNS_4cuda6detail10TensorInfoIT3_T6_EES8_S8_S8_NS6_IT4_S8_EES8_T5_: ; @_ZN2at6native20bitonicSortKVInPlaceILin2ELin1ELi16ELi16EdlNS0_4LTOpIdLb1EEEjEEvNS_4cuda6detail10TensorInfoIT3_T6_EES8_S8_S8_NS6_IT4_S8_EES8_T5_
; %bb.0:
	s_load_dwordx2 s[2:3], s[4:5], 0x1c8
	s_load_dwordx4 s[12:15], s[4:5], 0xd8
	s_load_dword s9, s[4:5], 0x1d4
	s_add_u32 s0, s4, 0x1c8
	s_addc_u32 s1, s5, 0
	s_waitcnt lgkmcnt(0)
	s_mul_i32 s3, s3, s8
	s_add_i32 s3, s3, s7
	s_mul_i32 s2, s3, s2
	s_add_i32 s6, s2, s6
	s_lshr_b32 s2, s9, 16
	s_mul_i32 s6, s6, s2
	s_cmp_ge_u32 s6, s12
	s_cbranch_scc1 .LBB40_86
; %bb.1:
	s_load_dwordx2 s[8:9], s[4:5], 0x0
	s_load_dword s7, s[4:5], 0x1b8
	s_add_u32 s2, s4, 0xe8
	v_bfe_u32 v7, v0, 10, 10
	s_addc_u32 s3, s5, 0
	v_add_u32_e32 v1, s6, v7
	s_waitcnt lgkmcnt(0)
	s_cmp_lt_i32 s7, 2
	v_mov_b32_e32 v2, 0
	v_mov_b32_e32 v4, v1
	s_cbranch_scc1 .LBB40_4
; %bb.2:
	s_add_i32 s10, s7, 1
	s_add_i32 s6, s7, -1
	s_mov_b32 s7, 0
	s_lshl_b64 s[6:7], s[6:7], 2
	s_add_u32 s6, s6, s2
	s_addc_u32 s7, s7, s3
	s_add_u32 s6, s6, 8
	s_addc_u32 s7, s7, 0
	v_mov_b32_e32 v2, 0
	v_mov_b32_e32 v4, v1
.LBB40_3:                               ; =>This Inner Loop Header: Depth=1
	s_load_dword s11, s[6:7], 0x0
	s_load_dword s15, s[6:7], 0x64
	v_mov_b32_e32 v3, v4
	s_add_i32 s10, s10, -1
	s_waitcnt lgkmcnt(0)
	v_cvt_f32_u32_e32 v4, s11
	s_sub_i32 s16, 0, s11
	s_add_u32 s6, s6, -4
	s_addc_u32 s7, s7, -1
	v_rcp_iflag_f32_e32 v4, v4
	s_cmp_gt_u32 s10, 2
	v_mul_f32_e32 v4, 0x4f7ffffe, v4
	v_cvt_u32_f32_e32 v4, v4
	v_mul_lo_u32 v5, s16, v4
	v_mul_hi_u32 v5, v4, v5
	v_add_u32_e32 v4, v4, v5
	v_mul_hi_u32 v4, v3, v4
	v_mul_lo_u32 v5, v4, s11
	v_sub_u32_e32 v5, v3, v5
	v_add_u32_e32 v6, 1, v4
	v_cmp_le_u32_e32 vcc, s11, v5
	v_cndmask_b32_e32 v4, v4, v6, vcc
	v_subrev_u32_e32 v6, s11, v5
	v_cndmask_b32_e32 v5, v5, v6, vcc
	v_add_u32_e32 v6, 1, v4
	v_cmp_le_u32_e32 vcc, s11, v5
	v_cndmask_b32_e32 v4, v4, v6, vcc
	v_mul_lo_u32 v5, v4, s11
	v_sub_u32_e32 v3, v3, v5
	v_mad_u64_u32 v[2:3], s[16:17], s15, v3, v[2:3]
	s_cbranch_scc1 .LBB40_3
.LBB40_4:
	s_load_dword s6, s[4:5], 0x6c
	s_load_dword s15, s[4:5], 0x1c0
	;; [unrolled: 1-line block ×3, first 2 shown]
	v_cmp_gt_u32_e32 vcc, s12, v1
	s_load_dwordx2 s[10:11], s[2:3], 0x0
	s_load_dword s12, s[0:1], 0xc
	s_waitcnt lgkmcnt(0)
	v_mul_lo_u32 v6, s6, v1
	v_mad_u64_u32 v[4:5], s[2:3], s7, v4, v[2:3]
	v_and_b32_e32 v5, 0x3ff, v0
	v_cmp_gt_u32_e64 s[0:1], s13, v5
	v_pk_mov_b32 v[0:1], 0, 0
	s_and_b64 s[4:5], vcc, s[0:1]
	v_pk_mov_b32 v[2:3], 0, 0
	v_pk_mov_b32 v[8:9], v[0:1], v[0:1] op_sel:[0,1]
	s_and_saveexec_b64 s[6:7], s[4:5]
	s_cbranch_execz .LBB40_6
; %bb.5:
	v_mad_u64_u32 v[8:9], s[2:3], v5, s14, v[6:7]
	v_mov_b32_e32 v9, 0
	v_lshlrev_b64 v[2:3], 3, v[8:9]
	v_mov_b32_e32 v8, s9
	v_add_co_u32_e64 v2, s[2:3], s8, v2
	v_addc_co_u32_e64 v3, s[2:3], v8, v3, s[2:3]
	v_mad_u64_u32 v[10:11], s[2:3], v5, s15, v[4:5]
	v_mov_b32_e32 v11, v9
	v_lshlrev_b64 v[8:9], 3, v[10:11]
	v_mov_b32_e32 v10, s11
	v_add_co_u32_e64 v8, s[2:3], s10, v8
	v_addc_co_u32_e64 v9, s[2:3], v10, v9, s[2:3]
	global_load_dwordx2 v[2:3], v[2:3], off
	s_nop 0
	global_load_dwordx2 v[8:9], v[8:9], off
.LBB40_6:
	s_or_b64 exec, exec, s[6:7]
	s_and_b32 s16, 0xffff, s12
	v_lshlrev_b32_e32 v19, 8, v7
	v_mov_b32_e32 v10, 0x2000
	v_lshlrev_b32_e32 v12, 3, v5
	v_lshl_add_u32 v18, v7, 5, v10
	v_add_u32_e32 v11, v19, v12
	v_add_u32_e32 v7, s16, v5
	v_cndmask_b32_e64 v13, 0, 1, s[4:5]
	v_add_u32_e32 v15, 0x1000, v19
	s_waitcnt vmcnt(1)
	ds_write_b64 v11, v[2:3]
	v_add_u32_e32 v2, v18, v5
	v_cmp_gt_u32_e64 s[2:3], s13, v7
	v_add_u32_e32 v10, v15, v12
	ds_write_b8 v2, v13
	s_and_b64 s[6:7], vcc, s[2:3]
	v_pk_mov_b32 v[2:3], v[0:1], v[0:1] op_sel:[0,1]
	s_waitcnt vmcnt(0)
	ds_write_b64 v10, v[8:9]
	s_and_saveexec_b64 s[12:13], s[6:7]
	s_cbranch_execz .LBB40_8
; %bb.7:
	v_mad_u64_u32 v[2:3], s[4:5], v7, s14, v[6:7]
	v_mov_b32_e32 v3, 0
	v_lshlrev_b64 v[0:1], 3, v[2:3]
	v_mov_b32_e32 v2, s9
	v_add_co_u32_e64 v0, s[4:5], s8, v0
	v_addc_co_u32_e64 v1, s[4:5], v2, v1, s[4:5]
	v_mad_u64_u32 v[8:9], s[4:5], v7, s15, v[4:5]
	v_mov_b32_e32 v9, v3
	v_lshlrev_b64 v[2:3], 3, v[8:9]
	v_mov_b32_e32 v8, s11
	v_add_co_u32_e64 v2, s[4:5], s10, v2
	v_addc_co_u32_e64 v3, s[4:5], v8, v3, s[4:5]
	global_load_dwordx2 v[0:1], v[0:1], off
	s_nop 0
	global_load_dwordx2 v[2:3], v[2:3], off
.LBB40_8:
	s_or_b64 exec, exec, s[12:13]
	s_lshl_b32 s4, s16, 3
	v_add_u32_e32 v9, s4, v11
	v_cndmask_b32_e64 v13, 0, 1, s[6:7]
	s_waitcnt vmcnt(1)
	ds_write_b64 v9, v[0:1]
	v_add_u32_e32 v0, v18, v7
	v_add_u32_e32 v8, s4, v10
	ds_write_b8 v0, v13
	v_add_u32_e32 v13, v11, v12
	s_waitcnt vmcnt(0)
	ds_write_b64 v8, v[2:3]
	s_waitcnt lgkmcnt(0)
	s_barrier
	ds_read_b128 v[0:3], v13
	v_lshlrev_b32_e32 v21, 1, v5
	s_mov_b32 s16, 1
	v_add_u32_e32 v14, v18, v21
	s_waitcnt lgkmcnt(0)
	v_cmp_u_f64_e64 s[4:5], v[2:3], v[2:3]
	v_cmp_o_f64_e64 s[6:7], v[0:1], v[0:1]
	s_and_b64 s[6:7], s[4:5], s[6:7]
	v_cmp_lt_f64_e64 s[4:5], v[0:1], v[2:3]
	s_or_b64 s[4:5], s[6:7], s[4:5]
	s_xor_b64 s[6:7], s[4:5], -1
	s_and_saveexec_b64 s[12:13], s[4:5]
	s_xor_b64 s[12:13], exec, s[12:13]
	s_cbranch_execz .LBB40_10
; %bb.9:
	ds_read_u8 v16, v14
	s_andn2_b64 s[6:7], s[6:7], exec
	s_waitcnt lgkmcnt(0)
	v_and_b32_e32 v16, 1, v16
	v_cmp_eq_u32_e64 s[4:5], 1, v16
	s_xor_b64 s[4:5], s[4:5], -1
	s_and_b64 s[4:5], s[4:5], exec
	s_or_b64 s[6:7], s[6:7], s[4:5]
.LBB40_10:
	s_or_b64 exec, exec, s[12:13]
	v_mov_b32_e32 v17, s16
	s_and_saveexec_b64 s[4:5], s[6:7]
	s_cbranch_execz .LBB40_12
; %bb.11:
	ds_read_u8 v16, v14 offset:1
	s_waitcnt lgkmcnt(0)
	v_xor_b32_e32 v17, 1, v16
.LBB40_12:
	s_or_b64 exec, exec, s[4:5]
	v_and_b32_e32 v16, 1, v5
	v_cmp_eq_u32_e64 s[4:5], v17, v16
	s_and_saveexec_b64 s[6:7], s[4:5]
	s_cbranch_execz .LBB40_14
; %bb.13:
	v_add_u32_e32 v17, v10, v12
	ds_read_b128 v[26:29], v17
	ds_read_u16 v20, v14
	v_mov_b32_e32 v22, v2
	v_mov_b32_e32 v23, v3
	;; [unrolled: 1-line block ×4, first 2 shown]
	s_waitcnt lgkmcnt(1)
	v_mov_b32_e32 v0, v28
	v_mov_b32_e32 v1, v29
	;; [unrolled: 1-line block ×4, first 2 shown]
	s_mov_b32 s4, 0xc0c0001
	ds_write_b128 v17, v[0:3]
	s_waitcnt lgkmcnt(1)
	v_perm_b32 v0, 0, v20, s4
	ds_write_b128 v13, v[22:25]
	ds_write_b16 v14, v0
.LBB40_14:
	s_or_b64 exec, exec, s[6:7]
	v_sub_u32_e32 v20, v21, v16
	v_lshl_add_u32 v16, v20, 3, v19
	s_waitcnt lgkmcnt(0)
	s_barrier
	ds_read2_b64 v[0:3], v16 offset1:2
	v_add_u32_e32 v17, v18, v20
                                        ; implicit-def: $sgpr12
	s_waitcnt lgkmcnt(0)
	v_cmp_u_f64_e64 s[4:5], v[2:3], v[2:3]
	v_cmp_o_f64_e64 s[6:7], v[0:1], v[0:1]
	s_and_b64 s[6:7], s[4:5], s[6:7]
	v_cmp_lt_f64_e64 s[4:5], v[0:1], v[2:3]
	s_or_b64 s[6:7], s[6:7], s[4:5]
	s_mov_b64 s[4:5], -1
	s_and_saveexec_b64 s[16:17], s[6:7]
	s_xor_b64 s[6:7], exec, s[16:17]
	s_cbranch_execz .LBB40_16
; %bb.15:
	ds_read_u8 v22, v17
	s_mov_b32 s12, 1
	s_waitcnt lgkmcnt(0)
	v_and_b32_e32 v22, 1, v22
	v_cmp_eq_u32_e64 s[4:5], 1, v22
	s_xor_b64 s[4:5], s[4:5], -1
	s_orn2_b64 s[4:5], s[4:5], exec
.LBB40_16:
	s_or_b64 exec, exec, s[6:7]
	v_mov_b32_e32 v23, s12
	s_and_saveexec_b64 s[6:7], s[4:5]
	s_cbranch_execz .LBB40_18
; %bb.17:
	ds_read_u8 v22, v17 offset:2
	s_waitcnt lgkmcnt(0)
	v_xor_b32_e32 v23, 1, v22
.LBB40_18:
	s_or_b64 exec, exec, s[6:7]
	v_bfe_u32 v22, v5, 1, 1
	v_lshl_add_u32 v20, v20, 3, v15
	v_cmp_eq_u32_e64 s[4:5], v23, v22
	s_and_saveexec_b64 s[6:7], s[4:5]
	s_cbranch_execz .LBB40_20
; %bb.19:
	ds_read2_b64 v[24:27], v20 offset1:2
	ds_read_u8 v23, v17 offset:2
	ds_read_u8 v28, v17
	ds_write2_b64 v16, v[2:3], v[0:1] offset1:2
	s_waitcnt lgkmcnt(3)
	ds_write2_b64 v20, v[26:27], v[24:25] offset1:2
	s_waitcnt lgkmcnt(3)
	ds_write_b8 v17, v23
	s_waitcnt lgkmcnt(3)
	ds_write_b8 v17, v28 offset:2
.LBB40_20:
	s_or_b64 exec, exec, s[6:7]
	s_waitcnt lgkmcnt(0)
	s_barrier
	ds_read_b128 v[0:3], v13
                                        ; implicit-def: $sgpr16
	s_waitcnt lgkmcnt(0)
	v_cmp_u_f64_e64 s[4:5], v[2:3], v[2:3]
	v_cmp_o_f64_e64 s[6:7], v[0:1], v[0:1]
	s_and_b64 s[6:7], s[4:5], s[6:7]
	v_cmp_lt_f64_e64 s[4:5], v[0:1], v[2:3]
	s_or_b64 s[4:5], s[6:7], s[4:5]
	s_xor_b64 s[6:7], s[4:5], -1
	s_and_saveexec_b64 s[12:13], s[4:5]
	s_cbranch_execnz .LBB40_87
; %bb.21:
	s_or_b64 exec, exec, s[12:13]
	v_mov_b32_e32 v23, s16
	s_and_saveexec_b64 s[4:5], s[6:7]
	s_cbranch_execnz .LBB40_88
.LBB40_22:
	s_or_b64 exec, exec, s[4:5]
	v_cmp_eq_u32_e64 s[4:5], v23, v22
	s_and_saveexec_b64 s[6:7], s[4:5]
	s_cbranch_execz .LBB40_24
.LBB40_23:
	v_add_u32_e32 v30, v10, v12
	v_mov_b32_e32 v22, v2
	v_mov_b32_e32 v23, v3
	ds_read_b128 v[26:29], v30
	v_mov_b32_e32 v24, v0
	v_mov_b32_e32 v25, v1
	ds_write_b128 v13, v[22:25]
	ds_read_u16 v22, v14
	s_waitcnt lgkmcnt(2)
	v_mov_b32_e32 v0, v28
	v_mov_b32_e32 v1, v29
	;; [unrolled: 1-line block ×4, first 2 shown]
	s_mov_b32 s4, 0xc0c0001
	ds_write_b128 v30, v[0:3]
	s_waitcnt lgkmcnt(1)
	v_perm_b32 v0, 0, v22, s4
	ds_write_b16 v14, v0
.LBB40_24:
	s_or_b64 exec, exec, s[6:7]
	v_and_b32_e32 v0, 3, v5
	v_sub_u32_e32 v24, v21, v0
	v_lshl_add_u32 v22, v24, 3, v19
	s_waitcnt lgkmcnt(0)
	s_barrier
	ds_read2_b64 v[0:3], v22 offset1:4
	v_add_u32_e32 v23, v18, v24
                                        ; implicit-def: $sgpr16
	s_waitcnt lgkmcnt(0)
	v_cmp_u_f64_e64 s[4:5], v[2:3], v[2:3]
	v_cmp_o_f64_e64 s[6:7], v[0:1], v[0:1]
	s_and_b64 s[6:7], s[4:5], s[6:7]
	v_cmp_lt_f64_e64 s[4:5], v[0:1], v[2:3]
	s_or_b64 s[4:5], s[6:7], s[4:5]
	s_xor_b64 s[6:7], s[4:5], -1
	s_and_saveexec_b64 s[12:13], s[4:5]
	s_cbranch_execz .LBB40_26
; %bb.25:
	ds_read_u8 v25, v23
	s_andn2_b64 s[6:7], s[6:7], exec
	s_mov_b32 s16, 1
	s_waitcnt lgkmcnt(0)
	v_and_b32_e32 v25, 1, v25
	v_cmp_eq_u32_e64 s[4:5], 1, v25
	s_xor_b64 s[4:5], s[4:5], -1
	s_and_b64 s[4:5], s[4:5], exec
	s_or_b64 s[6:7], s[6:7], s[4:5]
.LBB40_26:
	s_or_b64 exec, exec, s[12:13]
	v_mov_b32_e32 v26, s16
	s_and_saveexec_b64 s[4:5], s[6:7]
	s_cbranch_execz .LBB40_28
; %bb.27:
	ds_read_u8 v25, v23 offset:4
	s_waitcnt lgkmcnt(0)
	v_xor_b32_e32 v26, 1, v25
.LBB40_28:
	s_or_b64 exec, exec, s[4:5]
	v_bfe_u32 v25, v5, 2, 1
	v_lshl_add_u32 v24, v24, 3, v15
	v_cmp_eq_u32_e64 s[4:5], v26, v25
	s_and_saveexec_b64 s[6:7], s[4:5]
	s_cbranch_execz .LBB40_30
; %bb.29:
	ds_read2_b64 v[26:29], v24 offset1:4
	ds_read_u8 v30, v23 offset:4
	ds_read_u8 v31, v23
	ds_write2_b64 v22, v[2:3], v[0:1] offset1:4
	s_waitcnt lgkmcnt(3)
	ds_write2_b64 v24, v[28:29], v[26:27] offset1:4
	s_waitcnt lgkmcnt(3)
	ds_write_b8 v23, v30
	s_waitcnt lgkmcnt(3)
	ds_write_b8 v23, v31 offset:4
.LBB40_30:
	s_or_b64 exec, exec, s[6:7]
	s_waitcnt lgkmcnt(0)
	s_barrier
	ds_read2_b64 v[0:3], v16 offset1:2
                                        ; implicit-def: $sgpr16
	s_waitcnt lgkmcnt(0)
	v_cmp_u_f64_e64 s[4:5], v[2:3], v[2:3]
	v_cmp_o_f64_e64 s[6:7], v[0:1], v[0:1]
	s_and_b64 s[6:7], s[4:5], s[6:7]
	v_cmp_lt_f64_e64 s[4:5], v[0:1], v[2:3]
	s_or_b64 s[4:5], s[6:7], s[4:5]
	s_xor_b64 s[6:7], s[4:5], -1
	s_and_saveexec_b64 s[12:13], s[4:5]
	s_cbranch_execnz .LBB40_89
; %bb.31:
	s_or_b64 exec, exec, s[12:13]
	v_mov_b32_e32 v26, s16
	s_and_saveexec_b64 s[4:5], s[6:7]
	s_cbranch_execnz .LBB40_90
.LBB40_32:
	s_or_b64 exec, exec, s[4:5]
	v_cmp_eq_u32_e64 s[4:5], v26, v25
	s_and_saveexec_b64 s[6:7], s[4:5]
	s_cbranch_execz .LBB40_34
.LBB40_33:
	ds_read2_b64 v[26:29], v20 offset1:2
	ds_read_u8 v30, v17 offset:2
	ds_read_u8 v31, v17
	ds_write2_b64 v16, v[2:3], v[0:1] offset1:2
	s_waitcnt lgkmcnt(3)
	ds_write2_b64 v20, v[28:29], v[26:27] offset1:2
	s_waitcnt lgkmcnt(3)
	ds_write_b8 v17, v30
	s_waitcnt lgkmcnt(3)
	ds_write_b8 v17, v31 offset:2
.LBB40_34:
	s_or_b64 exec, exec, s[6:7]
	s_waitcnt lgkmcnt(0)
	s_barrier
	ds_read_b128 v[0:3], v13
                                        ; implicit-def: $sgpr16
	s_waitcnt lgkmcnt(0)
	v_cmp_u_f64_e64 s[4:5], v[2:3], v[2:3]
	v_cmp_o_f64_e64 s[6:7], v[0:1], v[0:1]
	s_and_b64 s[6:7], s[4:5], s[6:7]
	v_cmp_lt_f64_e64 s[4:5], v[0:1], v[2:3]
	s_or_b64 s[4:5], s[6:7], s[4:5]
	s_xor_b64 s[6:7], s[4:5], -1
	s_and_saveexec_b64 s[12:13], s[4:5]
	s_cbranch_execnz .LBB40_91
; %bb.35:
	s_or_b64 exec, exec, s[12:13]
	v_mov_b32_e32 v26, s16
	s_and_saveexec_b64 s[4:5], s[6:7]
	s_cbranch_execnz .LBB40_92
.LBB40_36:
	s_or_b64 exec, exec, s[4:5]
	v_cmp_eq_u32_e64 s[4:5], v26, v25
	s_and_saveexec_b64 s[6:7], s[4:5]
	s_cbranch_execz .LBB40_38
.LBB40_37:
	v_add_u32_e32 v25, v10, v12
	v_mov_b32_e32 v26, v2
	v_mov_b32_e32 v27, v3
	ds_read_b128 v[30:33], v25
	v_mov_b32_e32 v28, v0
	v_mov_b32_e32 v29, v1
	ds_write_b128 v13, v[26:29]
	ds_read_u16 v26, v14
	s_waitcnt lgkmcnt(2)
	v_mov_b32_e32 v0, v32
	v_mov_b32_e32 v1, v33
	;; [unrolled: 1-line block ×4, first 2 shown]
	s_mov_b32 s4, 0xc0c0001
	ds_write_b128 v25, v[0:3]
	s_waitcnt lgkmcnt(1)
	v_perm_b32 v0, 0, v26, s4
	ds_write_b16 v14, v0
.LBB40_38:
	s_or_b64 exec, exec, s[6:7]
	v_and_b32_e32 v0, 7, v5
	v_sub_u32_e32 v27, v21, v0
	v_lshl_add_u32 v25, v27, 3, v19
	s_waitcnt lgkmcnt(0)
	s_barrier
	ds_read2_b64 v[0:3], v25 offset1:8
	v_add_u32_e32 v26, v18, v27
                                        ; implicit-def: $sgpr16
	s_waitcnt lgkmcnt(0)
	v_cmp_u_f64_e64 s[4:5], v[2:3], v[2:3]
	v_cmp_o_f64_e64 s[6:7], v[0:1], v[0:1]
	s_and_b64 s[6:7], s[4:5], s[6:7]
	v_cmp_lt_f64_e64 s[4:5], v[0:1], v[2:3]
	s_or_b64 s[4:5], s[6:7], s[4:5]
	s_xor_b64 s[6:7], s[4:5], -1
	s_and_saveexec_b64 s[12:13], s[4:5]
	s_cbranch_execz .LBB40_40
; %bb.39:
	ds_read_u8 v28, v26
	s_andn2_b64 s[6:7], s[6:7], exec
	s_mov_b32 s16, 1
	s_waitcnt lgkmcnt(0)
	v_and_b32_e32 v28, 1, v28
	v_cmp_eq_u32_e64 s[4:5], 1, v28
	s_xor_b64 s[4:5], s[4:5], -1
	s_and_b64 s[4:5], s[4:5], exec
	s_or_b64 s[6:7], s[6:7], s[4:5]
.LBB40_40:
	s_or_b64 exec, exec, s[12:13]
	v_mov_b32_e32 v29, s16
	s_and_saveexec_b64 s[4:5], s[6:7]
	s_cbranch_execz .LBB40_42
; %bb.41:
	ds_read_u8 v28, v26 offset:8
	s_waitcnt lgkmcnt(0)
	v_xor_b32_e32 v29, 1, v28
.LBB40_42:
	s_or_b64 exec, exec, s[4:5]
	v_bfe_u32 v28, v5, 3, 1
	v_lshl_add_u32 v27, v27, 3, v15
	v_cmp_eq_u32_e64 s[4:5], v29, v28
	s_and_saveexec_b64 s[6:7], s[4:5]
	s_cbranch_execz .LBB40_44
; %bb.43:
	ds_read2_b64 v[30:33], v27 offset1:8
	ds_read_u8 v29, v26 offset:8
	ds_read_u8 v34, v26
	ds_write2_b64 v25, v[2:3], v[0:1] offset1:8
	s_waitcnt lgkmcnt(3)
	ds_write2_b64 v27, v[32:33], v[30:31] offset1:8
	s_waitcnt lgkmcnt(3)
	ds_write_b8 v26, v29
	s_waitcnt lgkmcnt(3)
	ds_write_b8 v26, v34 offset:8
.LBB40_44:
	s_or_b64 exec, exec, s[6:7]
	s_waitcnt lgkmcnt(0)
	s_barrier
	ds_read2_b64 v[0:3], v22 offset1:4
                                        ; implicit-def: $sgpr16
	s_waitcnt lgkmcnt(0)
	v_cmp_u_f64_e64 s[4:5], v[2:3], v[2:3]
	v_cmp_o_f64_e64 s[6:7], v[0:1], v[0:1]
	s_and_b64 s[6:7], s[4:5], s[6:7]
	v_cmp_lt_f64_e64 s[4:5], v[0:1], v[2:3]
	s_or_b64 s[4:5], s[6:7], s[4:5]
	s_xor_b64 s[6:7], s[4:5], -1
	s_and_saveexec_b64 s[12:13], s[4:5]
	s_cbranch_execnz .LBB40_93
; %bb.45:
	s_or_b64 exec, exec, s[12:13]
	v_mov_b32_e32 v29, s16
	s_and_saveexec_b64 s[4:5], s[6:7]
	s_cbranch_execnz .LBB40_94
.LBB40_46:
	s_or_b64 exec, exec, s[4:5]
	v_cmp_eq_u32_e64 s[4:5], v29, v28
	s_and_saveexec_b64 s[6:7], s[4:5]
	s_cbranch_execz .LBB40_48
.LBB40_47:
	ds_read2_b64 v[30:33], v24 offset1:4
	ds_read_u8 v29, v23 offset:4
	ds_read_u8 v34, v23
	ds_write2_b64 v22, v[2:3], v[0:1] offset1:4
	s_waitcnt lgkmcnt(3)
	ds_write2_b64 v24, v[32:33], v[30:31] offset1:4
	s_waitcnt lgkmcnt(3)
	ds_write_b8 v23, v29
	s_waitcnt lgkmcnt(3)
	ds_write_b8 v23, v34 offset:4
.LBB40_48:
	s_or_b64 exec, exec, s[6:7]
	s_waitcnt lgkmcnt(0)
	s_barrier
	ds_read2_b64 v[0:3], v16 offset1:2
                                        ; implicit-def: $sgpr16
	s_waitcnt lgkmcnt(0)
	v_cmp_u_f64_e64 s[4:5], v[2:3], v[2:3]
	v_cmp_o_f64_e64 s[6:7], v[0:1], v[0:1]
	s_and_b64 s[6:7], s[4:5], s[6:7]
	v_cmp_lt_f64_e64 s[4:5], v[0:1], v[2:3]
	s_or_b64 s[4:5], s[6:7], s[4:5]
	s_xor_b64 s[6:7], s[4:5], -1
	s_and_saveexec_b64 s[12:13], s[4:5]
	s_cbranch_execnz .LBB40_95
; %bb.49:
	s_or_b64 exec, exec, s[12:13]
	v_mov_b32_e32 v29, s16
	s_and_saveexec_b64 s[4:5], s[6:7]
	s_cbranch_execnz .LBB40_96
.LBB40_50:
	s_or_b64 exec, exec, s[4:5]
	v_cmp_eq_u32_e64 s[4:5], v29, v28
	s_and_saveexec_b64 s[6:7], s[4:5]
	s_cbranch_execz .LBB40_52
.LBB40_51:
	ds_read2_b64 v[30:33], v20 offset1:2
	ds_read_u8 v29, v17 offset:2
	ds_read_u8 v34, v17
	ds_write2_b64 v16, v[2:3], v[0:1] offset1:2
	s_waitcnt lgkmcnt(3)
	ds_write2_b64 v20, v[32:33], v[30:31] offset1:2
	s_waitcnt lgkmcnt(3)
	ds_write_b8 v17, v29
	s_waitcnt lgkmcnt(3)
	ds_write_b8 v17, v34 offset:2
.LBB40_52:
	s_or_b64 exec, exec, s[6:7]
	s_waitcnt lgkmcnt(0)
	s_barrier
	ds_read_b128 v[0:3], v13
                                        ; implicit-def: $sgpr16
	s_waitcnt lgkmcnt(0)
	v_cmp_u_f64_e64 s[4:5], v[2:3], v[2:3]
	v_cmp_o_f64_e64 s[6:7], v[0:1], v[0:1]
	s_and_b64 s[6:7], s[4:5], s[6:7]
	v_cmp_lt_f64_e64 s[4:5], v[0:1], v[2:3]
	s_or_b64 s[4:5], s[6:7], s[4:5]
	s_xor_b64 s[6:7], s[4:5], -1
	s_and_saveexec_b64 s[12:13], s[4:5]
	s_cbranch_execnz .LBB40_97
; %bb.53:
	s_or_b64 exec, exec, s[12:13]
	v_mov_b32_e32 v29, s16
	s_and_saveexec_b64 s[4:5], s[6:7]
	s_cbranch_execnz .LBB40_98
.LBB40_54:
	s_or_b64 exec, exec, s[4:5]
	v_cmp_eq_u32_e64 s[4:5], v29, v28
	s_and_saveexec_b64 s[6:7], s[4:5]
	s_cbranch_execz .LBB40_56
.LBB40_55:
	v_add_u32_e32 v36, v10, v12
	v_mov_b32_e32 v28, v2
	v_mov_b32_e32 v29, v3
	ds_read_b128 v[32:35], v36
	v_mov_b32_e32 v30, v0
	v_mov_b32_e32 v31, v1
	ds_write_b128 v13, v[28:31]
	ds_read_u16 v28, v14
	s_waitcnt lgkmcnt(2)
	v_mov_b32_e32 v0, v34
	v_mov_b32_e32 v1, v35
	;; [unrolled: 1-line block ×4, first 2 shown]
	s_mov_b32 s4, 0xc0c0001
	ds_write_b128 v36, v[0:3]
	s_waitcnt lgkmcnt(1)
	v_perm_b32 v0, 0, v28, s4
	ds_write_b16 v14, v0
.LBB40_56:
	s_or_b64 exec, exec, s[6:7]
	v_and_b32_e32 v0, 15, v5
	v_sub_u32_e32 v21, v21, v0
	v_lshl_add_u32 v19, v21, 3, v19
	s_waitcnt lgkmcnt(0)
	s_barrier
	ds_read2_b64 v[0:3], v19 offset1:16
	v_add_u32_e32 v18, v18, v21
	s_waitcnt lgkmcnt(0)
	v_cmp_u_f64_e64 s[4:5], v[2:3], v[2:3]
	v_cmp_o_f64_e64 s[6:7], v[0:1], v[0:1]
	s_and_b64 s[6:7], s[4:5], s[6:7]
	v_cmp_lt_f64_e64 s[4:5], v[0:1], v[2:3]
	s_or_b64 s[4:5], s[6:7], s[4:5]
	s_xor_b64 s[12:13], s[4:5], -1
	s_and_saveexec_b64 s[6:7], s[4:5]
	s_cbranch_execz .LBB40_58
; %bb.57:
	ds_read_u8 v28, v18
	s_andn2_b64 s[12:13], s[12:13], exec
	s_waitcnt lgkmcnt(0)
	v_and_b32_e32 v28, 1, v28
	v_cmp_eq_u32_e64 s[4:5], 1, v28
	s_xor_b64 s[4:5], s[4:5], -1
	s_and_b64 s[4:5], s[4:5], exec
	s_or_b64 s[12:13], s[12:13], s[4:5]
.LBB40_58:
	s_or_b64 exec, exec, s[6:7]
	s_and_saveexec_b64 s[6:7], s[12:13]
	s_cbranch_execz .LBB40_61
; %bb.59:
	ds_read_u8 v28, v18 offset:16
	s_waitcnt lgkmcnt(0)
	v_cmp_ne_u16_e64 s[4:5], 0, v28
	s_and_b64 exec, exec, s[4:5]
	s_cbranch_execz .LBB40_61
; %bb.60:
	v_lshl_add_u32 v15, v21, 3, v15
	ds_read2_b64 v[30:33], v15 offset1:16
	ds_read_u8 v21, v18
	ds_write2_b64 v19, v[2:3], v[0:1] offset1:16
	ds_write_b8 v18, v28
	s_waitcnt lgkmcnt(3)
	ds_write2_b64 v15, v[32:33], v[30:31] offset1:16
	s_waitcnt lgkmcnt(3)
	ds_write_b8 v18, v21 offset:16
.LBB40_61:
	s_or_b64 exec, exec, s[6:7]
	s_waitcnt lgkmcnt(0)
	s_barrier
	ds_read2_b64 v[0:3], v25 offset1:8
	s_waitcnt lgkmcnt(0)
	v_cmp_u_f64_e64 s[4:5], v[2:3], v[2:3]
	v_cmp_o_f64_e64 s[6:7], v[0:1], v[0:1]
	s_and_b64 s[6:7], s[4:5], s[6:7]
	v_cmp_lt_f64_e64 s[4:5], v[0:1], v[2:3]
	s_or_b64 s[4:5], s[6:7], s[4:5]
	s_xor_b64 s[12:13], s[4:5], -1
	s_and_saveexec_b64 s[6:7], s[4:5]
	s_cbranch_execz .LBB40_63
; %bb.62:
	ds_read_u8 v15, v26
	s_andn2_b64 s[12:13], s[12:13], exec
	s_waitcnt lgkmcnt(0)
	v_and_b32_e32 v15, 1, v15
	v_cmp_eq_u32_e64 s[4:5], 1, v15
	s_xor_b64 s[4:5], s[4:5], -1
	s_and_b64 s[4:5], s[4:5], exec
	s_or_b64 s[12:13], s[12:13], s[4:5]
.LBB40_63:
	s_or_b64 exec, exec, s[6:7]
	s_and_saveexec_b64 s[6:7], s[12:13]
	s_cbranch_execz .LBB40_66
; %bb.64:
	ds_read_u8 v15, v26 offset:8
	s_waitcnt lgkmcnt(0)
	v_cmp_ne_u16_e64 s[4:5], 0, v15
	s_and_b64 exec, exec, s[4:5]
	s_cbranch_execz .LBB40_66
; %bb.65:
	ds_read2_b64 v[28:31], v27 offset1:8
	ds_read_u8 v18, v26
	ds_write2_b64 v25, v[2:3], v[0:1] offset1:8
	ds_write_b8 v26, v15
	s_waitcnt lgkmcnt(3)
	ds_write2_b64 v27, v[30:31], v[28:29] offset1:8
	s_waitcnt lgkmcnt(3)
	ds_write_b8 v26, v18 offset:8
.LBB40_66:
	s_or_b64 exec, exec, s[6:7]
	s_waitcnt lgkmcnt(0)
	s_barrier
	ds_read2_b64 v[0:3], v22 offset1:4
	s_waitcnt lgkmcnt(0)
	v_cmp_u_f64_e64 s[4:5], v[2:3], v[2:3]
	v_cmp_o_f64_e64 s[6:7], v[0:1], v[0:1]
	s_and_b64 s[6:7], s[4:5], s[6:7]
	v_cmp_lt_f64_e64 s[4:5], v[0:1], v[2:3]
	s_or_b64 s[4:5], s[6:7], s[4:5]
	s_xor_b64 s[12:13], s[4:5], -1
	s_and_saveexec_b64 s[6:7], s[4:5]
	s_cbranch_execz .LBB40_68
; %bb.67:
	ds_read_u8 v15, v23
	s_andn2_b64 s[12:13], s[12:13], exec
	s_waitcnt lgkmcnt(0)
	v_and_b32_e32 v15, 1, v15
	v_cmp_eq_u32_e64 s[4:5], 1, v15
	s_xor_b64 s[4:5], s[4:5], -1
	s_and_b64 s[4:5], s[4:5], exec
	s_or_b64 s[12:13], s[12:13], s[4:5]
.LBB40_68:
	s_or_b64 exec, exec, s[6:7]
	s_and_saveexec_b64 s[6:7], s[12:13]
	s_cbranch_execz .LBB40_71
; %bb.69:
	ds_read_u8 v15, v23 offset:4
	s_waitcnt lgkmcnt(0)
	v_cmp_ne_u16_e64 s[4:5], 0, v15
	s_and_b64 exec, exec, s[4:5]
	s_cbranch_execz .LBB40_71
; %bb.70:
	ds_read2_b64 v[26:29], v24 offset1:4
	ds_read_u8 v18, v23
	ds_write2_b64 v22, v[2:3], v[0:1] offset1:4
	ds_write_b8 v23, v15
	s_waitcnt lgkmcnt(3)
	ds_write2_b64 v24, v[28:29], v[26:27] offset1:4
	s_waitcnt lgkmcnt(3)
	ds_write_b8 v23, v18 offset:4
.LBB40_71:
	;; [unrolled: 42-line block ×3, first 2 shown]
	s_or_b64 exec, exec, s[6:7]
	s_waitcnt lgkmcnt(0)
	s_barrier
	ds_read_b128 v[0:3], v13
	s_waitcnt lgkmcnt(0)
	v_cmp_u_f64_e64 s[4:5], v[2:3], v[2:3]
	v_cmp_o_f64_e64 s[6:7], v[0:1], v[0:1]
	s_and_b64 s[6:7], s[4:5], s[6:7]
	v_cmp_lt_f64_e64 s[4:5], v[0:1], v[2:3]
	s_or_b64 s[4:5], s[6:7], s[4:5]
	s_xor_b64 s[12:13], s[4:5], -1
	s_and_saveexec_b64 s[6:7], s[4:5]
	s_cbranch_execz .LBB40_78
; %bb.77:
	ds_read_u8 v15, v14
	s_andn2_b64 s[12:13], s[12:13], exec
	s_waitcnt lgkmcnt(0)
	v_and_b32_e32 v15, 1, v15
	v_cmp_eq_u32_e64 s[4:5], 1, v15
	s_xor_b64 s[4:5], s[4:5], -1
	s_and_b64 s[4:5], s[4:5], exec
	s_or_b64 s[12:13], s[12:13], s[4:5]
.LBB40_78:
	s_or_b64 exec, exec, s[6:7]
	s_and_saveexec_b64 s[6:7], s[12:13]
	s_cbranch_execz .LBB40_81
; %bb.79:
	ds_read_u8 v15, v14 offset:1
	s_waitcnt lgkmcnt(0)
	v_cmp_ne_u16_e64 s[4:5], 0, v15
	s_and_b64 exec, exec, s[4:5]
	s_cbranch_execz .LBB40_81
; %bb.80:
	v_add_u32_e32 v12, v10, v12
	v_mov_b32_e32 v16, v2
	v_mov_b32_e32 v17, v3
	ds_read_b128 v[20:23], v12
	v_mov_b32_e32 v18, v0
	v_mov_b32_e32 v19, v1
	ds_write_b128 v13, v[16:19]
	ds_read_u8 v13, v14
	s_waitcnt lgkmcnt(2)
	v_mov_b32_e32 v0, v22
	v_mov_b32_e32 v1, v23
	;; [unrolled: 1-line block ×4, first 2 shown]
	ds_write_b128 v12, v[0:3]
	s_waitcnt lgkmcnt(1)
	v_lshlrev_b16_e32 v0, 8, v13
	v_or_b32_e32 v0, v15, v0
	ds_write_b16 v14, v0
.LBB40_81:
	s_or_b64 exec, exec, s[6:7]
	s_waitcnt lgkmcnt(0)
	s_barrier
	s_and_saveexec_b64 s[4:5], vcc
	s_cbranch_execz .LBB40_86
; %bb.82:
	s_and_saveexec_b64 s[4:5], s[0:1]
	s_cbranch_execz .LBB40_84
; %bb.83:
	ds_read_b64 v[0:1], v11
	v_mad_u64_u32 v[2:3], s[0:1], v5, s14, v[6:7]
	v_mov_b32_e32 v3, 0
	v_lshlrev_b64 v[12:13], 3, v[2:3]
	v_mov_b32_e32 v2, s9
	v_add_co_u32_e32 v12, vcc, s8, v12
	v_addc_co_u32_e32 v13, vcc, v2, v13, vcc
	ds_read_b64 v[10:11], v10
	s_waitcnt lgkmcnt(1)
	global_store_dwordx2 v[12:13], v[0:1], off
	v_mad_u64_u32 v[0:1], s[0:1], v5, s15, v[4:5]
	v_mov_b32_e32 v1, v3
	v_lshlrev_b64 v[0:1], 3, v[0:1]
	v_mov_b32_e32 v2, s11
	v_add_co_u32_e32 v0, vcc, s10, v0
	v_addc_co_u32_e32 v1, vcc, v2, v1, vcc
	s_waitcnt lgkmcnt(0)
	global_store_dwordx2 v[0:1], v[10:11], off
.LBB40_84:
	s_or_b64 exec, exec, s[4:5]
	s_and_b64 exec, exec, s[2:3]
	s_cbranch_execz .LBB40_86
; %bb.85:
	ds_read_b64 v[0:1], v9
	v_mad_u64_u32 v[2:3], s[0:1], v7, s14, v[6:7]
	v_mov_b32_e32 v3, 0
	v_lshlrev_b64 v[10:11], 3, v[2:3]
	v_mov_b32_e32 v2, s9
	v_add_co_u32_e32 v10, vcc, s8, v10
	v_addc_co_u32_e32 v11, vcc, v2, v11, vcc
	ds_read_b64 v[8:9], v8
	s_waitcnt lgkmcnt(1)
	global_store_dwordx2 v[10:11], v[0:1], off
	v_mad_u64_u32 v[0:1], s[0:1], v7, s15, v[4:5]
	v_mov_b32_e32 v1, v3
	v_lshlrev_b64 v[0:1], 3, v[0:1]
	v_mov_b32_e32 v2, s11
	v_add_co_u32_e32 v0, vcc, s10, v0
	v_addc_co_u32_e32 v1, vcc, v2, v1, vcc
	s_waitcnt lgkmcnt(0)
	global_store_dwordx2 v[0:1], v[8:9], off
.LBB40_86:
	s_endpgm
.LBB40_87:
	ds_read_u8 v23, v14
	s_andn2_b64 s[6:7], s[6:7], exec
	s_mov_b32 s16, 1
	s_waitcnt lgkmcnt(0)
	v_and_b32_e32 v23, 1, v23
	v_cmp_eq_u32_e64 s[4:5], 1, v23
	s_xor_b64 s[4:5], s[4:5], -1
	s_and_b64 s[4:5], s[4:5], exec
	s_or_b64 s[6:7], s[6:7], s[4:5]
	s_or_b64 exec, exec, s[12:13]
	v_mov_b32_e32 v23, s16
	s_and_saveexec_b64 s[4:5], s[6:7]
	s_cbranch_execz .LBB40_22
.LBB40_88:
	ds_read_u8 v23, v14 offset:1
	s_waitcnt lgkmcnt(0)
	v_xor_b32_e32 v23, 1, v23
	s_or_b64 exec, exec, s[4:5]
	v_cmp_eq_u32_e64 s[4:5], v23, v22
	s_and_saveexec_b64 s[6:7], s[4:5]
	s_cbranch_execnz .LBB40_23
	s_branch .LBB40_24
.LBB40_89:
	ds_read_u8 v26, v17
	s_andn2_b64 s[6:7], s[6:7], exec
	s_mov_b32 s16, 1
	s_waitcnt lgkmcnt(0)
	v_and_b32_e32 v26, 1, v26
	v_cmp_eq_u32_e64 s[4:5], 1, v26
	s_xor_b64 s[4:5], s[4:5], -1
	s_and_b64 s[4:5], s[4:5], exec
	s_or_b64 s[6:7], s[6:7], s[4:5]
	s_or_b64 exec, exec, s[12:13]
	v_mov_b32_e32 v26, s16
	s_and_saveexec_b64 s[4:5], s[6:7]
	s_cbranch_execz .LBB40_32
.LBB40_90:
	ds_read_u8 v26, v17 offset:2
	s_waitcnt lgkmcnt(0)
	v_xor_b32_e32 v26, 1, v26
	s_or_b64 exec, exec, s[4:5]
	v_cmp_eq_u32_e64 s[4:5], v26, v25
	s_and_saveexec_b64 s[6:7], s[4:5]
	s_cbranch_execnz .LBB40_33
	s_branch .LBB40_34
.LBB40_91:
	ds_read_u8 v26, v14
	s_andn2_b64 s[6:7], s[6:7], exec
	s_mov_b32 s16, 1
	s_waitcnt lgkmcnt(0)
	v_and_b32_e32 v26, 1, v26
	v_cmp_eq_u32_e64 s[4:5], 1, v26
	s_xor_b64 s[4:5], s[4:5], -1
	s_and_b64 s[4:5], s[4:5], exec
	s_or_b64 s[6:7], s[6:7], s[4:5]
	s_or_b64 exec, exec, s[12:13]
	v_mov_b32_e32 v26, s16
	s_and_saveexec_b64 s[4:5], s[6:7]
	s_cbranch_execz .LBB40_36
.LBB40_92:
	ds_read_u8 v26, v14 offset:1
	s_waitcnt lgkmcnt(0)
	v_xor_b32_e32 v26, 1, v26
	s_or_b64 exec, exec, s[4:5]
	v_cmp_eq_u32_e64 s[4:5], v26, v25
	s_and_saveexec_b64 s[6:7], s[4:5]
	s_cbranch_execnz .LBB40_37
	s_branch .LBB40_38
.LBB40_93:
	ds_read_u8 v29, v23
	s_andn2_b64 s[6:7], s[6:7], exec
	s_mov_b32 s16, 1
	s_waitcnt lgkmcnt(0)
	v_and_b32_e32 v29, 1, v29
	v_cmp_eq_u32_e64 s[4:5], 1, v29
	s_xor_b64 s[4:5], s[4:5], -1
	s_and_b64 s[4:5], s[4:5], exec
	s_or_b64 s[6:7], s[6:7], s[4:5]
	s_or_b64 exec, exec, s[12:13]
	v_mov_b32_e32 v29, s16
	s_and_saveexec_b64 s[4:5], s[6:7]
	s_cbranch_execz .LBB40_46
.LBB40_94:
	ds_read_u8 v29, v23 offset:4
	s_waitcnt lgkmcnt(0)
	v_xor_b32_e32 v29, 1, v29
	s_or_b64 exec, exec, s[4:5]
	v_cmp_eq_u32_e64 s[4:5], v29, v28
	s_and_saveexec_b64 s[6:7], s[4:5]
	s_cbranch_execnz .LBB40_47
	s_branch .LBB40_48
.LBB40_95:
	ds_read_u8 v29, v17
	s_andn2_b64 s[6:7], s[6:7], exec
	s_mov_b32 s16, 1
	s_waitcnt lgkmcnt(0)
	v_and_b32_e32 v29, 1, v29
	v_cmp_eq_u32_e64 s[4:5], 1, v29
	s_xor_b64 s[4:5], s[4:5], -1
	s_and_b64 s[4:5], s[4:5], exec
	s_or_b64 s[6:7], s[6:7], s[4:5]
	s_or_b64 exec, exec, s[12:13]
	v_mov_b32_e32 v29, s16
	s_and_saveexec_b64 s[4:5], s[6:7]
	s_cbranch_execz .LBB40_50
.LBB40_96:
	ds_read_u8 v29, v17 offset:2
	s_waitcnt lgkmcnt(0)
	v_xor_b32_e32 v29, 1, v29
	s_or_b64 exec, exec, s[4:5]
	v_cmp_eq_u32_e64 s[4:5], v29, v28
	s_and_saveexec_b64 s[6:7], s[4:5]
	s_cbranch_execnz .LBB40_51
	s_branch .LBB40_52
.LBB40_97:
	ds_read_u8 v29, v14
	s_andn2_b64 s[6:7], s[6:7], exec
	s_mov_b32 s16, 1
	s_waitcnt lgkmcnt(0)
	v_and_b32_e32 v29, 1, v29
	v_cmp_eq_u32_e64 s[4:5], 1, v29
	s_xor_b64 s[4:5], s[4:5], -1
	s_and_b64 s[4:5], s[4:5], exec
	s_or_b64 s[6:7], s[6:7], s[4:5]
	s_or_b64 exec, exec, s[12:13]
	v_mov_b32_e32 v29, s16
	s_and_saveexec_b64 s[4:5], s[6:7]
	s_cbranch_execz .LBB40_54
.LBB40_98:
	ds_read_u8 v29, v14 offset:1
	s_waitcnt lgkmcnt(0)
	v_xor_b32_e32 v29, 1, v29
	s_or_b64 exec, exec, s[4:5]
	v_cmp_eq_u32_e64 s[4:5], v29, v28
	s_and_saveexec_b64 s[6:7], s[4:5]
	s_cbranch_execnz .LBB40_55
	s_branch .LBB40_56
	.section	.rodata,"a",@progbits
	.p2align	6, 0x0
	.amdhsa_kernel _ZN2at6native20bitonicSortKVInPlaceILin2ELin1ELi16ELi16EdlNS0_4LTOpIdLb1EEEjEEvNS_4cuda6detail10TensorInfoIT3_T6_EES8_S8_S8_NS6_IT4_S8_EES8_T5_
		.amdhsa_group_segment_fixed_size 8704
		.amdhsa_private_segment_fixed_size 0
		.amdhsa_kernarg_size 712
		.amdhsa_user_sgpr_count 6
		.amdhsa_user_sgpr_private_segment_buffer 1
		.amdhsa_user_sgpr_dispatch_ptr 0
		.amdhsa_user_sgpr_queue_ptr 0
		.amdhsa_user_sgpr_kernarg_segment_ptr 1
		.amdhsa_user_sgpr_dispatch_id 0
		.amdhsa_user_sgpr_flat_scratch_init 0
		.amdhsa_user_sgpr_kernarg_preload_length 0
		.amdhsa_user_sgpr_kernarg_preload_offset 0
		.amdhsa_user_sgpr_private_segment_size 0
		.amdhsa_uses_dynamic_stack 0
		.amdhsa_system_sgpr_private_segment_wavefront_offset 0
		.amdhsa_system_sgpr_workgroup_id_x 1
		.amdhsa_system_sgpr_workgroup_id_y 1
		.amdhsa_system_sgpr_workgroup_id_z 1
		.amdhsa_system_sgpr_workgroup_info 0
		.amdhsa_system_vgpr_workitem_id 1
		.amdhsa_next_free_vgpr 37
		.amdhsa_next_free_sgpr 18
		.amdhsa_accum_offset 40
		.amdhsa_reserve_vcc 1
		.amdhsa_reserve_flat_scratch 0
		.amdhsa_float_round_mode_32 0
		.amdhsa_float_round_mode_16_64 0
		.amdhsa_float_denorm_mode_32 3
		.amdhsa_float_denorm_mode_16_64 3
		.amdhsa_dx10_clamp 1
		.amdhsa_ieee_mode 1
		.amdhsa_fp16_overflow 0
		.amdhsa_tg_split 0
		.amdhsa_exception_fp_ieee_invalid_op 0
		.amdhsa_exception_fp_denorm_src 0
		.amdhsa_exception_fp_ieee_div_zero 0
		.amdhsa_exception_fp_ieee_overflow 0
		.amdhsa_exception_fp_ieee_underflow 0
		.amdhsa_exception_fp_ieee_inexact 0
		.amdhsa_exception_int_div_zero 0
	.end_amdhsa_kernel
	.section	.text._ZN2at6native20bitonicSortKVInPlaceILin2ELin1ELi16ELi16EdlNS0_4LTOpIdLb1EEEjEEvNS_4cuda6detail10TensorInfoIT3_T6_EES8_S8_S8_NS6_IT4_S8_EES8_T5_,"axG",@progbits,_ZN2at6native20bitonicSortKVInPlaceILin2ELin1ELi16ELi16EdlNS0_4LTOpIdLb1EEEjEEvNS_4cuda6detail10TensorInfoIT3_T6_EES8_S8_S8_NS6_IT4_S8_EES8_T5_,comdat
.Lfunc_end40:
	.size	_ZN2at6native20bitonicSortKVInPlaceILin2ELin1ELi16ELi16EdlNS0_4LTOpIdLb1EEEjEEvNS_4cuda6detail10TensorInfoIT3_T6_EES8_S8_S8_NS6_IT4_S8_EES8_T5_, .Lfunc_end40-_ZN2at6native20bitonicSortKVInPlaceILin2ELin1ELi16ELi16EdlNS0_4LTOpIdLb1EEEjEEvNS_4cuda6detail10TensorInfoIT3_T6_EES8_S8_S8_NS6_IT4_S8_EES8_T5_
                                        ; -- End function
	.section	.AMDGPU.csdata,"",@progbits
; Kernel info:
; codeLenInByte = 4976
; NumSgprs: 22
; NumVgprs: 37
; NumAgprs: 0
; TotalNumVgprs: 37
; ScratchSize: 0
; MemoryBound: 0
; FloatMode: 240
; IeeeMode: 1
; LDSByteSize: 8704 bytes/workgroup (compile time only)
; SGPRBlocks: 2
; VGPRBlocks: 4
; NumSGPRsForWavesPerEU: 22
; NumVGPRsForWavesPerEU: 37
; AccumOffset: 40
; Occupancy: 7
; WaveLimiterHint : 1
; COMPUTE_PGM_RSRC2:SCRATCH_EN: 0
; COMPUTE_PGM_RSRC2:USER_SGPR: 6
; COMPUTE_PGM_RSRC2:TRAP_HANDLER: 0
; COMPUTE_PGM_RSRC2:TGID_X_EN: 1
; COMPUTE_PGM_RSRC2:TGID_Y_EN: 1
; COMPUTE_PGM_RSRC2:TGID_Z_EN: 1
; COMPUTE_PGM_RSRC2:TIDIG_COMP_CNT: 1
; COMPUTE_PGM_RSRC3_GFX90A:ACCUM_OFFSET: 9
; COMPUTE_PGM_RSRC3_GFX90A:TG_SPLIT: 0
	.section	.text._ZN2at6native20bitonicSortKVInPlaceILin2ELin1ELi16ELi16EdlNS0_4GTOpIdLb1EEEjEEvNS_4cuda6detail10TensorInfoIT3_T6_EES8_S8_S8_NS6_IT4_S8_EES8_T5_,"axG",@progbits,_ZN2at6native20bitonicSortKVInPlaceILin2ELin1ELi16ELi16EdlNS0_4GTOpIdLb1EEEjEEvNS_4cuda6detail10TensorInfoIT3_T6_EES8_S8_S8_NS6_IT4_S8_EES8_T5_,comdat
	.protected	_ZN2at6native20bitonicSortKVInPlaceILin2ELin1ELi16ELi16EdlNS0_4GTOpIdLb1EEEjEEvNS_4cuda6detail10TensorInfoIT3_T6_EES8_S8_S8_NS6_IT4_S8_EES8_T5_ ; -- Begin function _ZN2at6native20bitonicSortKVInPlaceILin2ELin1ELi16ELi16EdlNS0_4GTOpIdLb1EEEjEEvNS_4cuda6detail10TensorInfoIT3_T6_EES8_S8_S8_NS6_IT4_S8_EES8_T5_
	.globl	_ZN2at6native20bitonicSortKVInPlaceILin2ELin1ELi16ELi16EdlNS0_4GTOpIdLb1EEEjEEvNS_4cuda6detail10TensorInfoIT3_T6_EES8_S8_S8_NS6_IT4_S8_EES8_T5_
	.p2align	8
	.type	_ZN2at6native20bitonicSortKVInPlaceILin2ELin1ELi16ELi16EdlNS0_4GTOpIdLb1EEEjEEvNS_4cuda6detail10TensorInfoIT3_T6_EES8_S8_S8_NS6_IT4_S8_EES8_T5_,@function
_ZN2at6native20bitonicSortKVInPlaceILin2ELin1ELi16ELi16EdlNS0_4GTOpIdLb1EEEjEEvNS_4cuda6detail10TensorInfoIT3_T6_EES8_S8_S8_NS6_IT4_S8_EES8_T5_: ; @_ZN2at6native20bitonicSortKVInPlaceILin2ELin1ELi16ELi16EdlNS0_4GTOpIdLb1EEEjEEvNS_4cuda6detail10TensorInfoIT3_T6_EES8_S8_S8_NS6_IT4_S8_EES8_T5_
; %bb.0:
	s_load_dwordx2 s[2:3], s[4:5], 0x1c8
	s_load_dwordx4 s[12:15], s[4:5], 0xd8
	s_load_dword s9, s[4:5], 0x1d4
	s_add_u32 s0, s4, 0x1c8
	s_addc_u32 s1, s5, 0
	s_waitcnt lgkmcnt(0)
	s_mul_i32 s3, s3, s8
	s_add_i32 s3, s3, s7
	s_mul_i32 s2, s3, s2
	s_add_i32 s6, s2, s6
	s_lshr_b32 s2, s9, 16
	s_mul_i32 s6, s6, s2
	s_cmp_ge_u32 s6, s12
	s_cbranch_scc1 .LBB41_86
; %bb.1:
	s_load_dwordx2 s[8:9], s[4:5], 0x0
	s_load_dword s7, s[4:5], 0x1b8
	s_add_u32 s2, s4, 0xe8
	v_bfe_u32 v7, v0, 10, 10
	s_addc_u32 s3, s5, 0
	v_add_u32_e32 v1, s6, v7
	s_waitcnt lgkmcnt(0)
	s_cmp_lt_i32 s7, 2
	v_mov_b32_e32 v2, 0
	v_mov_b32_e32 v4, v1
	s_cbranch_scc1 .LBB41_4
; %bb.2:
	s_add_i32 s10, s7, 1
	s_add_i32 s6, s7, -1
	s_mov_b32 s7, 0
	s_lshl_b64 s[6:7], s[6:7], 2
	s_add_u32 s6, s6, s2
	s_addc_u32 s7, s7, s3
	s_add_u32 s6, s6, 8
	s_addc_u32 s7, s7, 0
	v_mov_b32_e32 v2, 0
	v_mov_b32_e32 v4, v1
.LBB41_3:                               ; =>This Inner Loop Header: Depth=1
	s_load_dword s11, s[6:7], 0x0
	s_load_dword s15, s[6:7], 0x64
	v_mov_b32_e32 v3, v4
	s_add_i32 s10, s10, -1
	s_waitcnt lgkmcnt(0)
	v_cvt_f32_u32_e32 v4, s11
	s_sub_i32 s16, 0, s11
	s_add_u32 s6, s6, -4
	s_addc_u32 s7, s7, -1
	v_rcp_iflag_f32_e32 v4, v4
	s_cmp_gt_u32 s10, 2
	v_mul_f32_e32 v4, 0x4f7ffffe, v4
	v_cvt_u32_f32_e32 v4, v4
	v_mul_lo_u32 v5, s16, v4
	v_mul_hi_u32 v5, v4, v5
	v_add_u32_e32 v4, v4, v5
	v_mul_hi_u32 v4, v3, v4
	v_mul_lo_u32 v5, v4, s11
	v_sub_u32_e32 v5, v3, v5
	v_add_u32_e32 v6, 1, v4
	v_cmp_le_u32_e32 vcc, s11, v5
	v_cndmask_b32_e32 v4, v4, v6, vcc
	v_subrev_u32_e32 v6, s11, v5
	v_cndmask_b32_e32 v5, v5, v6, vcc
	v_add_u32_e32 v6, 1, v4
	v_cmp_le_u32_e32 vcc, s11, v5
	v_cndmask_b32_e32 v4, v4, v6, vcc
	v_mul_lo_u32 v5, v4, s11
	v_sub_u32_e32 v3, v3, v5
	v_mad_u64_u32 v[2:3], s[16:17], s15, v3, v[2:3]
	s_cbranch_scc1 .LBB41_3
.LBB41_4:
	s_load_dword s6, s[4:5], 0x6c
	s_load_dword s15, s[4:5], 0x1c0
	;; [unrolled: 1-line block ×3, first 2 shown]
	v_cmp_gt_u32_e32 vcc, s12, v1
	s_load_dwordx2 s[10:11], s[2:3], 0x0
	s_load_dword s12, s[0:1], 0xc
	s_waitcnt lgkmcnt(0)
	v_mul_lo_u32 v6, s6, v1
	v_mad_u64_u32 v[4:5], s[2:3], s7, v4, v[2:3]
	v_and_b32_e32 v5, 0x3ff, v0
	v_cmp_gt_u32_e64 s[0:1], s13, v5
	v_pk_mov_b32 v[0:1], 0, 0
	s_and_b64 s[4:5], vcc, s[0:1]
	v_pk_mov_b32 v[2:3], 0, 0
	v_pk_mov_b32 v[8:9], v[0:1], v[0:1] op_sel:[0,1]
	s_and_saveexec_b64 s[6:7], s[4:5]
	s_cbranch_execz .LBB41_6
; %bb.5:
	v_mad_u64_u32 v[8:9], s[2:3], v5, s14, v[6:7]
	v_mov_b32_e32 v9, 0
	v_lshlrev_b64 v[2:3], 3, v[8:9]
	v_mov_b32_e32 v8, s9
	v_add_co_u32_e64 v2, s[2:3], s8, v2
	v_addc_co_u32_e64 v3, s[2:3], v8, v3, s[2:3]
	v_mad_u64_u32 v[10:11], s[2:3], v5, s15, v[4:5]
	v_mov_b32_e32 v11, v9
	v_lshlrev_b64 v[8:9], 3, v[10:11]
	v_mov_b32_e32 v10, s11
	v_add_co_u32_e64 v8, s[2:3], s10, v8
	v_addc_co_u32_e64 v9, s[2:3], v10, v9, s[2:3]
	global_load_dwordx2 v[2:3], v[2:3], off
	s_nop 0
	global_load_dwordx2 v[8:9], v[8:9], off
.LBB41_6:
	s_or_b64 exec, exec, s[6:7]
	s_and_b32 s16, 0xffff, s12
	v_lshlrev_b32_e32 v19, 8, v7
	v_mov_b32_e32 v10, 0x2000
	v_lshlrev_b32_e32 v12, 3, v5
	v_lshl_add_u32 v18, v7, 5, v10
	v_add_u32_e32 v11, v19, v12
	v_add_u32_e32 v7, s16, v5
	v_cndmask_b32_e64 v13, 0, 1, s[4:5]
	v_add_u32_e32 v15, 0x1000, v19
	s_waitcnt vmcnt(1)
	ds_write_b64 v11, v[2:3]
	v_add_u32_e32 v2, v18, v5
	v_cmp_gt_u32_e64 s[2:3], s13, v7
	v_add_u32_e32 v10, v15, v12
	ds_write_b8 v2, v13
	s_and_b64 s[6:7], vcc, s[2:3]
	v_pk_mov_b32 v[2:3], v[0:1], v[0:1] op_sel:[0,1]
	s_waitcnt vmcnt(0)
	ds_write_b64 v10, v[8:9]
	s_and_saveexec_b64 s[12:13], s[6:7]
	s_cbranch_execz .LBB41_8
; %bb.7:
	v_mad_u64_u32 v[2:3], s[4:5], v7, s14, v[6:7]
	v_mov_b32_e32 v3, 0
	v_lshlrev_b64 v[0:1], 3, v[2:3]
	v_mov_b32_e32 v2, s9
	v_add_co_u32_e64 v0, s[4:5], s8, v0
	v_addc_co_u32_e64 v1, s[4:5], v2, v1, s[4:5]
	v_mad_u64_u32 v[8:9], s[4:5], v7, s15, v[4:5]
	v_mov_b32_e32 v9, v3
	v_lshlrev_b64 v[2:3], 3, v[8:9]
	v_mov_b32_e32 v8, s11
	v_add_co_u32_e64 v2, s[4:5], s10, v2
	v_addc_co_u32_e64 v3, s[4:5], v8, v3, s[4:5]
	global_load_dwordx2 v[0:1], v[0:1], off
	s_nop 0
	global_load_dwordx2 v[2:3], v[2:3], off
.LBB41_8:
	s_or_b64 exec, exec, s[12:13]
	s_lshl_b32 s4, s16, 3
	v_add_u32_e32 v9, s4, v11
	v_cndmask_b32_e64 v13, 0, 1, s[6:7]
	s_waitcnt vmcnt(1)
	ds_write_b64 v9, v[0:1]
	v_add_u32_e32 v0, v18, v7
	v_add_u32_e32 v8, s4, v10
	ds_write_b8 v0, v13
	v_add_u32_e32 v13, v11, v12
	s_waitcnt vmcnt(0)
	ds_write_b64 v8, v[2:3]
	s_waitcnt lgkmcnt(0)
	s_barrier
	ds_read_b128 v[0:3], v13
	v_lshlrev_b32_e32 v21, 1, v5
	s_mov_b32 s16, 1
	v_add_u32_e32 v14, v18, v21
	s_waitcnt lgkmcnt(0)
	v_cmp_u_f64_e64 s[4:5], v[0:1], v[0:1]
	v_cmp_o_f64_e64 s[6:7], v[2:3], v[2:3]
	s_and_b64 s[6:7], s[4:5], s[6:7]
	v_cmp_gt_f64_e64 s[4:5], v[0:1], v[2:3]
	s_or_b64 s[4:5], s[6:7], s[4:5]
	s_xor_b64 s[6:7], s[4:5], -1
	s_and_saveexec_b64 s[12:13], s[4:5]
	s_xor_b64 s[12:13], exec, s[12:13]
	s_cbranch_execz .LBB41_10
; %bb.9:
	ds_read_u8 v16, v14
	s_andn2_b64 s[6:7], s[6:7], exec
	s_waitcnt lgkmcnt(0)
	v_and_b32_e32 v16, 1, v16
	v_cmp_eq_u32_e64 s[4:5], 1, v16
	s_xor_b64 s[4:5], s[4:5], -1
	s_and_b64 s[4:5], s[4:5], exec
	s_or_b64 s[6:7], s[6:7], s[4:5]
.LBB41_10:
	s_or_b64 exec, exec, s[12:13]
	v_mov_b32_e32 v17, s16
	s_and_saveexec_b64 s[4:5], s[6:7]
	s_cbranch_execz .LBB41_12
; %bb.11:
	ds_read_u8 v16, v14 offset:1
	s_waitcnt lgkmcnt(0)
	v_xor_b32_e32 v17, 1, v16
.LBB41_12:
	s_or_b64 exec, exec, s[4:5]
	v_and_b32_e32 v16, 1, v5
	v_cmp_eq_u32_e64 s[4:5], v17, v16
	s_and_saveexec_b64 s[6:7], s[4:5]
	s_cbranch_execz .LBB41_14
; %bb.13:
	v_add_u32_e32 v17, v10, v12
	ds_read_b128 v[26:29], v17
	ds_read_u16 v20, v14
	v_mov_b32_e32 v22, v2
	v_mov_b32_e32 v23, v3
	;; [unrolled: 1-line block ×4, first 2 shown]
	s_waitcnt lgkmcnt(1)
	v_mov_b32_e32 v0, v28
	v_mov_b32_e32 v1, v29
	;; [unrolled: 1-line block ×4, first 2 shown]
	s_mov_b32 s4, 0xc0c0001
	ds_write_b128 v17, v[0:3]
	s_waitcnt lgkmcnt(1)
	v_perm_b32 v0, 0, v20, s4
	ds_write_b128 v13, v[22:25]
	ds_write_b16 v14, v0
.LBB41_14:
	s_or_b64 exec, exec, s[6:7]
	v_sub_u32_e32 v20, v21, v16
	v_lshl_add_u32 v16, v20, 3, v19
	s_waitcnt lgkmcnt(0)
	s_barrier
	ds_read2_b64 v[0:3], v16 offset1:2
	v_add_u32_e32 v17, v18, v20
                                        ; implicit-def: $sgpr12
	s_waitcnt lgkmcnt(0)
	v_cmp_u_f64_e64 s[4:5], v[0:1], v[0:1]
	v_cmp_o_f64_e64 s[6:7], v[2:3], v[2:3]
	s_and_b64 s[6:7], s[4:5], s[6:7]
	v_cmp_gt_f64_e64 s[4:5], v[0:1], v[2:3]
	s_or_b64 s[6:7], s[6:7], s[4:5]
	s_mov_b64 s[4:5], -1
	s_and_saveexec_b64 s[16:17], s[6:7]
	s_xor_b64 s[6:7], exec, s[16:17]
	s_cbranch_execz .LBB41_16
; %bb.15:
	ds_read_u8 v22, v17
	s_mov_b32 s12, 1
	s_waitcnt lgkmcnt(0)
	v_and_b32_e32 v22, 1, v22
	v_cmp_eq_u32_e64 s[4:5], 1, v22
	s_xor_b64 s[4:5], s[4:5], -1
	s_orn2_b64 s[4:5], s[4:5], exec
.LBB41_16:
	s_or_b64 exec, exec, s[6:7]
	v_mov_b32_e32 v23, s12
	s_and_saveexec_b64 s[6:7], s[4:5]
	s_cbranch_execz .LBB41_18
; %bb.17:
	ds_read_u8 v22, v17 offset:2
	s_waitcnt lgkmcnt(0)
	v_xor_b32_e32 v23, 1, v22
.LBB41_18:
	s_or_b64 exec, exec, s[6:7]
	v_bfe_u32 v22, v5, 1, 1
	v_lshl_add_u32 v20, v20, 3, v15
	v_cmp_eq_u32_e64 s[4:5], v23, v22
	s_and_saveexec_b64 s[6:7], s[4:5]
	s_cbranch_execz .LBB41_20
; %bb.19:
	ds_read2_b64 v[24:27], v20 offset1:2
	ds_read_u8 v23, v17 offset:2
	ds_read_u8 v28, v17
	ds_write2_b64 v16, v[2:3], v[0:1] offset1:2
	s_waitcnt lgkmcnt(3)
	ds_write2_b64 v20, v[26:27], v[24:25] offset1:2
	s_waitcnt lgkmcnt(3)
	ds_write_b8 v17, v23
	s_waitcnt lgkmcnt(3)
	ds_write_b8 v17, v28 offset:2
.LBB41_20:
	s_or_b64 exec, exec, s[6:7]
	s_waitcnt lgkmcnt(0)
	s_barrier
	ds_read_b128 v[0:3], v13
                                        ; implicit-def: $sgpr16
	s_waitcnt lgkmcnt(0)
	v_cmp_u_f64_e64 s[4:5], v[0:1], v[0:1]
	v_cmp_o_f64_e64 s[6:7], v[2:3], v[2:3]
	s_and_b64 s[6:7], s[4:5], s[6:7]
	v_cmp_gt_f64_e64 s[4:5], v[0:1], v[2:3]
	s_or_b64 s[4:5], s[6:7], s[4:5]
	s_xor_b64 s[6:7], s[4:5], -1
	s_and_saveexec_b64 s[12:13], s[4:5]
	s_cbranch_execnz .LBB41_87
; %bb.21:
	s_or_b64 exec, exec, s[12:13]
	v_mov_b32_e32 v23, s16
	s_and_saveexec_b64 s[4:5], s[6:7]
	s_cbranch_execnz .LBB41_88
.LBB41_22:
	s_or_b64 exec, exec, s[4:5]
	v_cmp_eq_u32_e64 s[4:5], v23, v22
	s_and_saveexec_b64 s[6:7], s[4:5]
	s_cbranch_execz .LBB41_24
.LBB41_23:
	v_add_u32_e32 v30, v10, v12
	v_mov_b32_e32 v22, v2
	v_mov_b32_e32 v23, v3
	ds_read_b128 v[26:29], v30
	v_mov_b32_e32 v24, v0
	v_mov_b32_e32 v25, v1
	ds_write_b128 v13, v[22:25]
	ds_read_u16 v22, v14
	s_waitcnt lgkmcnt(2)
	v_mov_b32_e32 v0, v28
	v_mov_b32_e32 v1, v29
	;; [unrolled: 1-line block ×4, first 2 shown]
	s_mov_b32 s4, 0xc0c0001
	ds_write_b128 v30, v[0:3]
	s_waitcnt lgkmcnt(1)
	v_perm_b32 v0, 0, v22, s4
	ds_write_b16 v14, v0
.LBB41_24:
	s_or_b64 exec, exec, s[6:7]
	v_and_b32_e32 v0, 3, v5
	v_sub_u32_e32 v24, v21, v0
	v_lshl_add_u32 v22, v24, 3, v19
	s_waitcnt lgkmcnt(0)
	s_barrier
	ds_read2_b64 v[0:3], v22 offset1:4
	v_add_u32_e32 v23, v18, v24
                                        ; implicit-def: $sgpr16
	s_waitcnt lgkmcnt(0)
	v_cmp_u_f64_e64 s[4:5], v[0:1], v[0:1]
	v_cmp_o_f64_e64 s[6:7], v[2:3], v[2:3]
	s_and_b64 s[6:7], s[4:5], s[6:7]
	v_cmp_gt_f64_e64 s[4:5], v[0:1], v[2:3]
	s_or_b64 s[4:5], s[6:7], s[4:5]
	s_xor_b64 s[6:7], s[4:5], -1
	s_and_saveexec_b64 s[12:13], s[4:5]
	s_cbranch_execz .LBB41_26
; %bb.25:
	ds_read_u8 v25, v23
	s_andn2_b64 s[6:7], s[6:7], exec
	s_mov_b32 s16, 1
	s_waitcnt lgkmcnt(0)
	v_and_b32_e32 v25, 1, v25
	v_cmp_eq_u32_e64 s[4:5], 1, v25
	s_xor_b64 s[4:5], s[4:5], -1
	s_and_b64 s[4:5], s[4:5], exec
	s_or_b64 s[6:7], s[6:7], s[4:5]
.LBB41_26:
	s_or_b64 exec, exec, s[12:13]
	v_mov_b32_e32 v26, s16
	s_and_saveexec_b64 s[4:5], s[6:7]
	s_cbranch_execz .LBB41_28
; %bb.27:
	ds_read_u8 v25, v23 offset:4
	s_waitcnt lgkmcnt(0)
	v_xor_b32_e32 v26, 1, v25
.LBB41_28:
	s_or_b64 exec, exec, s[4:5]
	v_bfe_u32 v25, v5, 2, 1
	v_lshl_add_u32 v24, v24, 3, v15
	v_cmp_eq_u32_e64 s[4:5], v26, v25
	s_and_saveexec_b64 s[6:7], s[4:5]
	s_cbranch_execz .LBB41_30
; %bb.29:
	ds_read2_b64 v[26:29], v24 offset1:4
	ds_read_u8 v30, v23 offset:4
	ds_read_u8 v31, v23
	ds_write2_b64 v22, v[2:3], v[0:1] offset1:4
	s_waitcnt lgkmcnt(3)
	ds_write2_b64 v24, v[28:29], v[26:27] offset1:4
	s_waitcnt lgkmcnt(3)
	ds_write_b8 v23, v30
	s_waitcnt lgkmcnt(3)
	ds_write_b8 v23, v31 offset:4
.LBB41_30:
	s_or_b64 exec, exec, s[6:7]
	s_waitcnt lgkmcnt(0)
	s_barrier
	ds_read2_b64 v[0:3], v16 offset1:2
                                        ; implicit-def: $sgpr16
	s_waitcnt lgkmcnt(0)
	v_cmp_u_f64_e64 s[4:5], v[0:1], v[0:1]
	v_cmp_o_f64_e64 s[6:7], v[2:3], v[2:3]
	s_and_b64 s[6:7], s[4:5], s[6:7]
	v_cmp_gt_f64_e64 s[4:5], v[0:1], v[2:3]
	s_or_b64 s[4:5], s[6:7], s[4:5]
	s_xor_b64 s[6:7], s[4:5], -1
	s_and_saveexec_b64 s[12:13], s[4:5]
	s_cbranch_execnz .LBB41_89
; %bb.31:
	s_or_b64 exec, exec, s[12:13]
	v_mov_b32_e32 v26, s16
	s_and_saveexec_b64 s[4:5], s[6:7]
	s_cbranch_execnz .LBB41_90
.LBB41_32:
	s_or_b64 exec, exec, s[4:5]
	v_cmp_eq_u32_e64 s[4:5], v26, v25
	s_and_saveexec_b64 s[6:7], s[4:5]
	s_cbranch_execz .LBB41_34
.LBB41_33:
	ds_read2_b64 v[26:29], v20 offset1:2
	ds_read_u8 v30, v17 offset:2
	ds_read_u8 v31, v17
	ds_write2_b64 v16, v[2:3], v[0:1] offset1:2
	s_waitcnt lgkmcnt(3)
	ds_write2_b64 v20, v[28:29], v[26:27] offset1:2
	s_waitcnt lgkmcnt(3)
	ds_write_b8 v17, v30
	s_waitcnt lgkmcnt(3)
	ds_write_b8 v17, v31 offset:2
.LBB41_34:
	s_or_b64 exec, exec, s[6:7]
	s_waitcnt lgkmcnt(0)
	s_barrier
	ds_read_b128 v[0:3], v13
                                        ; implicit-def: $sgpr16
	s_waitcnt lgkmcnt(0)
	v_cmp_u_f64_e64 s[4:5], v[0:1], v[0:1]
	v_cmp_o_f64_e64 s[6:7], v[2:3], v[2:3]
	s_and_b64 s[6:7], s[4:5], s[6:7]
	v_cmp_gt_f64_e64 s[4:5], v[0:1], v[2:3]
	s_or_b64 s[4:5], s[6:7], s[4:5]
	s_xor_b64 s[6:7], s[4:5], -1
	s_and_saveexec_b64 s[12:13], s[4:5]
	s_cbranch_execnz .LBB41_91
; %bb.35:
	s_or_b64 exec, exec, s[12:13]
	v_mov_b32_e32 v26, s16
	s_and_saveexec_b64 s[4:5], s[6:7]
	s_cbranch_execnz .LBB41_92
.LBB41_36:
	s_or_b64 exec, exec, s[4:5]
	v_cmp_eq_u32_e64 s[4:5], v26, v25
	s_and_saveexec_b64 s[6:7], s[4:5]
	s_cbranch_execz .LBB41_38
.LBB41_37:
	v_add_u32_e32 v25, v10, v12
	v_mov_b32_e32 v26, v2
	v_mov_b32_e32 v27, v3
	ds_read_b128 v[30:33], v25
	v_mov_b32_e32 v28, v0
	v_mov_b32_e32 v29, v1
	ds_write_b128 v13, v[26:29]
	ds_read_u16 v26, v14
	s_waitcnt lgkmcnt(2)
	v_mov_b32_e32 v0, v32
	v_mov_b32_e32 v1, v33
	;; [unrolled: 1-line block ×4, first 2 shown]
	s_mov_b32 s4, 0xc0c0001
	ds_write_b128 v25, v[0:3]
	s_waitcnt lgkmcnt(1)
	v_perm_b32 v0, 0, v26, s4
	ds_write_b16 v14, v0
.LBB41_38:
	s_or_b64 exec, exec, s[6:7]
	v_and_b32_e32 v0, 7, v5
	v_sub_u32_e32 v27, v21, v0
	v_lshl_add_u32 v25, v27, 3, v19
	s_waitcnt lgkmcnt(0)
	s_barrier
	ds_read2_b64 v[0:3], v25 offset1:8
	v_add_u32_e32 v26, v18, v27
                                        ; implicit-def: $sgpr16
	s_waitcnt lgkmcnt(0)
	v_cmp_u_f64_e64 s[4:5], v[0:1], v[0:1]
	v_cmp_o_f64_e64 s[6:7], v[2:3], v[2:3]
	s_and_b64 s[6:7], s[4:5], s[6:7]
	v_cmp_gt_f64_e64 s[4:5], v[0:1], v[2:3]
	s_or_b64 s[4:5], s[6:7], s[4:5]
	s_xor_b64 s[6:7], s[4:5], -1
	s_and_saveexec_b64 s[12:13], s[4:5]
	s_cbranch_execz .LBB41_40
; %bb.39:
	ds_read_u8 v28, v26
	s_andn2_b64 s[6:7], s[6:7], exec
	s_mov_b32 s16, 1
	s_waitcnt lgkmcnt(0)
	v_and_b32_e32 v28, 1, v28
	v_cmp_eq_u32_e64 s[4:5], 1, v28
	s_xor_b64 s[4:5], s[4:5], -1
	s_and_b64 s[4:5], s[4:5], exec
	s_or_b64 s[6:7], s[6:7], s[4:5]
.LBB41_40:
	s_or_b64 exec, exec, s[12:13]
	v_mov_b32_e32 v29, s16
	s_and_saveexec_b64 s[4:5], s[6:7]
	s_cbranch_execz .LBB41_42
; %bb.41:
	ds_read_u8 v28, v26 offset:8
	s_waitcnt lgkmcnt(0)
	v_xor_b32_e32 v29, 1, v28
.LBB41_42:
	s_or_b64 exec, exec, s[4:5]
	v_bfe_u32 v28, v5, 3, 1
	v_lshl_add_u32 v27, v27, 3, v15
	v_cmp_eq_u32_e64 s[4:5], v29, v28
	s_and_saveexec_b64 s[6:7], s[4:5]
	s_cbranch_execz .LBB41_44
; %bb.43:
	ds_read2_b64 v[30:33], v27 offset1:8
	ds_read_u8 v29, v26 offset:8
	ds_read_u8 v34, v26
	ds_write2_b64 v25, v[2:3], v[0:1] offset1:8
	s_waitcnt lgkmcnt(3)
	ds_write2_b64 v27, v[32:33], v[30:31] offset1:8
	s_waitcnt lgkmcnt(3)
	ds_write_b8 v26, v29
	s_waitcnt lgkmcnt(3)
	ds_write_b8 v26, v34 offset:8
.LBB41_44:
	s_or_b64 exec, exec, s[6:7]
	s_waitcnt lgkmcnt(0)
	s_barrier
	ds_read2_b64 v[0:3], v22 offset1:4
                                        ; implicit-def: $sgpr16
	s_waitcnt lgkmcnt(0)
	v_cmp_u_f64_e64 s[4:5], v[0:1], v[0:1]
	v_cmp_o_f64_e64 s[6:7], v[2:3], v[2:3]
	s_and_b64 s[6:7], s[4:5], s[6:7]
	v_cmp_gt_f64_e64 s[4:5], v[0:1], v[2:3]
	s_or_b64 s[4:5], s[6:7], s[4:5]
	s_xor_b64 s[6:7], s[4:5], -1
	s_and_saveexec_b64 s[12:13], s[4:5]
	s_cbranch_execnz .LBB41_93
; %bb.45:
	s_or_b64 exec, exec, s[12:13]
	v_mov_b32_e32 v29, s16
	s_and_saveexec_b64 s[4:5], s[6:7]
	s_cbranch_execnz .LBB41_94
.LBB41_46:
	s_or_b64 exec, exec, s[4:5]
	v_cmp_eq_u32_e64 s[4:5], v29, v28
	s_and_saveexec_b64 s[6:7], s[4:5]
	s_cbranch_execz .LBB41_48
.LBB41_47:
	ds_read2_b64 v[30:33], v24 offset1:4
	ds_read_u8 v29, v23 offset:4
	ds_read_u8 v34, v23
	ds_write2_b64 v22, v[2:3], v[0:1] offset1:4
	s_waitcnt lgkmcnt(3)
	ds_write2_b64 v24, v[32:33], v[30:31] offset1:4
	s_waitcnt lgkmcnt(3)
	ds_write_b8 v23, v29
	s_waitcnt lgkmcnt(3)
	ds_write_b8 v23, v34 offset:4
.LBB41_48:
	s_or_b64 exec, exec, s[6:7]
	s_waitcnt lgkmcnt(0)
	s_barrier
	ds_read2_b64 v[0:3], v16 offset1:2
                                        ; implicit-def: $sgpr16
	s_waitcnt lgkmcnt(0)
	v_cmp_u_f64_e64 s[4:5], v[0:1], v[0:1]
	v_cmp_o_f64_e64 s[6:7], v[2:3], v[2:3]
	s_and_b64 s[6:7], s[4:5], s[6:7]
	v_cmp_gt_f64_e64 s[4:5], v[0:1], v[2:3]
	s_or_b64 s[4:5], s[6:7], s[4:5]
	s_xor_b64 s[6:7], s[4:5], -1
	s_and_saveexec_b64 s[12:13], s[4:5]
	s_cbranch_execnz .LBB41_95
; %bb.49:
	s_or_b64 exec, exec, s[12:13]
	v_mov_b32_e32 v29, s16
	s_and_saveexec_b64 s[4:5], s[6:7]
	s_cbranch_execnz .LBB41_96
.LBB41_50:
	s_or_b64 exec, exec, s[4:5]
	v_cmp_eq_u32_e64 s[4:5], v29, v28
	s_and_saveexec_b64 s[6:7], s[4:5]
	s_cbranch_execz .LBB41_52
.LBB41_51:
	ds_read2_b64 v[30:33], v20 offset1:2
	ds_read_u8 v29, v17 offset:2
	ds_read_u8 v34, v17
	ds_write2_b64 v16, v[2:3], v[0:1] offset1:2
	s_waitcnt lgkmcnt(3)
	ds_write2_b64 v20, v[32:33], v[30:31] offset1:2
	s_waitcnt lgkmcnt(3)
	ds_write_b8 v17, v29
	s_waitcnt lgkmcnt(3)
	ds_write_b8 v17, v34 offset:2
.LBB41_52:
	s_or_b64 exec, exec, s[6:7]
	s_waitcnt lgkmcnt(0)
	s_barrier
	ds_read_b128 v[0:3], v13
                                        ; implicit-def: $sgpr16
	s_waitcnt lgkmcnt(0)
	v_cmp_u_f64_e64 s[4:5], v[0:1], v[0:1]
	v_cmp_o_f64_e64 s[6:7], v[2:3], v[2:3]
	s_and_b64 s[6:7], s[4:5], s[6:7]
	v_cmp_gt_f64_e64 s[4:5], v[0:1], v[2:3]
	s_or_b64 s[4:5], s[6:7], s[4:5]
	s_xor_b64 s[6:7], s[4:5], -1
	s_and_saveexec_b64 s[12:13], s[4:5]
	s_cbranch_execnz .LBB41_97
; %bb.53:
	s_or_b64 exec, exec, s[12:13]
	v_mov_b32_e32 v29, s16
	s_and_saveexec_b64 s[4:5], s[6:7]
	s_cbranch_execnz .LBB41_98
.LBB41_54:
	s_or_b64 exec, exec, s[4:5]
	v_cmp_eq_u32_e64 s[4:5], v29, v28
	s_and_saveexec_b64 s[6:7], s[4:5]
	s_cbranch_execz .LBB41_56
.LBB41_55:
	v_add_u32_e32 v36, v10, v12
	v_mov_b32_e32 v28, v2
	v_mov_b32_e32 v29, v3
	ds_read_b128 v[32:35], v36
	v_mov_b32_e32 v30, v0
	v_mov_b32_e32 v31, v1
	ds_write_b128 v13, v[28:31]
	ds_read_u16 v28, v14
	s_waitcnt lgkmcnt(2)
	v_mov_b32_e32 v0, v34
	v_mov_b32_e32 v1, v35
	;; [unrolled: 1-line block ×4, first 2 shown]
	s_mov_b32 s4, 0xc0c0001
	ds_write_b128 v36, v[0:3]
	s_waitcnt lgkmcnt(1)
	v_perm_b32 v0, 0, v28, s4
	ds_write_b16 v14, v0
.LBB41_56:
	s_or_b64 exec, exec, s[6:7]
	v_and_b32_e32 v0, 15, v5
	v_sub_u32_e32 v21, v21, v0
	v_lshl_add_u32 v19, v21, 3, v19
	s_waitcnt lgkmcnt(0)
	s_barrier
	ds_read2_b64 v[0:3], v19 offset1:16
	v_add_u32_e32 v18, v18, v21
	s_waitcnt lgkmcnt(0)
	v_cmp_u_f64_e64 s[4:5], v[0:1], v[0:1]
	v_cmp_o_f64_e64 s[6:7], v[2:3], v[2:3]
	s_and_b64 s[6:7], s[4:5], s[6:7]
	v_cmp_gt_f64_e64 s[4:5], v[0:1], v[2:3]
	s_or_b64 s[4:5], s[6:7], s[4:5]
	s_xor_b64 s[12:13], s[4:5], -1
	s_and_saveexec_b64 s[6:7], s[4:5]
	s_cbranch_execz .LBB41_58
; %bb.57:
	ds_read_u8 v28, v18
	s_andn2_b64 s[12:13], s[12:13], exec
	s_waitcnt lgkmcnt(0)
	v_and_b32_e32 v28, 1, v28
	v_cmp_eq_u32_e64 s[4:5], 1, v28
	s_xor_b64 s[4:5], s[4:5], -1
	s_and_b64 s[4:5], s[4:5], exec
	s_or_b64 s[12:13], s[12:13], s[4:5]
.LBB41_58:
	s_or_b64 exec, exec, s[6:7]
	s_and_saveexec_b64 s[6:7], s[12:13]
	s_cbranch_execz .LBB41_61
; %bb.59:
	ds_read_u8 v28, v18 offset:16
	s_waitcnt lgkmcnt(0)
	v_cmp_ne_u16_e64 s[4:5], 0, v28
	s_and_b64 exec, exec, s[4:5]
	s_cbranch_execz .LBB41_61
; %bb.60:
	v_lshl_add_u32 v15, v21, 3, v15
	ds_read2_b64 v[30:33], v15 offset1:16
	ds_read_u8 v21, v18
	ds_write2_b64 v19, v[2:3], v[0:1] offset1:16
	ds_write_b8 v18, v28
	s_waitcnt lgkmcnt(3)
	ds_write2_b64 v15, v[32:33], v[30:31] offset1:16
	s_waitcnt lgkmcnt(3)
	ds_write_b8 v18, v21 offset:16
.LBB41_61:
	s_or_b64 exec, exec, s[6:7]
	s_waitcnt lgkmcnt(0)
	s_barrier
	ds_read2_b64 v[0:3], v25 offset1:8
	s_waitcnt lgkmcnt(0)
	v_cmp_u_f64_e64 s[4:5], v[0:1], v[0:1]
	v_cmp_o_f64_e64 s[6:7], v[2:3], v[2:3]
	s_and_b64 s[6:7], s[4:5], s[6:7]
	v_cmp_gt_f64_e64 s[4:5], v[0:1], v[2:3]
	s_or_b64 s[4:5], s[6:7], s[4:5]
	s_xor_b64 s[12:13], s[4:5], -1
	s_and_saveexec_b64 s[6:7], s[4:5]
	s_cbranch_execz .LBB41_63
; %bb.62:
	ds_read_u8 v15, v26
	s_andn2_b64 s[12:13], s[12:13], exec
	s_waitcnt lgkmcnt(0)
	v_and_b32_e32 v15, 1, v15
	v_cmp_eq_u32_e64 s[4:5], 1, v15
	s_xor_b64 s[4:5], s[4:5], -1
	s_and_b64 s[4:5], s[4:5], exec
	s_or_b64 s[12:13], s[12:13], s[4:5]
.LBB41_63:
	s_or_b64 exec, exec, s[6:7]
	s_and_saveexec_b64 s[6:7], s[12:13]
	s_cbranch_execz .LBB41_66
; %bb.64:
	ds_read_u8 v15, v26 offset:8
	s_waitcnt lgkmcnt(0)
	v_cmp_ne_u16_e64 s[4:5], 0, v15
	s_and_b64 exec, exec, s[4:5]
	s_cbranch_execz .LBB41_66
; %bb.65:
	ds_read2_b64 v[28:31], v27 offset1:8
	ds_read_u8 v18, v26
	ds_write2_b64 v25, v[2:3], v[0:1] offset1:8
	ds_write_b8 v26, v15
	s_waitcnt lgkmcnt(3)
	ds_write2_b64 v27, v[30:31], v[28:29] offset1:8
	s_waitcnt lgkmcnt(3)
	ds_write_b8 v26, v18 offset:8
.LBB41_66:
	s_or_b64 exec, exec, s[6:7]
	s_waitcnt lgkmcnt(0)
	s_barrier
	ds_read2_b64 v[0:3], v22 offset1:4
	s_waitcnt lgkmcnt(0)
	v_cmp_u_f64_e64 s[4:5], v[0:1], v[0:1]
	v_cmp_o_f64_e64 s[6:7], v[2:3], v[2:3]
	s_and_b64 s[6:7], s[4:5], s[6:7]
	v_cmp_gt_f64_e64 s[4:5], v[0:1], v[2:3]
	s_or_b64 s[4:5], s[6:7], s[4:5]
	s_xor_b64 s[12:13], s[4:5], -1
	s_and_saveexec_b64 s[6:7], s[4:5]
	s_cbranch_execz .LBB41_68
; %bb.67:
	ds_read_u8 v15, v23
	s_andn2_b64 s[12:13], s[12:13], exec
	s_waitcnt lgkmcnt(0)
	v_and_b32_e32 v15, 1, v15
	v_cmp_eq_u32_e64 s[4:5], 1, v15
	s_xor_b64 s[4:5], s[4:5], -1
	s_and_b64 s[4:5], s[4:5], exec
	s_or_b64 s[12:13], s[12:13], s[4:5]
.LBB41_68:
	s_or_b64 exec, exec, s[6:7]
	s_and_saveexec_b64 s[6:7], s[12:13]
	s_cbranch_execz .LBB41_71
; %bb.69:
	ds_read_u8 v15, v23 offset:4
	s_waitcnt lgkmcnt(0)
	v_cmp_ne_u16_e64 s[4:5], 0, v15
	s_and_b64 exec, exec, s[4:5]
	s_cbranch_execz .LBB41_71
; %bb.70:
	ds_read2_b64 v[26:29], v24 offset1:4
	ds_read_u8 v18, v23
	ds_write2_b64 v22, v[2:3], v[0:1] offset1:4
	ds_write_b8 v23, v15
	s_waitcnt lgkmcnt(3)
	ds_write2_b64 v24, v[28:29], v[26:27] offset1:4
	s_waitcnt lgkmcnt(3)
	ds_write_b8 v23, v18 offset:4
.LBB41_71:
	;; [unrolled: 42-line block ×3, first 2 shown]
	s_or_b64 exec, exec, s[6:7]
	s_waitcnt lgkmcnt(0)
	s_barrier
	ds_read_b128 v[0:3], v13
	s_waitcnt lgkmcnt(0)
	v_cmp_u_f64_e64 s[4:5], v[0:1], v[0:1]
	v_cmp_o_f64_e64 s[6:7], v[2:3], v[2:3]
	s_and_b64 s[6:7], s[4:5], s[6:7]
	v_cmp_gt_f64_e64 s[4:5], v[0:1], v[2:3]
	s_or_b64 s[4:5], s[6:7], s[4:5]
	s_xor_b64 s[12:13], s[4:5], -1
	s_and_saveexec_b64 s[6:7], s[4:5]
	s_cbranch_execz .LBB41_78
; %bb.77:
	ds_read_u8 v15, v14
	s_andn2_b64 s[12:13], s[12:13], exec
	s_waitcnt lgkmcnt(0)
	v_and_b32_e32 v15, 1, v15
	v_cmp_eq_u32_e64 s[4:5], 1, v15
	s_xor_b64 s[4:5], s[4:5], -1
	s_and_b64 s[4:5], s[4:5], exec
	s_or_b64 s[12:13], s[12:13], s[4:5]
.LBB41_78:
	s_or_b64 exec, exec, s[6:7]
	s_and_saveexec_b64 s[6:7], s[12:13]
	s_cbranch_execz .LBB41_81
; %bb.79:
	ds_read_u8 v15, v14 offset:1
	s_waitcnt lgkmcnt(0)
	v_cmp_ne_u16_e64 s[4:5], 0, v15
	s_and_b64 exec, exec, s[4:5]
	s_cbranch_execz .LBB41_81
; %bb.80:
	v_add_u32_e32 v12, v10, v12
	v_mov_b32_e32 v16, v2
	v_mov_b32_e32 v17, v3
	ds_read_b128 v[20:23], v12
	v_mov_b32_e32 v18, v0
	v_mov_b32_e32 v19, v1
	ds_write_b128 v13, v[16:19]
	ds_read_u8 v13, v14
	s_waitcnt lgkmcnt(2)
	v_mov_b32_e32 v0, v22
	v_mov_b32_e32 v1, v23
	;; [unrolled: 1-line block ×4, first 2 shown]
	ds_write_b128 v12, v[0:3]
	s_waitcnt lgkmcnt(1)
	v_lshlrev_b16_e32 v0, 8, v13
	v_or_b32_e32 v0, v15, v0
	ds_write_b16 v14, v0
.LBB41_81:
	s_or_b64 exec, exec, s[6:7]
	s_waitcnt lgkmcnt(0)
	s_barrier
	s_and_saveexec_b64 s[4:5], vcc
	s_cbranch_execz .LBB41_86
; %bb.82:
	s_and_saveexec_b64 s[4:5], s[0:1]
	s_cbranch_execz .LBB41_84
; %bb.83:
	ds_read_b64 v[0:1], v11
	v_mad_u64_u32 v[2:3], s[0:1], v5, s14, v[6:7]
	v_mov_b32_e32 v3, 0
	v_lshlrev_b64 v[12:13], 3, v[2:3]
	v_mov_b32_e32 v2, s9
	v_add_co_u32_e32 v12, vcc, s8, v12
	v_addc_co_u32_e32 v13, vcc, v2, v13, vcc
	ds_read_b64 v[10:11], v10
	s_waitcnt lgkmcnt(1)
	global_store_dwordx2 v[12:13], v[0:1], off
	v_mad_u64_u32 v[0:1], s[0:1], v5, s15, v[4:5]
	v_mov_b32_e32 v1, v3
	v_lshlrev_b64 v[0:1], 3, v[0:1]
	v_mov_b32_e32 v2, s11
	v_add_co_u32_e32 v0, vcc, s10, v0
	v_addc_co_u32_e32 v1, vcc, v2, v1, vcc
	s_waitcnt lgkmcnt(0)
	global_store_dwordx2 v[0:1], v[10:11], off
.LBB41_84:
	s_or_b64 exec, exec, s[4:5]
	s_and_b64 exec, exec, s[2:3]
	s_cbranch_execz .LBB41_86
; %bb.85:
	ds_read_b64 v[0:1], v9
	v_mad_u64_u32 v[2:3], s[0:1], v7, s14, v[6:7]
	v_mov_b32_e32 v3, 0
	v_lshlrev_b64 v[10:11], 3, v[2:3]
	v_mov_b32_e32 v2, s9
	v_add_co_u32_e32 v10, vcc, s8, v10
	v_addc_co_u32_e32 v11, vcc, v2, v11, vcc
	ds_read_b64 v[8:9], v8
	s_waitcnt lgkmcnt(1)
	global_store_dwordx2 v[10:11], v[0:1], off
	v_mad_u64_u32 v[0:1], s[0:1], v7, s15, v[4:5]
	v_mov_b32_e32 v1, v3
	v_lshlrev_b64 v[0:1], 3, v[0:1]
	v_mov_b32_e32 v2, s11
	v_add_co_u32_e32 v0, vcc, s10, v0
	v_addc_co_u32_e32 v1, vcc, v2, v1, vcc
	s_waitcnt lgkmcnt(0)
	global_store_dwordx2 v[0:1], v[8:9], off
.LBB41_86:
	s_endpgm
.LBB41_87:
	ds_read_u8 v23, v14
	s_andn2_b64 s[6:7], s[6:7], exec
	s_mov_b32 s16, 1
	s_waitcnt lgkmcnt(0)
	v_and_b32_e32 v23, 1, v23
	v_cmp_eq_u32_e64 s[4:5], 1, v23
	s_xor_b64 s[4:5], s[4:5], -1
	s_and_b64 s[4:5], s[4:5], exec
	s_or_b64 s[6:7], s[6:7], s[4:5]
	s_or_b64 exec, exec, s[12:13]
	v_mov_b32_e32 v23, s16
	s_and_saveexec_b64 s[4:5], s[6:7]
	s_cbranch_execz .LBB41_22
.LBB41_88:
	ds_read_u8 v23, v14 offset:1
	s_waitcnt lgkmcnt(0)
	v_xor_b32_e32 v23, 1, v23
	s_or_b64 exec, exec, s[4:5]
	v_cmp_eq_u32_e64 s[4:5], v23, v22
	s_and_saveexec_b64 s[6:7], s[4:5]
	s_cbranch_execnz .LBB41_23
	s_branch .LBB41_24
.LBB41_89:
	ds_read_u8 v26, v17
	s_andn2_b64 s[6:7], s[6:7], exec
	s_mov_b32 s16, 1
	s_waitcnt lgkmcnt(0)
	v_and_b32_e32 v26, 1, v26
	v_cmp_eq_u32_e64 s[4:5], 1, v26
	s_xor_b64 s[4:5], s[4:5], -1
	s_and_b64 s[4:5], s[4:5], exec
	s_or_b64 s[6:7], s[6:7], s[4:5]
	s_or_b64 exec, exec, s[12:13]
	v_mov_b32_e32 v26, s16
	s_and_saveexec_b64 s[4:5], s[6:7]
	s_cbranch_execz .LBB41_32
.LBB41_90:
	ds_read_u8 v26, v17 offset:2
	s_waitcnt lgkmcnt(0)
	v_xor_b32_e32 v26, 1, v26
	s_or_b64 exec, exec, s[4:5]
	v_cmp_eq_u32_e64 s[4:5], v26, v25
	s_and_saveexec_b64 s[6:7], s[4:5]
	s_cbranch_execnz .LBB41_33
	s_branch .LBB41_34
.LBB41_91:
	ds_read_u8 v26, v14
	s_andn2_b64 s[6:7], s[6:7], exec
	s_mov_b32 s16, 1
	s_waitcnt lgkmcnt(0)
	v_and_b32_e32 v26, 1, v26
	v_cmp_eq_u32_e64 s[4:5], 1, v26
	s_xor_b64 s[4:5], s[4:5], -1
	s_and_b64 s[4:5], s[4:5], exec
	s_or_b64 s[6:7], s[6:7], s[4:5]
	s_or_b64 exec, exec, s[12:13]
	v_mov_b32_e32 v26, s16
	s_and_saveexec_b64 s[4:5], s[6:7]
	s_cbranch_execz .LBB41_36
.LBB41_92:
	ds_read_u8 v26, v14 offset:1
	s_waitcnt lgkmcnt(0)
	v_xor_b32_e32 v26, 1, v26
	s_or_b64 exec, exec, s[4:5]
	v_cmp_eq_u32_e64 s[4:5], v26, v25
	s_and_saveexec_b64 s[6:7], s[4:5]
	s_cbranch_execnz .LBB41_37
	s_branch .LBB41_38
.LBB41_93:
	ds_read_u8 v29, v23
	s_andn2_b64 s[6:7], s[6:7], exec
	s_mov_b32 s16, 1
	s_waitcnt lgkmcnt(0)
	v_and_b32_e32 v29, 1, v29
	v_cmp_eq_u32_e64 s[4:5], 1, v29
	s_xor_b64 s[4:5], s[4:5], -1
	s_and_b64 s[4:5], s[4:5], exec
	s_or_b64 s[6:7], s[6:7], s[4:5]
	s_or_b64 exec, exec, s[12:13]
	v_mov_b32_e32 v29, s16
	s_and_saveexec_b64 s[4:5], s[6:7]
	s_cbranch_execz .LBB41_46
.LBB41_94:
	ds_read_u8 v29, v23 offset:4
	s_waitcnt lgkmcnt(0)
	v_xor_b32_e32 v29, 1, v29
	s_or_b64 exec, exec, s[4:5]
	v_cmp_eq_u32_e64 s[4:5], v29, v28
	s_and_saveexec_b64 s[6:7], s[4:5]
	s_cbranch_execnz .LBB41_47
	s_branch .LBB41_48
.LBB41_95:
	ds_read_u8 v29, v17
	s_andn2_b64 s[6:7], s[6:7], exec
	s_mov_b32 s16, 1
	s_waitcnt lgkmcnt(0)
	v_and_b32_e32 v29, 1, v29
	v_cmp_eq_u32_e64 s[4:5], 1, v29
	s_xor_b64 s[4:5], s[4:5], -1
	s_and_b64 s[4:5], s[4:5], exec
	s_or_b64 s[6:7], s[6:7], s[4:5]
	s_or_b64 exec, exec, s[12:13]
	v_mov_b32_e32 v29, s16
	s_and_saveexec_b64 s[4:5], s[6:7]
	s_cbranch_execz .LBB41_50
.LBB41_96:
	ds_read_u8 v29, v17 offset:2
	s_waitcnt lgkmcnt(0)
	v_xor_b32_e32 v29, 1, v29
	s_or_b64 exec, exec, s[4:5]
	v_cmp_eq_u32_e64 s[4:5], v29, v28
	s_and_saveexec_b64 s[6:7], s[4:5]
	s_cbranch_execnz .LBB41_51
	s_branch .LBB41_52
.LBB41_97:
	ds_read_u8 v29, v14
	s_andn2_b64 s[6:7], s[6:7], exec
	s_mov_b32 s16, 1
	s_waitcnt lgkmcnt(0)
	v_and_b32_e32 v29, 1, v29
	v_cmp_eq_u32_e64 s[4:5], 1, v29
	s_xor_b64 s[4:5], s[4:5], -1
	s_and_b64 s[4:5], s[4:5], exec
	s_or_b64 s[6:7], s[6:7], s[4:5]
	s_or_b64 exec, exec, s[12:13]
	v_mov_b32_e32 v29, s16
	s_and_saveexec_b64 s[4:5], s[6:7]
	s_cbranch_execz .LBB41_54
.LBB41_98:
	ds_read_u8 v29, v14 offset:1
	s_waitcnt lgkmcnt(0)
	v_xor_b32_e32 v29, 1, v29
	s_or_b64 exec, exec, s[4:5]
	v_cmp_eq_u32_e64 s[4:5], v29, v28
	s_and_saveexec_b64 s[6:7], s[4:5]
	s_cbranch_execnz .LBB41_55
	s_branch .LBB41_56
	.section	.rodata,"a",@progbits
	.p2align	6, 0x0
	.amdhsa_kernel _ZN2at6native20bitonicSortKVInPlaceILin2ELin1ELi16ELi16EdlNS0_4GTOpIdLb1EEEjEEvNS_4cuda6detail10TensorInfoIT3_T6_EES8_S8_S8_NS6_IT4_S8_EES8_T5_
		.amdhsa_group_segment_fixed_size 8704
		.amdhsa_private_segment_fixed_size 0
		.amdhsa_kernarg_size 712
		.amdhsa_user_sgpr_count 6
		.amdhsa_user_sgpr_private_segment_buffer 1
		.amdhsa_user_sgpr_dispatch_ptr 0
		.amdhsa_user_sgpr_queue_ptr 0
		.amdhsa_user_sgpr_kernarg_segment_ptr 1
		.amdhsa_user_sgpr_dispatch_id 0
		.amdhsa_user_sgpr_flat_scratch_init 0
		.amdhsa_user_sgpr_kernarg_preload_length 0
		.amdhsa_user_sgpr_kernarg_preload_offset 0
		.amdhsa_user_sgpr_private_segment_size 0
		.amdhsa_uses_dynamic_stack 0
		.amdhsa_system_sgpr_private_segment_wavefront_offset 0
		.amdhsa_system_sgpr_workgroup_id_x 1
		.amdhsa_system_sgpr_workgroup_id_y 1
		.amdhsa_system_sgpr_workgroup_id_z 1
		.amdhsa_system_sgpr_workgroup_info 0
		.amdhsa_system_vgpr_workitem_id 1
		.amdhsa_next_free_vgpr 37
		.amdhsa_next_free_sgpr 18
		.amdhsa_accum_offset 40
		.amdhsa_reserve_vcc 1
		.amdhsa_reserve_flat_scratch 0
		.amdhsa_float_round_mode_32 0
		.amdhsa_float_round_mode_16_64 0
		.amdhsa_float_denorm_mode_32 3
		.amdhsa_float_denorm_mode_16_64 3
		.amdhsa_dx10_clamp 1
		.amdhsa_ieee_mode 1
		.amdhsa_fp16_overflow 0
		.amdhsa_tg_split 0
		.amdhsa_exception_fp_ieee_invalid_op 0
		.amdhsa_exception_fp_denorm_src 0
		.amdhsa_exception_fp_ieee_div_zero 0
		.amdhsa_exception_fp_ieee_overflow 0
		.amdhsa_exception_fp_ieee_underflow 0
		.amdhsa_exception_fp_ieee_inexact 0
		.amdhsa_exception_int_div_zero 0
	.end_amdhsa_kernel
	.section	.text._ZN2at6native20bitonicSortKVInPlaceILin2ELin1ELi16ELi16EdlNS0_4GTOpIdLb1EEEjEEvNS_4cuda6detail10TensorInfoIT3_T6_EES8_S8_S8_NS6_IT4_S8_EES8_T5_,"axG",@progbits,_ZN2at6native20bitonicSortKVInPlaceILin2ELin1ELi16ELi16EdlNS0_4GTOpIdLb1EEEjEEvNS_4cuda6detail10TensorInfoIT3_T6_EES8_S8_S8_NS6_IT4_S8_EES8_T5_,comdat
.Lfunc_end41:
	.size	_ZN2at6native20bitonicSortKVInPlaceILin2ELin1ELi16ELi16EdlNS0_4GTOpIdLb1EEEjEEvNS_4cuda6detail10TensorInfoIT3_T6_EES8_S8_S8_NS6_IT4_S8_EES8_T5_, .Lfunc_end41-_ZN2at6native20bitonicSortKVInPlaceILin2ELin1ELi16ELi16EdlNS0_4GTOpIdLb1EEEjEEvNS_4cuda6detail10TensorInfoIT3_T6_EES8_S8_S8_NS6_IT4_S8_EES8_T5_
                                        ; -- End function
	.section	.AMDGPU.csdata,"",@progbits
; Kernel info:
; codeLenInByte = 4976
; NumSgprs: 22
; NumVgprs: 37
; NumAgprs: 0
; TotalNumVgprs: 37
; ScratchSize: 0
; MemoryBound: 0
; FloatMode: 240
; IeeeMode: 1
; LDSByteSize: 8704 bytes/workgroup (compile time only)
; SGPRBlocks: 2
; VGPRBlocks: 4
; NumSGPRsForWavesPerEU: 22
; NumVGPRsForWavesPerEU: 37
; AccumOffset: 40
; Occupancy: 7
; WaveLimiterHint : 1
; COMPUTE_PGM_RSRC2:SCRATCH_EN: 0
; COMPUTE_PGM_RSRC2:USER_SGPR: 6
; COMPUTE_PGM_RSRC2:TRAP_HANDLER: 0
; COMPUTE_PGM_RSRC2:TGID_X_EN: 1
; COMPUTE_PGM_RSRC2:TGID_Y_EN: 1
; COMPUTE_PGM_RSRC2:TGID_Z_EN: 1
; COMPUTE_PGM_RSRC2:TIDIG_COMP_CNT: 1
; COMPUTE_PGM_RSRC3_GFX90A:ACCUM_OFFSET: 9
; COMPUTE_PGM_RSRC3_GFX90A:TG_SPLIT: 0
	.section	.text._ZN2at6native20bitonicSortKVInPlaceILi2ELin1ELi16ELi16EdlNS0_4LTOpIdLb1EEEjEEvNS_4cuda6detail10TensorInfoIT3_T6_EES8_S8_S8_NS6_IT4_S8_EES8_T5_,"axG",@progbits,_ZN2at6native20bitonicSortKVInPlaceILi2ELin1ELi16ELi16EdlNS0_4LTOpIdLb1EEEjEEvNS_4cuda6detail10TensorInfoIT3_T6_EES8_S8_S8_NS6_IT4_S8_EES8_T5_,comdat
	.protected	_ZN2at6native20bitonicSortKVInPlaceILi2ELin1ELi16ELi16EdlNS0_4LTOpIdLb1EEEjEEvNS_4cuda6detail10TensorInfoIT3_T6_EES8_S8_S8_NS6_IT4_S8_EES8_T5_ ; -- Begin function _ZN2at6native20bitonicSortKVInPlaceILi2ELin1ELi16ELi16EdlNS0_4LTOpIdLb1EEEjEEvNS_4cuda6detail10TensorInfoIT3_T6_EES8_S8_S8_NS6_IT4_S8_EES8_T5_
	.globl	_ZN2at6native20bitonicSortKVInPlaceILi2ELin1ELi16ELi16EdlNS0_4LTOpIdLb1EEEjEEvNS_4cuda6detail10TensorInfoIT3_T6_EES8_S8_S8_NS6_IT4_S8_EES8_T5_
	.p2align	8
	.type	_ZN2at6native20bitonicSortKVInPlaceILi2ELin1ELi16ELi16EdlNS0_4LTOpIdLb1EEEjEEvNS_4cuda6detail10TensorInfoIT3_T6_EES8_S8_S8_NS6_IT4_S8_EES8_T5_,@function
_ZN2at6native20bitonicSortKVInPlaceILi2ELin1ELi16ELi16EdlNS0_4LTOpIdLb1EEEjEEvNS_4cuda6detail10TensorInfoIT3_T6_EES8_S8_S8_NS6_IT4_S8_EES8_T5_: ; @_ZN2at6native20bitonicSortKVInPlaceILi2ELin1ELi16ELi16EdlNS0_4LTOpIdLb1EEEjEEvNS_4cuda6detail10TensorInfoIT3_T6_EES8_S8_S8_NS6_IT4_S8_EES8_T5_
; %bb.0:
	s_load_dwordx2 s[0:1], s[4:5], 0x1c8
	s_load_dwordx4 s[12:15], s[4:5], 0xd8
	s_load_dword s9, s[4:5], 0x1d4
	s_add_u32 s2, s4, 0x1c8
	s_addc_u32 s3, s5, 0
	s_waitcnt lgkmcnt(0)
	s_mul_i32 s1, s1, s8
	s_add_i32 s1, s1, s7
	s_mul_i32 s0, s1, s0
	s_add_i32 s0, s0, s6
	s_lshr_b32 s1, s9, 16
	s_mul_i32 s0, s0, s1
	s_cmp_ge_u32 s0, s12
	s_cbranch_scc1 .LBB42_86
; %bb.1:
	s_load_dword s15, s[4:5], 0xc
	s_load_dwordx2 s[6:7], s[4:5], 0x6c
	s_load_dword s17, s[4:5], 0x1b8
	s_add_u32 s10, s4, 0xe8
	v_bfe_u32 v10, v0, 10, 10
	s_waitcnt lgkmcnt(0)
	v_cvt_f32_u32_e32 v1, s15
	s_addc_u32 s11, s5, 0
	s_load_dwordx2 s[8:9], s[4:5], 0x0
	s_mov_b32 s1, 0
	v_rcp_iflag_f32_e32 v1, v1
	v_mov_b32_e32 v2, 0
	v_mul_f32_e32 v1, 0x4f7ffffe, v1
	v_cvt_u32_f32_e32 v3, v1
	v_add_u32_e32 v1, s0, v10
	s_sub_i32 s0, 0, s15
	s_cmp_lt_i32 s17, 2
	v_mul_lo_u32 v4, s0, v3
	v_mul_hi_u32 v4, v3, v4
	v_add_u32_e32 v3, v3, v4
	v_mad_u64_u32 v[4:5], s[18:19], v1, v3, 0
	v_mov_b32_e32 v4, v1
	s_cbranch_scc1 .LBB42_4
; %bb.2:
	s_add_i32 s0, s17, -1
	s_add_i32 s16, s17, 1
	s_lshl_b64 s[0:1], s[0:1], 2
	s_add_u32 s0, s0, s10
	s_addc_u32 s1, s1, s11
	s_add_u32 s0, s0, 8
	s_addc_u32 s1, s1, 0
	v_mov_b32_e32 v2, 0
	v_mov_b32_e32 v4, v1
.LBB42_3:                               ; =>This Inner Loop Header: Depth=1
	s_load_dword s17, s[0:1], 0x0
	s_load_dword s18, s[0:1], 0x64
	v_mov_b32_e32 v3, v4
	s_add_i32 s16, s16, -1
	s_waitcnt lgkmcnt(0)
	v_cvt_f32_u32_e32 v4, s17
	s_sub_i32 s19, 0, s17
	s_add_u32 s0, s0, -4
	s_addc_u32 s1, s1, -1
	v_rcp_iflag_f32_e32 v4, v4
	s_cmp_gt_u32 s16, 2
	v_mul_f32_e32 v4, 0x4f7ffffe, v4
	v_cvt_u32_f32_e32 v4, v4
	v_mul_lo_u32 v6, s19, v4
	v_mul_hi_u32 v6, v4, v6
	v_add_u32_e32 v4, v4, v6
	v_mul_hi_u32 v4, v3, v4
	v_mul_lo_u32 v6, v4, s17
	v_sub_u32_e32 v6, v3, v6
	v_add_u32_e32 v7, 1, v4
	v_cmp_le_u32_e32 vcc, s17, v6
	v_cndmask_b32_e32 v4, v4, v7, vcc
	v_subrev_u32_e32 v7, s17, v6
	v_cndmask_b32_e32 v6, v6, v7, vcc
	v_add_u32_e32 v7, 1, v4
	v_cmp_le_u32_e32 vcc, s17, v6
	v_cndmask_b32_e32 v4, v4, v7, vcc
	v_mul_lo_u32 v6, v4, s17
	v_sub_u32_e32 v3, v3, v6
	v_mad_u64_u32 v[2:3], s[18:19], s18, v3, v[2:3]
	s_cbranch_scc1 .LBB42_3
.LBB42_4:
	v_mul_lo_u32 v3, v5, s15
	v_sub_u32_e32 v3, v1, v3
	v_add_u32_e32 v6, 1, v5
	v_cmp_le_u32_e64 s[0:1], s15, v3
	v_cndmask_b32_e64 v5, v5, v6, s[0:1]
	v_subrev_u32_e32 v6, s15, v3
	v_cndmask_b32_e64 v3, v3, v6, s[0:1]
	v_add_u32_e32 v6, 1, v5
	v_cmp_le_u32_e64 s[0:1], s15, v3
	v_cndmask_b32_e64 v3, v5, v6, s[0:1]
	v_mul_lo_u32 v5, v3, s15
	v_cmp_gt_u32_e32 vcc, s12, v1
	v_sub_u32_e32 v1, v1, v5
	v_mul_lo_u32 v6, v1, s7
	s_load_dword s15, s[4:5], 0x1c0
	s_load_dword s7, s[10:11], 0x6c
	;; [unrolled: 1-line block ×3, first 2 shown]
	v_mad_u64_u32 v[6:7], s[0:1], v3, s6, v[6:7]
	s_load_dwordx2 s[10:11], s[10:11], 0x0
	s_waitcnt lgkmcnt(0)
	v_mad_u64_u32 v[4:5], s[0:1], s7, v4, v[2:3]
	v_and_b32_e32 v5, 0x3ff, v0
	v_cmp_gt_u32_e64 s[0:1], s13, v5
	v_pk_mov_b32 v[0:1], 0, 0
	s_and_b64 s[4:5], vcc, s[0:1]
	v_pk_mov_b32 v[2:3], 0, 0
	v_pk_mov_b32 v[8:9], v[0:1], v[0:1] op_sel:[0,1]
	s_and_saveexec_b64 s[6:7], s[4:5]
	s_cbranch_execz .LBB42_6
; %bb.5:
	v_mad_u64_u32 v[8:9], s[2:3], v5, s14, v[6:7]
	v_mov_b32_e32 v9, 0
	v_lshlrev_b64 v[2:3], 3, v[8:9]
	v_mov_b32_e32 v7, s9
	v_add_co_u32_e64 v2, s[2:3], s8, v2
	v_addc_co_u32_e64 v3, s[2:3], v7, v3, s[2:3]
	v_mad_u64_u32 v[12:13], s[2:3], v5, s15, v[4:5]
	v_mov_b32_e32 v13, v9
	v_lshlrev_b64 v[8:9], 3, v[12:13]
	v_mov_b32_e32 v7, s11
	v_add_co_u32_e64 v8, s[2:3], s10, v8
	v_addc_co_u32_e64 v9, s[2:3], v7, v9, s[2:3]
	global_load_dwordx2 v[2:3], v[2:3], off
	s_nop 0
	global_load_dwordx2 v[8:9], v[8:9], off
.LBB42_6:
	s_or_b64 exec, exec, s[6:7]
	v_lshlrev_b32_e32 v19, 8, v10
	v_mov_b32_e32 v11, 0x2000
	v_lshlrev_b32_e32 v12, 3, v5
	v_lshl_add_u32 v18, v10, 5, v11
	v_add_u32_e32 v11, v19, v12
	s_and_b32 s16, 0xffff, s12
	v_cndmask_b32_e64 v7, 0, 1, s[4:5]
	s_waitcnt vmcnt(1)
	ds_write_b64 v11, v[2:3]
	v_add_u32_e32 v2, v18, v5
	ds_write_b8 v2, v7
	v_add_u32_e32 v7, s16, v5
	v_add_u32_e32 v15, 0x1000, v19
	v_cmp_gt_u32_e64 s[2:3], s13, v7
	v_add_u32_e32 v10, v15, v12
	s_and_b64 s[6:7], vcc, s[2:3]
	v_pk_mov_b32 v[2:3], v[0:1], v[0:1] op_sel:[0,1]
	s_waitcnt vmcnt(0)
	ds_write_b64 v10, v[8:9]
	s_and_saveexec_b64 s[12:13], s[6:7]
	s_cbranch_execz .LBB42_8
; %bb.7:
	v_mad_u64_u32 v[2:3], s[4:5], v7, s14, v[6:7]
	v_mov_b32_e32 v3, 0
	v_lshlrev_b64 v[0:1], 3, v[2:3]
	v_mov_b32_e32 v2, s9
	v_add_co_u32_e64 v0, s[4:5], s8, v0
	v_addc_co_u32_e64 v1, s[4:5], v2, v1, s[4:5]
	v_mad_u64_u32 v[8:9], s[4:5], v7, s15, v[4:5]
	v_mov_b32_e32 v9, v3
	v_lshlrev_b64 v[2:3], 3, v[8:9]
	v_mov_b32_e32 v8, s11
	v_add_co_u32_e64 v2, s[4:5], s10, v2
	v_addc_co_u32_e64 v3, s[4:5], v8, v3, s[4:5]
	global_load_dwordx2 v[0:1], v[0:1], off
	s_nop 0
	global_load_dwordx2 v[2:3], v[2:3], off
.LBB42_8:
	s_or_b64 exec, exec, s[12:13]
	s_lshl_b32 s4, s16, 3
	v_add_u32_e32 v9, s4, v11
	v_cndmask_b32_e64 v13, 0, 1, s[6:7]
	s_waitcnt vmcnt(1)
	ds_write_b64 v9, v[0:1]
	v_add_u32_e32 v0, v18, v7
	v_add_u32_e32 v8, s4, v10
	ds_write_b8 v0, v13
	v_add_u32_e32 v13, v11, v12
	s_waitcnt vmcnt(0)
	ds_write_b64 v8, v[2:3]
	s_waitcnt lgkmcnt(0)
	s_barrier
	ds_read_b128 v[0:3], v13
	v_lshlrev_b32_e32 v21, 1, v5
	s_mov_b32 s16, 1
	v_add_u32_e32 v14, v18, v21
	s_waitcnt lgkmcnt(0)
	v_cmp_u_f64_e64 s[4:5], v[2:3], v[2:3]
	v_cmp_o_f64_e64 s[6:7], v[0:1], v[0:1]
	s_and_b64 s[6:7], s[4:5], s[6:7]
	v_cmp_lt_f64_e64 s[4:5], v[0:1], v[2:3]
	s_or_b64 s[4:5], s[6:7], s[4:5]
	s_xor_b64 s[6:7], s[4:5], -1
	s_and_saveexec_b64 s[12:13], s[4:5]
	s_xor_b64 s[12:13], exec, s[12:13]
	s_cbranch_execz .LBB42_10
; %bb.9:
	ds_read_u8 v16, v14
	s_andn2_b64 s[6:7], s[6:7], exec
	s_waitcnt lgkmcnt(0)
	v_and_b32_e32 v16, 1, v16
	v_cmp_eq_u32_e64 s[4:5], 1, v16
	s_xor_b64 s[4:5], s[4:5], -1
	s_and_b64 s[4:5], s[4:5], exec
	s_or_b64 s[6:7], s[6:7], s[4:5]
.LBB42_10:
	s_or_b64 exec, exec, s[12:13]
	v_mov_b32_e32 v17, s16
	s_and_saveexec_b64 s[4:5], s[6:7]
	s_cbranch_execz .LBB42_12
; %bb.11:
	ds_read_u8 v16, v14 offset:1
	s_waitcnt lgkmcnt(0)
	v_xor_b32_e32 v17, 1, v16
.LBB42_12:
	s_or_b64 exec, exec, s[4:5]
	v_and_b32_e32 v16, 1, v5
	v_cmp_eq_u32_e64 s[4:5], v17, v16
	s_and_saveexec_b64 s[6:7], s[4:5]
	s_cbranch_execz .LBB42_14
; %bb.13:
	v_add_u32_e32 v17, v10, v12
	ds_read_b128 v[26:29], v17
	ds_read_u16 v20, v14
	v_mov_b32_e32 v22, v2
	v_mov_b32_e32 v23, v3
	;; [unrolled: 1-line block ×4, first 2 shown]
	s_waitcnt lgkmcnt(1)
	v_mov_b32_e32 v0, v28
	v_mov_b32_e32 v1, v29
	;; [unrolled: 1-line block ×4, first 2 shown]
	s_mov_b32 s4, 0xc0c0001
	ds_write_b128 v17, v[0:3]
	s_waitcnt lgkmcnt(1)
	v_perm_b32 v0, 0, v20, s4
	ds_write_b128 v13, v[22:25]
	ds_write_b16 v14, v0
.LBB42_14:
	s_or_b64 exec, exec, s[6:7]
	v_sub_u32_e32 v20, v21, v16
	v_lshl_add_u32 v16, v20, 3, v19
	s_waitcnt lgkmcnt(0)
	s_barrier
	ds_read2_b64 v[0:3], v16 offset1:2
	v_add_u32_e32 v17, v18, v20
                                        ; implicit-def: $sgpr12
	s_waitcnt lgkmcnt(0)
	v_cmp_u_f64_e64 s[4:5], v[2:3], v[2:3]
	v_cmp_o_f64_e64 s[6:7], v[0:1], v[0:1]
	s_and_b64 s[6:7], s[4:5], s[6:7]
	v_cmp_lt_f64_e64 s[4:5], v[0:1], v[2:3]
	s_or_b64 s[6:7], s[6:7], s[4:5]
	s_mov_b64 s[4:5], -1
	s_and_saveexec_b64 s[16:17], s[6:7]
	s_xor_b64 s[6:7], exec, s[16:17]
	s_cbranch_execz .LBB42_16
; %bb.15:
	ds_read_u8 v22, v17
	s_mov_b32 s12, 1
	s_waitcnt lgkmcnt(0)
	v_and_b32_e32 v22, 1, v22
	v_cmp_eq_u32_e64 s[4:5], 1, v22
	s_xor_b64 s[4:5], s[4:5], -1
	s_orn2_b64 s[4:5], s[4:5], exec
.LBB42_16:
	s_or_b64 exec, exec, s[6:7]
	v_mov_b32_e32 v23, s12
	s_and_saveexec_b64 s[6:7], s[4:5]
	s_cbranch_execz .LBB42_18
; %bb.17:
	ds_read_u8 v22, v17 offset:2
	s_waitcnt lgkmcnt(0)
	v_xor_b32_e32 v23, 1, v22
.LBB42_18:
	s_or_b64 exec, exec, s[6:7]
	v_bfe_u32 v22, v5, 1, 1
	v_lshl_add_u32 v20, v20, 3, v15
	v_cmp_eq_u32_e64 s[4:5], v23, v22
	s_and_saveexec_b64 s[6:7], s[4:5]
	s_cbranch_execz .LBB42_20
; %bb.19:
	ds_read2_b64 v[24:27], v20 offset1:2
	ds_read_u8 v23, v17 offset:2
	ds_read_u8 v28, v17
	ds_write2_b64 v16, v[2:3], v[0:1] offset1:2
	s_waitcnt lgkmcnt(3)
	ds_write2_b64 v20, v[26:27], v[24:25] offset1:2
	s_waitcnt lgkmcnt(3)
	ds_write_b8 v17, v23
	s_waitcnt lgkmcnt(3)
	ds_write_b8 v17, v28 offset:2
.LBB42_20:
	s_or_b64 exec, exec, s[6:7]
	s_waitcnt lgkmcnt(0)
	s_barrier
	ds_read_b128 v[0:3], v13
                                        ; implicit-def: $sgpr16
	s_waitcnt lgkmcnt(0)
	v_cmp_u_f64_e64 s[4:5], v[2:3], v[2:3]
	v_cmp_o_f64_e64 s[6:7], v[0:1], v[0:1]
	s_and_b64 s[6:7], s[4:5], s[6:7]
	v_cmp_lt_f64_e64 s[4:5], v[0:1], v[2:3]
	s_or_b64 s[4:5], s[6:7], s[4:5]
	s_xor_b64 s[6:7], s[4:5], -1
	s_and_saveexec_b64 s[12:13], s[4:5]
	s_cbranch_execnz .LBB42_87
; %bb.21:
	s_or_b64 exec, exec, s[12:13]
	v_mov_b32_e32 v23, s16
	s_and_saveexec_b64 s[4:5], s[6:7]
	s_cbranch_execnz .LBB42_88
.LBB42_22:
	s_or_b64 exec, exec, s[4:5]
	v_cmp_eq_u32_e64 s[4:5], v23, v22
	s_and_saveexec_b64 s[6:7], s[4:5]
	s_cbranch_execz .LBB42_24
.LBB42_23:
	v_add_u32_e32 v30, v10, v12
	v_mov_b32_e32 v22, v2
	v_mov_b32_e32 v23, v3
	ds_read_b128 v[26:29], v30
	v_mov_b32_e32 v24, v0
	v_mov_b32_e32 v25, v1
	ds_write_b128 v13, v[22:25]
	ds_read_u16 v22, v14
	s_waitcnt lgkmcnt(2)
	v_mov_b32_e32 v0, v28
	v_mov_b32_e32 v1, v29
	v_mov_b32_e32 v2, v26
	v_mov_b32_e32 v3, v27
	s_mov_b32 s4, 0xc0c0001
	ds_write_b128 v30, v[0:3]
	s_waitcnt lgkmcnt(1)
	v_perm_b32 v0, 0, v22, s4
	ds_write_b16 v14, v0
.LBB42_24:
	s_or_b64 exec, exec, s[6:7]
	v_and_b32_e32 v0, 3, v5
	v_sub_u32_e32 v24, v21, v0
	v_lshl_add_u32 v22, v24, 3, v19
	s_waitcnt lgkmcnt(0)
	s_barrier
	ds_read2_b64 v[0:3], v22 offset1:4
	v_add_u32_e32 v23, v18, v24
                                        ; implicit-def: $sgpr16
	s_waitcnt lgkmcnt(0)
	v_cmp_u_f64_e64 s[4:5], v[2:3], v[2:3]
	v_cmp_o_f64_e64 s[6:7], v[0:1], v[0:1]
	s_and_b64 s[6:7], s[4:5], s[6:7]
	v_cmp_lt_f64_e64 s[4:5], v[0:1], v[2:3]
	s_or_b64 s[4:5], s[6:7], s[4:5]
	s_xor_b64 s[6:7], s[4:5], -1
	s_and_saveexec_b64 s[12:13], s[4:5]
	s_cbranch_execz .LBB42_26
; %bb.25:
	ds_read_u8 v25, v23
	s_andn2_b64 s[6:7], s[6:7], exec
	s_mov_b32 s16, 1
	s_waitcnt lgkmcnt(0)
	v_and_b32_e32 v25, 1, v25
	v_cmp_eq_u32_e64 s[4:5], 1, v25
	s_xor_b64 s[4:5], s[4:5], -1
	s_and_b64 s[4:5], s[4:5], exec
	s_or_b64 s[6:7], s[6:7], s[4:5]
.LBB42_26:
	s_or_b64 exec, exec, s[12:13]
	v_mov_b32_e32 v26, s16
	s_and_saveexec_b64 s[4:5], s[6:7]
	s_cbranch_execz .LBB42_28
; %bb.27:
	ds_read_u8 v25, v23 offset:4
	s_waitcnt lgkmcnt(0)
	v_xor_b32_e32 v26, 1, v25
.LBB42_28:
	s_or_b64 exec, exec, s[4:5]
	v_bfe_u32 v25, v5, 2, 1
	v_lshl_add_u32 v24, v24, 3, v15
	v_cmp_eq_u32_e64 s[4:5], v26, v25
	s_and_saveexec_b64 s[6:7], s[4:5]
	s_cbranch_execz .LBB42_30
; %bb.29:
	ds_read2_b64 v[26:29], v24 offset1:4
	ds_read_u8 v30, v23 offset:4
	ds_read_u8 v31, v23
	ds_write2_b64 v22, v[2:3], v[0:1] offset1:4
	s_waitcnt lgkmcnt(3)
	ds_write2_b64 v24, v[28:29], v[26:27] offset1:4
	s_waitcnt lgkmcnt(3)
	ds_write_b8 v23, v30
	s_waitcnt lgkmcnt(3)
	ds_write_b8 v23, v31 offset:4
.LBB42_30:
	s_or_b64 exec, exec, s[6:7]
	s_waitcnt lgkmcnt(0)
	s_barrier
	ds_read2_b64 v[0:3], v16 offset1:2
                                        ; implicit-def: $sgpr16
	s_waitcnt lgkmcnt(0)
	v_cmp_u_f64_e64 s[4:5], v[2:3], v[2:3]
	v_cmp_o_f64_e64 s[6:7], v[0:1], v[0:1]
	s_and_b64 s[6:7], s[4:5], s[6:7]
	v_cmp_lt_f64_e64 s[4:5], v[0:1], v[2:3]
	s_or_b64 s[4:5], s[6:7], s[4:5]
	s_xor_b64 s[6:7], s[4:5], -1
	s_and_saveexec_b64 s[12:13], s[4:5]
	s_cbranch_execnz .LBB42_89
; %bb.31:
	s_or_b64 exec, exec, s[12:13]
	v_mov_b32_e32 v26, s16
	s_and_saveexec_b64 s[4:5], s[6:7]
	s_cbranch_execnz .LBB42_90
.LBB42_32:
	s_or_b64 exec, exec, s[4:5]
	v_cmp_eq_u32_e64 s[4:5], v26, v25
	s_and_saveexec_b64 s[6:7], s[4:5]
	s_cbranch_execz .LBB42_34
.LBB42_33:
	ds_read2_b64 v[26:29], v20 offset1:2
	ds_read_u8 v30, v17 offset:2
	ds_read_u8 v31, v17
	ds_write2_b64 v16, v[2:3], v[0:1] offset1:2
	s_waitcnt lgkmcnt(3)
	ds_write2_b64 v20, v[28:29], v[26:27] offset1:2
	s_waitcnt lgkmcnt(3)
	ds_write_b8 v17, v30
	s_waitcnt lgkmcnt(3)
	ds_write_b8 v17, v31 offset:2
.LBB42_34:
	s_or_b64 exec, exec, s[6:7]
	s_waitcnt lgkmcnt(0)
	s_barrier
	ds_read_b128 v[0:3], v13
                                        ; implicit-def: $sgpr16
	s_waitcnt lgkmcnt(0)
	v_cmp_u_f64_e64 s[4:5], v[2:3], v[2:3]
	v_cmp_o_f64_e64 s[6:7], v[0:1], v[0:1]
	s_and_b64 s[6:7], s[4:5], s[6:7]
	v_cmp_lt_f64_e64 s[4:5], v[0:1], v[2:3]
	s_or_b64 s[4:5], s[6:7], s[4:5]
	s_xor_b64 s[6:7], s[4:5], -1
	s_and_saveexec_b64 s[12:13], s[4:5]
	s_cbranch_execnz .LBB42_91
; %bb.35:
	s_or_b64 exec, exec, s[12:13]
	v_mov_b32_e32 v26, s16
	s_and_saveexec_b64 s[4:5], s[6:7]
	s_cbranch_execnz .LBB42_92
.LBB42_36:
	s_or_b64 exec, exec, s[4:5]
	v_cmp_eq_u32_e64 s[4:5], v26, v25
	s_and_saveexec_b64 s[6:7], s[4:5]
	s_cbranch_execz .LBB42_38
.LBB42_37:
	v_add_u32_e32 v25, v10, v12
	v_mov_b32_e32 v26, v2
	v_mov_b32_e32 v27, v3
	ds_read_b128 v[30:33], v25
	v_mov_b32_e32 v28, v0
	v_mov_b32_e32 v29, v1
	ds_write_b128 v13, v[26:29]
	ds_read_u16 v26, v14
	s_waitcnt lgkmcnt(2)
	v_mov_b32_e32 v0, v32
	v_mov_b32_e32 v1, v33
	;; [unrolled: 1-line block ×4, first 2 shown]
	s_mov_b32 s4, 0xc0c0001
	ds_write_b128 v25, v[0:3]
	s_waitcnt lgkmcnt(1)
	v_perm_b32 v0, 0, v26, s4
	ds_write_b16 v14, v0
.LBB42_38:
	s_or_b64 exec, exec, s[6:7]
	v_and_b32_e32 v0, 7, v5
	v_sub_u32_e32 v27, v21, v0
	v_lshl_add_u32 v25, v27, 3, v19
	s_waitcnt lgkmcnt(0)
	s_barrier
	ds_read2_b64 v[0:3], v25 offset1:8
	v_add_u32_e32 v26, v18, v27
                                        ; implicit-def: $sgpr16
	s_waitcnt lgkmcnt(0)
	v_cmp_u_f64_e64 s[4:5], v[2:3], v[2:3]
	v_cmp_o_f64_e64 s[6:7], v[0:1], v[0:1]
	s_and_b64 s[6:7], s[4:5], s[6:7]
	v_cmp_lt_f64_e64 s[4:5], v[0:1], v[2:3]
	s_or_b64 s[4:5], s[6:7], s[4:5]
	s_xor_b64 s[6:7], s[4:5], -1
	s_and_saveexec_b64 s[12:13], s[4:5]
	s_cbranch_execz .LBB42_40
; %bb.39:
	ds_read_u8 v28, v26
	s_andn2_b64 s[6:7], s[6:7], exec
	s_mov_b32 s16, 1
	s_waitcnt lgkmcnt(0)
	v_and_b32_e32 v28, 1, v28
	v_cmp_eq_u32_e64 s[4:5], 1, v28
	s_xor_b64 s[4:5], s[4:5], -1
	s_and_b64 s[4:5], s[4:5], exec
	s_or_b64 s[6:7], s[6:7], s[4:5]
.LBB42_40:
	s_or_b64 exec, exec, s[12:13]
	v_mov_b32_e32 v29, s16
	s_and_saveexec_b64 s[4:5], s[6:7]
	s_cbranch_execz .LBB42_42
; %bb.41:
	ds_read_u8 v28, v26 offset:8
	s_waitcnt lgkmcnt(0)
	v_xor_b32_e32 v29, 1, v28
.LBB42_42:
	s_or_b64 exec, exec, s[4:5]
	v_bfe_u32 v28, v5, 3, 1
	v_lshl_add_u32 v27, v27, 3, v15
	v_cmp_eq_u32_e64 s[4:5], v29, v28
	s_and_saveexec_b64 s[6:7], s[4:5]
	s_cbranch_execz .LBB42_44
; %bb.43:
	ds_read2_b64 v[30:33], v27 offset1:8
	ds_read_u8 v29, v26 offset:8
	ds_read_u8 v34, v26
	ds_write2_b64 v25, v[2:3], v[0:1] offset1:8
	s_waitcnt lgkmcnt(3)
	ds_write2_b64 v27, v[32:33], v[30:31] offset1:8
	s_waitcnt lgkmcnt(3)
	ds_write_b8 v26, v29
	s_waitcnt lgkmcnt(3)
	ds_write_b8 v26, v34 offset:8
.LBB42_44:
	s_or_b64 exec, exec, s[6:7]
	s_waitcnt lgkmcnt(0)
	s_barrier
	ds_read2_b64 v[0:3], v22 offset1:4
                                        ; implicit-def: $sgpr16
	s_waitcnt lgkmcnt(0)
	v_cmp_u_f64_e64 s[4:5], v[2:3], v[2:3]
	v_cmp_o_f64_e64 s[6:7], v[0:1], v[0:1]
	s_and_b64 s[6:7], s[4:5], s[6:7]
	v_cmp_lt_f64_e64 s[4:5], v[0:1], v[2:3]
	s_or_b64 s[4:5], s[6:7], s[4:5]
	s_xor_b64 s[6:7], s[4:5], -1
	s_and_saveexec_b64 s[12:13], s[4:5]
	s_cbranch_execnz .LBB42_93
; %bb.45:
	s_or_b64 exec, exec, s[12:13]
	v_mov_b32_e32 v29, s16
	s_and_saveexec_b64 s[4:5], s[6:7]
	s_cbranch_execnz .LBB42_94
.LBB42_46:
	s_or_b64 exec, exec, s[4:5]
	v_cmp_eq_u32_e64 s[4:5], v29, v28
	s_and_saveexec_b64 s[6:7], s[4:5]
	s_cbranch_execz .LBB42_48
.LBB42_47:
	ds_read2_b64 v[30:33], v24 offset1:4
	ds_read_u8 v29, v23 offset:4
	ds_read_u8 v34, v23
	ds_write2_b64 v22, v[2:3], v[0:1] offset1:4
	s_waitcnt lgkmcnt(3)
	ds_write2_b64 v24, v[32:33], v[30:31] offset1:4
	s_waitcnt lgkmcnt(3)
	ds_write_b8 v23, v29
	s_waitcnt lgkmcnt(3)
	ds_write_b8 v23, v34 offset:4
.LBB42_48:
	s_or_b64 exec, exec, s[6:7]
	s_waitcnt lgkmcnt(0)
	s_barrier
	ds_read2_b64 v[0:3], v16 offset1:2
                                        ; implicit-def: $sgpr16
	s_waitcnt lgkmcnt(0)
	v_cmp_u_f64_e64 s[4:5], v[2:3], v[2:3]
	v_cmp_o_f64_e64 s[6:7], v[0:1], v[0:1]
	s_and_b64 s[6:7], s[4:5], s[6:7]
	v_cmp_lt_f64_e64 s[4:5], v[0:1], v[2:3]
	s_or_b64 s[4:5], s[6:7], s[4:5]
	s_xor_b64 s[6:7], s[4:5], -1
	s_and_saveexec_b64 s[12:13], s[4:5]
	s_cbranch_execnz .LBB42_95
; %bb.49:
	s_or_b64 exec, exec, s[12:13]
	v_mov_b32_e32 v29, s16
	s_and_saveexec_b64 s[4:5], s[6:7]
	s_cbranch_execnz .LBB42_96
.LBB42_50:
	s_or_b64 exec, exec, s[4:5]
	v_cmp_eq_u32_e64 s[4:5], v29, v28
	s_and_saveexec_b64 s[6:7], s[4:5]
	s_cbranch_execz .LBB42_52
.LBB42_51:
	ds_read2_b64 v[30:33], v20 offset1:2
	ds_read_u8 v29, v17 offset:2
	ds_read_u8 v34, v17
	ds_write2_b64 v16, v[2:3], v[0:1] offset1:2
	s_waitcnt lgkmcnt(3)
	ds_write2_b64 v20, v[32:33], v[30:31] offset1:2
	s_waitcnt lgkmcnt(3)
	ds_write_b8 v17, v29
	s_waitcnt lgkmcnt(3)
	ds_write_b8 v17, v34 offset:2
.LBB42_52:
	s_or_b64 exec, exec, s[6:7]
	s_waitcnt lgkmcnt(0)
	s_barrier
	ds_read_b128 v[0:3], v13
                                        ; implicit-def: $sgpr16
	s_waitcnt lgkmcnt(0)
	v_cmp_u_f64_e64 s[4:5], v[2:3], v[2:3]
	v_cmp_o_f64_e64 s[6:7], v[0:1], v[0:1]
	s_and_b64 s[6:7], s[4:5], s[6:7]
	v_cmp_lt_f64_e64 s[4:5], v[0:1], v[2:3]
	s_or_b64 s[4:5], s[6:7], s[4:5]
	s_xor_b64 s[6:7], s[4:5], -1
	s_and_saveexec_b64 s[12:13], s[4:5]
	s_cbranch_execnz .LBB42_97
; %bb.53:
	s_or_b64 exec, exec, s[12:13]
	v_mov_b32_e32 v29, s16
	s_and_saveexec_b64 s[4:5], s[6:7]
	s_cbranch_execnz .LBB42_98
.LBB42_54:
	s_or_b64 exec, exec, s[4:5]
	v_cmp_eq_u32_e64 s[4:5], v29, v28
	s_and_saveexec_b64 s[6:7], s[4:5]
	s_cbranch_execz .LBB42_56
.LBB42_55:
	v_add_u32_e32 v36, v10, v12
	v_mov_b32_e32 v28, v2
	v_mov_b32_e32 v29, v3
	ds_read_b128 v[32:35], v36
	v_mov_b32_e32 v30, v0
	v_mov_b32_e32 v31, v1
	ds_write_b128 v13, v[28:31]
	ds_read_u16 v28, v14
	s_waitcnt lgkmcnt(2)
	v_mov_b32_e32 v0, v34
	v_mov_b32_e32 v1, v35
	;; [unrolled: 1-line block ×4, first 2 shown]
	s_mov_b32 s4, 0xc0c0001
	ds_write_b128 v36, v[0:3]
	s_waitcnt lgkmcnt(1)
	v_perm_b32 v0, 0, v28, s4
	ds_write_b16 v14, v0
.LBB42_56:
	s_or_b64 exec, exec, s[6:7]
	v_and_b32_e32 v0, 15, v5
	v_sub_u32_e32 v21, v21, v0
	v_lshl_add_u32 v19, v21, 3, v19
	s_waitcnt lgkmcnt(0)
	s_barrier
	ds_read2_b64 v[0:3], v19 offset1:16
	v_add_u32_e32 v18, v18, v21
	s_waitcnt lgkmcnt(0)
	v_cmp_u_f64_e64 s[4:5], v[2:3], v[2:3]
	v_cmp_o_f64_e64 s[6:7], v[0:1], v[0:1]
	s_and_b64 s[6:7], s[4:5], s[6:7]
	v_cmp_lt_f64_e64 s[4:5], v[0:1], v[2:3]
	s_or_b64 s[4:5], s[6:7], s[4:5]
	s_xor_b64 s[12:13], s[4:5], -1
	s_and_saveexec_b64 s[6:7], s[4:5]
	s_cbranch_execz .LBB42_58
; %bb.57:
	ds_read_u8 v28, v18
	s_andn2_b64 s[12:13], s[12:13], exec
	s_waitcnt lgkmcnt(0)
	v_and_b32_e32 v28, 1, v28
	v_cmp_eq_u32_e64 s[4:5], 1, v28
	s_xor_b64 s[4:5], s[4:5], -1
	s_and_b64 s[4:5], s[4:5], exec
	s_or_b64 s[12:13], s[12:13], s[4:5]
.LBB42_58:
	s_or_b64 exec, exec, s[6:7]
	s_and_saveexec_b64 s[6:7], s[12:13]
	s_cbranch_execz .LBB42_61
; %bb.59:
	ds_read_u8 v28, v18 offset:16
	s_waitcnt lgkmcnt(0)
	v_cmp_ne_u16_e64 s[4:5], 0, v28
	s_and_b64 exec, exec, s[4:5]
	s_cbranch_execz .LBB42_61
; %bb.60:
	v_lshl_add_u32 v15, v21, 3, v15
	ds_read2_b64 v[30:33], v15 offset1:16
	ds_read_u8 v21, v18
	ds_write2_b64 v19, v[2:3], v[0:1] offset1:16
	ds_write_b8 v18, v28
	s_waitcnt lgkmcnt(3)
	ds_write2_b64 v15, v[32:33], v[30:31] offset1:16
	s_waitcnt lgkmcnt(3)
	ds_write_b8 v18, v21 offset:16
.LBB42_61:
	s_or_b64 exec, exec, s[6:7]
	s_waitcnt lgkmcnt(0)
	s_barrier
	ds_read2_b64 v[0:3], v25 offset1:8
	s_waitcnt lgkmcnt(0)
	v_cmp_u_f64_e64 s[4:5], v[2:3], v[2:3]
	v_cmp_o_f64_e64 s[6:7], v[0:1], v[0:1]
	s_and_b64 s[6:7], s[4:5], s[6:7]
	v_cmp_lt_f64_e64 s[4:5], v[0:1], v[2:3]
	s_or_b64 s[4:5], s[6:7], s[4:5]
	s_xor_b64 s[12:13], s[4:5], -1
	s_and_saveexec_b64 s[6:7], s[4:5]
	s_cbranch_execz .LBB42_63
; %bb.62:
	ds_read_u8 v15, v26
	s_andn2_b64 s[12:13], s[12:13], exec
	s_waitcnt lgkmcnt(0)
	v_and_b32_e32 v15, 1, v15
	v_cmp_eq_u32_e64 s[4:5], 1, v15
	s_xor_b64 s[4:5], s[4:5], -1
	s_and_b64 s[4:5], s[4:5], exec
	s_or_b64 s[12:13], s[12:13], s[4:5]
.LBB42_63:
	s_or_b64 exec, exec, s[6:7]
	s_and_saveexec_b64 s[6:7], s[12:13]
	s_cbranch_execz .LBB42_66
; %bb.64:
	ds_read_u8 v15, v26 offset:8
	s_waitcnt lgkmcnt(0)
	v_cmp_ne_u16_e64 s[4:5], 0, v15
	s_and_b64 exec, exec, s[4:5]
	s_cbranch_execz .LBB42_66
; %bb.65:
	ds_read2_b64 v[28:31], v27 offset1:8
	ds_read_u8 v18, v26
	ds_write2_b64 v25, v[2:3], v[0:1] offset1:8
	ds_write_b8 v26, v15
	s_waitcnt lgkmcnt(3)
	ds_write2_b64 v27, v[30:31], v[28:29] offset1:8
	s_waitcnt lgkmcnt(3)
	ds_write_b8 v26, v18 offset:8
.LBB42_66:
	s_or_b64 exec, exec, s[6:7]
	s_waitcnt lgkmcnt(0)
	s_barrier
	ds_read2_b64 v[0:3], v22 offset1:4
	s_waitcnt lgkmcnt(0)
	v_cmp_u_f64_e64 s[4:5], v[2:3], v[2:3]
	v_cmp_o_f64_e64 s[6:7], v[0:1], v[0:1]
	s_and_b64 s[6:7], s[4:5], s[6:7]
	v_cmp_lt_f64_e64 s[4:5], v[0:1], v[2:3]
	s_or_b64 s[4:5], s[6:7], s[4:5]
	s_xor_b64 s[12:13], s[4:5], -1
	s_and_saveexec_b64 s[6:7], s[4:5]
	s_cbranch_execz .LBB42_68
; %bb.67:
	ds_read_u8 v15, v23
	s_andn2_b64 s[12:13], s[12:13], exec
	s_waitcnt lgkmcnt(0)
	v_and_b32_e32 v15, 1, v15
	v_cmp_eq_u32_e64 s[4:5], 1, v15
	s_xor_b64 s[4:5], s[4:5], -1
	s_and_b64 s[4:5], s[4:5], exec
	s_or_b64 s[12:13], s[12:13], s[4:5]
.LBB42_68:
	s_or_b64 exec, exec, s[6:7]
	s_and_saveexec_b64 s[6:7], s[12:13]
	s_cbranch_execz .LBB42_71
; %bb.69:
	ds_read_u8 v15, v23 offset:4
	s_waitcnt lgkmcnt(0)
	v_cmp_ne_u16_e64 s[4:5], 0, v15
	s_and_b64 exec, exec, s[4:5]
	s_cbranch_execz .LBB42_71
; %bb.70:
	ds_read2_b64 v[26:29], v24 offset1:4
	ds_read_u8 v18, v23
	ds_write2_b64 v22, v[2:3], v[0:1] offset1:4
	ds_write_b8 v23, v15
	s_waitcnt lgkmcnt(3)
	ds_write2_b64 v24, v[28:29], v[26:27] offset1:4
	s_waitcnt lgkmcnt(3)
	ds_write_b8 v23, v18 offset:4
.LBB42_71:
	;; [unrolled: 42-line block ×3, first 2 shown]
	s_or_b64 exec, exec, s[6:7]
	s_waitcnt lgkmcnt(0)
	s_barrier
	ds_read_b128 v[0:3], v13
	s_waitcnt lgkmcnt(0)
	v_cmp_u_f64_e64 s[4:5], v[2:3], v[2:3]
	v_cmp_o_f64_e64 s[6:7], v[0:1], v[0:1]
	s_and_b64 s[6:7], s[4:5], s[6:7]
	v_cmp_lt_f64_e64 s[4:5], v[0:1], v[2:3]
	s_or_b64 s[4:5], s[6:7], s[4:5]
	s_xor_b64 s[12:13], s[4:5], -1
	s_and_saveexec_b64 s[6:7], s[4:5]
	s_cbranch_execz .LBB42_78
; %bb.77:
	ds_read_u8 v15, v14
	s_andn2_b64 s[12:13], s[12:13], exec
	s_waitcnt lgkmcnt(0)
	v_and_b32_e32 v15, 1, v15
	v_cmp_eq_u32_e64 s[4:5], 1, v15
	s_xor_b64 s[4:5], s[4:5], -1
	s_and_b64 s[4:5], s[4:5], exec
	s_or_b64 s[12:13], s[12:13], s[4:5]
.LBB42_78:
	s_or_b64 exec, exec, s[6:7]
	s_and_saveexec_b64 s[6:7], s[12:13]
	s_cbranch_execz .LBB42_81
; %bb.79:
	ds_read_u8 v15, v14 offset:1
	s_waitcnt lgkmcnt(0)
	v_cmp_ne_u16_e64 s[4:5], 0, v15
	s_and_b64 exec, exec, s[4:5]
	s_cbranch_execz .LBB42_81
; %bb.80:
	v_add_u32_e32 v12, v10, v12
	v_mov_b32_e32 v16, v2
	v_mov_b32_e32 v17, v3
	ds_read_b128 v[20:23], v12
	v_mov_b32_e32 v18, v0
	v_mov_b32_e32 v19, v1
	ds_write_b128 v13, v[16:19]
	ds_read_u8 v13, v14
	s_waitcnt lgkmcnt(2)
	v_mov_b32_e32 v0, v22
	v_mov_b32_e32 v1, v23
	;; [unrolled: 1-line block ×4, first 2 shown]
	ds_write_b128 v12, v[0:3]
	s_waitcnt lgkmcnt(1)
	v_lshlrev_b16_e32 v0, 8, v13
	v_or_b32_e32 v0, v15, v0
	ds_write_b16 v14, v0
.LBB42_81:
	s_or_b64 exec, exec, s[6:7]
	s_waitcnt lgkmcnt(0)
	s_barrier
	s_and_saveexec_b64 s[4:5], vcc
	s_cbranch_execz .LBB42_86
; %bb.82:
	s_and_saveexec_b64 s[4:5], s[0:1]
	s_cbranch_execz .LBB42_84
; %bb.83:
	ds_read_b64 v[0:1], v11
	v_mad_u64_u32 v[2:3], s[0:1], v5, s14, v[6:7]
	v_mov_b32_e32 v3, 0
	v_lshlrev_b64 v[12:13], 3, v[2:3]
	v_mov_b32_e32 v2, s9
	v_add_co_u32_e32 v12, vcc, s8, v12
	v_addc_co_u32_e32 v13, vcc, v2, v13, vcc
	ds_read_b64 v[10:11], v10
	s_waitcnt lgkmcnt(1)
	global_store_dwordx2 v[12:13], v[0:1], off
	v_mad_u64_u32 v[0:1], s[0:1], v5, s15, v[4:5]
	v_mov_b32_e32 v1, v3
	v_lshlrev_b64 v[0:1], 3, v[0:1]
	v_mov_b32_e32 v2, s11
	v_add_co_u32_e32 v0, vcc, s10, v0
	v_addc_co_u32_e32 v1, vcc, v2, v1, vcc
	s_waitcnt lgkmcnt(0)
	global_store_dwordx2 v[0:1], v[10:11], off
.LBB42_84:
	s_or_b64 exec, exec, s[4:5]
	s_and_b64 exec, exec, s[2:3]
	s_cbranch_execz .LBB42_86
; %bb.85:
	ds_read_b64 v[0:1], v9
	v_mad_u64_u32 v[2:3], s[0:1], v7, s14, v[6:7]
	v_mov_b32_e32 v3, 0
	v_lshlrev_b64 v[10:11], 3, v[2:3]
	v_mov_b32_e32 v2, s9
	v_add_co_u32_e32 v10, vcc, s8, v10
	v_addc_co_u32_e32 v11, vcc, v2, v11, vcc
	ds_read_b64 v[8:9], v8
	s_waitcnt lgkmcnt(1)
	global_store_dwordx2 v[10:11], v[0:1], off
	v_mad_u64_u32 v[0:1], s[0:1], v7, s15, v[4:5]
	v_mov_b32_e32 v1, v3
	v_lshlrev_b64 v[0:1], 3, v[0:1]
	v_mov_b32_e32 v2, s11
	v_add_co_u32_e32 v0, vcc, s10, v0
	v_addc_co_u32_e32 v1, vcc, v2, v1, vcc
	s_waitcnt lgkmcnt(0)
	global_store_dwordx2 v[0:1], v[8:9], off
.LBB42_86:
	s_endpgm
.LBB42_87:
	ds_read_u8 v23, v14
	s_andn2_b64 s[6:7], s[6:7], exec
	s_mov_b32 s16, 1
	s_waitcnt lgkmcnt(0)
	v_and_b32_e32 v23, 1, v23
	v_cmp_eq_u32_e64 s[4:5], 1, v23
	s_xor_b64 s[4:5], s[4:5], -1
	s_and_b64 s[4:5], s[4:5], exec
	s_or_b64 s[6:7], s[6:7], s[4:5]
	s_or_b64 exec, exec, s[12:13]
	v_mov_b32_e32 v23, s16
	s_and_saveexec_b64 s[4:5], s[6:7]
	s_cbranch_execz .LBB42_22
.LBB42_88:
	ds_read_u8 v23, v14 offset:1
	s_waitcnt lgkmcnt(0)
	v_xor_b32_e32 v23, 1, v23
	s_or_b64 exec, exec, s[4:5]
	v_cmp_eq_u32_e64 s[4:5], v23, v22
	s_and_saveexec_b64 s[6:7], s[4:5]
	s_cbranch_execnz .LBB42_23
	s_branch .LBB42_24
.LBB42_89:
	ds_read_u8 v26, v17
	s_andn2_b64 s[6:7], s[6:7], exec
	s_mov_b32 s16, 1
	s_waitcnt lgkmcnt(0)
	v_and_b32_e32 v26, 1, v26
	v_cmp_eq_u32_e64 s[4:5], 1, v26
	s_xor_b64 s[4:5], s[4:5], -1
	s_and_b64 s[4:5], s[4:5], exec
	s_or_b64 s[6:7], s[6:7], s[4:5]
	s_or_b64 exec, exec, s[12:13]
	v_mov_b32_e32 v26, s16
	s_and_saveexec_b64 s[4:5], s[6:7]
	s_cbranch_execz .LBB42_32
.LBB42_90:
	ds_read_u8 v26, v17 offset:2
	s_waitcnt lgkmcnt(0)
	v_xor_b32_e32 v26, 1, v26
	s_or_b64 exec, exec, s[4:5]
	v_cmp_eq_u32_e64 s[4:5], v26, v25
	s_and_saveexec_b64 s[6:7], s[4:5]
	s_cbranch_execnz .LBB42_33
	s_branch .LBB42_34
.LBB42_91:
	ds_read_u8 v26, v14
	s_andn2_b64 s[6:7], s[6:7], exec
	s_mov_b32 s16, 1
	s_waitcnt lgkmcnt(0)
	v_and_b32_e32 v26, 1, v26
	v_cmp_eq_u32_e64 s[4:5], 1, v26
	s_xor_b64 s[4:5], s[4:5], -1
	s_and_b64 s[4:5], s[4:5], exec
	s_or_b64 s[6:7], s[6:7], s[4:5]
	s_or_b64 exec, exec, s[12:13]
	v_mov_b32_e32 v26, s16
	s_and_saveexec_b64 s[4:5], s[6:7]
	s_cbranch_execz .LBB42_36
.LBB42_92:
	ds_read_u8 v26, v14 offset:1
	s_waitcnt lgkmcnt(0)
	v_xor_b32_e32 v26, 1, v26
	s_or_b64 exec, exec, s[4:5]
	v_cmp_eq_u32_e64 s[4:5], v26, v25
	s_and_saveexec_b64 s[6:7], s[4:5]
	s_cbranch_execnz .LBB42_37
	s_branch .LBB42_38
.LBB42_93:
	ds_read_u8 v29, v23
	s_andn2_b64 s[6:7], s[6:7], exec
	s_mov_b32 s16, 1
	s_waitcnt lgkmcnt(0)
	v_and_b32_e32 v29, 1, v29
	v_cmp_eq_u32_e64 s[4:5], 1, v29
	s_xor_b64 s[4:5], s[4:5], -1
	s_and_b64 s[4:5], s[4:5], exec
	s_or_b64 s[6:7], s[6:7], s[4:5]
	s_or_b64 exec, exec, s[12:13]
	v_mov_b32_e32 v29, s16
	s_and_saveexec_b64 s[4:5], s[6:7]
	s_cbranch_execz .LBB42_46
.LBB42_94:
	ds_read_u8 v29, v23 offset:4
	s_waitcnt lgkmcnt(0)
	v_xor_b32_e32 v29, 1, v29
	s_or_b64 exec, exec, s[4:5]
	v_cmp_eq_u32_e64 s[4:5], v29, v28
	s_and_saveexec_b64 s[6:7], s[4:5]
	s_cbranch_execnz .LBB42_47
	s_branch .LBB42_48
.LBB42_95:
	ds_read_u8 v29, v17
	s_andn2_b64 s[6:7], s[6:7], exec
	s_mov_b32 s16, 1
	s_waitcnt lgkmcnt(0)
	v_and_b32_e32 v29, 1, v29
	v_cmp_eq_u32_e64 s[4:5], 1, v29
	s_xor_b64 s[4:5], s[4:5], -1
	s_and_b64 s[4:5], s[4:5], exec
	s_or_b64 s[6:7], s[6:7], s[4:5]
	s_or_b64 exec, exec, s[12:13]
	v_mov_b32_e32 v29, s16
	s_and_saveexec_b64 s[4:5], s[6:7]
	s_cbranch_execz .LBB42_50
.LBB42_96:
	ds_read_u8 v29, v17 offset:2
	s_waitcnt lgkmcnt(0)
	v_xor_b32_e32 v29, 1, v29
	s_or_b64 exec, exec, s[4:5]
	v_cmp_eq_u32_e64 s[4:5], v29, v28
	s_and_saveexec_b64 s[6:7], s[4:5]
	s_cbranch_execnz .LBB42_51
	s_branch .LBB42_52
.LBB42_97:
	ds_read_u8 v29, v14
	s_andn2_b64 s[6:7], s[6:7], exec
	s_mov_b32 s16, 1
	s_waitcnt lgkmcnt(0)
	v_and_b32_e32 v29, 1, v29
	v_cmp_eq_u32_e64 s[4:5], 1, v29
	s_xor_b64 s[4:5], s[4:5], -1
	s_and_b64 s[4:5], s[4:5], exec
	s_or_b64 s[6:7], s[6:7], s[4:5]
	s_or_b64 exec, exec, s[12:13]
	v_mov_b32_e32 v29, s16
	s_and_saveexec_b64 s[4:5], s[6:7]
	s_cbranch_execz .LBB42_54
.LBB42_98:
	ds_read_u8 v29, v14 offset:1
	s_waitcnt lgkmcnt(0)
	v_xor_b32_e32 v29, 1, v29
	s_or_b64 exec, exec, s[4:5]
	v_cmp_eq_u32_e64 s[4:5], v29, v28
	s_and_saveexec_b64 s[6:7], s[4:5]
	s_cbranch_execnz .LBB42_55
	s_branch .LBB42_56
	.section	.rodata,"a",@progbits
	.p2align	6, 0x0
	.amdhsa_kernel _ZN2at6native20bitonicSortKVInPlaceILi2ELin1ELi16ELi16EdlNS0_4LTOpIdLb1EEEjEEvNS_4cuda6detail10TensorInfoIT3_T6_EES8_S8_S8_NS6_IT4_S8_EES8_T5_
		.amdhsa_group_segment_fixed_size 8704
		.amdhsa_private_segment_fixed_size 0
		.amdhsa_kernarg_size 712
		.amdhsa_user_sgpr_count 6
		.amdhsa_user_sgpr_private_segment_buffer 1
		.amdhsa_user_sgpr_dispatch_ptr 0
		.amdhsa_user_sgpr_queue_ptr 0
		.amdhsa_user_sgpr_kernarg_segment_ptr 1
		.amdhsa_user_sgpr_dispatch_id 0
		.amdhsa_user_sgpr_flat_scratch_init 0
		.amdhsa_user_sgpr_kernarg_preload_length 0
		.amdhsa_user_sgpr_kernarg_preload_offset 0
		.amdhsa_user_sgpr_private_segment_size 0
		.amdhsa_uses_dynamic_stack 0
		.amdhsa_system_sgpr_private_segment_wavefront_offset 0
		.amdhsa_system_sgpr_workgroup_id_x 1
		.amdhsa_system_sgpr_workgroup_id_y 1
		.amdhsa_system_sgpr_workgroup_id_z 1
		.amdhsa_system_sgpr_workgroup_info 0
		.amdhsa_system_vgpr_workitem_id 1
		.amdhsa_next_free_vgpr 37
		.amdhsa_next_free_sgpr 20
		.amdhsa_accum_offset 40
		.amdhsa_reserve_vcc 1
		.amdhsa_reserve_flat_scratch 0
		.amdhsa_float_round_mode_32 0
		.amdhsa_float_round_mode_16_64 0
		.amdhsa_float_denorm_mode_32 3
		.amdhsa_float_denorm_mode_16_64 3
		.amdhsa_dx10_clamp 1
		.amdhsa_ieee_mode 1
		.amdhsa_fp16_overflow 0
		.amdhsa_tg_split 0
		.amdhsa_exception_fp_ieee_invalid_op 0
		.amdhsa_exception_fp_denorm_src 0
		.amdhsa_exception_fp_ieee_div_zero 0
		.amdhsa_exception_fp_ieee_overflow 0
		.amdhsa_exception_fp_ieee_underflow 0
		.amdhsa_exception_fp_ieee_inexact 0
		.amdhsa_exception_int_div_zero 0
	.end_amdhsa_kernel
	.section	.text._ZN2at6native20bitonicSortKVInPlaceILi2ELin1ELi16ELi16EdlNS0_4LTOpIdLb1EEEjEEvNS_4cuda6detail10TensorInfoIT3_T6_EES8_S8_S8_NS6_IT4_S8_EES8_T5_,"axG",@progbits,_ZN2at6native20bitonicSortKVInPlaceILi2ELin1ELi16ELi16EdlNS0_4LTOpIdLb1EEEjEEvNS_4cuda6detail10TensorInfoIT3_T6_EES8_S8_S8_NS6_IT4_S8_EES8_T5_,comdat
.Lfunc_end42:
	.size	_ZN2at6native20bitonicSortKVInPlaceILi2ELin1ELi16ELi16EdlNS0_4LTOpIdLb1EEEjEEvNS_4cuda6detail10TensorInfoIT3_T6_EES8_S8_S8_NS6_IT4_S8_EES8_T5_, .Lfunc_end42-_ZN2at6native20bitonicSortKVInPlaceILi2ELin1ELi16ELi16EdlNS0_4LTOpIdLb1EEEjEEvNS_4cuda6detail10TensorInfoIT3_T6_EES8_S8_S8_NS6_IT4_S8_EES8_T5_
                                        ; -- End function
	.section	.AMDGPU.csdata,"",@progbits
; Kernel info:
; codeLenInByte = 5120
; NumSgprs: 24
; NumVgprs: 37
; NumAgprs: 0
; TotalNumVgprs: 37
; ScratchSize: 0
; MemoryBound: 0
; FloatMode: 240
; IeeeMode: 1
; LDSByteSize: 8704 bytes/workgroup (compile time only)
; SGPRBlocks: 2
; VGPRBlocks: 4
; NumSGPRsForWavesPerEU: 24
; NumVGPRsForWavesPerEU: 37
; AccumOffset: 40
; Occupancy: 7
; WaveLimiterHint : 1
; COMPUTE_PGM_RSRC2:SCRATCH_EN: 0
; COMPUTE_PGM_RSRC2:USER_SGPR: 6
; COMPUTE_PGM_RSRC2:TRAP_HANDLER: 0
; COMPUTE_PGM_RSRC2:TGID_X_EN: 1
; COMPUTE_PGM_RSRC2:TGID_Y_EN: 1
; COMPUTE_PGM_RSRC2:TGID_Z_EN: 1
; COMPUTE_PGM_RSRC2:TIDIG_COMP_CNT: 1
; COMPUTE_PGM_RSRC3_GFX90A:ACCUM_OFFSET: 9
; COMPUTE_PGM_RSRC3_GFX90A:TG_SPLIT: 0
	.section	.text._ZN2at6native20bitonicSortKVInPlaceILi2ELin1ELi16ELi16EdlNS0_4GTOpIdLb1EEEjEEvNS_4cuda6detail10TensorInfoIT3_T6_EES8_S8_S8_NS6_IT4_S8_EES8_T5_,"axG",@progbits,_ZN2at6native20bitonicSortKVInPlaceILi2ELin1ELi16ELi16EdlNS0_4GTOpIdLb1EEEjEEvNS_4cuda6detail10TensorInfoIT3_T6_EES8_S8_S8_NS6_IT4_S8_EES8_T5_,comdat
	.protected	_ZN2at6native20bitonicSortKVInPlaceILi2ELin1ELi16ELi16EdlNS0_4GTOpIdLb1EEEjEEvNS_4cuda6detail10TensorInfoIT3_T6_EES8_S8_S8_NS6_IT4_S8_EES8_T5_ ; -- Begin function _ZN2at6native20bitonicSortKVInPlaceILi2ELin1ELi16ELi16EdlNS0_4GTOpIdLb1EEEjEEvNS_4cuda6detail10TensorInfoIT3_T6_EES8_S8_S8_NS6_IT4_S8_EES8_T5_
	.globl	_ZN2at6native20bitonicSortKVInPlaceILi2ELin1ELi16ELi16EdlNS0_4GTOpIdLb1EEEjEEvNS_4cuda6detail10TensorInfoIT3_T6_EES8_S8_S8_NS6_IT4_S8_EES8_T5_
	.p2align	8
	.type	_ZN2at6native20bitonicSortKVInPlaceILi2ELin1ELi16ELi16EdlNS0_4GTOpIdLb1EEEjEEvNS_4cuda6detail10TensorInfoIT3_T6_EES8_S8_S8_NS6_IT4_S8_EES8_T5_,@function
_ZN2at6native20bitonicSortKVInPlaceILi2ELin1ELi16ELi16EdlNS0_4GTOpIdLb1EEEjEEvNS_4cuda6detail10TensorInfoIT3_T6_EES8_S8_S8_NS6_IT4_S8_EES8_T5_: ; @_ZN2at6native20bitonicSortKVInPlaceILi2ELin1ELi16ELi16EdlNS0_4GTOpIdLb1EEEjEEvNS_4cuda6detail10TensorInfoIT3_T6_EES8_S8_S8_NS6_IT4_S8_EES8_T5_
; %bb.0:
	s_load_dwordx2 s[0:1], s[4:5], 0x1c8
	s_load_dwordx4 s[12:15], s[4:5], 0xd8
	s_load_dword s9, s[4:5], 0x1d4
	s_add_u32 s2, s4, 0x1c8
	s_addc_u32 s3, s5, 0
	s_waitcnt lgkmcnt(0)
	s_mul_i32 s1, s1, s8
	s_add_i32 s1, s1, s7
	s_mul_i32 s0, s1, s0
	s_add_i32 s0, s0, s6
	s_lshr_b32 s1, s9, 16
	s_mul_i32 s0, s0, s1
	s_cmp_ge_u32 s0, s12
	s_cbranch_scc1 .LBB43_86
; %bb.1:
	s_load_dword s15, s[4:5], 0xc
	s_load_dwordx2 s[6:7], s[4:5], 0x6c
	s_load_dword s17, s[4:5], 0x1b8
	s_add_u32 s10, s4, 0xe8
	v_bfe_u32 v10, v0, 10, 10
	s_waitcnt lgkmcnt(0)
	v_cvt_f32_u32_e32 v1, s15
	s_addc_u32 s11, s5, 0
	s_load_dwordx2 s[8:9], s[4:5], 0x0
	s_mov_b32 s1, 0
	v_rcp_iflag_f32_e32 v1, v1
	v_mov_b32_e32 v2, 0
	v_mul_f32_e32 v1, 0x4f7ffffe, v1
	v_cvt_u32_f32_e32 v3, v1
	v_add_u32_e32 v1, s0, v10
	s_sub_i32 s0, 0, s15
	s_cmp_lt_i32 s17, 2
	v_mul_lo_u32 v4, s0, v3
	v_mul_hi_u32 v4, v3, v4
	v_add_u32_e32 v3, v3, v4
	v_mad_u64_u32 v[4:5], s[18:19], v1, v3, 0
	v_mov_b32_e32 v4, v1
	s_cbranch_scc1 .LBB43_4
; %bb.2:
	s_add_i32 s0, s17, -1
	s_add_i32 s16, s17, 1
	s_lshl_b64 s[0:1], s[0:1], 2
	s_add_u32 s0, s0, s10
	s_addc_u32 s1, s1, s11
	s_add_u32 s0, s0, 8
	s_addc_u32 s1, s1, 0
	v_mov_b32_e32 v2, 0
	v_mov_b32_e32 v4, v1
.LBB43_3:                               ; =>This Inner Loop Header: Depth=1
	s_load_dword s17, s[0:1], 0x0
	s_load_dword s18, s[0:1], 0x64
	v_mov_b32_e32 v3, v4
	s_add_i32 s16, s16, -1
	s_waitcnt lgkmcnt(0)
	v_cvt_f32_u32_e32 v4, s17
	s_sub_i32 s19, 0, s17
	s_add_u32 s0, s0, -4
	s_addc_u32 s1, s1, -1
	v_rcp_iflag_f32_e32 v4, v4
	s_cmp_gt_u32 s16, 2
	v_mul_f32_e32 v4, 0x4f7ffffe, v4
	v_cvt_u32_f32_e32 v4, v4
	v_mul_lo_u32 v6, s19, v4
	v_mul_hi_u32 v6, v4, v6
	v_add_u32_e32 v4, v4, v6
	v_mul_hi_u32 v4, v3, v4
	v_mul_lo_u32 v6, v4, s17
	v_sub_u32_e32 v6, v3, v6
	v_add_u32_e32 v7, 1, v4
	v_cmp_le_u32_e32 vcc, s17, v6
	v_cndmask_b32_e32 v4, v4, v7, vcc
	v_subrev_u32_e32 v7, s17, v6
	v_cndmask_b32_e32 v6, v6, v7, vcc
	v_add_u32_e32 v7, 1, v4
	v_cmp_le_u32_e32 vcc, s17, v6
	v_cndmask_b32_e32 v4, v4, v7, vcc
	v_mul_lo_u32 v6, v4, s17
	v_sub_u32_e32 v3, v3, v6
	v_mad_u64_u32 v[2:3], s[18:19], s18, v3, v[2:3]
	s_cbranch_scc1 .LBB43_3
.LBB43_4:
	v_mul_lo_u32 v3, v5, s15
	v_sub_u32_e32 v3, v1, v3
	v_add_u32_e32 v6, 1, v5
	v_cmp_le_u32_e64 s[0:1], s15, v3
	v_cndmask_b32_e64 v5, v5, v6, s[0:1]
	v_subrev_u32_e32 v6, s15, v3
	v_cndmask_b32_e64 v3, v3, v6, s[0:1]
	v_add_u32_e32 v6, 1, v5
	v_cmp_le_u32_e64 s[0:1], s15, v3
	v_cndmask_b32_e64 v3, v5, v6, s[0:1]
	v_mul_lo_u32 v5, v3, s15
	v_cmp_gt_u32_e32 vcc, s12, v1
	v_sub_u32_e32 v1, v1, v5
	v_mul_lo_u32 v6, v1, s7
	s_load_dword s15, s[4:5], 0x1c0
	s_load_dword s7, s[10:11], 0x6c
	;; [unrolled: 1-line block ×3, first 2 shown]
	v_mad_u64_u32 v[6:7], s[0:1], v3, s6, v[6:7]
	s_load_dwordx2 s[10:11], s[10:11], 0x0
	s_waitcnt lgkmcnt(0)
	v_mad_u64_u32 v[4:5], s[0:1], s7, v4, v[2:3]
	v_and_b32_e32 v5, 0x3ff, v0
	v_cmp_gt_u32_e64 s[0:1], s13, v5
	v_pk_mov_b32 v[0:1], 0, 0
	s_and_b64 s[4:5], vcc, s[0:1]
	v_pk_mov_b32 v[2:3], 0, 0
	v_pk_mov_b32 v[8:9], v[0:1], v[0:1] op_sel:[0,1]
	s_and_saveexec_b64 s[6:7], s[4:5]
	s_cbranch_execz .LBB43_6
; %bb.5:
	v_mad_u64_u32 v[8:9], s[2:3], v5, s14, v[6:7]
	v_mov_b32_e32 v9, 0
	v_lshlrev_b64 v[2:3], 3, v[8:9]
	v_mov_b32_e32 v7, s9
	v_add_co_u32_e64 v2, s[2:3], s8, v2
	v_addc_co_u32_e64 v3, s[2:3], v7, v3, s[2:3]
	v_mad_u64_u32 v[12:13], s[2:3], v5, s15, v[4:5]
	v_mov_b32_e32 v13, v9
	v_lshlrev_b64 v[8:9], 3, v[12:13]
	v_mov_b32_e32 v7, s11
	v_add_co_u32_e64 v8, s[2:3], s10, v8
	v_addc_co_u32_e64 v9, s[2:3], v7, v9, s[2:3]
	global_load_dwordx2 v[2:3], v[2:3], off
	s_nop 0
	global_load_dwordx2 v[8:9], v[8:9], off
.LBB43_6:
	s_or_b64 exec, exec, s[6:7]
	v_lshlrev_b32_e32 v19, 8, v10
	v_mov_b32_e32 v11, 0x2000
	v_lshlrev_b32_e32 v12, 3, v5
	v_lshl_add_u32 v18, v10, 5, v11
	v_add_u32_e32 v11, v19, v12
	s_and_b32 s16, 0xffff, s12
	v_cndmask_b32_e64 v7, 0, 1, s[4:5]
	s_waitcnt vmcnt(1)
	ds_write_b64 v11, v[2:3]
	v_add_u32_e32 v2, v18, v5
	ds_write_b8 v2, v7
	v_add_u32_e32 v7, s16, v5
	v_add_u32_e32 v15, 0x1000, v19
	v_cmp_gt_u32_e64 s[2:3], s13, v7
	v_add_u32_e32 v10, v15, v12
	s_and_b64 s[6:7], vcc, s[2:3]
	v_pk_mov_b32 v[2:3], v[0:1], v[0:1] op_sel:[0,1]
	s_waitcnt vmcnt(0)
	ds_write_b64 v10, v[8:9]
	s_and_saveexec_b64 s[12:13], s[6:7]
	s_cbranch_execz .LBB43_8
; %bb.7:
	v_mad_u64_u32 v[2:3], s[4:5], v7, s14, v[6:7]
	v_mov_b32_e32 v3, 0
	v_lshlrev_b64 v[0:1], 3, v[2:3]
	v_mov_b32_e32 v2, s9
	v_add_co_u32_e64 v0, s[4:5], s8, v0
	v_addc_co_u32_e64 v1, s[4:5], v2, v1, s[4:5]
	v_mad_u64_u32 v[8:9], s[4:5], v7, s15, v[4:5]
	v_mov_b32_e32 v9, v3
	v_lshlrev_b64 v[2:3], 3, v[8:9]
	v_mov_b32_e32 v8, s11
	v_add_co_u32_e64 v2, s[4:5], s10, v2
	v_addc_co_u32_e64 v3, s[4:5], v8, v3, s[4:5]
	global_load_dwordx2 v[0:1], v[0:1], off
	s_nop 0
	global_load_dwordx2 v[2:3], v[2:3], off
.LBB43_8:
	s_or_b64 exec, exec, s[12:13]
	s_lshl_b32 s4, s16, 3
	v_add_u32_e32 v9, s4, v11
	v_cndmask_b32_e64 v13, 0, 1, s[6:7]
	s_waitcnt vmcnt(1)
	ds_write_b64 v9, v[0:1]
	v_add_u32_e32 v0, v18, v7
	v_add_u32_e32 v8, s4, v10
	ds_write_b8 v0, v13
	v_add_u32_e32 v13, v11, v12
	s_waitcnt vmcnt(0)
	ds_write_b64 v8, v[2:3]
	s_waitcnt lgkmcnt(0)
	s_barrier
	ds_read_b128 v[0:3], v13
	v_lshlrev_b32_e32 v21, 1, v5
	s_mov_b32 s16, 1
	v_add_u32_e32 v14, v18, v21
	s_waitcnt lgkmcnt(0)
	v_cmp_u_f64_e64 s[4:5], v[0:1], v[0:1]
	v_cmp_o_f64_e64 s[6:7], v[2:3], v[2:3]
	s_and_b64 s[6:7], s[4:5], s[6:7]
	v_cmp_gt_f64_e64 s[4:5], v[0:1], v[2:3]
	s_or_b64 s[4:5], s[6:7], s[4:5]
	s_xor_b64 s[6:7], s[4:5], -1
	s_and_saveexec_b64 s[12:13], s[4:5]
	s_xor_b64 s[12:13], exec, s[12:13]
	s_cbranch_execz .LBB43_10
; %bb.9:
	ds_read_u8 v16, v14
	s_andn2_b64 s[6:7], s[6:7], exec
	s_waitcnt lgkmcnt(0)
	v_and_b32_e32 v16, 1, v16
	v_cmp_eq_u32_e64 s[4:5], 1, v16
	s_xor_b64 s[4:5], s[4:5], -1
	s_and_b64 s[4:5], s[4:5], exec
	s_or_b64 s[6:7], s[6:7], s[4:5]
.LBB43_10:
	s_or_b64 exec, exec, s[12:13]
	v_mov_b32_e32 v17, s16
	s_and_saveexec_b64 s[4:5], s[6:7]
	s_cbranch_execz .LBB43_12
; %bb.11:
	ds_read_u8 v16, v14 offset:1
	s_waitcnt lgkmcnt(0)
	v_xor_b32_e32 v17, 1, v16
.LBB43_12:
	s_or_b64 exec, exec, s[4:5]
	v_and_b32_e32 v16, 1, v5
	v_cmp_eq_u32_e64 s[4:5], v17, v16
	s_and_saveexec_b64 s[6:7], s[4:5]
	s_cbranch_execz .LBB43_14
; %bb.13:
	v_add_u32_e32 v17, v10, v12
	ds_read_b128 v[26:29], v17
	ds_read_u16 v20, v14
	v_mov_b32_e32 v22, v2
	v_mov_b32_e32 v23, v3
	;; [unrolled: 1-line block ×4, first 2 shown]
	s_waitcnt lgkmcnt(1)
	v_mov_b32_e32 v0, v28
	v_mov_b32_e32 v1, v29
	;; [unrolled: 1-line block ×4, first 2 shown]
	s_mov_b32 s4, 0xc0c0001
	ds_write_b128 v17, v[0:3]
	s_waitcnt lgkmcnt(1)
	v_perm_b32 v0, 0, v20, s4
	ds_write_b128 v13, v[22:25]
	ds_write_b16 v14, v0
.LBB43_14:
	s_or_b64 exec, exec, s[6:7]
	v_sub_u32_e32 v20, v21, v16
	v_lshl_add_u32 v16, v20, 3, v19
	s_waitcnt lgkmcnt(0)
	s_barrier
	ds_read2_b64 v[0:3], v16 offset1:2
	v_add_u32_e32 v17, v18, v20
                                        ; implicit-def: $sgpr12
	s_waitcnt lgkmcnt(0)
	v_cmp_u_f64_e64 s[4:5], v[0:1], v[0:1]
	v_cmp_o_f64_e64 s[6:7], v[2:3], v[2:3]
	s_and_b64 s[6:7], s[4:5], s[6:7]
	v_cmp_gt_f64_e64 s[4:5], v[0:1], v[2:3]
	s_or_b64 s[6:7], s[6:7], s[4:5]
	s_mov_b64 s[4:5], -1
	s_and_saveexec_b64 s[16:17], s[6:7]
	s_xor_b64 s[6:7], exec, s[16:17]
	s_cbranch_execz .LBB43_16
; %bb.15:
	ds_read_u8 v22, v17
	s_mov_b32 s12, 1
	s_waitcnt lgkmcnt(0)
	v_and_b32_e32 v22, 1, v22
	v_cmp_eq_u32_e64 s[4:5], 1, v22
	s_xor_b64 s[4:5], s[4:5], -1
	s_orn2_b64 s[4:5], s[4:5], exec
.LBB43_16:
	s_or_b64 exec, exec, s[6:7]
	v_mov_b32_e32 v23, s12
	s_and_saveexec_b64 s[6:7], s[4:5]
	s_cbranch_execz .LBB43_18
; %bb.17:
	ds_read_u8 v22, v17 offset:2
	s_waitcnt lgkmcnt(0)
	v_xor_b32_e32 v23, 1, v22
.LBB43_18:
	s_or_b64 exec, exec, s[6:7]
	v_bfe_u32 v22, v5, 1, 1
	v_lshl_add_u32 v20, v20, 3, v15
	v_cmp_eq_u32_e64 s[4:5], v23, v22
	s_and_saveexec_b64 s[6:7], s[4:5]
	s_cbranch_execz .LBB43_20
; %bb.19:
	ds_read2_b64 v[24:27], v20 offset1:2
	ds_read_u8 v23, v17 offset:2
	ds_read_u8 v28, v17
	ds_write2_b64 v16, v[2:3], v[0:1] offset1:2
	s_waitcnt lgkmcnt(3)
	ds_write2_b64 v20, v[26:27], v[24:25] offset1:2
	s_waitcnt lgkmcnt(3)
	ds_write_b8 v17, v23
	s_waitcnt lgkmcnt(3)
	ds_write_b8 v17, v28 offset:2
.LBB43_20:
	s_or_b64 exec, exec, s[6:7]
	s_waitcnt lgkmcnt(0)
	s_barrier
	ds_read_b128 v[0:3], v13
                                        ; implicit-def: $sgpr16
	s_waitcnt lgkmcnt(0)
	v_cmp_u_f64_e64 s[4:5], v[0:1], v[0:1]
	v_cmp_o_f64_e64 s[6:7], v[2:3], v[2:3]
	s_and_b64 s[6:7], s[4:5], s[6:7]
	v_cmp_gt_f64_e64 s[4:5], v[0:1], v[2:3]
	s_or_b64 s[4:5], s[6:7], s[4:5]
	s_xor_b64 s[6:7], s[4:5], -1
	s_and_saveexec_b64 s[12:13], s[4:5]
	s_cbranch_execnz .LBB43_87
; %bb.21:
	s_or_b64 exec, exec, s[12:13]
	v_mov_b32_e32 v23, s16
	s_and_saveexec_b64 s[4:5], s[6:7]
	s_cbranch_execnz .LBB43_88
.LBB43_22:
	s_or_b64 exec, exec, s[4:5]
	v_cmp_eq_u32_e64 s[4:5], v23, v22
	s_and_saveexec_b64 s[6:7], s[4:5]
	s_cbranch_execz .LBB43_24
.LBB43_23:
	v_add_u32_e32 v30, v10, v12
	v_mov_b32_e32 v22, v2
	v_mov_b32_e32 v23, v3
	ds_read_b128 v[26:29], v30
	v_mov_b32_e32 v24, v0
	v_mov_b32_e32 v25, v1
	ds_write_b128 v13, v[22:25]
	ds_read_u16 v22, v14
	s_waitcnt lgkmcnt(2)
	v_mov_b32_e32 v0, v28
	v_mov_b32_e32 v1, v29
	;; [unrolled: 1-line block ×4, first 2 shown]
	s_mov_b32 s4, 0xc0c0001
	ds_write_b128 v30, v[0:3]
	s_waitcnt lgkmcnt(1)
	v_perm_b32 v0, 0, v22, s4
	ds_write_b16 v14, v0
.LBB43_24:
	s_or_b64 exec, exec, s[6:7]
	v_and_b32_e32 v0, 3, v5
	v_sub_u32_e32 v24, v21, v0
	v_lshl_add_u32 v22, v24, 3, v19
	s_waitcnt lgkmcnt(0)
	s_barrier
	ds_read2_b64 v[0:3], v22 offset1:4
	v_add_u32_e32 v23, v18, v24
                                        ; implicit-def: $sgpr16
	s_waitcnt lgkmcnt(0)
	v_cmp_u_f64_e64 s[4:5], v[0:1], v[0:1]
	v_cmp_o_f64_e64 s[6:7], v[2:3], v[2:3]
	s_and_b64 s[6:7], s[4:5], s[6:7]
	v_cmp_gt_f64_e64 s[4:5], v[0:1], v[2:3]
	s_or_b64 s[4:5], s[6:7], s[4:5]
	s_xor_b64 s[6:7], s[4:5], -1
	s_and_saveexec_b64 s[12:13], s[4:5]
	s_cbranch_execz .LBB43_26
; %bb.25:
	ds_read_u8 v25, v23
	s_andn2_b64 s[6:7], s[6:7], exec
	s_mov_b32 s16, 1
	s_waitcnt lgkmcnt(0)
	v_and_b32_e32 v25, 1, v25
	v_cmp_eq_u32_e64 s[4:5], 1, v25
	s_xor_b64 s[4:5], s[4:5], -1
	s_and_b64 s[4:5], s[4:5], exec
	s_or_b64 s[6:7], s[6:7], s[4:5]
.LBB43_26:
	s_or_b64 exec, exec, s[12:13]
	v_mov_b32_e32 v26, s16
	s_and_saveexec_b64 s[4:5], s[6:7]
	s_cbranch_execz .LBB43_28
; %bb.27:
	ds_read_u8 v25, v23 offset:4
	s_waitcnt lgkmcnt(0)
	v_xor_b32_e32 v26, 1, v25
.LBB43_28:
	s_or_b64 exec, exec, s[4:5]
	v_bfe_u32 v25, v5, 2, 1
	v_lshl_add_u32 v24, v24, 3, v15
	v_cmp_eq_u32_e64 s[4:5], v26, v25
	s_and_saveexec_b64 s[6:7], s[4:5]
	s_cbranch_execz .LBB43_30
; %bb.29:
	ds_read2_b64 v[26:29], v24 offset1:4
	ds_read_u8 v30, v23 offset:4
	ds_read_u8 v31, v23
	ds_write2_b64 v22, v[2:3], v[0:1] offset1:4
	s_waitcnt lgkmcnt(3)
	ds_write2_b64 v24, v[28:29], v[26:27] offset1:4
	s_waitcnt lgkmcnt(3)
	ds_write_b8 v23, v30
	s_waitcnt lgkmcnt(3)
	ds_write_b8 v23, v31 offset:4
.LBB43_30:
	s_or_b64 exec, exec, s[6:7]
	s_waitcnt lgkmcnt(0)
	s_barrier
	ds_read2_b64 v[0:3], v16 offset1:2
                                        ; implicit-def: $sgpr16
	s_waitcnt lgkmcnt(0)
	v_cmp_u_f64_e64 s[4:5], v[0:1], v[0:1]
	v_cmp_o_f64_e64 s[6:7], v[2:3], v[2:3]
	s_and_b64 s[6:7], s[4:5], s[6:7]
	v_cmp_gt_f64_e64 s[4:5], v[0:1], v[2:3]
	s_or_b64 s[4:5], s[6:7], s[4:5]
	s_xor_b64 s[6:7], s[4:5], -1
	s_and_saveexec_b64 s[12:13], s[4:5]
	s_cbranch_execnz .LBB43_89
; %bb.31:
	s_or_b64 exec, exec, s[12:13]
	v_mov_b32_e32 v26, s16
	s_and_saveexec_b64 s[4:5], s[6:7]
	s_cbranch_execnz .LBB43_90
.LBB43_32:
	s_or_b64 exec, exec, s[4:5]
	v_cmp_eq_u32_e64 s[4:5], v26, v25
	s_and_saveexec_b64 s[6:7], s[4:5]
	s_cbranch_execz .LBB43_34
.LBB43_33:
	ds_read2_b64 v[26:29], v20 offset1:2
	ds_read_u8 v30, v17 offset:2
	ds_read_u8 v31, v17
	ds_write2_b64 v16, v[2:3], v[0:1] offset1:2
	s_waitcnt lgkmcnt(3)
	ds_write2_b64 v20, v[28:29], v[26:27] offset1:2
	s_waitcnt lgkmcnt(3)
	ds_write_b8 v17, v30
	s_waitcnt lgkmcnt(3)
	ds_write_b8 v17, v31 offset:2
.LBB43_34:
	s_or_b64 exec, exec, s[6:7]
	s_waitcnt lgkmcnt(0)
	s_barrier
	ds_read_b128 v[0:3], v13
                                        ; implicit-def: $sgpr16
	s_waitcnt lgkmcnt(0)
	v_cmp_u_f64_e64 s[4:5], v[0:1], v[0:1]
	v_cmp_o_f64_e64 s[6:7], v[2:3], v[2:3]
	s_and_b64 s[6:7], s[4:5], s[6:7]
	v_cmp_gt_f64_e64 s[4:5], v[0:1], v[2:3]
	s_or_b64 s[4:5], s[6:7], s[4:5]
	s_xor_b64 s[6:7], s[4:5], -1
	s_and_saveexec_b64 s[12:13], s[4:5]
	s_cbranch_execnz .LBB43_91
; %bb.35:
	s_or_b64 exec, exec, s[12:13]
	v_mov_b32_e32 v26, s16
	s_and_saveexec_b64 s[4:5], s[6:7]
	s_cbranch_execnz .LBB43_92
.LBB43_36:
	s_or_b64 exec, exec, s[4:5]
	v_cmp_eq_u32_e64 s[4:5], v26, v25
	s_and_saveexec_b64 s[6:7], s[4:5]
	s_cbranch_execz .LBB43_38
.LBB43_37:
	v_add_u32_e32 v25, v10, v12
	v_mov_b32_e32 v26, v2
	v_mov_b32_e32 v27, v3
	ds_read_b128 v[30:33], v25
	v_mov_b32_e32 v28, v0
	v_mov_b32_e32 v29, v1
	ds_write_b128 v13, v[26:29]
	ds_read_u16 v26, v14
	s_waitcnt lgkmcnt(2)
	v_mov_b32_e32 v0, v32
	v_mov_b32_e32 v1, v33
	;; [unrolled: 1-line block ×4, first 2 shown]
	s_mov_b32 s4, 0xc0c0001
	ds_write_b128 v25, v[0:3]
	s_waitcnt lgkmcnt(1)
	v_perm_b32 v0, 0, v26, s4
	ds_write_b16 v14, v0
.LBB43_38:
	s_or_b64 exec, exec, s[6:7]
	v_and_b32_e32 v0, 7, v5
	v_sub_u32_e32 v27, v21, v0
	v_lshl_add_u32 v25, v27, 3, v19
	s_waitcnt lgkmcnt(0)
	s_barrier
	ds_read2_b64 v[0:3], v25 offset1:8
	v_add_u32_e32 v26, v18, v27
                                        ; implicit-def: $sgpr16
	s_waitcnt lgkmcnt(0)
	v_cmp_u_f64_e64 s[4:5], v[0:1], v[0:1]
	v_cmp_o_f64_e64 s[6:7], v[2:3], v[2:3]
	s_and_b64 s[6:7], s[4:5], s[6:7]
	v_cmp_gt_f64_e64 s[4:5], v[0:1], v[2:3]
	s_or_b64 s[4:5], s[6:7], s[4:5]
	s_xor_b64 s[6:7], s[4:5], -1
	s_and_saveexec_b64 s[12:13], s[4:5]
	s_cbranch_execz .LBB43_40
; %bb.39:
	ds_read_u8 v28, v26
	s_andn2_b64 s[6:7], s[6:7], exec
	s_mov_b32 s16, 1
	s_waitcnt lgkmcnt(0)
	v_and_b32_e32 v28, 1, v28
	v_cmp_eq_u32_e64 s[4:5], 1, v28
	s_xor_b64 s[4:5], s[4:5], -1
	s_and_b64 s[4:5], s[4:5], exec
	s_or_b64 s[6:7], s[6:7], s[4:5]
.LBB43_40:
	s_or_b64 exec, exec, s[12:13]
	v_mov_b32_e32 v29, s16
	s_and_saveexec_b64 s[4:5], s[6:7]
	s_cbranch_execz .LBB43_42
; %bb.41:
	ds_read_u8 v28, v26 offset:8
	s_waitcnt lgkmcnt(0)
	v_xor_b32_e32 v29, 1, v28
.LBB43_42:
	s_or_b64 exec, exec, s[4:5]
	v_bfe_u32 v28, v5, 3, 1
	v_lshl_add_u32 v27, v27, 3, v15
	v_cmp_eq_u32_e64 s[4:5], v29, v28
	s_and_saveexec_b64 s[6:7], s[4:5]
	s_cbranch_execz .LBB43_44
; %bb.43:
	ds_read2_b64 v[30:33], v27 offset1:8
	ds_read_u8 v29, v26 offset:8
	ds_read_u8 v34, v26
	ds_write2_b64 v25, v[2:3], v[0:1] offset1:8
	s_waitcnt lgkmcnt(3)
	ds_write2_b64 v27, v[32:33], v[30:31] offset1:8
	s_waitcnt lgkmcnt(3)
	ds_write_b8 v26, v29
	s_waitcnt lgkmcnt(3)
	ds_write_b8 v26, v34 offset:8
.LBB43_44:
	s_or_b64 exec, exec, s[6:7]
	s_waitcnt lgkmcnt(0)
	s_barrier
	ds_read2_b64 v[0:3], v22 offset1:4
                                        ; implicit-def: $sgpr16
	s_waitcnt lgkmcnt(0)
	v_cmp_u_f64_e64 s[4:5], v[0:1], v[0:1]
	v_cmp_o_f64_e64 s[6:7], v[2:3], v[2:3]
	s_and_b64 s[6:7], s[4:5], s[6:7]
	v_cmp_gt_f64_e64 s[4:5], v[0:1], v[2:3]
	s_or_b64 s[4:5], s[6:7], s[4:5]
	s_xor_b64 s[6:7], s[4:5], -1
	s_and_saveexec_b64 s[12:13], s[4:5]
	s_cbranch_execnz .LBB43_93
; %bb.45:
	s_or_b64 exec, exec, s[12:13]
	v_mov_b32_e32 v29, s16
	s_and_saveexec_b64 s[4:5], s[6:7]
	s_cbranch_execnz .LBB43_94
.LBB43_46:
	s_or_b64 exec, exec, s[4:5]
	v_cmp_eq_u32_e64 s[4:5], v29, v28
	s_and_saveexec_b64 s[6:7], s[4:5]
	s_cbranch_execz .LBB43_48
.LBB43_47:
	ds_read2_b64 v[30:33], v24 offset1:4
	ds_read_u8 v29, v23 offset:4
	ds_read_u8 v34, v23
	ds_write2_b64 v22, v[2:3], v[0:1] offset1:4
	s_waitcnt lgkmcnt(3)
	ds_write2_b64 v24, v[32:33], v[30:31] offset1:4
	s_waitcnt lgkmcnt(3)
	ds_write_b8 v23, v29
	s_waitcnt lgkmcnt(3)
	ds_write_b8 v23, v34 offset:4
.LBB43_48:
	s_or_b64 exec, exec, s[6:7]
	s_waitcnt lgkmcnt(0)
	s_barrier
	ds_read2_b64 v[0:3], v16 offset1:2
                                        ; implicit-def: $sgpr16
	s_waitcnt lgkmcnt(0)
	v_cmp_u_f64_e64 s[4:5], v[0:1], v[0:1]
	v_cmp_o_f64_e64 s[6:7], v[2:3], v[2:3]
	s_and_b64 s[6:7], s[4:5], s[6:7]
	v_cmp_gt_f64_e64 s[4:5], v[0:1], v[2:3]
	s_or_b64 s[4:5], s[6:7], s[4:5]
	s_xor_b64 s[6:7], s[4:5], -1
	s_and_saveexec_b64 s[12:13], s[4:5]
	s_cbranch_execnz .LBB43_95
; %bb.49:
	s_or_b64 exec, exec, s[12:13]
	v_mov_b32_e32 v29, s16
	s_and_saveexec_b64 s[4:5], s[6:7]
	s_cbranch_execnz .LBB43_96
.LBB43_50:
	s_or_b64 exec, exec, s[4:5]
	v_cmp_eq_u32_e64 s[4:5], v29, v28
	s_and_saveexec_b64 s[6:7], s[4:5]
	s_cbranch_execz .LBB43_52
.LBB43_51:
	ds_read2_b64 v[30:33], v20 offset1:2
	ds_read_u8 v29, v17 offset:2
	ds_read_u8 v34, v17
	ds_write2_b64 v16, v[2:3], v[0:1] offset1:2
	s_waitcnt lgkmcnt(3)
	ds_write2_b64 v20, v[32:33], v[30:31] offset1:2
	s_waitcnt lgkmcnt(3)
	ds_write_b8 v17, v29
	s_waitcnt lgkmcnt(3)
	ds_write_b8 v17, v34 offset:2
.LBB43_52:
	s_or_b64 exec, exec, s[6:7]
	s_waitcnt lgkmcnt(0)
	s_barrier
	ds_read_b128 v[0:3], v13
                                        ; implicit-def: $sgpr16
	s_waitcnt lgkmcnt(0)
	v_cmp_u_f64_e64 s[4:5], v[0:1], v[0:1]
	v_cmp_o_f64_e64 s[6:7], v[2:3], v[2:3]
	s_and_b64 s[6:7], s[4:5], s[6:7]
	v_cmp_gt_f64_e64 s[4:5], v[0:1], v[2:3]
	s_or_b64 s[4:5], s[6:7], s[4:5]
	s_xor_b64 s[6:7], s[4:5], -1
	s_and_saveexec_b64 s[12:13], s[4:5]
	s_cbranch_execnz .LBB43_97
; %bb.53:
	s_or_b64 exec, exec, s[12:13]
	v_mov_b32_e32 v29, s16
	s_and_saveexec_b64 s[4:5], s[6:7]
	s_cbranch_execnz .LBB43_98
.LBB43_54:
	s_or_b64 exec, exec, s[4:5]
	v_cmp_eq_u32_e64 s[4:5], v29, v28
	s_and_saveexec_b64 s[6:7], s[4:5]
	s_cbranch_execz .LBB43_56
.LBB43_55:
	v_add_u32_e32 v36, v10, v12
	v_mov_b32_e32 v28, v2
	v_mov_b32_e32 v29, v3
	ds_read_b128 v[32:35], v36
	v_mov_b32_e32 v30, v0
	v_mov_b32_e32 v31, v1
	ds_write_b128 v13, v[28:31]
	ds_read_u16 v28, v14
	s_waitcnt lgkmcnt(2)
	v_mov_b32_e32 v0, v34
	v_mov_b32_e32 v1, v35
	;; [unrolled: 1-line block ×4, first 2 shown]
	s_mov_b32 s4, 0xc0c0001
	ds_write_b128 v36, v[0:3]
	s_waitcnt lgkmcnt(1)
	v_perm_b32 v0, 0, v28, s4
	ds_write_b16 v14, v0
.LBB43_56:
	s_or_b64 exec, exec, s[6:7]
	v_and_b32_e32 v0, 15, v5
	v_sub_u32_e32 v21, v21, v0
	v_lshl_add_u32 v19, v21, 3, v19
	s_waitcnt lgkmcnt(0)
	s_barrier
	ds_read2_b64 v[0:3], v19 offset1:16
	v_add_u32_e32 v18, v18, v21
	s_waitcnt lgkmcnt(0)
	v_cmp_u_f64_e64 s[4:5], v[0:1], v[0:1]
	v_cmp_o_f64_e64 s[6:7], v[2:3], v[2:3]
	s_and_b64 s[6:7], s[4:5], s[6:7]
	v_cmp_gt_f64_e64 s[4:5], v[0:1], v[2:3]
	s_or_b64 s[4:5], s[6:7], s[4:5]
	s_xor_b64 s[12:13], s[4:5], -1
	s_and_saveexec_b64 s[6:7], s[4:5]
	s_cbranch_execz .LBB43_58
; %bb.57:
	ds_read_u8 v28, v18
	s_andn2_b64 s[12:13], s[12:13], exec
	s_waitcnt lgkmcnt(0)
	v_and_b32_e32 v28, 1, v28
	v_cmp_eq_u32_e64 s[4:5], 1, v28
	s_xor_b64 s[4:5], s[4:5], -1
	s_and_b64 s[4:5], s[4:5], exec
	s_or_b64 s[12:13], s[12:13], s[4:5]
.LBB43_58:
	s_or_b64 exec, exec, s[6:7]
	s_and_saveexec_b64 s[6:7], s[12:13]
	s_cbranch_execz .LBB43_61
; %bb.59:
	ds_read_u8 v28, v18 offset:16
	s_waitcnt lgkmcnt(0)
	v_cmp_ne_u16_e64 s[4:5], 0, v28
	s_and_b64 exec, exec, s[4:5]
	s_cbranch_execz .LBB43_61
; %bb.60:
	v_lshl_add_u32 v15, v21, 3, v15
	ds_read2_b64 v[30:33], v15 offset1:16
	ds_read_u8 v21, v18
	ds_write2_b64 v19, v[2:3], v[0:1] offset1:16
	ds_write_b8 v18, v28
	s_waitcnt lgkmcnt(3)
	ds_write2_b64 v15, v[32:33], v[30:31] offset1:16
	s_waitcnt lgkmcnt(3)
	ds_write_b8 v18, v21 offset:16
.LBB43_61:
	s_or_b64 exec, exec, s[6:7]
	s_waitcnt lgkmcnt(0)
	s_barrier
	ds_read2_b64 v[0:3], v25 offset1:8
	s_waitcnt lgkmcnt(0)
	v_cmp_u_f64_e64 s[4:5], v[0:1], v[0:1]
	v_cmp_o_f64_e64 s[6:7], v[2:3], v[2:3]
	s_and_b64 s[6:7], s[4:5], s[6:7]
	v_cmp_gt_f64_e64 s[4:5], v[0:1], v[2:3]
	s_or_b64 s[4:5], s[6:7], s[4:5]
	s_xor_b64 s[12:13], s[4:5], -1
	s_and_saveexec_b64 s[6:7], s[4:5]
	s_cbranch_execz .LBB43_63
; %bb.62:
	ds_read_u8 v15, v26
	s_andn2_b64 s[12:13], s[12:13], exec
	s_waitcnt lgkmcnt(0)
	v_and_b32_e32 v15, 1, v15
	v_cmp_eq_u32_e64 s[4:5], 1, v15
	s_xor_b64 s[4:5], s[4:5], -1
	s_and_b64 s[4:5], s[4:5], exec
	s_or_b64 s[12:13], s[12:13], s[4:5]
.LBB43_63:
	s_or_b64 exec, exec, s[6:7]
	s_and_saveexec_b64 s[6:7], s[12:13]
	s_cbranch_execz .LBB43_66
; %bb.64:
	ds_read_u8 v15, v26 offset:8
	s_waitcnt lgkmcnt(0)
	v_cmp_ne_u16_e64 s[4:5], 0, v15
	s_and_b64 exec, exec, s[4:5]
	s_cbranch_execz .LBB43_66
; %bb.65:
	ds_read2_b64 v[28:31], v27 offset1:8
	ds_read_u8 v18, v26
	ds_write2_b64 v25, v[2:3], v[0:1] offset1:8
	ds_write_b8 v26, v15
	s_waitcnt lgkmcnt(3)
	ds_write2_b64 v27, v[30:31], v[28:29] offset1:8
	s_waitcnt lgkmcnt(3)
	ds_write_b8 v26, v18 offset:8
.LBB43_66:
	s_or_b64 exec, exec, s[6:7]
	s_waitcnt lgkmcnt(0)
	s_barrier
	ds_read2_b64 v[0:3], v22 offset1:4
	s_waitcnt lgkmcnt(0)
	v_cmp_u_f64_e64 s[4:5], v[0:1], v[0:1]
	v_cmp_o_f64_e64 s[6:7], v[2:3], v[2:3]
	s_and_b64 s[6:7], s[4:5], s[6:7]
	v_cmp_gt_f64_e64 s[4:5], v[0:1], v[2:3]
	s_or_b64 s[4:5], s[6:7], s[4:5]
	s_xor_b64 s[12:13], s[4:5], -1
	s_and_saveexec_b64 s[6:7], s[4:5]
	s_cbranch_execz .LBB43_68
; %bb.67:
	ds_read_u8 v15, v23
	s_andn2_b64 s[12:13], s[12:13], exec
	s_waitcnt lgkmcnt(0)
	v_and_b32_e32 v15, 1, v15
	v_cmp_eq_u32_e64 s[4:5], 1, v15
	s_xor_b64 s[4:5], s[4:5], -1
	s_and_b64 s[4:5], s[4:5], exec
	s_or_b64 s[12:13], s[12:13], s[4:5]
.LBB43_68:
	s_or_b64 exec, exec, s[6:7]
	s_and_saveexec_b64 s[6:7], s[12:13]
	s_cbranch_execz .LBB43_71
; %bb.69:
	ds_read_u8 v15, v23 offset:4
	s_waitcnt lgkmcnt(0)
	v_cmp_ne_u16_e64 s[4:5], 0, v15
	s_and_b64 exec, exec, s[4:5]
	s_cbranch_execz .LBB43_71
; %bb.70:
	ds_read2_b64 v[26:29], v24 offset1:4
	ds_read_u8 v18, v23
	ds_write2_b64 v22, v[2:3], v[0:1] offset1:4
	ds_write_b8 v23, v15
	s_waitcnt lgkmcnt(3)
	ds_write2_b64 v24, v[28:29], v[26:27] offset1:4
	s_waitcnt lgkmcnt(3)
	ds_write_b8 v23, v18 offset:4
.LBB43_71:
	;; [unrolled: 42-line block ×3, first 2 shown]
	s_or_b64 exec, exec, s[6:7]
	s_waitcnt lgkmcnt(0)
	s_barrier
	ds_read_b128 v[0:3], v13
	s_waitcnt lgkmcnt(0)
	v_cmp_u_f64_e64 s[4:5], v[0:1], v[0:1]
	v_cmp_o_f64_e64 s[6:7], v[2:3], v[2:3]
	s_and_b64 s[6:7], s[4:5], s[6:7]
	v_cmp_gt_f64_e64 s[4:5], v[0:1], v[2:3]
	s_or_b64 s[4:5], s[6:7], s[4:5]
	s_xor_b64 s[12:13], s[4:5], -1
	s_and_saveexec_b64 s[6:7], s[4:5]
	s_cbranch_execz .LBB43_78
; %bb.77:
	ds_read_u8 v15, v14
	s_andn2_b64 s[12:13], s[12:13], exec
	s_waitcnt lgkmcnt(0)
	v_and_b32_e32 v15, 1, v15
	v_cmp_eq_u32_e64 s[4:5], 1, v15
	s_xor_b64 s[4:5], s[4:5], -1
	s_and_b64 s[4:5], s[4:5], exec
	s_or_b64 s[12:13], s[12:13], s[4:5]
.LBB43_78:
	s_or_b64 exec, exec, s[6:7]
	s_and_saveexec_b64 s[6:7], s[12:13]
	s_cbranch_execz .LBB43_81
; %bb.79:
	ds_read_u8 v15, v14 offset:1
	s_waitcnt lgkmcnt(0)
	v_cmp_ne_u16_e64 s[4:5], 0, v15
	s_and_b64 exec, exec, s[4:5]
	s_cbranch_execz .LBB43_81
; %bb.80:
	v_add_u32_e32 v12, v10, v12
	v_mov_b32_e32 v16, v2
	v_mov_b32_e32 v17, v3
	ds_read_b128 v[20:23], v12
	v_mov_b32_e32 v18, v0
	v_mov_b32_e32 v19, v1
	ds_write_b128 v13, v[16:19]
	ds_read_u8 v13, v14
	s_waitcnt lgkmcnt(2)
	v_mov_b32_e32 v0, v22
	v_mov_b32_e32 v1, v23
	;; [unrolled: 1-line block ×4, first 2 shown]
	ds_write_b128 v12, v[0:3]
	s_waitcnt lgkmcnt(1)
	v_lshlrev_b16_e32 v0, 8, v13
	v_or_b32_e32 v0, v15, v0
	ds_write_b16 v14, v0
.LBB43_81:
	s_or_b64 exec, exec, s[6:7]
	s_waitcnt lgkmcnt(0)
	s_barrier
	s_and_saveexec_b64 s[4:5], vcc
	s_cbranch_execz .LBB43_86
; %bb.82:
	s_and_saveexec_b64 s[4:5], s[0:1]
	s_cbranch_execz .LBB43_84
; %bb.83:
	ds_read_b64 v[0:1], v11
	v_mad_u64_u32 v[2:3], s[0:1], v5, s14, v[6:7]
	v_mov_b32_e32 v3, 0
	v_lshlrev_b64 v[12:13], 3, v[2:3]
	v_mov_b32_e32 v2, s9
	v_add_co_u32_e32 v12, vcc, s8, v12
	v_addc_co_u32_e32 v13, vcc, v2, v13, vcc
	ds_read_b64 v[10:11], v10
	s_waitcnt lgkmcnt(1)
	global_store_dwordx2 v[12:13], v[0:1], off
	v_mad_u64_u32 v[0:1], s[0:1], v5, s15, v[4:5]
	v_mov_b32_e32 v1, v3
	v_lshlrev_b64 v[0:1], 3, v[0:1]
	v_mov_b32_e32 v2, s11
	v_add_co_u32_e32 v0, vcc, s10, v0
	v_addc_co_u32_e32 v1, vcc, v2, v1, vcc
	s_waitcnt lgkmcnt(0)
	global_store_dwordx2 v[0:1], v[10:11], off
.LBB43_84:
	s_or_b64 exec, exec, s[4:5]
	s_and_b64 exec, exec, s[2:3]
	s_cbranch_execz .LBB43_86
; %bb.85:
	ds_read_b64 v[0:1], v9
	v_mad_u64_u32 v[2:3], s[0:1], v7, s14, v[6:7]
	v_mov_b32_e32 v3, 0
	v_lshlrev_b64 v[10:11], 3, v[2:3]
	v_mov_b32_e32 v2, s9
	v_add_co_u32_e32 v10, vcc, s8, v10
	v_addc_co_u32_e32 v11, vcc, v2, v11, vcc
	ds_read_b64 v[8:9], v8
	s_waitcnt lgkmcnt(1)
	global_store_dwordx2 v[10:11], v[0:1], off
	v_mad_u64_u32 v[0:1], s[0:1], v7, s15, v[4:5]
	v_mov_b32_e32 v1, v3
	v_lshlrev_b64 v[0:1], 3, v[0:1]
	v_mov_b32_e32 v2, s11
	v_add_co_u32_e32 v0, vcc, s10, v0
	v_addc_co_u32_e32 v1, vcc, v2, v1, vcc
	s_waitcnt lgkmcnt(0)
	global_store_dwordx2 v[0:1], v[8:9], off
.LBB43_86:
	s_endpgm
.LBB43_87:
	ds_read_u8 v23, v14
	s_andn2_b64 s[6:7], s[6:7], exec
	s_mov_b32 s16, 1
	s_waitcnt lgkmcnt(0)
	v_and_b32_e32 v23, 1, v23
	v_cmp_eq_u32_e64 s[4:5], 1, v23
	s_xor_b64 s[4:5], s[4:5], -1
	s_and_b64 s[4:5], s[4:5], exec
	s_or_b64 s[6:7], s[6:7], s[4:5]
	s_or_b64 exec, exec, s[12:13]
	v_mov_b32_e32 v23, s16
	s_and_saveexec_b64 s[4:5], s[6:7]
	s_cbranch_execz .LBB43_22
.LBB43_88:
	ds_read_u8 v23, v14 offset:1
	s_waitcnt lgkmcnt(0)
	v_xor_b32_e32 v23, 1, v23
	s_or_b64 exec, exec, s[4:5]
	v_cmp_eq_u32_e64 s[4:5], v23, v22
	s_and_saveexec_b64 s[6:7], s[4:5]
	s_cbranch_execnz .LBB43_23
	s_branch .LBB43_24
.LBB43_89:
	ds_read_u8 v26, v17
	s_andn2_b64 s[6:7], s[6:7], exec
	s_mov_b32 s16, 1
	s_waitcnt lgkmcnt(0)
	v_and_b32_e32 v26, 1, v26
	v_cmp_eq_u32_e64 s[4:5], 1, v26
	s_xor_b64 s[4:5], s[4:5], -1
	s_and_b64 s[4:5], s[4:5], exec
	s_or_b64 s[6:7], s[6:7], s[4:5]
	s_or_b64 exec, exec, s[12:13]
	v_mov_b32_e32 v26, s16
	s_and_saveexec_b64 s[4:5], s[6:7]
	s_cbranch_execz .LBB43_32
.LBB43_90:
	ds_read_u8 v26, v17 offset:2
	s_waitcnt lgkmcnt(0)
	v_xor_b32_e32 v26, 1, v26
	s_or_b64 exec, exec, s[4:5]
	v_cmp_eq_u32_e64 s[4:5], v26, v25
	s_and_saveexec_b64 s[6:7], s[4:5]
	s_cbranch_execnz .LBB43_33
	s_branch .LBB43_34
.LBB43_91:
	ds_read_u8 v26, v14
	s_andn2_b64 s[6:7], s[6:7], exec
	s_mov_b32 s16, 1
	s_waitcnt lgkmcnt(0)
	v_and_b32_e32 v26, 1, v26
	v_cmp_eq_u32_e64 s[4:5], 1, v26
	s_xor_b64 s[4:5], s[4:5], -1
	s_and_b64 s[4:5], s[4:5], exec
	s_or_b64 s[6:7], s[6:7], s[4:5]
	s_or_b64 exec, exec, s[12:13]
	v_mov_b32_e32 v26, s16
	s_and_saveexec_b64 s[4:5], s[6:7]
	s_cbranch_execz .LBB43_36
.LBB43_92:
	ds_read_u8 v26, v14 offset:1
	s_waitcnt lgkmcnt(0)
	v_xor_b32_e32 v26, 1, v26
	s_or_b64 exec, exec, s[4:5]
	v_cmp_eq_u32_e64 s[4:5], v26, v25
	s_and_saveexec_b64 s[6:7], s[4:5]
	s_cbranch_execnz .LBB43_37
	s_branch .LBB43_38
.LBB43_93:
	ds_read_u8 v29, v23
	s_andn2_b64 s[6:7], s[6:7], exec
	s_mov_b32 s16, 1
	s_waitcnt lgkmcnt(0)
	v_and_b32_e32 v29, 1, v29
	v_cmp_eq_u32_e64 s[4:5], 1, v29
	s_xor_b64 s[4:5], s[4:5], -1
	s_and_b64 s[4:5], s[4:5], exec
	s_or_b64 s[6:7], s[6:7], s[4:5]
	s_or_b64 exec, exec, s[12:13]
	v_mov_b32_e32 v29, s16
	s_and_saveexec_b64 s[4:5], s[6:7]
	s_cbranch_execz .LBB43_46
.LBB43_94:
	ds_read_u8 v29, v23 offset:4
	s_waitcnt lgkmcnt(0)
	v_xor_b32_e32 v29, 1, v29
	s_or_b64 exec, exec, s[4:5]
	v_cmp_eq_u32_e64 s[4:5], v29, v28
	s_and_saveexec_b64 s[6:7], s[4:5]
	s_cbranch_execnz .LBB43_47
	s_branch .LBB43_48
.LBB43_95:
	ds_read_u8 v29, v17
	s_andn2_b64 s[6:7], s[6:7], exec
	s_mov_b32 s16, 1
	s_waitcnt lgkmcnt(0)
	v_and_b32_e32 v29, 1, v29
	v_cmp_eq_u32_e64 s[4:5], 1, v29
	s_xor_b64 s[4:5], s[4:5], -1
	s_and_b64 s[4:5], s[4:5], exec
	s_or_b64 s[6:7], s[6:7], s[4:5]
	s_or_b64 exec, exec, s[12:13]
	v_mov_b32_e32 v29, s16
	s_and_saveexec_b64 s[4:5], s[6:7]
	s_cbranch_execz .LBB43_50
.LBB43_96:
	ds_read_u8 v29, v17 offset:2
	s_waitcnt lgkmcnt(0)
	v_xor_b32_e32 v29, 1, v29
	s_or_b64 exec, exec, s[4:5]
	v_cmp_eq_u32_e64 s[4:5], v29, v28
	s_and_saveexec_b64 s[6:7], s[4:5]
	s_cbranch_execnz .LBB43_51
	s_branch .LBB43_52
.LBB43_97:
	ds_read_u8 v29, v14
	s_andn2_b64 s[6:7], s[6:7], exec
	s_mov_b32 s16, 1
	s_waitcnt lgkmcnt(0)
	v_and_b32_e32 v29, 1, v29
	v_cmp_eq_u32_e64 s[4:5], 1, v29
	s_xor_b64 s[4:5], s[4:5], -1
	s_and_b64 s[4:5], s[4:5], exec
	s_or_b64 s[6:7], s[6:7], s[4:5]
	s_or_b64 exec, exec, s[12:13]
	v_mov_b32_e32 v29, s16
	s_and_saveexec_b64 s[4:5], s[6:7]
	s_cbranch_execz .LBB43_54
.LBB43_98:
	ds_read_u8 v29, v14 offset:1
	s_waitcnt lgkmcnt(0)
	v_xor_b32_e32 v29, 1, v29
	s_or_b64 exec, exec, s[4:5]
	v_cmp_eq_u32_e64 s[4:5], v29, v28
	s_and_saveexec_b64 s[6:7], s[4:5]
	s_cbranch_execnz .LBB43_55
	s_branch .LBB43_56
	.section	.rodata,"a",@progbits
	.p2align	6, 0x0
	.amdhsa_kernel _ZN2at6native20bitonicSortKVInPlaceILi2ELin1ELi16ELi16EdlNS0_4GTOpIdLb1EEEjEEvNS_4cuda6detail10TensorInfoIT3_T6_EES8_S8_S8_NS6_IT4_S8_EES8_T5_
		.amdhsa_group_segment_fixed_size 8704
		.amdhsa_private_segment_fixed_size 0
		.amdhsa_kernarg_size 712
		.amdhsa_user_sgpr_count 6
		.amdhsa_user_sgpr_private_segment_buffer 1
		.amdhsa_user_sgpr_dispatch_ptr 0
		.amdhsa_user_sgpr_queue_ptr 0
		.amdhsa_user_sgpr_kernarg_segment_ptr 1
		.amdhsa_user_sgpr_dispatch_id 0
		.amdhsa_user_sgpr_flat_scratch_init 0
		.amdhsa_user_sgpr_kernarg_preload_length 0
		.amdhsa_user_sgpr_kernarg_preload_offset 0
		.amdhsa_user_sgpr_private_segment_size 0
		.amdhsa_uses_dynamic_stack 0
		.amdhsa_system_sgpr_private_segment_wavefront_offset 0
		.amdhsa_system_sgpr_workgroup_id_x 1
		.amdhsa_system_sgpr_workgroup_id_y 1
		.amdhsa_system_sgpr_workgroup_id_z 1
		.amdhsa_system_sgpr_workgroup_info 0
		.amdhsa_system_vgpr_workitem_id 1
		.amdhsa_next_free_vgpr 37
		.amdhsa_next_free_sgpr 20
		.amdhsa_accum_offset 40
		.amdhsa_reserve_vcc 1
		.amdhsa_reserve_flat_scratch 0
		.amdhsa_float_round_mode_32 0
		.amdhsa_float_round_mode_16_64 0
		.amdhsa_float_denorm_mode_32 3
		.amdhsa_float_denorm_mode_16_64 3
		.amdhsa_dx10_clamp 1
		.amdhsa_ieee_mode 1
		.amdhsa_fp16_overflow 0
		.amdhsa_tg_split 0
		.amdhsa_exception_fp_ieee_invalid_op 0
		.amdhsa_exception_fp_denorm_src 0
		.amdhsa_exception_fp_ieee_div_zero 0
		.amdhsa_exception_fp_ieee_overflow 0
		.amdhsa_exception_fp_ieee_underflow 0
		.amdhsa_exception_fp_ieee_inexact 0
		.amdhsa_exception_int_div_zero 0
	.end_amdhsa_kernel
	.section	.text._ZN2at6native20bitonicSortKVInPlaceILi2ELin1ELi16ELi16EdlNS0_4GTOpIdLb1EEEjEEvNS_4cuda6detail10TensorInfoIT3_T6_EES8_S8_S8_NS6_IT4_S8_EES8_T5_,"axG",@progbits,_ZN2at6native20bitonicSortKVInPlaceILi2ELin1ELi16ELi16EdlNS0_4GTOpIdLb1EEEjEEvNS_4cuda6detail10TensorInfoIT3_T6_EES8_S8_S8_NS6_IT4_S8_EES8_T5_,comdat
.Lfunc_end43:
	.size	_ZN2at6native20bitonicSortKVInPlaceILi2ELin1ELi16ELi16EdlNS0_4GTOpIdLb1EEEjEEvNS_4cuda6detail10TensorInfoIT3_T6_EES8_S8_S8_NS6_IT4_S8_EES8_T5_, .Lfunc_end43-_ZN2at6native20bitonicSortKVInPlaceILi2ELin1ELi16ELi16EdlNS0_4GTOpIdLb1EEEjEEvNS_4cuda6detail10TensorInfoIT3_T6_EES8_S8_S8_NS6_IT4_S8_EES8_T5_
                                        ; -- End function
	.section	.AMDGPU.csdata,"",@progbits
; Kernel info:
; codeLenInByte = 5120
; NumSgprs: 24
; NumVgprs: 37
; NumAgprs: 0
; TotalNumVgprs: 37
; ScratchSize: 0
; MemoryBound: 0
; FloatMode: 240
; IeeeMode: 1
; LDSByteSize: 8704 bytes/workgroup (compile time only)
; SGPRBlocks: 2
; VGPRBlocks: 4
; NumSGPRsForWavesPerEU: 24
; NumVGPRsForWavesPerEU: 37
; AccumOffset: 40
; Occupancy: 7
; WaveLimiterHint : 1
; COMPUTE_PGM_RSRC2:SCRATCH_EN: 0
; COMPUTE_PGM_RSRC2:USER_SGPR: 6
; COMPUTE_PGM_RSRC2:TRAP_HANDLER: 0
; COMPUTE_PGM_RSRC2:TGID_X_EN: 1
; COMPUTE_PGM_RSRC2:TGID_Y_EN: 1
; COMPUTE_PGM_RSRC2:TGID_Z_EN: 1
; COMPUTE_PGM_RSRC2:TIDIG_COMP_CNT: 1
; COMPUTE_PGM_RSRC3_GFX90A:ACCUM_OFFSET: 9
; COMPUTE_PGM_RSRC3_GFX90A:TG_SPLIT: 0
	.section	.text._ZN2at6native20bitonicSortKVInPlaceILin1ELin1ELi16ELi16EdlNS0_4LTOpIdLb1EEEjEEvNS_4cuda6detail10TensorInfoIT3_T6_EES8_S8_S8_NS6_IT4_S8_EES8_T5_,"axG",@progbits,_ZN2at6native20bitonicSortKVInPlaceILin1ELin1ELi16ELi16EdlNS0_4LTOpIdLb1EEEjEEvNS_4cuda6detail10TensorInfoIT3_T6_EES8_S8_S8_NS6_IT4_S8_EES8_T5_,comdat
	.protected	_ZN2at6native20bitonicSortKVInPlaceILin1ELin1ELi16ELi16EdlNS0_4LTOpIdLb1EEEjEEvNS_4cuda6detail10TensorInfoIT3_T6_EES8_S8_S8_NS6_IT4_S8_EES8_T5_ ; -- Begin function _ZN2at6native20bitonicSortKVInPlaceILin1ELin1ELi16ELi16EdlNS0_4LTOpIdLb1EEEjEEvNS_4cuda6detail10TensorInfoIT3_T6_EES8_S8_S8_NS6_IT4_S8_EES8_T5_
	.globl	_ZN2at6native20bitonicSortKVInPlaceILin1ELin1ELi16ELi16EdlNS0_4LTOpIdLb1EEEjEEvNS_4cuda6detail10TensorInfoIT3_T6_EES8_S8_S8_NS6_IT4_S8_EES8_T5_
	.p2align	8
	.type	_ZN2at6native20bitonicSortKVInPlaceILin1ELin1ELi16ELi16EdlNS0_4LTOpIdLb1EEEjEEvNS_4cuda6detail10TensorInfoIT3_T6_EES8_S8_S8_NS6_IT4_S8_EES8_T5_,@function
_ZN2at6native20bitonicSortKVInPlaceILin1ELin1ELi16ELi16EdlNS0_4LTOpIdLb1EEEjEEvNS_4cuda6detail10TensorInfoIT3_T6_EES8_S8_S8_NS6_IT4_S8_EES8_T5_: ; @_ZN2at6native20bitonicSortKVInPlaceILin1ELin1ELi16ELi16EdlNS0_4LTOpIdLb1EEEjEEvNS_4cuda6detail10TensorInfoIT3_T6_EES8_S8_S8_NS6_IT4_S8_EES8_T5_
; %bb.0:
	s_load_dwordx2 s[2:3], s[4:5], 0x1c8
	s_load_dwordx4 s[12:15], s[4:5], 0xd8
	s_load_dword s9, s[4:5], 0x1d4
	s_add_u32 s0, s4, 0x1c8
	s_addc_u32 s1, s5, 0
	s_waitcnt lgkmcnt(0)
	s_mul_i32 s3, s3, s8
	s_add_i32 s3, s3, s7
	s_mul_i32 s2, s3, s2
	s_add_i32 s3, s2, s6
	s_lshr_b32 s2, s9, 16
	s_mul_i32 s3, s3, s2
	s_cmp_ge_u32 s3, s12
	s_cbranch_scc1 .LBB44_89
; %bb.1:
	s_load_dword s2, s[4:5], 0xd0
	v_bfe_u32 v10, v0, 10, 10
	v_add_u32_e32 v1, s3, v10
	v_mov_b32_e32 v2, 0
	v_mov_b32_e32 v6, v1
	s_waitcnt lgkmcnt(0)
	s_cmp_lt_i32 s2, 2
	s_cbranch_scc1 .LBB44_4
; %bb.2:
	s_add_i32 s6, s2, 1
	s_add_i32 s2, s2, -1
	s_mov_b32 s3, 0
	s_lshl_b64 s[2:3], s[2:3], 2
	s_add_u32 s2, s2, s4
	s_addc_u32 s3, s3, s5
	s_add_u32 s2, s2, 8
	s_addc_u32 s3, s3, 0
	v_mov_b32_e32 v2, 0
	v_mov_b32_e32 v6, v1
.LBB44_3:                               ; =>This Inner Loop Header: Depth=1
	s_load_dword s7, s[2:3], 0x0
	s_load_dword s8, s[2:3], 0x64
	v_mov_b32_e32 v3, v6
	s_add_i32 s6, s6, -1
	s_waitcnt lgkmcnt(0)
	v_cvt_f32_u32_e32 v4, s7
	s_sub_i32 s9, 0, s7
	s_add_u32 s2, s2, -4
	s_addc_u32 s3, s3, -1
	v_rcp_iflag_f32_e32 v4, v4
	s_cmp_gt_u32 s6, 2
	v_mul_f32_e32 v4, 0x4f7ffffe, v4
	v_cvt_u32_f32_e32 v4, v4
	v_mul_lo_u32 v5, s9, v4
	v_mul_hi_u32 v5, v4, v5
	v_add_u32_e32 v4, v4, v5
	v_mul_hi_u32 v4, v3, v4
	v_mul_lo_u32 v5, v4, s7
	v_sub_u32_e32 v5, v3, v5
	v_add_u32_e32 v6, 1, v4
	v_cmp_le_u32_e32 vcc, s7, v5
	v_cndmask_b32_e32 v4, v4, v6, vcc
	v_subrev_u32_e32 v6, s7, v5
	v_cndmask_b32_e32 v5, v5, v6, vcc
	v_add_u32_e32 v6, 1, v4
	v_cmp_le_u32_e32 vcc, s7, v5
	v_cndmask_b32_e32 v6, v4, v6, vcc
	v_mul_lo_u32 v4, v6, s7
	v_sub_u32_e32 v3, v3, v4
	v_mad_u64_u32 v[2:3], s[8:9], s8, v3, v[2:3]
	s_cbranch_scc1 .LBB44_3
.LBB44_4:
	s_load_dword s2, s[4:5], 0x1b8
	v_mov_b32_e32 v4, 0
	v_mov_b32_e32 v3, v1
	s_waitcnt lgkmcnt(0)
	s_cmp_lt_i32 s2, 2
	s_cbranch_scc1 .LBB44_7
; %bb.5:
	s_add_i32 s6, s2, 1
	s_add_i32 s2, s2, -1
	s_mov_b32 s3, 0
	s_lshl_b64 s[2:3], s[2:3], 2
	s_add_u32 s2, s2, s4
	s_addc_u32 s3, s3, s5
	s_add_u32 s2, s2, 0xf0
	s_addc_u32 s3, s3, 0
	v_mov_b32_e32 v4, 0
	v_mov_b32_e32 v3, v1
.LBB44_6:                               ; =>This Inner Loop Header: Depth=1
	s_load_dword s7, s[2:3], 0x0
	s_load_dword s8, s[2:3], 0x64
	v_mov_b32_e32 v5, v3
	s_add_i32 s6, s6, -1
	s_waitcnt lgkmcnt(0)
	v_cvt_f32_u32_e32 v3, s7
	s_sub_i32 s9, 0, s7
	s_add_u32 s2, s2, -4
	s_addc_u32 s3, s3, -1
	v_rcp_iflag_f32_e32 v3, v3
	s_cmp_gt_u32 s6, 2
	v_mul_f32_e32 v3, 0x4f7ffffe, v3
	v_cvt_u32_f32_e32 v3, v3
	v_mul_lo_u32 v7, s9, v3
	v_mul_hi_u32 v7, v3, v7
	v_add_u32_e32 v3, v3, v7
	v_mul_hi_u32 v3, v5, v3
	v_mul_lo_u32 v7, v3, s7
	v_sub_u32_e32 v7, v5, v7
	v_add_u32_e32 v8, 1, v3
	v_cmp_le_u32_e32 vcc, s7, v7
	v_cndmask_b32_e32 v3, v3, v8, vcc
	v_subrev_u32_e32 v8, s7, v7
	v_cndmask_b32_e32 v7, v7, v8, vcc
	v_add_u32_e32 v8, 1, v3
	v_cmp_le_u32_e32 vcc, s7, v7
	v_cndmask_b32_e32 v3, v3, v8, vcc
	v_mul_lo_u32 v7, v3, s7
	v_sub_u32_e32 v5, v5, v7
	v_mad_u64_u32 v[4:5], s[8:9], s8, v5, v[4:5]
	s_cbranch_scc1 .LBB44_6
.LBB44_7:
	s_load_dword s2, s[4:5], 0x6c
	v_cmp_gt_u32_e32 vcc, s12, v1
	s_waitcnt lgkmcnt(0)
	v_mad_u64_u32 v[6:7], s[2:3], s2, v6, v[2:3]
	s_load_dword s15, s[4:5], 0x1c0
	s_load_dword s2, s[4:5], 0x154
	s_load_dwordx2 s[10:11], s[4:5], 0x0
	s_load_dwordx2 s[8:9], s[4:5], 0xe8
	s_load_dword s12, s[0:1], 0xc
	s_waitcnt lgkmcnt(0)
	v_mad_u64_u32 v[4:5], s[2:3], s2, v3, v[4:5]
	v_and_b32_e32 v5, 0x3ff, v0
	v_cmp_gt_u32_e64 s[0:1], s13, v5
	v_pk_mov_b32 v[0:1], 0, 0
	s_and_b64 s[4:5], vcc, s[0:1]
	v_pk_mov_b32 v[2:3], 0, 0
	v_pk_mov_b32 v[8:9], v[0:1], v[0:1] op_sel:[0,1]
	s_and_saveexec_b64 s[6:7], s[4:5]
	s_cbranch_execz .LBB44_9
; %bb.8:
	v_mad_u64_u32 v[8:9], s[2:3], v5, s14, v[6:7]
	v_mov_b32_e32 v9, 0
	v_lshlrev_b64 v[2:3], 3, v[8:9]
	v_mov_b32_e32 v7, s11
	v_add_co_u32_e64 v2, s[2:3], s10, v2
	v_addc_co_u32_e64 v3, s[2:3], v7, v3, s[2:3]
	v_mad_u64_u32 v[12:13], s[2:3], v5, s15, v[4:5]
	v_mov_b32_e32 v13, v9
	v_lshlrev_b64 v[8:9], 3, v[12:13]
	v_mov_b32_e32 v7, s9
	v_add_co_u32_e64 v8, s[2:3], s8, v8
	v_addc_co_u32_e64 v9, s[2:3], v7, v9, s[2:3]
	global_load_dwordx2 v[2:3], v[2:3], off
	s_nop 0
	global_load_dwordx2 v[8:9], v[8:9], off
.LBB44_9:
	s_or_b64 exec, exec, s[6:7]
	v_lshlrev_b32_e32 v19, 8, v10
	v_mov_b32_e32 v11, 0x2000
	v_lshlrev_b32_e32 v12, 3, v5
	v_lshl_add_u32 v18, v10, 5, v11
	v_add_u32_e32 v11, v19, v12
	s_and_b32 s16, 0xffff, s12
	v_cndmask_b32_e64 v7, 0, 1, s[4:5]
	s_waitcnt vmcnt(1)
	ds_write_b64 v11, v[2:3]
	v_add_u32_e32 v2, v18, v5
	ds_write_b8 v2, v7
	v_add_u32_e32 v7, s16, v5
	v_add_u32_e32 v15, 0x1000, v19
	v_cmp_gt_u32_e64 s[2:3], s13, v7
	v_add_u32_e32 v10, v15, v12
	s_and_b64 s[6:7], vcc, s[2:3]
	v_pk_mov_b32 v[2:3], v[0:1], v[0:1] op_sel:[0,1]
	s_waitcnt vmcnt(0)
	ds_write_b64 v10, v[8:9]
	s_and_saveexec_b64 s[12:13], s[6:7]
	s_cbranch_execz .LBB44_11
; %bb.10:
	v_mad_u64_u32 v[2:3], s[4:5], v7, s14, v[6:7]
	v_mov_b32_e32 v3, 0
	v_lshlrev_b64 v[0:1], 3, v[2:3]
	v_mov_b32_e32 v2, s11
	v_add_co_u32_e64 v0, s[4:5], s10, v0
	v_addc_co_u32_e64 v1, s[4:5], v2, v1, s[4:5]
	v_mad_u64_u32 v[8:9], s[4:5], v7, s15, v[4:5]
	v_mov_b32_e32 v9, v3
	v_lshlrev_b64 v[2:3], 3, v[8:9]
	v_mov_b32_e32 v8, s9
	v_add_co_u32_e64 v2, s[4:5], s8, v2
	v_addc_co_u32_e64 v3, s[4:5], v8, v3, s[4:5]
	global_load_dwordx2 v[0:1], v[0:1], off
	s_nop 0
	global_load_dwordx2 v[2:3], v[2:3], off
.LBB44_11:
	s_or_b64 exec, exec, s[12:13]
	s_lshl_b32 s4, s16, 3
	v_add_u32_e32 v9, s4, v11
	v_cndmask_b32_e64 v13, 0, 1, s[6:7]
	s_waitcnt vmcnt(1)
	ds_write_b64 v9, v[0:1]
	v_add_u32_e32 v0, v18, v7
	v_add_u32_e32 v8, s4, v10
	ds_write_b8 v0, v13
	v_add_u32_e32 v13, v11, v12
	s_waitcnt vmcnt(0)
	ds_write_b64 v8, v[2:3]
	s_waitcnt lgkmcnt(0)
	s_barrier
	ds_read_b128 v[0:3], v13
	v_lshlrev_b32_e32 v21, 1, v5
	s_mov_b32 s16, 1
	v_add_u32_e32 v14, v18, v21
	s_waitcnt lgkmcnt(0)
	v_cmp_u_f64_e64 s[4:5], v[2:3], v[2:3]
	v_cmp_o_f64_e64 s[6:7], v[0:1], v[0:1]
	s_and_b64 s[6:7], s[4:5], s[6:7]
	v_cmp_lt_f64_e64 s[4:5], v[0:1], v[2:3]
	s_or_b64 s[4:5], s[6:7], s[4:5]
	s_xor_b64 s[6:7], s[4:5], -1
	s_and_saveexec_b64 s[12:13], s[4:5]
	s_xor_b64 s[12:13], exec, s[12:13]
	s_cbranch_execz .LBB44_13
; %bb.12:
	ds_read_u8 v16, v14
	s_andn2_b64 s[6:7], s[6:7], exec
	s_waitcnt lgkmcnt(0)
	v_and_b32_e32 v16, 1, v16
	v_cmp_eq_u32_e64 s[4:5], 1, v16
	s_xor_b64 s[4:5], s[4:5], -1
	s_and_b64 s[4:5], s[4:5], exec
	s_or_b64 s[6:7], s[6:7], s[4:5]
.LBB44_13:
	s_or_b64 exec, exec, s[12:13]
	v_mov_b32_e32 v17, s16
	s_and_saveexec_b64 s[4:5], s[6:7]
	s_cbranch_execz .LBB44_15
; %bb.14:
	ds_read_u8 v16, v14 offset:1
	s_waitcnt lgkmcnt(0)
	v_xor_b32_e32 v17, 1, v16
.LBB44_15:
	s_or_b64 exec, exec, s[4:5]
	v_and_b32_e32 v16, 1, v5
	v_cmp_eq_u32_e64 s[4:5], v17, v16
	s_and_saveexec_b64 s[6:7], s[4:5]
	s_cbranch_execz .LBB44_17
; %bb.16:
	v_add_u32_e32 v17, v10, v12
	ds_read_b128 v[26:29], v17
	ds_read_u16 v20, v14
	v_mov_b32_e32 v22, v2
	v_mov_b32_e32 v23, v3
	;; [unrolled: 1-line block ×4, first 2 shown]
	s_waitcnt lgkmcnt(1)
	v_mov_b32_e32 v0, v28
	v_mov_b32_e32 v1, v29
	;; [unrolled: 1-line block ×4, first 2 shown]
	s_mov_b32 s4, 0xc0c0001
	ds_write_b128 v17, v[0:3]
	s_waitcnt lgkmcnt(1)
	v_perm_b32 v0, 0, v20, s4
	ds_write_b128 v13, v[22:25]
	ds_write_b16 v14, v0
.LBB44_17:
	s_or_b64 exec, exec, s[6:7]
	v_sub_u32_e32 v20, v21, v16
	v_lshl_add_u32 v16, v20, 3, v19
	s_waitcnt lgkmcnt(0)
	s_barrier
	ds_read2_b64 v[0:3], v16 offset1:2
	v_add_u32_e32 v17, v18, v20
                                        ; implicit-def: $sgpr12
	s_waitcnt lgkmcnt(0)
	v_cmp_u_f64_e64 s[4:5], v[2:3], v[2:3]
	v_cmp_o_f64_e64 s[6:7], v[0:1], v[0:1]
	s_and_b64 s[6:7], s[4:5], s[6:7]
	v_cmp_lt_f64_e64 s[4:5], v[0:1], v[2:3]
	s_or_b64 s[6:7], s[6:7], s[4:5]
	s_mov_b64 s[4:5], -1
	s_and_saveexec_b64 s[16:17], s[6:7]
	s_xor_b64 s[6:7], exec, s[16:17]
	s_cbranch_execz .LBB44_19
; %bb.18:
	ds_read_u8 v22, v17
	s_mov_b32 s12, 1
	s_waitcnt lgkmcnt(0)
	v_and_b32_e32 v22, 1, v22
	v_cmp_eq_u32_e64 s[4:5], 1, v22
	s_xor_b64 s[4:5], s[4:5], -1
	s_orn2_b64 s[4:5], s[4:5], exec
.LBB44_19:
	s_or_b64 exec, exec, s[6:7]
	v_mov_b32_e32 v23, s12
	s_and_saveexec_b64 s[6:7], s[4:5]
	s_cbranch_execz .LBB44_21
; %bb.20:
	ds_read_u8 v22, v17 offset:2
	s_waitcnt lgkmcnt(0)
	v_xor_b32_e32 v23, 1, v22
.LBB44_21:
	s_or_b64 exec, exec, s[6:7]
	v_bfe_u32 v22, v5, 1, 1
	v_lshl_add_u32 v20, v20, 3, v15
	v_cmp_eq_u32_e64 s[4:5], v23, v22
	s_and_saveexec_b64 s[6:7], s[4:5]
	s_cbranch_execz .LBB44_23
; %bb.22:
	ds_read2_b64 v[24:27], v20 offset1:2
	ds_read_u8 v23, v17 offset:2
	ds_read_u8 v28, v17
	ds_write2_b64 v16, v[2:3], v[0:1] offset1:2
	s_waitcnt lgkmcnt(3)
	ds_write2_b64 v20, v[26:27], v[24:25] offset1:2
	s_waitcnt lgkmcnt(3)
	ds_write_b8 v17, v23
	s_waitcnt lgkmcnt(3)
	ds_write_b8 v17, v28 offset:2
.LBB44_23:
	s_or_b64 exec, exec, s[6:7]
	s_waitcnt lgkmcnt(0)
	s_barrier
	ds_read_b128 v[0:3], v13
                                        ; implicit-def: $sgpr16
	s_waitcnt lgkmcnt(0)
	v_cmp_u_f64_e64 s[4:5], v[2:3], v[2:3]
	v_cmp_o_f64_e64 s[6:7], v[0:1], v[0:1]
	s_and_b64 s[6:7], s[4:5], s[6:7]
	v_cmp_lt_f64_e64 s[4:5], v[0:1], v[2:3]
	s_or_b64 s[4:5], s[6:7], s[4:5]
	s_xor_b64 s[6:7], s[4:5], -1
	s_and_saveexec_b64 s[12:13], s[4:5]
	s_cbranch_execnz .LBB44_90
; %bb.24:
	s_or_b64 exec, exec, s[12:13]
	v_mov_b32_e32 v23, s16
	s_and_saveexec_b64 s[4:5], s[6:7]
	s_cbranch_execnz .LBB44_91
.LBB44_25:
	s_or_b64 exec, exec, s[4:5]
	v_cmp_eq_u32_e64 s[4:5], v23, v22
	s_and_saveexec_b64 s[6:7], s[4:5]
	s_cbranch_execz .LBB44_27
.LBB44_26:
	v_add_u32_e32 v30, v10, v12
	v_mov_b32_e32 v22, v2
	v_mov_b32_e32 v23, v3
	ds_read_b128 v[26:29], v30
	v_mov_b32_e32 v24, v0
	v_mov_b32_e32 v25, v1
	ds_write_b128 v13, v[22:25]
	ds_read_u16 v22, v14
	s_waitcnt lgkmcnt(2)
	v_mov_b32_e32 v0, v28
	v_mov_b32_e32 v1, v29
	;; [unrolled: 1-line block ×4, first 2 shown]
	s_mov_b32 s4, 0xc0c0001
	ds_write_b128 v30, v[0:3]
	s_waitcnt lgkmcnt(1)
	v_perm_b32 v0, 0, v22, s4
	ds_write_b16 v14, v0
.LBB44_27:
	s_or_b64 exec, exec, s[6:7]
	v_and_b32_e32 v0, 3, v5
	v_sub_u32_e32 v24, v21, v0
	v_lshl_add_u32 v22, v24, 3, v19
	s_waitcnt lgkmcnt(0)
	s_barrier
	ds_read2_b64 v[0:3], v22 offset1:4
	v_add_u32_e32 v23, v18, v24
                                        ; implicit-def: $sgpr16
	s_waitcnt lgkmcnt(0)
	v_cmp_u_f64_e64 s[4:5], v[2:3], v[2:3]
	v_cmp_o_f64_e64 s[6:7], v[0:1], v[0:1]
	s_and_b64 s[6:7], s[4:5], s[6:7]
	v_cmp_lt_f64_e64 s[4:5], v[0:1], v[2:3]
	s_or_b64 s[4:5], s[6:7], s[4:5]
	s_xor_b64 s[6:7], s[4:5], -1
	s_and_saveexec_b64 s[12:13], s[4:5]
	s_cbranch_execz .LBB44_29
; %bb.28:
	ds_read_u8 v25, v23
	s_andn2_b64 s[6:7], s[6:7], exec
	s_mov_b32 s16, 1
	s_waitcnt lgkmcnt(0)
	v_and_b32_e32 v25, 1, v25
	v_cmp_eq_u32_e64 s[4:5], 1, v25
	s_xor_b64 s[4:5], s[4:5], -1
	s_and_b64 s[4:5], s[4:5], exec
	s_or_b64 s[6:7], s[6:7], s[4:5]
.LBB44_29:
	s_or_b64 exec, exec, s[12:13]
	v_mov_b32_e32 v26, s16
	s_and_saveexec_b64 s[4:5], s[6:7]
	s_cbranch_execz .LBB44_31
; %bb.30:
	ds_read_u8 v25, v23 offset:4
	s_waitcnt lgkmcnt(0)
	v_xor_b32_e32 v26, 1, v25
.LBB44_31:
	s_or_b64 exec, exec, s[4:5]
	v_bfe_u32 v25, v5, 2, 1
	v_lshl_add_u32 v24, v24, 3, v15
	v_cmp_eq_u32_e64 s[4:5], v26, v25
	s_and_saveexec_b64 s[6:7], s[4:5]
	s_cbranch_execz .LBB44_33
; %bb.32:
	ds_read2_b64 v[26:29], v24 offset1:4
	ds_read_u8 v30, v23 offset:4
	ds_read_u8 v31, v23
	ds_write2_b64 v22, v[2:3], v[0:1] offset1:4
	s_waitcnt lgkmcnt(3)
	ds_write2_b64 v24, v[28:29], v[26:27] offset1:4
	s_waitcnt lgkmcnt(3)
	ds_write_b8 v23, v30
	s_waitcnt lgkmcnt(3)
	ds_write_b8 v23, v31 offset:4
.LBB44_33:
	s_or_b64 exec, exec, s[6:7]
	s_waitcnt lgkmcnt(0)
	s_barrier
	ds_read2_b64 v[0:3], v16 offset1:2
                                        ; implicit-def: $sgpr16
	s_waitcnt lgkmcnt(0)
	v_cmp_u_f64_e64 s[4:5], v[2:3], v[2:3]
	v_cmp_o_f64_e64 s[6:7], v[0:1], v[0:1]
	s_and_b64 s[6:7], s[4:5], s[6:7]
	v_cmp_lt_f64_e64 s[4:5], v[0:1], v[2:3]
	s_or_b64 s[4:5], s[6:7], s[4:5]
	s_xor_b64 s[6:7], s[4:5], -1
	s_and_saveexec_b64 s[12:13], s[4:5]
	s_cbranch_execnz .LBB44_92
; %bb.34:
	s_or_b64 exec, exec, s[12:13]
	v_mov_b32_e32 v26, s16
	s_and_saveexec_b64 s[4:5], s[6:7]
	s_cbranch_execnz .LBB44_93
.LBB44_35:
	s_or_b64 exec, exec, s[4:5]
	v_cmp_eq_u32_e64 s[4:5], v26, v25
	s_and_saveexec_b64 s[6:7], s[4:5]
	s_cbranch_execz .LBB44_37
.LBB44_36:
	ds_read2_b64 v[26:29], v20 offset1:2
	ds_read_u8 v30, v17 offset:2
	ds_read_u8 v31, v17
	ds_write2_b64 v16, v[2:3], v[0:1] offset1:2
	s_waitcnt lgkmcnt(3)
	ds_write2_b64 v20, v[28:29], v[26:27] offset1:2
	s_waitcnt lgkmcnt(3)
	ds_write_b8 v17, v30
	s_waitcnt lgkmcnt(3)
	ds_write_b8 v17, v31 offset:2
.LBB44_37:
	s_or_b64 exec, exec, s[6:7]
	s_waitcnt lgkmcnt(0)
	s_barrier
	ds_read_b128 v[0:3], v13
                                        ; implicit-def: $sgpr16
	s_waitcnt lgkmcnt(0)
	v_cmp_u_f64_e64 s[4:5], v[2:3], v[2:3]
	v_cmp_o_f64_e64 s[6:7], v[0:1], v[0:1]
	s_and_b64 s[6:7], s[4:5], s[6:7]
	v_cmp_lt_f64_e64 s[4:5], v[0:1], v[2:3]
	s_or_b64 s[4:5], s[6:7], s[4:5]
	s_xor_b64 s[6:7], s[4:5], -1
	s_and_saveexec_b64 s[12:13], s[4:5]
	s_cbranch_execnz .LBB44_94
; %bb.38:
	s_or_b64 exec, exec, s[12:13]
	v_mov_b32_e32 v26, s16
	s_and_saveexec_b64 s[4:5], s[6:7]
	s_cbranch_execnz .LBB44_95
.LBB44_39:
	s_or_b64 exec, exec, s[4:5]
	v_cmp_eq_u32_e64 s[4:5], v26, v25
	s_and_saveexec_b64 s[6:7], s[4:5]
	s_cbranch_execz .LBB44_41
.LBB44_40:
	v_add_u32_e32 v25, v10, v12
	v_mov_b32_e32 v26, v2
	v_mov_b32_e32 v27, v3
	ds_read_b128 v[30:33], v25
	v_mov_b32_e32 v28, v0
	v_mov_b32_e32 v29, v1
	ds_write_b128 v13, v[26:29]
	ds_read_u16 v26, v14
	s_waitcnt lgkmcnt(2)
	v_mov_b32_e32 v0, v32
	v_mov_b32_e32 v1, v33
	;; [unrolled: 1-line block ×4, first 2 shown]
	s_mov_b32 s4, 0xc0c0001
	ds_write_b128 v25, v[0:3]
	s_waitcnt lgkmcnt(1)
	v_perm_b32 v0, 0, v26, s4
	ds_write_b16 v14, v0
.LBB44_41:
	s_or_b64 exec, exec, s[6:7]
	v_and_b32_e32 v0, 7, v5
	v_sub_u32_e32 v27, v21, v0
	v_lshl_add_u32 v25, v27, 3, v19
	s_waitcnt lgkmcnt(0)
	s_barrier
	ds_read2_b64 v[0:3], v25 offset1:8
	v_add_u32_e32 v26, v18, v27
                                        ; implicit-def: $sgpr16
	s_waitcnt lgkmcnt(0)
	v_cmp_u_f64_e64 s[4:5], v[2:3], v[2:3]
	v_cmp_o_f64_e64 s[6:7], v[0:1], v[0:1]
	s_and_b64 s[6:7], s[4:5], s[6:7]
	v_cmp_lt_f64_e64 s[4:5], v[0:1], v[2:3]
	s_or_b64 s[4:5], s[6:7], s[4:5]
	s_xor_b64 s[6:7], s[4:5], -1
	s_and_saveexec_b64 s[12:13], s[4:5]
	s_cbranch_execz .LBB44_43
; %bb.42:
	ds_read_u8 v28, v26
	s_andn2_b64 s[6:7], s[6:7], exec
	s_mov_b32 s16, 1
	s_waitcnt lgkmcnt(0)
	v_and_b32_e32 v28, 1, v28
	v_cmp_eq_u32_e64 s[4:5], 1, v28
	s_xor_b64 s[4:5], s[4:5], -1
	s_and_b64 s[4:5], s[4:5], exec
	s_or_b64 s[6:7], s[6:7], s[4:5]
.LBB44_43:
	s_or_b64 exec, exec, s[12:13]
	v_mov_b32_e32 v29, s16
	s_and_saveexec_b64 s[4:5], s[6:7]
	s_cbranch_execz .LBB44_45
; %bb.44:
	ds_read_u8 v28, v26 offset:8
	s_waitcnt lgkmcnt(0)
	v_xor_b32_e32 v29, 1, v28
.LBB44_45:
	s_or_b64 exec, exec, s[4:5]
	v_bfe_u32 v28, v5, 3, 1
	v_lshl_add_u32 v27, v27, 3, v15
	v_cmp_eq_u32_e64 s[4:5], v29, v28
	s_and_saveexec_b64 s[6:7], s[4:5]
	s_cbranch_execz .LBB44_47
; %bb.46:
	ds_read2_b64 v[30:33], v27 offset1:8
	ds_read_u8 v29, v26 offset:8
	ds_read_u8 v34, v26
	ds_write2_b64 v25, v[2:3], v[0:1] offset1:8
	s_waitcnt lgkmcnt(3)
	ds_write2_b64 v27, v[32:33], v[30:31] offset1:8
	s_waitcnt lgkmcnt(3)
	ds_write_b8 v26, v29
	s_waitcnt lgkmcnt(3)
	ds_write_b8 v26, v34 offset:8
.LBB44_47:
	s_or_b64 exec, exec, s[6:7]
	s_waitcnt lgkmcnt(0)
	s_barrier
	ds_read2_b64 v[0:3], v22 offset1:4
                                        ; implicit-def: $sgpr16
	s_waitcnt lgkmcnt(0)
	v_cmp_u_f64_e64 s[4:5], v[2:3], v[2:3]
	v_cmp_o_f64_e64 s[6:7], v[0:1], v[0:1]
	s_and_b64 s[6:7], s[4:5], s[6:7]
	v_cmp_lt_f64_e64 s[4:5], v[0:1], v[2:3]
	s_or_b64 s[4:5], s[6:7], s[4:5]
	s_xor_b64 s[6:7], s[4:5], -1
	s_and_saveexec_b64 s[12:13], s[4:5]
	s_cbranch_execnz .LBB44_96
; %bb.48:
	s_or_b64 exec, exec, s[12:13]
	v_mov_b32_e32 v29, s16
	s_and_saveexec_b64 s[4:5], s[6:7]
	s_cbranch_execnz .LBB44_97
.LBB44_49:
	s_or_b64 exec, exec, s[4:5]
	v_cmp_eq_u32_e64 s[4:5], v29, v28
	s_and_saveexec_b64 s[6:7], s[4:5]
	s_cbranch_execz .LBB44_51
.LBB44_50:
	ds_read2_b64 v[30:33], v24 offset1:4
	ds_read_u8 v29, v23 offset:4
	ds_read_u8 v34, v23
	ds_write2_b64 v22, v[2:3], v[0:1] offset1:4
	s_waitcnt lgkmcnt(3)
	ds_write2_b64 v24, v[32:33], v[30:31] offset1:4
	s_waitcnt lgkmcnt(3)
	ds_write_b8 v23, v29
	s_waitcnt lgkmcnt(3)
	ds_write_b8 v23, v34 offset:4
.LBB44_51:
	s_or_b64 exec, exec, s[6:7]
	s_waitcnt lgkmcnt(0)
	s_barrier
	ds_read2_b64 v[0:3], v16 offset1:2
                                        ; implicit-def: $sgpr16
	s_waitcnt lgkmcnt(0)
	v_cmp_u_f64_e64 s[4:5], v[2:3], v[2:3]
	v_cmp_o_f64_e64 s[6:7], v[0:1], v[0:1]
	s_and_b64 s[6:7], s[4:5], s[6:7]
	v_cmp_lt_f64_e64 s[4:5], v[0:1], v[2:3]
	s_or_b64 s[4:5], s[6:7], s[4:5]
	s_xor_b64 s[6:7], s[4:5], -1
	s_and_saveexec_b64 s[12:13], s[4:5]
	s_cbranch_execnz .LBB44_98
; %bb.52:
	s_or_b64 exec, exec, s[12:13]
	v_mov_b32_e32 v29, s16
	s_and_saveexec_b64 s[4:5], s[6:7]
	s_cbranch_execnz .LBB44_99
.LBB44_53:
	s_or_b64 exec, exec, s[4:5]
	v_cmp_eq_u32_e64 s[4:5], v29, v28
	s_and_saveexec_b64 s[6:7], s[4:5]
	s_cbranch_execz .LBB44_55
.LBB44_54:
	ds_read2_b64 v[30:33], v20 offset1:2
	ds_read_u8 v29, v17 offset:2
	ds_read_u8 v34, v17
	ds_write2_b64 v16, v[2:3], v[0:1] offset1:2
	s_waitcnt lgkmcnt(3)
	ds_write2_b64 v20, v[32:33], v[30:31] offset1:2
	s_waitcnt lgkmcnt(3)
	ds_write_b8 v17, v29
	s_waitcnt lgkmcnt(3)
	ds_write_b8 v17, v34 offset:2
.LBB44_55:
	s_or_b64 exec, exec, s[6:7]
	s_waitcnt lgkmcnt(0)
	s_barrier
	ds_read_b128 v[0:3], v13
                                        ; implicit-def: $sgpr16
	s_waitcnt lgkmcnt(0)
	v_cmp_u_f64_e64 s[4:5], v[2:3], v[2:3]
	v_cmp_o_f64_e64 s[6:7], v[0:1], v[0:1]
	s_and_b64 s[6:7], s[4:5], s[6:7]
	v_cmp_lt_f64_e64 s[4:5], v[0:1], v[2:3]
	s_or_b64 s[4:5], s[6:7], s[4:5]
	s_xor_b64 s[6:7], s[4:5], -1
	s_and_saveexec_b64 s[12:13], s[4:5]
	s_cbranch_execnz .LBB44_100
; %bb.56:
	s_or_b64 exec, exec, s[12:13]
	v_mov_b32_e32 v29, s16
	s_and_saveexec_b64 s[4:5], s[6:7]
	s_cbranch_execnz .LBB44_101
.LBB44_57:
	s_or_b64 exec, exec, s[4:5]
	v_cmp_eq_u32_e64 s[4:5], v29, v28
	s_and_saveexec_b64 s[6:7], s[4:5]
	s_cbranch_execz .LBB44_59
.LBB44_58:
	v_add_u32_e32 v36, v10, v12
	v_mov_b32_e32 v28, v2
	v_mov_b32_e32 v29, v3
	ds_read_b128 v[32:35], v36
	v_mov_b32_e32 v30, v0
	v_mov_b32_e32 v31, v1
	ds_write_b128 v13, v[28:31]
	ds_read_u16 v28, v14
	s_waitcnt lgkmcnt(2)
	v_mov_b32_e32 v0, v34
	v_mov_b32_e32 v1, v35
	;; [unrolled: 1-line block ×4, first 2 shown]
	s_mov_b32 s4, 0xc0c0001
	ds_write_b128 v36, v[0:3]
	s_waitcnt lgkmcnt(1)
	v_perm_b32 v0, 0, v28, s4
	ds_write_b16 v14, v0
.LBB44_59:
	s_or_b64 exec, exec, s[6:7]
	v_and_b32_e32 v0, 15, v5
	v_sub_u32_e32 v21, v21, v0
	v_lshl_add_u32 v19, v21, 3, v19
	s_waitcnt lgkmcnt(0)
	s_barrier
	ds_read2_b64 v[0:3], v19 offset1:16
	v_add_u32_e32 v18, v18, v21
	s_waitcnt lgkmcnt(0)
	v_cmp_u_f64_e64 s[4:5], v[2:3], v[2:3]
	v_cmp_o_f64_e64 s[6:7], v[0:1], v[0:1]
	s_and_b64 s[6:7], s[4:5], s[6:7]
	v_cmp_lt_f64_e64 s[4:5], v[0:1], v[2:3]
	s_or_b64 s[4:5], s[6:7], s[4:5]
	s_xor_b64 s[12:13], s[4:5], -1
	s_and_saveexec_b64 s[6:7], s[4:5]
	s_cbranch_execz .LBB44_61
; %bb.60:
	ds_read_u8 v28, v18
	s_andn2_b64 s[12:13], s[12:13], exec
	s_waitcnt lgkmcnt(0)
	v_and_b32_e32 v28, 1, v28
	v_cmp_eq_u32_e64 s[4:5], 1, v28
	s_xor_b64 s[4:5], s[4:5], -1
	s_and_b64 s[4:5], s[4:5], exec
	s_or_b64 s[12:13], s[12:13], s[4:5]
.LBB44_61:
	s_or_b64 exec, exec, s[6:7]
	s_and_saveexec_b64 s[6:7], s[12:13]
	s_cbranch_execz .LBB44_64
; %bb.62:
	ds_read_u8 v28, v18 offset:16
	s_waitcnt lgkmcnt(0)
	v_cmp_ne_u16_e64 s[4:5], 0, v28
	s_and_b64 exec, exec, s[4:5]
	s_cbranch_execz .LBB44_64
; %bb.63:
	v_lshl_add_u32 v15, v21, 3, v15
	ds_read2_b64 v[30:33], v15 offset1:16
	ds_read_u8 v21, v18
	ds_write2_b64 v19, v[2:3], v[0:1] offset1:16
	ds_write_b8 v18, v28
	s_waitcnt lgkmcnt(3)
	ds_write2_b64 v15, v[32:33], v[30:31] offset1:16
	s_waitcnt lgkmcnt(3)
	ds_write_b8 v18, v21 offset:16
.LBB44_64:
	s_or_b64 exec, exec, s[6:7]
	s_waitcnt lgkmcnt(0)
	s_barrier
	ds_read2_b64 v[0:3], v25 offset1:8
	s_waitcnt lgkmcnt(0)
	v_cmp_u_f64_e64 s[4:5], v[2:3], v[2:3]
	v_cmp_o_f64_e64 s[6:7], v[0:1], v[0:1]
	s_and_b64 s[6:7], s[4:5], s[6:7]
	v_cmp_lt_f64_e64 s[4:5], v[0:1], v[2:3]
	s_or_b64 s[4:5], s[6:7], s[4:5]
	s_xor_b64 s[12:13], s[4:5], -1
	s_and_saveexec_b64 s[6:7], s[4:5]
	s_cbranch_execz .LBB44_66
; %bb.65:
	ds_read_u8 v15, v26
	s_andn2_b64 s[12:13], s[12:13], exec
	s_waitcnt lgkmcnt(0)
	v_and_b32_e32 v15, 1, v15
	v_cmp_eq_u32_e64 s[4:5], 1, v15
	s_xor_b64 s[4:5], s[4:5], -1
	s_and_b64 s[4:5], s[4:5], exec
	s_or_b64 s[12:13], s[12:13], s[4:5]
.LBB44_66:
	s_or_b64 exec, exec, s[6:7]
	s_and_saveexec_b64 s[6:7], s[12:13]
	s_cbranch_execz .LBB44_69
; %bb.67:
	ds_read_u8 v15, v26 offset:8
	s_waitcnt lgkmcnt(0)
	v_cmp_ne_u16_e64 s[4:5], 0, v15
	s_and_b64 exec, exec, s[4:5]
	s_cbranch_execz .LBB44_69
; %bb.68:
	ds_read2_b64 v[28:31], v27 offset1:8
	ds_read_u8 v18, v26
	ds_write2_b64 v25, v[2:3], v[0:1] offset1:8
	ds_write_b8 v26, v15
	s_waitcnt lgkmcnt(3)
	ds_write2_b64 v27, v[30:31], v[28:29] offset1:8
	s_waitcnt lgkmcnt(3)
	ds_write_b8 v26, v18 offset:8
.LBB44_69:
	s_or_b64 exec, exec, s[6:7]
	s_waitcnt lgkmcnt(0)
	s_barrier
	ds_read2_b64 v[0:3], v22 offset1:4
	s_waitcnt lgkmcnt(0)
	v_cmp_u_f64_e64 s[4:5], v[2:3], v[2:3]
	v_cmp_o_f64_e64 s[6:7], v[0:1], v[0:1]
	s_and_b64 s[6:7], s[4:5], s[6:7]
	v_cmp_lt_f64_e64 s[4:5], v[0:1], v[2:3]
	s_or_b64 s[4:5], s[6:7], s[4:5]
	s_xor_b64 s[12:13], s[4:5], -1
	s_and_saveexec_b64 s[6:7], s[4:5]
	s_cbranch_execz .LBB44_71
; %bb.70:
	ds_read_u8 v15, v23
	s_andn2_b64 s[12:13], s[12:13], exec
	s_waitcnt lgkmcnt(0)
	v_and_b32_e32 v15, 1, v15
	v_cmp_eq_u32_e64 s[4:5], 1, v15
	s_xor_b64 s[4:5], s[4:5], -1
	s_and_b64 s[4:5], s[4:5], exec
	s_or_b64 s[12:13], s[12:13], s[4:5]
.LBB44_71:
	s_or_b64 exec, exec, s[6:7]
	s_and_saveexec_b64 s[6:7], s[12:13]
	s_cbranch_execz .LBB44_74
; %bb.72:
	ds_read_u8 v15, v23 offset:4
	s_waitcnt lgkmcnt(0)
	v_cmp_ne_u16_e64 s[4:5], 0, v15
	s_and_b64 exec, exec, s[4:5]
	s_cbranch_execz .LBB44_74
; %bb.73:
	ds_read2_b64 v[26:29], v24 offset1:4
	ds_read_u8 v18, v23
	ds_write2_b64 v22, v[2:3], v[0:1] offset1:4
	ds_write_b8 v23, v15
	s_waitcnt lgkmcnt(3)
	ds_write2_b64 v24, v[28:29], v[26:27] offset1:4
	s_waitcnt lgkmcnt(3)
	ds_write_b8 v23, v18 offset:4
.LBB44_74:
	s_or_b64 exec, exec, s[6:7]
	s_waitcnt lgkmcnt(0)
	s_barrier
	ds_read2_b64 v[0:3], v16 offset1:2
	s_waitcnt lgkmcnt(0)
	v_cmp_u_f64_e64 s[4:5], v[2:3], v[2:3]
	v_cmp_o_f64_e64 s[6:7], v[0:1], v[0:1]
	s_and_b64 s[6:7], s[4:5], s[6:7]
	v_cmp_lt_f64_e64 s[4:5], v[0:1], v[2:3]
	s_or_b64 s[4:5], s[6:7], s[4:5]
	s_xor_b64 s[12:13], s[4:5], -1
	s_and_saveexec_b64 s[6:7], s[4:5]
	s_cbranch_execz .LBB44_76
; %bb.75:
	ds_read_u8 v15, v17
	s_andn2_b64 s[12:13], s[12:13], exec
	s_waitcnt lgkmcnt(0)
	v_and_b32_e32 v15, 1, v15
	v_cmp_eq_u32_e64 s[4:5], 1, v15
	s_xor_b64 s[4:5], s[4:5], -1
	s_and_b64 s[4:5], s[4:5], exec
	s_or_b64 s[12:13], s[12:13], s[4:5]
.LBB44_76:
	s_or_b64 exec, exec, s[6:7]
	s_and_saveexec_b64 s[6:7], s[12:13]
	s_cbranch_execz .LBB44_79
; %bb.77:
	ds_read_u8 v15, v17 offset:2
	s_waitcnt lgkmcnt(0)
	v_cmp_ne_u16_e64 s[4:5], 0, v15
	s_and_b64 exec, exec, s[4:5]
	s_cbranch_execz .LBB44_79
; %bb.78:
	ds_read2_b64 v[22:25], v20 offset1:2
	ds_read_u8 v18, v17
	ds_write2_b64 v16, v[2:3], v[0:1] offset1:2
	ds_write_b8 v17, v15
	s_waitcnt lgkmcnt(3)
	ds_write2_b64 v20, v[24:25], v[22:23] offset1:2
	s_waitcnt lgkmcnt(3)
	ds_write_b8 v17, v18 offset:2
.LBB44_79:
	s_or_b64 exec, exec, s[6:7]
	s_waitcnt lgkmcnt(0)
	s_barrier
	ds_read_b128 v[0:3], v13
	s_waitcnt lgkmcnt(0)
	v_cmp_u_f64_e64 s[4:5], v[2:3], v[2:3]
	v_cmp_o_f64_e64 s[6:7], v[0:1], v[0:1]
	s_and_b64 s[6:7], s[4:5], s[6:7]
	v_cmp_lt_f64_e64 s[4:5], v[0:1], v[2:3]
	s_or_b64 s[4:5], s[6:7], s[4:5]
	s_xor_b64 s[12:13], s[4:5], -1
	s_and_saveexec_b64 s[6:7], s[4:5]
	s_cbranch_execz .LBB44_81
; %bb.80:
	ds_read_u8 v15, v14
	s_andn2_b64 s[12:13], s[12:13], exec
	s_waitcnt lgkmcnt(0)
	v_and_b32_e32 v15, 1, v15
	v_cmp_eq_u32_e64 s[4:5], 1, v15
	s_xor_b64 s[4:5], s[4:5], -1
	s_and_b64 s[4:5], s[4:5], exec
	s_or_b64 s[12:13], s[12:13], s[4:5]
.LBB44_81:
	s_or_b64 exec, exec, s[6:7]
	s_and_saveexec_b64 s[6:7], s[12:13]
	s_cbranch_execz .LBB44_84
; %bb.82:
	ds_read_u8 v15, v14 offset:1
	s_waitcnt lgkmcnt(0)
	v_cmp_ne_u16_e64 s[4:5], 0, v15
	s_and_b64 exec, exec, s[4:5]
	s_cbranch_execz .LBB44_84
; %bb.83:
	v_add_u32_e32 v12, v10, v12
	v_mov_b32_e32 v16, v2
	v_mov_b32_e32 v17, v3
	ds_read_b128 v[20:23], v12
	v_mov_b32_e32 v18, v0
	v_mov_b32_e32 v19, v1
	ds_write_b128 v13, v[16:19]
	ds_read_u8 v13, v14
	s_waitcnt lgkmcnt(2)
	v_mov_b32_e32 v0, v22
	v_mov_b32_e32 v1, v23
	v_mov_b32_e32 v2, v20
	v_mov_b32_e32 v3, v21
	ds_write_b128 v12, v[0:3]
	s_waitcnt lgkmcnt(1)
	v_lshlrev_b16_e32 v0, 8, v13
	v_or_b32_e32 v0, v15, v0
	ds_write_b16 v14, v0
.LBB44_84:
	s_or_b64 exec, exec, s[6:7]
	s_waitcnt lgkmcnt(0)
	s_barrier
	s_and_saveexec_b64 s[4:5], vcc
	s_cbranch_execz .LBB44_89
; %bb.85:
	s_and_saveexec_b64 s[4:5], s[0:1]
	s_cbranch_execz .LBB44_87
; %bb.86:
	ds_read_b64 v[0:1], v11
	v_mad_u64_u32 v[2:3], s[0:1], v5, s14, v[6:7]
	v_mov_b32_e32 v3, 0
	v_lshlrev_b64 v[12:13], 3, v[2:3]
	v_mov_b32_e32 v2, s11
	v_add_co_u32_e32 v12, vcc, s10, v12
	v_addc_co_u32_e32 v13, vcc, v2, v13, vcc
	ds_read_b64 v[10:11], v10
	s_waitcnt lgkmcnt(1)
	global_store_dwordx2 v[12:13], v[0:1], off
	v_mad_u64_u32 v[0:1], s[0:1], v5, s15, v[4:5]
	v_mov_b32_e32 v1, v3
	v_lshlrev_b64 v[0:1], 3, v[0:1]
	v_mov_b32_e32 v2, s9
	v_add_co_u32_e32 v0, vcc, s8, v0
	v_addc_co_u32_e32 v1, vcc, v2, v1, vcc
	s_waitcnt lgkmcnt(0)
	global_store_dwordx2 v[0:1], v[10:11], off
.LBB44_87:
	s_or_b64 exec, exec, s[4:5]
	s_and_b64 exec, exec, s[2:3]
	s_cbranch_execz .LBB44_89
; %bb.88:
	ds_read_b64 v[0:1], v9
	v_mad_u64_u32 v[2:3], s[0:1], v7, s14, v[6:7]
	v_mov_b32_e32 v3, 0
	v_lshlrev_b64 v[10:11], 3, v[2:3]
	v_mov_b32_e32 v2, s11
	v_add_co_u32_e32 v10, vcc, s10, v10
	v_addc_co_u32_e32 v11, vcc, v2, v11, vcc
	ds_read_b64 v[8:9], v8
	s_waitcnt lgkmcnt(1)
	global_store_dwordx2 v[10:11], v[0:1], off
	v_mad_u64_u32 v[0:1], s[0:1], v7, s15, v[4:5]
	v_mov_b32_e32 v1, v3
	v_lshlrev_b64 v[0:1], 3, v[0:1]
	v_mov_b32_e32 v2, s9
	v_add_co_u32_e32 v0, vcc, s8, v0
	v_addc_co_u32_e32 v1, vcc, v2, v1, vcc
	s_waitcnt lgkmcnt(0)
	global_store_dwordx2 v[0:1], v[8:9], off
.LBB44_89:
	s_endpgm
.LBB44_90:
	ds_read_u8 v23, v14
	s_andn2_b64 s[6:7], s[6:7], exec
	s_mov_b32 s16, 1
	s_waitcnt lgkmcnt(0)
	v_and_b32_e32 v23, 1, v23
	v_cmp_eq_u32_e64 s[4:5], 1, v23
	s_xor_b64 s[4:5], s[4:5], -1
	s_and_b64 s[4:5], s[4:5], exec
	s_or_b64 s[6:7], s[6:7], s[4:5]
	s_or_b64 exec, exec, s[12:13]
	v_mov_b32_e32 v23, s16
	s_and_saveexec_b64 s[4:5], s[6:7]
	s_cbranch_execz .LBB44_25
.LBB44_91:
	ds_read_u8 v23, v14 offset:1
	s_waitcnt lgkmcnt(0)
	v_xor_b32_e32 v23, 1, v23
	s_or_b64 exec, exec, s[4:5]
	v_cmp_eq_u32_e64 s[4:5], v23, v22
	s_and_saveexec_b64 s[6:7], s[4:5]
	s_cbranch_execnz .LBB44_26
	s_branch .LBB44_27
.LBB44_92:
	ds_read_u8 v26, v17
	s_andn2_b64 s[6:7], s[6:7], exec
	s_mov_b32 s16, 1
	s_waitcnt lgkmcnt(0)
	v_and_b32_e32 v26, 1, v26
	v_cmp_eq_u32_e64 s[4:5], 1, v26
	s_xor_b64 s[4:5], s[4:5], -1
	s_and_b64 s[4:5], s[4:5], exec
	s_or_b64 s[6:7], s[6:7], s[4:5]
	s_or_b64 exec, exec, s[12:13]
	v_mov_b32_e32 v26, s16
	s_and_saveexec_b64 s[4:5], s[6:7]
	s_cbranch_execz .LBB44_35
.LBB44_93:
	ds_read_u8 v26, v17 offset:2
	s_waitcnt lgkmcnt(0)
	v_xor_b32_e32 v26, 1, v26
	s_or_b64 exec, exec, s[4:5]
	v_cmp_eq_u32_e64 s[4:5], v26, v25
	s_and_saveexec_b64 s[6:7], s[4:5]
	s_cbranch_execnz .LBB44_36
	s_branch .LBB44_37
.LBB44_94:
	ds_read_u8 v26, v14
	s_andn2_b64 s[6:7], s[6:7], exec
	s_mov_b32 s16, 1
	s_waitcnt lgkmcnt(0)
	v_and_b32_e32 v26, 1, v26
	v_cmp_eq_u32_e64 s[4:5], 1, v26
	s_xor_b64 s[4:5], s[4:5], -1
	s_and_b64 s[4:5], s[4:5], exec
	s_or_b64 s[6:7], s[6:7], s[4:5]
	s_or_b64 exec, exec, s[12:13]
	v_mov_b32_e32 v26, s16
	s_and_saveexec_b64 s[4:5], s[6:7]
	s_cbranch_execz .LBB44_39
.LBB44_95:
	ds_read_u8 v26, v14 offset:1
	s_waitcnt lgkmcnt(0)
	v_xor_b32_e32 v26, 1, v26
	s_or_b64 exec, exec, s[4:5]
	v_cmp_eq_u32_e64 s[4:5], v26, v25
	s_and_saveexec_b64 s[6:7], s[4:5]
	s_cbranch_execnz .LBB44_40
	s_branch .LBB44_41
.LBB44_96:
	ds_read_u8 v29, v23
	s_andn2_b64 s[6:7], s[6:7], exec
	s_mov_b32 s16, 1
	s_waitcnt lgkmcnt(0)
	v_and_b32_e32 v29, 1, v29
	v_cmp_eq_u32_e64 s[4:5], 1, v29
	s_xor_b64 s[4:5], s[4:5], -1
	s_and_b64 s[4:5], s[4:5], exec
	s_or_b64 s[6:7], s[6:7], s[4:5]
	s_or_b64 exec, exec, s[12:13]
	v_mov_b32_e32 v29, s16
	s_and_saveexec_b64 s[4:5], s[6:7]
	s_cbranch_execz .LBB44_49
.LBB44_97:
	ds_read_u8 v29, v23 offset:4
	s_waitcnt lgkmcnt(0)
	v_xor_b32_e32 v29, 1, v29
	s_or_b64 exec, exec, s[4:5]
	v_cmp_eq_u32_e64 s[4:5], v29, v28
	s_and_saveexec_b64 s[6:7], s[4:5]
	s_cbranch_execnz .LBB44_50
	s_branch .LBB44_51
.LBB44_98:
	ds_read_u8 v29, v17
	s_andn2_b64 s[6:7], s[6:7], exec
	s_mov_b32 s16, 1
	s_waitcnt lgkmcnt(0)
	v_and_b32_e32 v29, 1, v29
	v_cmp_eq_u32_e64 s[4:5], 1, v29
	s_xor_b64 s[4:5], s[4:5], -1
	s_and_b64 s[4:5], s[4:5], exec
	s_or_b64 s[6:7], s[6:7], s[4:5]
	s_or_b64 exec, exec, s[12:13]
	v_mov_b32_e32 v29, s16
	s_and_saveexec_b64 s[4:5], s[6:7]
	s_cbranch_execz .LBB44_53
.LBB44_99:
	ds_read_u8 v29, v17 offset:2
	s_waitcnt lgkmcnt(0)
	v_xor_b32_e32 v29, 1, v29
	s_or_b64 exec, exec, s[4:5]
	v_cmp_eq_u32_e64 s[4:5], v29, v28
	s_and_saveexec_b64 s[6:7], s[4:5]
	s_cbranch_execnz .LBB44_54
	s_branch .LBB44_55
.LBB44_100:
	ds_read_u8 v29, v14
	s_andn2_b64 s[6:7], s[6:7], exec
	s_mov_b32 s16, 1
	s_waitcnt lgkmcnt(0)
	v_and_b32_e32 v29, 1, v29
	v_cmp_eq_u32_e64 s[4:5], 1, v29
	s_xor_b64 s[4:5], s[4:5], -1
	s_and_b64 s[4:5], s[4:5], exec
	s_or_b64 s[6:7], s[6:7], s[4:5]
	s_or_b64 exec, exec, s[12:13]
	v_mov_b32_e32 v29, s16
	s_and_saveexec_b64 s[4:5], s[6:7]
	s_cbranch_execz .LBB44_57
.LBB44_101:
	ds_read_u8 v29, v14 offset:1
	s_waitcnt lgkmcnt(0)
	v_xor_b32_e32 v29, 1, v29
	s_or_b64 exec, exec, s[4:5]
	v_cmp_eq_u32_e64 s[4:5], v29, v28
	s_and_saveexec_b64 s[6:7], s[4:5]
	s_cbranch_execnz .LBB44_58
	s_branch .LBB44_59
	.section	.rodata,"a",@progbits
	.p2align	6, 0x0
	.amdhsa_kernel _ZN2at6native20bitonicSortKVInPlaceILin1ELin1ELi16ELi16EdlNS0_4LTOpIdLb1EEEjEEvNS_4cuda6detail10TensorInfoIT3_T6_EES8_S8_S8_NS6_IT4_S8_EES8_T5_
		.amdhsa_group_segment_fixed_size 8704
		.amdhsa_private_segment_fixed_size 0
		.amdhsa_kernarg_size 712
		.amdhsa_user_sgpr_count 6
		.amdhsa_user_sgpr_private_segment_buffer 1
		.amdhsa_user_sgpr_dispatch_ptr 0
		.amdhsa_user_sgpr_queue_ptr 0
		.amdhsa_user_sgpr_kernarg_segment_ptr 1
		.amdhsa_user_sgpr_dispatch_id 0
		.amdhsa_user_sgpr_flat_scratch_init 0
		.amdhsa_user_sgpr_kernarg_preload_length 0
		.amdhsa_user_sgpr_kernarg_preload_offset 0
		.amdhsa_user_sgpr_private_segment_size 0
		.amdhsa_uses_dynamic_stack 0
		.amdhsa_system_sgpr_private_segment_wavefront_offset 0
		.amdhsa_system_sgpr_workgroup_id_x 1
		.amdhsa_system_sgpr_workgroup_id_y 1
		.amdhsa_system_sgpr_workgroup_id_z 1
		.amdhsa_system_sgpr_workgroup_info 0
		.amdhsa_system_vgpr_workitem_id 1
		.amdhsa_next_free_vgpr 37
		.amdhsa_next_free_sgpr 18
		.amdhsa_accum_offset 40
		.amdhsa_reserve_vcc 1
		.amdhsa_reserve_flat_scratch 0
		.amdhsa_float_round_mode_32 0
		.amdhsa_float_round_mode_16_64 0
		.amdhsa_float_denorm_mode_32 3
		.amdhsa_float_denorm_mode_16_64 3
		.amdhsa_dx10_clamp 1
		.amdhsa_ieee_mode 1
		.amdhsa_fp16_overflow 0
		.amdhsa_tg_split 0
		.amdhsa_exception_fp_ieee_invalid_op 0
		.amdhsa_exception_fp_denorm_src 0
		.amdhsa_exception_fp_ieee_div_zero 0
		.amdhsa_exception_fp_ieee_overflow 0
		.amdhsa_exception_fp_ieee_underflow 0
		.amdhsa_exception_fp_ieee_inexact 0
		.amdhsa_exception_int_div_zero 0
	.end_amdhsa_kernel
	.section	.text._ZN2at6native20bitonicSortKVInPlaceILin1ELin1ELi16ELi16EdlNS0_4LTOpIdLb1EEEjEEvNS_4cuda6detail10TensorInfoIT3_T6_EES8_S8_S8_NS6_IT4_S8_EES8_T5_,"axG",@progbits,_ZN2at6native20bitonicSortKVInPlaceILin1ELin1ELi16ELi16EdlNS0_4LTOpIdLb1EEEjEEvNS_4cuda6detail10TensorInfoIT3_T6_EES8_S8_S8_NS6_IT4_S8_EES8_T5_,comdat
.Lfunc_end44:
	.size	_ZN2at6native20bitonicSortKVInPlaceILin1ELin1ELi16ELi16EdlNS0_4LTOpIdLb1EEEjEEvNS_4cuda6detail10TensorInfoIT3_T6_EES8_S8_S8_NS6_IT4_S8_EES8_T5_, .Lfunc_end44-_ZN2at6native20bitonicSortKVInPlaceILin1ELin1ELi16ELi16EdlNS0_4LTOpIdLb1EEEjEEvNS_4cuda6detail10TensorInfoIT3_T6_EES8_S8_S8_NS6_IT4_S8_EES8_T5_
                                        ; -- End function
	.section	.AMDGPU.csdata,"",@progbits
; Kernel info:
; codeLenInByte = 5200
; NumSgprs: 22
; NumVgprs: 37
; NumAgprs: 0
; TotalNumVgprs: 37
; ScratchSize: 0
; MemoryBound: 0
; FloatMode: 240
; IeeeMode: 1
; LDSByteSize: 8704 bytes/workgroup (compile time only)
; SGPRBlocks: 2
; VGPRBlocks: 4
; NumSGPRsForWavesPerEU: 22
; NumVGPRsForWavesPerEU: 37
; AccumOffset: 40
; Occupancy: 7
; WaveLimiterHint : 1
; COMPUTE_PGM_RSRC2:SCRATCH_EN: 0
; COMPUTE_PGM_RSRC2:USER_SGPR: 6
; COMPUTE_PGM_RSRC2:TRAP_HANDLER: 0
; COMPUTE_PGM_RSRC2:TGID_X_EN: 1
; COMPUTE_PGM_RSRC2:TGID_Y_EN: 1
; COMPUTE_PGM_RSRC2:TGID_Z_EN: 1
; COMPUTE_PGM_RSRC2:TIDIG_COMP_CNT: 1
; COMPUTE_PGM_RSRC3_GFX90A:ACCUM_OFFSET: 9
; COMPUTE_PGM_RSRC3_GFX90A:TG_SPLIT: 0
	.section	.text._ZN2at6native20bitonicSortKVInPlaceILin1ELin1ELi16ELi16EdlNS0_4GTOpIdLb1EEEjEEvNS_4cuda6detail10TensorInfoIT3_T6_EES8_S8_S8_NS6_IT4_S8_EES8_T5_,"axG",@progbits,_ZN2at6native20bitonicSortKVInPlaceILin1ELin1ELi16ELi16EdlNS0_4GTOpIdLb1EEEjEEvNS_4cuda6detail10TensorInfoIT3_T6_EES8_S8_S8_NS6_IT4_S8_EES8_T5_,comdat
	.protected	_ZN2at6native20bitonicSortKVInPlaceILin1ELin1ELi16ELi16EdlNS0_4GTOpIdLb1EEEjEEvNS_4cuda6detail10TensorInfoIT3_T6_EES8_S8_S8_NS6_IT4_S8_EES8_T5_ ; -- Begin function _ZN2at6native20bitonicSortKVInPlaceILin1ELin1ELi16ELi16EdlNS0_4GTOpIdLb1EEEjEEvNS_4cuda6detail10TensorInfoIT3_T6_EES8_S8_S8_NS6_IT4_S8_EES8_T5_
	.globl	_ZN2at6native20bitonicSortKVInPlaceILin1ELin1ELi16ELi16EdlNS0_4GTOpIdLb1EEEjEEvNS_4cuda6detail10TensorInfoIT3_T6_EES8_S8_S8_NS6_IT4_S8_EES8_T5_
	.p2align	8
	.type	_ZN2at6native20bitonicSortKVInPlaceILin1ELin1ELi16ELi16EdlNS0_4GTOpIdLb1EEEjEEvNS_4cuda6detail10TensorInfoIT3_T6_EES8_S8_S8_NS6_IT4_S8_EES8_T5_,@function
_ZN2at6native20bitonicSortKVInPlaceILin1ELin1ELi16ELi16EdlNS0_4GTOpIdLb1EEEjEEvNS_4cuda6detail10TensorInfoIT3_T6_EES8_S8_S8_NS6_IT4_S8_EES8_T5_: ; @_ZN2at6native20bitonicSortKVInPlaceILin1ELin1ELi16ELi16EdlNS0_4GTOpIdLb1EEEjEEvNS_4cuda6detail10TensorInfoIT3_T6_EES8_S8_S8_NS6_IT4_S8_EES8_T5_
; %bb.0:
	s_load_dwordx2 s[2:3], s[4:5], 0x1c8
	s_load_dwordx4 s[12:15], s[4:5], 0xd8
	s_load_dword s9, s[4:5], 0x1d4
	s_add_u32 s0, s4, 0x1c8
	s_addc_u32 s1, s5, 0
	s_waitcnt lgkmcnt(0)
	s_mul_i32 s3, s3, s8
	s_add_i32 s3, s3, s7
	s_mul_i32 s2, s3, s2
	s_add_i32 s3, s2, s6
	s_lshr_b32 s2, s9, 16
	s_mul_i32 s3, s3, s2
	s_cmp_ge_u32 s3, s12
	s_cbranch_scc1 .LBB45_89
; %bb.1:
	s_load_dword s2, s[4:5], 0xd0
	v_bfe_u32 v10, v0, 10, 10
	v_add_u32_e32 v1, s3, v10
	v_mov_b32_e32 v2, 0
	v_mov_b32_e32 v6, v1
	s_waitcnt lgkmcnt(0)
	s_cmp_lt_i32 s2, 2
	s_cbranch_scc1 .LBB45_4
; %bb.2:
	s_add_i32 s6, s2, 1
	s_add_i32 s2, s2, -1
	s_mov_b32 s3, 0
	s_lshl_b64 s[2:3], s[2:3], 2
	s_add_u32 s2, s2, s4
	s_addc_u32 s3, s3, s5
	s_add_u32 s2, s2, 8
	s_addc_u32 s3, s3, 0
	v_mov_b32_e32 v2, 0
	v_mov_b32_e32 v6, v1
.LBB45_3:                               ; =>This Inner Loop Header: Depth=1
	s_load_dword s7, s[2:3], 0x0
	s_load_dword s8, s[2:3], 0x64
	v_mov_b32_e32 v3, v6
	s_add_i32 s6, s6, -1
	s_waitcnt lgkmcnt(0)
	v_cvt_f32_u32_e32 v4, s7
	s_sub_i32 s9, 0, s7
	s_add_u32 s2, s2, -4
	s_addc_u32 s3, s3, -1
	v_rcp_iflag_f32_e32 v4, v4
	s_cmp_gt_u32 s6, 2
	v_mul_f32_e32 v4, 0x4f7ffffe, v4
	v_cvt_u32_f32_e32 v4, v4
	v_mul_lo_u32 v5, s9, v4
	v_mul_hi_u32 v5, v4, v5
	v_add_u32_e32 v4, v4, v5
	v_mul_hi_u32 v4, v3, v4
	v_mul_lo_u32 v5, v4, s7
	v_sub_u32_e32 v5, v3, v5
	v_add_u32_e32 v6, 1, v4
	v_cmp_le_u32_e32 vcc, s7, v5
	v_cndmask_b32_e32 v4, v4, v6, vcc
	v_subrev_u32_e32 v6, s7, v5
	v_cndmask_b32_e32 v5, v5, v6, vcc
	v_add_u32_e32 v6, 1, v4
	v_cmp_le_u32_e32 vcc, s7, v5
	v_cndmask_b32_e32 v6, v4, v6, vcc
	v_mul_lo_u32 v4, v6, s7
	v_sub_u32_e32 v3, v3, v4
	v_mad_u64_u32 v[2:3], s[8:9], s8, v3, v[2:3]
	s_cbranch_scc1 .LBB45_3
.LBB45_4:
	s_load_dword s2, s[4:5], 0x1b8
	v_mov_b32_e32 v4, 0
	v_mov_b32_e32 v3, v1
	s_waitcnt lgkmcnt(0)
	s_cmp_lt_i32 s2, 2
	s_cbranch_scc1 .LBB45_7
; %bb.5:
	s_add_i32 s6, s2, 1
	s_add_i32 s2, s2, -1
	s_mov_b32 s3, 0
	s_lshl_b64 s[2:3], s[2:3], 2
	s_add_u32 s2, s2, s4
	s_addc_u32 s3, s3, s5
	s_add_u32 s2, s2, 0xf0
	s_addc_u32 s3, s3, 0
	v_mov_b32_e32 v4, 0
	v_mov_b32_e32 v3, v1
.LBB45_6:                               ; =>This Inner Loop Header: Depth=1
	s_load_dword s7, s[2:3], 0x0
	s_load_dword s8, s[2:3], 0x64
	v_mov_b32_e32 v5, v3
	s_add_i32 s6, s6, -1
	s_waitcnt lgkmcnt(0)
	v_cvt_f32_u32_e32 v3, s7
	s_sub_i32 s9, 0, s7
	s_add_u32 s2, s2, -4
	s_addc_u32 s3, s3, -1
	v_rcp_iflag_f32_e32 v3, v3
	s_cmp_gt_u32 s6, 2
	v_mul_f32_e32 v3, 0x4f7ffffe, v3
	v_cvt_u32_f32_e32 v3, v3
	v_mul_lo_u32 v7, s9, v3
	v_mul_hi_u32 v7, v3, v7
	v_add_u32_e32 v3, v3, v7
	v_mul_hi_u32 v3, v5, v3
	v_mul_lo_u32 v7, v3, s7
	v_sub_u32_e32 v7, v5, v7
	v_add_u32_e32 v8, 1, v3
	v_cmp_le_u32_e32 vcc, s7, v7
	v_cndmask_b32_e32 v3, v3, v8, vcc
	v_subrev_u32_e32 v8, s7, v7
	v_cndmask_b32_e32 v7, v7, v8, vcc
	v_add_u32_e32 v8, 1, v3
	v_cmp_le_u32_e32 vcc, s7, v7
	v_cndmask_b32_e32 v3, v3, v8, vcc
	v_mul_lo_u32 v7, v3, s7
	v_sub_u32_e32 v5, v5, v7
	v_mad_u64_u32 v[4:5], s[8:9], s8, v5, v[4:5]
	s_cbranch_scc1 .LBB45_6
.LBB45_7:
	s_load_dword s2, s[4:5], 0x6c
	v_cmp_gt_u32_e32 vcc, s12, v1
	s_waitcnt lgkmcnt(0)
	v_mad_u64_u32 v[6:7], s[2:3], s2, v6, v[2:3]
	s_load_dword s15, s[4:5], 0x1c0
	s_load_dword s2, s[4:5], 0x154
	s_load_dwordx2 s[10:11], s[4:5], 0x0
	s_load_dwordx2 s[8:9], s[4:5], 0xe8
	s_load_dword s12, s[0:1], 0xc
	s_waitcnt lgkmcnt(0)
	v_mad_u64_u32 v[4:5], s[2:3], s2, v3, v[4:5]
	v_and_b32_e32 v5, 0x3ff, v0
	v_cmp_gt_u32_e64 s[0:1], s13, v5
	v_pk_mov_b32 v[0:1], 0, 0
	s_and_b64 s[4:5], vcc, s[0:1]
	v_pk_mov_b32 v[2:3], 0, 0
	v_pk_mov_b32 v[8:9], v[0:1], v[0:1] op_sel:[0,1]
	s_and_saveexec_b64 s[6:7], s[4:5]
	s_cbranch_execz .LBB45_9
; %bb.8:
	v_mad_u64_u32 v[8:9], s[2:3], v5, s14, v[6:7]
	v_mov_b32_e32 v9, 0
	v_lshlrev_b64 v[2:3], 3, v[8:9]
	v_mov_b32_e32 v7, s11
	v_add_co_u32_e64 v2, s[2:3], s10, v2
	v_addc_co_u32_e64 v3, s[2:3], v7, v3, s[2:3]
	v_mad_u64_u32 v[12:13], s[2:3], v5, s15, v[4:5]
	v_mov_b32_e32 v13, v9
	v_lshlrev_b64 v[8:9], 3, v[12:13]
	v_mov_b32_e32 v7, s9
	v_add_co_u32_e64 v8, s[2:3], s8, v8
	v_addc_co_u32_e64 v9, s[2:3], v7, v9, s[2:3]
	global_load_dwordx2 v[2:3], v[2:3], off
	s_nop 0
	global_load_dwordx2 v[8:9], v[8:9], off
.LBB45_9:
	s_or_b64 exec, exec, s[6:7]
	v_lshlrev_b32_e32 v19, 8, v10
	v_mov_b32_e32 v11, 0x2000
	v_lshlrev_b32_e32 v12, 3, v5
	v_lshl_add_u32 v18, v10, 5, v11
	v_add_u32_e32 v11, v19, v12
	s_and_b32 s16, 0xffff, s12
	v_cndmask_b32_e64 v7, 0, 1, s[4:5]
	s_waitcnt vmcnt(1)
	ds_write_b64 v11, v[2:3]
	v_add_u32_e32 v2, v18, v5
	ds_write_b8 v2, v7
	v_add_u32_e32 v7, s16, v5
	v_add_u32_e32 v15, 0x1000, v19
	v_cmp_gt_u32_e64 s[2:3], s13, v7
	v_add_u32_e32 v10, v15, v12
	s_and_b64 s[6:7], vcc, s[2:3]
	v_pk_mov_b32 v[2:3], v[0:1], v[0:1] op_sel:[0,1]
	s_waitcnt vmcnt(0)
	ds_write_b64 v10, v[8:9]
	s_and_saveexec_b64 s[12:13], s[6:7]
	s_cbranch_execz .LBB45_11
; %bb.10:
	v_mad_u64_u32 v[2:3], s[4:5], v7, s14, v[6:7]
	v_mov_b32_e32 v3, 0
	v_lshlrev_b64 v[0:1], 3, v[2:3]
	v_mov_b32_e32 v2, s11
	v_add_co_u32_e64 v0, s[4:5], s10, v0
	v_addc_co_u32_e64 v1, s[4:5], v2, v1, s[4:5]
	v_mad_u64_u32 v[8:9], s[4:5], v7, s15, v[4:5]
	v_mov_b32_e32 v9, v3
	v_lshlrev_b64 v[2:3], 3, v[8:9]
	v_mov_b32_e32 v8, s9
	v_add_co_u32_e64 v2, s[4:5], s8, v2
	v_addc_co_u32_e64 v3, s[4:5], v8, v3, s[4:5]
	global_load_dwordx2 v[0:1], v[0:1], off
	s_nop 0
	global_load_dwordx2 v[2:3], v[2:3], off
.LBB45_11:
	s_or_b64 exec, exec, s[12:13]
	s_lshl_b32 s4, s16, 3
	v_add_u32_e32 v9, s4, v11
	v_cndmask_b32_e64 v13, 0, 1, s[6:7]
	s_waitcnt vmcnt(1)
	ds_write_b64 v9, v[0:1]
	v_add_u32_e32 v0, v18, v7
	v_add_u32_e32 v8, s4, v10
	ds_write_b8 v0, v13
	v_add_u32_e32 v13, v11, v12
	s_waitcnt vmcnt(0)
	ds_write_b64 v8, v[2:3]
	s_waitcnt lgkmcnt(0)
	s_barrier
	ds_read_b128 v[0:3], v13
	v_lshlrev_b32_e32 v21, 1, v5
	s_mov_b32 s16, 1
	v_add_u32_e32 v14, v18, v21
	s_waitcnt lgkmcnt(0)
	v_cmp_u_f64_e64 s[4:5], v[0:1], v[0:1]
	v_cmp_o_f64_e64 s[6:7], v[2:3], v[2:3]
	s_and_b64 s[6:7], s[4:5], s[6:7]
	v_cmp_gt_f64_e64 s[4:5], v[0:1], v[2:3]
	s_or_b64 s[4:5], s[6:7], s[4:5]
	s_xor_b64 s[6:7], s[4:5], -1
	s_and_saveexec_b64 s[12:13], s[4:5]
	s_xor_b64 s[12:13], exec, s[12:13]
	s_cbranch_execz .LBB45_13
; %bb.12:
	ds_read_u8 v16, v14
	s_andn2_b64 s[6:7], s[6:7], exec
	s_waitcnt lgkmcnt(0)
	v_and_b32_e32 v16, 1, v16
	v_cmp_eq_u32_e64 s[4:5], 1, v16
	s_xor_b64 s[4:5], s[4:5], -1
	s_and_b64 s[4:5], s[4:5], exec
	s_or_b64 s[6:7], s[6:7], s[4:5]
.LBB45_13:
	s_or_b64 exec, exec, s[12:13]
	v_mov_b32_e32 v17, s16
	s_and_saveexec_b64 s[4:5], s[6:7]
	s_cbranch_execz .LBB45_15
; %bb.14:
	ds_read_u8 v16, v14 offset:1
	s_waitcnt lgkmcnt(0)
	v_xor_b32_e32 v17, 1, v16
.LBB45_15:
	s_or_b64 exec, exec, s[4:5]
	v_and_b32_e32 v16, 1, v5
	v_cmp_eq_u32_e64 s[4:5], v17, v16
	s_and_saveexec_b64 s[6:7], s[4:5]
	s_cbranch_execz .LBB45_17
; %bb.16:
	v_add_u32_e32 v17, v10, v12
	ds_read_b128 v[26:29], v17
	ds_read_u16 v20, v14
	v_mov_b32_e32 v22, v2
	v_mov_b32_e32 v23, v3
	;; [unrolled: 1-line block ×4, first 2 shown]
	s_waitcnt lgkmcnt(1)
	v_mov_b32_e32 v0, v28
	v_mov_b32_e32 v1, v29
	;; [unrolled: 1-line block ×4, first 2 shown]
	s_mov_b32 s4, 0xc0c0001
	ds_write_b128 v17, v[0:3]
	s_waitcnt lgkmcnt(1)
	v_perm_b32 v0, 0, v20, s4
	ds_write_b128 v13, v[22:25]
	ds_write_b16 v14, v0
.LBB45_17:
	s_or_b64 exec, exec, s[6:7]
	v_sub_u32_e32 v20, v21, v16
	v_lshl_add_u32 v16, v20, 3, v19
	s_waitcnt lgkmcnt(0)
	s_barrier
	ds_read2_b64 v[0:3], v16 offset1:2
	v_add_u32_e32 v17, v18, v20
                                        ; implicit-def: $sgpr12
	s_waitcnt lgkmcnt(0)
	v_cmp_u_f64_e64 s[4:5], v[0:1], v[0:1]
	v_cmp_o_f64_e64 s[6:7], v[2:3], v[2:3]
	s_and_b64 s[6:7], s[4:5], s[6:7]
	v_cmp_gt_f64_e64 s[4:5], v[0:1], v[2:3]
	s_or_b64 s[6:7], s[6:7], s[4:5]
	s_mov_b64 s[4:5], -1
	s_and_saveexec_b64 s[16:17], s[6:7]
	s_xor_b64 s[6:7], exec, s[16:17]
	s_cbranch_execz .LBB45_19
; %bb.18:
	ds_read_u8 v22, v17
	s_mov_b32 s12, 1
	s_waitcnt lgkmcnt(0)
	v_and_b32_e32 v22, 1, v22
	v_cmp_eq_u32_e64 s[4:5], 1, v22
	s_xor_b64 s[4:5], s[4:5], -1
	s_orn2_b64 s[4:5], s[4:5], exec
.LBB45_19:
	s_or_b64 exec, exec, s[6:7]
	v_mov_b32_e32 v23, s12
	s_and_saveexec_b64 s[6:7], s[4:5]
	s_cbranch_execz .LBB45_21
; %bb.20:
	ds_read_u8 v22, v17 offset:2
	s_waitcnt lgkmcnt(0)
	v_xor_b32_e32 v23, 1, v22
.LBB45_21:
	s_or_b64 exec, exec, s[6:7]
	v_bfe_u32 v22, v5, 1, 1
	v_lshl_add_u32 v20, v20, 3, v15
	v_cmp_eq_u32_e64 s[4:5], v23, v22
	s_and_saveexec_b64 s[6:7], s[4:5]
	s_cbranch_execz .LBB45_23
; %bb.22:
	ds_read2_b64 v[24:27], v20 offset1:2
	ds_read_u8 v23, v17 offset:2
	ds_read_u8 v28, v17
	ds_write2_b64 v16, v[2:3], v[0:1] offset1:2
	s_waitcnt lgkmcnt(3)
	ds_write2_b64 v20, v[26:27], v[24:25] offset1:2
	s_waitcnt lgkmcnt(3)
	ds_write_b8 v17, v23
	s_waitcnt lgkmcnt(3)
	ds_write_b8 v17, v28 offset:2
.LBB45_23:
	s_or_b64 exec, exec, s[6:7]
	s_waitcnt lgkmcnt(0)
	s_barrier
	ds_read_b128 v[0:3], v13
                                        ; implicit-def: $sgpr16
	s_waitcnt lgkmcnt(0)
	v_cmp_u_f64_e64 s[4:5], v[0:1], v[0:1]
	v_cmp_o_f64_e64 s[6:7], v[2:3], v[2:3]
	s_and_b64 s[6:7], s[4:5], s[6:7]
	v_cmp_gt_f64_e64 s[4:5], v[0:1], v[2:3]
	s_or_b64 s[4:5], s[6:7], s[4:5]
	s_xor_b64 s[6:7], s[4:5], -1
	s_and_saveexec_b64 s[12:13], s[4:5]
	s_cbranch_execnz .LBB45_90
; %bb.24:
	s_or_b64 exec, exec, s[12:13]
	v_mov_b32_e32 v23, s16
	s_and_saveexec_b64 s[4:5], s[6:7]
	s_cbranch_execnz .LBB45_91
.LBB45_25:
	s_or_b64 exec, exec, s[4:5]
	v_cmp_eq_u32_e64 s[4:5], v23, v22
	s_and_saveexec_b64 s[6:7], s[4:5]
	s_cbranch_execz .LBB45_27
.LBB45_26:
	v_add_u32_e32 v30, v10, v12
	v_mov_b32_e32 v22, v2
	v_mov_b32_e32 v23, v3
	ds_read_b128 v[26:29], v30
	v_mov_b32_e32 v24, v0
	v_mov_b32_e32 v25, v1
	ds_write_b128 v13, v[22:25]
	ds_read_u16 v22, v14
	s_waitcnt lgkmcnt(2)
	v_mov_b32_e32 v0, v28
	v_mov_b32_e32 v1, v29
	;; [unrolled: 1-line block ×4, first 2 shown]
	s_mov_b32 s4, 0xc0c0001
	ds_write_b128 v30, v[0:3]
	s_waitcnt lgkmcnt(1)
	v_perm_b32 v0, 0, v22, s4
	ds_write_b16 v14, v0
.LBB45_27:
	s_or_b64 exec, exec, s[6:7]
	v_and_b32_e32 v0, 3, v5
	v_sub_u32_e32 v24, v21, v0
	v_lshl_add_u32 v22, v24, 3, v19
	s_waitcnt lgkmcnt(0)
	s_barrier
	ds_read2_b64 v[0:3], v22 offset1:4
	v_add_u32_e32 v23, v18, v24
                                        ; implicit-def: $sgpr16
	s_waitcnt lgkmcnt(0)
	v_cmp_u_f64_e64 s[4:5], v[0:1], v[0:1]
	v_cmp_o_f64_e64 s[6:7], v[2:3], v[2:3]
	s_and_b64 s[6:7], s[4:5], s[6:7]
	v_cmp_gt_f64_e64 s[4:5], v[0:1], v[2:3]
	s_or_b64 s[4:5], s[6:7], s[4:5]
	s_xor_b64 s[6:7], s[4:5], -1
	s_and_saveexec_b64 s[12:13], s[4:5]
	s_cbranch_execz .LBB45_29
; %bb.28:
	ds_read_u8 v25, v23
	s_andn2_b64 s[6:7], s[6:7], exec
	s_mov_b32 s16, 1
	s_waitcnt lgkmcnt(0)
	v_and_b32_e32 v25, 1, v25
	v_cmp_eq_u32_e64 s[4:5], 1, v25
	s_xor_b64 s[4:5], s[4:5], -1
	s_and_b64 s[4:5], s[4:5], exec
	s_or_b64 s[6:7], s[6:7], s[4:5]
.LBB45_29:
	s_or_b64 exec, exec, s[12:13]
	v_mov_b32_e32 v26, s16
	s_and_saveexec_b64 s[4:5], s[6:7]
	s_cbranch_execz .LBB45_31
; %bb.30:
	ds_read_u8 v25, v23 offset:4
	s_waitcnt lgkmcnt(0)
	v_xor_b32_e32 v26, 1, v25
.LBB45_31:
	s_or_b64 exec, exec, s[4:5]
	v_bfe_u32 v25, v5, 2, 1
	v_lshl_add_u32 v24, v24, 3, v15
	v_cmp_eq_u32_e64 s[4:5], v26, v25
	s_and_saveexec_b64 s[6:7], s[4:5]
	s_cbranch_execz .LBB45_33
; %bb.32:
	ds_read2_b64 v[26:29], v24 offset1:4
	ds_read_u8 v30, v23 offset:4
	ds_read_u8 v31, v23
	ds_write2_b64 v22, v[2:3], v[0:1] offset1:4
	s_waitcnt lgkmcnt(3)
	ds_write2_b64 v24, v[28:29], v[26:27] offset1:4
	s_waitcnt lgkmcnt(3)
	ds_write_b8 v23, v30
	s_waitcnt lgkmcnt(3)
	ds_write_b8 v23, v31 offset:4
.LBB45_33:
	s_or_b64 exec, exec, s[6:7]
	s_waitcnt lgkmcnt(0)
	s_barrier
	ds_read2_b64 v[0:3], v16 offset1:2
                                        ; implicit-def: $sgpr16
	s_waitcnt lgkmcnt(0)
	v_cmp_u_f64_e64 s[4:5], v[0:1], v[0:1]
	v_cmp_o_f64_e64 s[6:7], v[2:3], v[2:3]
	s_and_b64 s[6:7], s[4:5], s[6:7]
	v_cmp_gt_f64_e64 s[4:5], v[0:1], v[2:3]
	s_or_b64 s[4:5], s[6:7], s[4:5]
	s_xor_b64 s[6:7], s[4:5], -1
	s_and_saveexec_b64 s[12:13], s[4:5]
	s_cbranch_execnz .LBB45_92
; %bb.34:
	s_or_b64 exec, exec, s[12:13]
	v_mov_b32_e32 v26, s16
	s_and_saveexec_b64 s[4:5], s[6:7]
	s_cbranch_execnz .LBB45_93
.LBB45_35:
	s_or_b64 exec, exec, s[4:5]
	v_cmp_eq_u32_e64 s[4:5], v26, v25
	s_and_saveexec_b64 s[6:7], s[4:5]
	s_cbranch_execz .LBB45_37
.LBB45_36:
	ds_read2_b64 v[26:29], v20 offset1:2
	ds_read_u8 v30, v17 offset:2
	ds_read_u8 v31, v17
	ds_write2_b64 v16, v[2:3], v[0:1] offset1:2
	s_waitcnt lgkmcnt(3)
	ds_write2_b64 v20, v[28:29], v[26:27] offset1:2
	s_waitcnt lgkmcnt(3)
	ds_write_b8 v17, v30
	s_waitcnt lgkmcnt(3)
	ds_write_b8 v17, v31 offset:2
.LBB45_37:
	s_or_b64 exec, exec, s[6:7]
	s_waitcnt lgkmcnt(0)
	s_barrier
	ds_read_b128 v[0:3], v13
                                        ; implicit-def: $sgpr16
	s_waitcnt lgkmcnt(0)
	v_cmp_u_f64_e64 s[4:5], v[0:1], v[0:1]
	v_cmp_o_f64_e64 s[6:7], v[2:3], v[2:3]
	s_and_b64 s[6:7], s[4:5], s[6:7]
	v_cmp_gt_f64_e64 s[4:5], v[0:1], v[2:3]
	s_or_b64 s[4:5], s[6:7], s[4:5]
	s_xor_b64 s[6:7], s[4:5], -1
	s_and_saveexec_b64 s[12:13], s[4:5]
	s_cbranch_execnz .LBB45_94
; %bb.38:
	s_or_b64 exec, exec, s[12:13]
	v_mov_b32_e32 v26, s16
	s_and_saveexec_b64 s[4:5], s[6:7]
	s_cbranch_execnz .LBB45_95
.LBB45_39:
	s_or_b64 exec, exec, s[4:5]
	v_cmp_eq_u32_e64 s[4:5], v26, v25
	s_and_saveexec_b64 s[6:7], s[4:5]
	s_cbranch_execz .LBB45_41
.LBB45_40:
	v_add_u32_e32 v25, v10, v12
	v_mov_b32_e32 v26, v2
	v_mov_b32_e32 v27, v3
	ds_read_b128 v[30:33], v25
	v_mov_b32_e32 v28, v0
	v_mov_b32_e32 v29, v1
	ds_write_b128 v13, v[26:29]
	ds_read_u16 v26, v14
	s_waitcnt lgkmcnt(2)
	v_mov_b32_e32 v0, v32
	v_mov_b32_e32 v1, v33
	;; [unrolled: 1-line block ×4, first 2 shown]
	s_mov_b32 s4, 0xc0c0001
	ds_write_b128 v25, v[0:3]
	s_waitcnt lgkmcnt(1)
	v_perm_b32 v0, 0, v26, s4
	ds_write_b16 v14, v0
.LBB45_41:
	s_or_b64 exec, exec, s[6:7]
	v_and_b32_e32 v0, 7, v5
	v_sub_u32_e32 v27, v21, v0
	v_lshl_add_u32 v25, v27, 3, v19
	s_waitcnt lgkmcnt(0)
	s_barrier
	ds_read2_b64 v[0:3], v25 offset1:8
	v_add_u32_e32 v26, v18, v27
                                        ; implicit-def: $sgpr16
	s_waitcnt lgkmcnt(0)
	v_cmp_u_f64_e64 s[4:5], v[0:1], v[0:1]
	v_cmp_o_f64_e64 s[6:7], v[2:3], v[2:3]
	s_and_b64 s[6:7], s[4:5], s[6:7]
	v_cmp_gt_f64_e64 s[4:5], v[0:1], v[2:3]
	s_or_b64 s[4:5], s[6:7], s[4:5]
	s_xor_b64 s[6:7], s[4:5], -1
	s_and_saveexec_b64 s[12:13], s[4:5]
	s_cbranch_execz .LBB45_43
; %bb.42:
	ds_read_u8 v28, v26
	s_andn2_b64 s[6:7], s[6:7], exec
	s_mov_b32 s16, 1
	s_waitcnt lgkmcnt(0)
	v_and_b32_e32 v28, 1, v28
	v_cmp_eq_u32_e64 s[4:5], 1, v28
	s_xor_b64 s[4:5], s[4:5], -1
	s_and_b64 s[4:5], s[4:5], exec
	s_or_b64 s[6:7], s[6:7], s[4:5]
.LBB45_43:
	s_or_b64 exec, exec, s[12:13]
	v_mov_b32_e32 v29, s16
	s_and_saveexec_b64 s[4:5], s[6:7]
	s_cbranch_execz .LBB45_45
; %bb.44:
	ds_read_u8 v28, v26 offset:8
	s_waitcnt lgkmcnt(0)
	v_xor_b32_e32 v29, 1, v28
.LBB45_45:
	s_or_b64 exec, exec, s[4:5]
	v_bfe_u32 v28, v5, 3, 1
	v_lshl_add_u32 v27, v27, 3, v15
	v_cmp_eq_u32_e64 s[4:5], v29, v28
	s_and_saveexec_b64 s[6:7], s[4:5]
	s_cbranch_execz .LBB45_47
; %bb.46:
	ds_read2_b64 v[30:33], v27 offset1:8
	ds_read_u8 v29, v26 offset:8
	ds_read_u8 v34, v26
	ds_write2_b64 v25, v[2:3], v[0:1] offset1:8
	s_waitcnt lgkmcnt(3)
	ds_write2_b64 v27, v[32:33], v[30:31] offset1:8
	s_waitcnt lgkmcnt(3)
	ds_write_b8 v26, v29
	s_waitcnt lgkmcnt(3)
	ds_write_b8 v26, v34 offset:8
.LBB45_47:
	s_or_b64 exec, exec, s[6:7]
	s_waitcnt lgkmcnt(0)
	s_barrier
	ds_read2_b64 v[0:3], v22 offset1:4
                                        ; implicit-def: $sgpr16
	s_waitcnt lgkmcnt(0)
	v_cmp_u_f64_e64 s[4:5], v[0:1], v[0:1]
	v_cmp_o_f64_e64 s[6:7], v[2:3], v[2:3]
	s_and_b64 s[6:7], s[4:5], s[6:7]
	v_cmp_gt_f64_e64 s[4:5], v[0:1], v[2:3]
	s_or_b64 s[4:5], s[6:7], s[4:5]
	s_xor_b64 s[6:7], s[4:5], -1
	s_and_saveexec_b64 s[12:13], s[4:5]
	s_cbranch_execnz .LBB45_96
; %bb.48:
	s_or_b64 exec, exec, s[12:13]
	v_mov_b32_e32 v29, s16
	s_and_saveexec_b64 s[4:5], s[6:7]
	s_cbranch_execnz .LBB45_97
.LBB45_49:
	s_or_b64 exec, exec, s[4:5]
	v_cmp_eq_u32_e64 s[4:5], v29, v28
	s_and_saveexec_b64 s[6:7], s[4:5]
	s_cbranch_execz .LBB45_51
.LBB45_50:
	ds_read2_b64 v[30:33], v24 offset1:4
	ds_read_u8 v29, v23 offset:4
	ds_read_u8 v34, v23
	ds_write2_b64 v22, v[2:3], v[0:1] offset1:4
	s_waitcnt lgkmcnt(3)
	ds_write2_b64 v24, v[32:33], v[30:31] offset1:4
	s_waitcnt lgkmcnt(3)
	ds_write_b8 v23, v29
	s_waitcnt lgkmcnt(3)
	ds_write_b8 v23, v34 offset:4
.LBB45_51:
	s_or_b64 exec, exec, s[6:7]
	s_waitcnt lgkmcnt(0)
	s_barrier
	ds_read2_b64 v[0:3], v16 offset1:2
                                        ; implicit-def: $sgpr16
	s_waitcnt lgkmcnt(0)
	v_cmp_u_f64_e64 s[4:5], v[0:1], v[0:1]
	v_cmp_o_f64_e64 s[6:7], v[2:3], v[2:3]
	s_and_b64 s[6:7], s[4:5], s[6:7]
	v_cmp_gt_f64_e64 s[4:5], v[0:1], v[2:3]
	s_or_b64 s[4:5], s[6:7], s[4:5]
	s_xor_b64 s[6:7], s[4:5], -1
	s_and_saveexec_b64 s[12:13], s[4:5]
	s_cbranch_execnz .LBB45_98
; %bb.52:
	s_or_b64 exec, exec, s[12:13]
	v_mov_b32_e32 v29, s16
	s_and_saveexec_b64 s[4:5], s[6:7]
	s_cbranch_execnz .LBB45_99
.LBB45_53:
	s_or_b64 exec, exec, s[4:5]
	v_cmp_eq_u32_e64 s[4:5], v29, v28
	s_and_saveexec_b64 s[6:7], s[4:5]
	s_cbranch_execz .LBB45_55
.LBB45_54:
	ds_read2_b64 v[30:33], v20 offset1:2
	ds_read_u8 v29, v17 offset:2
	ds_read_u8 v34, v17
	ds_write2_b64 v16, v[2:3], v[0:1] offset1:2
	s_waitcnt lgkmcnt(3)
	ds_write2_b64 v20, v[32:33], v[30:31] offset1:2
	s_waitcnt lgkmcnt(3)
	ds_write_b8 v17, v29
	s_waitcnt lgkmcnt(3)
	ds_write_b8 v17, v34 offset:2
.LBB45_55:
	s_or_b64 exec, exec, s[6:7]
	s_waitcnt lgkmcnt(0)
	s_barrier
	ds_read_b128 v[0:3], v13
                                        ; implicit-def: $sgpr16
	s_waitcnt lgkmcnt(0)
	v_cmp_u_f64_e64 s[4:5], v[0:1], v[0:1]
	v_cmp_o_f64_e64 s[6:7], v[2:3], v[2:3]
	s_and_b64 s[6:7], s[4:5], s[6:7]
	v_cmp_gt_f64_e64 s[4:5], v[0:1], v[2:3]
	s_or_b64 s[4:5], s[6:7], s[4:5]
	s_xor_b64 s[6:7], s[4:5], -1
	s_and_saveexec_b64 s[12:13], s[4:5]
	s_cbranch_execnz .LBB45_100
; %bb.56:
	s_or_b64 exec, exec, s[12:13]
	v_mov_b32_e32 v29, s16
	s_and_saveexec_b64 s[4:5], s[6:7]
	s_cbranch_execnz .LBB45_101
.LBB45_57:
	s_or_b64 exec, exec, s[4:5]
	v_cmp_eq_u32_e64 s[4:5], v29, v28
	s_and_saveexec_b64 s[6:7], s[4:5]
	s_cbranch_execz .LBB45_59
.LBB45_58:
	v_add_u32_e32 v36, v10, v12
	v_mov_b32_e32 v28, v2
	v_mov_b32_e32 v29, v3
	ds_read_b128 v[32:35], v36
	v_mov_b32_e32 v30, v0
	v_mov_b32_e32 v31, v1
	ds_write_b128 v13, v[28:31]
	ds_read_u16 v28, v14
	s_waitcnt lgkmcnt(2)
	v_mov_b32_e32 v0, v34
	v_mov_b32_e32 v1, v35
	;; [unrolled: 1-line block ×4, first 2 shown]
	s_mov_b32 s4, 0xc0c0001
	ds_write_b128 v36, v[0:3]
	s_waitcnt lgkmcnt(1)
	v_perm_b32 v0, 0, v28, s4
	ds_write_b16 v14, v0
.LBB45_59:
	s_or_b64 exec, exec, s[6:7]
	v_and_b32_e32 v0, 15, v5
	v_sub_u32_e32 v21, v21, v0
	v_lshl_add_u32 v19, v21, 3, v19
	s_waitcnt lgkmcnt(0)
	s_barrier
	ds_read2_b64 v[0:3], v19 offset1:16
	v_add_u32_e32 v18, v18, v21
	s_waitcnt lgkmcnt(0)
	v_cmp_u_f64_e64 s[4:5], v[0:1], v[0:1]
	v_cmp_o_f64_e64 s[6:7], v[2:3], v[2:3]
	s_and_b64 s[6:7], s[4:5], s[6:7]
	v_cmp_gt_f64_e64 s[4:5], v[0:1], v[2:3]
	s_or_b64 s[4:5], s[6:7], s[4:5]
	s_xor_b64 s[12:13], s[4:5], -1
	s_and_saveexec_b64 s[6:7], s[4:5]
	s_cbranch_execz .LBB45_61
; %bb.60:
	ds_read_u8 v28, v18
	s_andn2_b64 s[12:13], s[12:13], exec
	s_waitcnt lgkmcnt(0)
	v_and_b32_e32 v28, 1, v28
	v_cmp_eq_u32_e64 s[4:5], 1, v28
	s_xor_b64 s[4:5], s[4:5], -1
	s_and_b64 s[4:5], s[4:5], exec
	s_or_b64 s[12:13], s[12:13], s[4:5]
.LBB45_61:
	s_or_b64 exec, exec, s[6:7]
	s_and_saveexec_b64 s[6:7], s[12:13]
	s_cbranch_execz .LBB45_64
; %bb.62:
	ds_read_u8 v28, v18 offset:16
	s_waitcnt lgkmcnt(0)
	v_cmp_ne_u16_e64 s[4:5], 0, v28
	s_and_b64 exec, exec, s[4:5]
	s_cbranch_execz .LBB45_64
; %bb.63:
	v_lshl_add_u32 v15, v21, 3, v15
	ds_read2_b64 v[30:33], v15 offset1:16
	ds_read_u8 v21, v18
	ds_write2_b64 v19, v[2:3], v[0:1] offset1:16
	ds_write_b8 v18, v28
	s_waitcnt lgkmcnt(3)
	ds_write2_b64 v15, v[32:33], v[30:31] offset1:16
	s_waitcnt lgkmcnt(3)
	ds_write_b8 v18, v21 offset:16
.LBB45_64:
	s_or_b64 exec, exec, s[6:7]
	s_waitcnt lgkmcnt(0)
	s_barrier
	ds_read2_b64 v[0:3], v25 offset1:8
	s_waitcnt lgkmcnt(0)
	v_cmp_u_f64_e64 s[4:5], v[0:1], v[0:1]
	v_cmp_o_f64_e64 s[6:7], v[2:3], v[2:3]
	s_and_b64 s[6:7], s[4:5], s[6:7]
	v_cmp_gt_f64_e64 s[4:5], v[0:1], v[2:3]
	s_or_b64 s[4:5], s[6:7], s[4:5]
	s_xor_b64 s[12:13], s[4:5], -1
	s_and_saveexec_b64 s[6:7], s[4:5]
	s_cbranch_execz .LBB45_66
; %bb.65:
	ds_read_u8 v15, v26
	s_andn2_b64 s[12:13], s[12:13], exec
	s_waitcnt lgkmcnt(0)
	v_and_b32_e32 v15, 1, v15
	v_cmp_eq_u32_e64 s[4:5], 1, v15
	s_xor_b64 s[4:5], s[4:5], -1
	s_and_b64 s[4:5], s[4:5], exec
	s_or_b64 s[12:13], s[12:13], s[4:5]
.LBB45_66:
	s_or_b64 exec, exec, s[6:7]
	s_and_saveexec_b64 s[6:7], s[12:13]
	s_cbranch_execz .LBB45_69
; %bb.67:
	ds_read_u8 v15, v26 offset:8
	s_waitcnt lgkmcnt(0)
	v_cmp_ne_u16_e64 s[4:5], 0, v15
	s_and_b64 exec, exec, s[4:5]
	s_cbranch_execz .LBB45_69
; %bb.68:
	ds_read2_b64 v[28:31], v27 offset1:8
	ds_read_u8 v18, v26
	ds_write2_b64 v25, v[2:3], v[0:1] offset1:8
	ds_write_b8 v26, v15
	s_waitcnt lgkmcnt(3)
	ds_write2_b64 v27, v[30:31], v[28:29] offset1:8
	s_waitcnt lgkmcnt(3)
	ds_write_b8 v26, v18 offset:8
.LBB45_69:
	s_or_b64 exec, exec, s[6:7]
	s_waitcnt lgkmcnt(0)
	s_barrier
	ds_read2_b64 v[0:3], v22 offset1:4
	s_waitcnt lgkmcnt(0)
	v_cmp_u_f64_e64 s[4:5], v[0:1], v[0:1]
	v_cmp_o_f64_e64 s[6:7], v[2:3], v[2:3]
	s_and_b64 s[6:7], s[4:5], s[6:7]
	v_cmp_gt_f64_e64 s[4:5], v[0:1], v[2:3]
	s_or_b64 s[4:5], s[6:7], s[4:5]
	s_xor_b64 s[12:13], s[4:5], -1
	s_and_saveexec_b64 s[6:7], s[4:5]
	s_cbranch_execz .LBB45_71
; %bb.70:
	ds_read_u8 v15, v23
	s_andn2_b64 s[12:13], s[12:13], exec
	s_waitcnt lgkmcnt(0)
	v_and_b32_e32 v15, 1, v15
	v_cmp_eq_u32_e64 s[4:5], 1, v15
	s_xor_b64 s[4:5], s[4:5], -1
	s_and_b64 s[4:5], s[4:5], exec
	s_or_b64 s[12:13], s[12:13], s[4:5]
.LBB45_71:
	s_or_b64 exec, exec, s[6:7]
	s_and_saveexec_b64 s[6:7], s[12:13]
	s_cbranch_execz .LBB45_74
; %bb.72:
	ds_read_u8 v15, v23 offset:4
	s_waitcnt lgkmcnt(0)
	v_cmp_ne_u16_e64 s[4:5], 0, v15
	s_and_b64 exec, exec, s[4:5]
	s_cbranch_execz .LBB45_74
; %bb.73:
	ds_read2_b64 v[26:29], v24 offset1:4
	ds_read_u8 v18, v23
	ds_write2_b64 v22, v[2:3], v[0:1] offset1:4
	ds_write_b8 v23, v15
	s_waitcnt lgkmcnt(3)
	ds_write2_b64 v24, v[28:29], v[26:27] offset1:4
	s_waitcnt lgkmcnt(3)
	ds_write_b8 v23, v18 offset:4
.LBB45_74:
	;; [unrolled: 42-line block ×3, first 2 shown]
	s_or_b64 exec, exec, s[6:7]
	s_waitcnt lgkmcnt(0)
	s_barrier
	ds_read_b128 v[0:3], v13
	s_waitcnt lgkmcnt(0)
	v_cmp_u_f64_e64 s[4:5], v[0:1], v[0:1]
	v_cmp_o_f64_e64 s[6:7], v[2:3], v[2:3]
	s_and_b64 s[6:7], s[4:5], s[6:7]
	v_cmp_gt_f64_e64 s[4:5], v[0:1], v[2:3]
	s_or_b64 s[4:5], s[6:7], s[4:5]
	s_xor_b64 s[12:13], s[4:5], -1
	s_and_saveexec_b64 s[6:7], s[4:5]
	s_cbranch_execz .LBB45_81
; %bb.80:
	ds_read_u8 v15, v14
	s_andn2_b64 s[12:13], s[12:13], exec
	s_waitcnt lgkmcnt(0)
	v_and_b32_e32 v15, 1, v15
	v_cmp_eq_u32_e64 s[4:5], 1, v15
	s_xor_b64 s[4:5], s[4:5], -1
	s_and_b64 s[4:5], s[4:5], exec
	s_or_b64 s[12:13], s[12:13], s[4:5]
.LBB45_81:
	s_or_b64 exec, exec, s[6:7]
	s_and_saveexec_b64 s[6:7], s[12:13]
	s_cbranch_execz .LBB45_84
; %bb.82:
	ds_read_u8 v15, v14 offset:1
	s_waitcnt lgkmcnt(0)
	v_cmp_ne_u16_e64 s[4:5], 0, v15
	s_and_b64 exec, exec, s[4:5]
	s_cbranch_execz .LBB45_84
; %bb.83:
	v_add_u32_e32 v12, v10, v12
	v_mov_b32_e32 v16, v2
	v_mov_b32_e32 v17, v3
	ds_read_b128 v[20:23], v12
	v_mov_b32_e32 v18, v0
	v_mov_b32_e32 v19, v1
	ds_write_b128 v13, v[16:19]
	ds_read_u8 v13, v14
	s_waitcnt lgkmcnt(2)
	v_mov_b32_e32 v0, v22
	v_mov_b32_e32 v1, v23
	;; [unrolled: 1-line block ×4, first 2 shown]
	ds_write_b128 v12, v[0:3]
	s_waitcnt lgkmcnt(1)
	v_lshlrev_b16_e32 v0, 8, v13
	v_or_b32_e32 v0, v15, v0
	ds_write_b16 v14, v0
.LBB45_84:
	s_or_b64 exec, exec, s[6:7]
	s_waitcnt lgkmcnt(0)
	s_barrier
	s_and_saveexec_b64 s[4:5], vcc
	s_cbranch_execz .LBB45_89
; %bb.85:
	s_and_saveexec_b64 s[4:5], s[0:1]
	s_cbranch_execz .LBB45_87
; %bb.86:
	ds_read_b64 v[0:1], v11
	v_mad_u64_u32 v[2:3], s[0:1], v5, s14, v[6:7]
	v_mov_b32_e32 v3, 0
	v_lshlrev_b64 v[12:13], 3, v[2:3]
	v_mov_b32_e32 v2, s11
	v_add_co_u32_e32 v12, vcc, s10, v12
	v_addc_co_u32_e32 v13, vcc, v2, v13, vcc
	ds_read_b64 v[10:11], v10
	s_waitcnt lgkmcnt(1)
	global_store_dwordx2 v[12:13], v[0:1], off
	v_mad_u64_u32 v[0:1], s[0:1], v5, s15, v[4:5]
	v_mov_b32_e32 v1, v3
	v_lshlrev_b64 v[0:1], 3, v[0:1]
	v_mov_b32_e32 v2, s9
	v_add_co_u32_e32 v0, vcc, s8, v0
	v_addc_co_u32_e32 v1, vcc, v2, v1, vcc
	s_waitcnt lgkmcnt(0)
	global_store_dwordx2 v[0:1], v[10:11], off
.LBB45_87:
	s_or_b64 exec, exec, s[4:5]
	s_and_b64 exec, exec, s[2:3]
	s_cbranch_execz .LBB45_89
; %bb.88:
	ds_read_b64 v[0:1], v9
	v_mad_u64_u32 v[2:3], s[0:1], v7, s14, v[6:7]
	v_mov_b32_e32 v3, 0
	v_lshlrev_b64 v[10:11], 3, v[2:3]
	v_mov_b32_e32 v2, s11
	v_add_co_u32_e32 v10, vcc, s10, v10
	v_addc_co_u32_e32 v11, vcc, v2, v11, vcc
	ds_read_b64 v[8:9], v8
	s_waitcnt lgkmcnt(1)
	global_store_dwordx2 v[10:11], v[0:1], off
	v_mad_u64_u32 v[0:1], s[0:1], v7, s15, v[4:5]
	v_mov_b32_e32 v1, v3
	v_lshlrev_b64 v[0:1], 3, v[0:1]
	v_mov_b32_e32 v2, s9
	v_add_co_u32_e32 v0, vcc, s8, v0
	v_addc_co_u32_e32 v1, vcc, v2, v1, vcc
	s_waitcnt lgkmcnt(0)
	global_store_dwordx2 v[0:1], v[8:9], off
.LBB45_89:
	s_endpgm
.LBB45_90:
	ds_read_u8 v23, v14
	s_andn2_b64 s[6:7], s[6:7], exec
	s_mov_b32 s16, 1
	s_waitcnt lgkmcnt(0)
	v_and_b32_e32 v23, 1, v23
	v_cmp_eq_u32_e64 s[4:5], 1, v23
	s_xor_b64 s[4:5], s[4:5], -1
	s_and_b64 s[4:5], s[4:5], exec
	s_or_b64 s[6:7], s[6:7], s[4:5]
	s_or_b64 exec, exec, s[12:13]
	v_mov_b32_e32 v23, s16
	s_and_saveexec_b64 s[4:5], s[6:7]
	s_cbranch_execz .LBB45_25
.LBB45_91:
	ds_read_u8 v23, v14 offset:1
	s_waitcnt lgkmcnt(0)
	v_xor_b32_e32 v23, 1, v23
	s_or_b64 exec, exec, s[4:5]
	v_cmp_eq_u32_e64 s[4:5], v23, v22
	s_and_saveexec_b64 s[6:7], s[4:5]
	s_cbranch_execnz .LBB45_26
	s_branch .LBB45_27
.LBB45_92:
	ds_read_u8 v26, v17
	s_andn2_b64 s[6:7], s[6:7], exec
	s_mov_b32 s16, 1
	s_waitcnt lgkmcnt(0)
	v_and_b32_e32 v26, 1, v26
	v_cmp_eq_u32_e64 s[4:5], 1, v26
	s_xor_b64 s[4:5], s[4:5], -1
	s_and_b64 s[4:5], s[4:5], exec
	s_or_b64 s[6:7], s[6:7], s[4:5]
	s_or_b64 exec, exec, s[12:13]
	v_mov_b32_e32 v26, s16
	s_and_saveexec_b64 s[4:5], s[6:7]
	s_cbranch_execz .LBB45_35
.LBB45_93:
	ds_read_u8 v26, v17 offset:2
	s_waitcnt lgkmcnt(0)
	v_xor_b32_e32 v26, 1, v26
	s_or_b64 exec, exec, s[4:5]
	v_cmp_eq_u32_e64 s[4:5], v26, v25
	s_and_saveexec_b64 s[6:7], s[4:5]
	s_cbranch_execnz .LBB45_36
	s_branch .LBB45_37
.LBB45_94:
	ds_read_u8 v26, v14
	s_andn2_b64 s[6:7], s[6:7], exec
	s_mov_b32 s16, 1
	s_waitcnt lgkmcnt(0)
	v_and_b32_e32 v26, 1, v26
	v_cmp_eq_u32_e64 s[4:5], 1, v26
	s_xor_b64 s[4:5], s[4:5], -1
	s_and_b64 s[4:5], s[4:5], exec
	s_or_b64 s[6:7], s[6:7], s[4:5]
	s_or_b64 exec, exec, s[12:13]
	v_mov_b32_e32 v26, s16
	s_and_saveexec_b64 s[4:5], s[6:7]
	s_cbranch_execz .LBB45_39
.LBB45_95:
	ds_read_u8 v26, v14 offset:1
	s_waitcnt lgkmcnt(0)
	v_xor_b32_e32 v26, 1, v26
	s_or_b64 exec, exec, s[4:5]
	v_cmp_eq_u32_e64 s[4:5], v26, v25
	s_and_saveexec_b64 s[6:7], s[4:5]
	s_cbranch_execnz .LBB45_40
	s_branch .LBB45_41
.LBB45_96:
	ds_read_u8 v29, v23
	s_andn2_b64 s[6:7], s[6:7], exec
	s_mov_b32 s16, 1
	s_waitcnt lgkmcnt(0)
	v_and_b32_e32 v29, 1, v29
	v_cmp_eq_u32_e64 s[4:5], 1, v29
	s_xor_b64 s[4:5], s[4:5], -1
	s_and_b64 s[4:5], s[4:5], exec
	s_or_b64 s[6:7], s[6:7], s[4:5]
	s_or_b64 exec, exec, s[12:13]
	v_mov_b32_e32 v29, s16
	s_and_saveexec_b64 s[4:5], s[6:7]
	s_cbranch_execz .LBB45_49
.LBB45_97:
	ds_read_u8 v29, v23 offset:4
	s_waitcnt lgkmcnt(0)
	v_xor_b32_e32 v29, 1, v29
	s_or_b64 exec, exec, s[4:5]
	v_cmp_eq_u32_e64 s[4:5], v29, v28
	s_and_saveexec_b64 s[6:7], s[4:5]
	s_cbranch_execnz .LBB45_50
	s_branch .LBB45_51
.LBB45_98:
	ds_read_u8 v29, v17
	s_andn2_b64 s[6:7], s[6:7], exec
	s_mov_b32 s16, 1
	s_waitcnt lgkmcnt(0)
	v_and_b32_e32 v29, 1, v29
	v_cmp_eq_u32_e64 s[4:5], 1, v29
	s_xor_b64 s[4:5], s[4:5], -1
	s_and_b64 s[4:5], s[4:5], exec
	s_or_b64 s[6:7], s[6:7], s[4:5]
	s_or_b64 exec, exec, s[12:13]
	v_mov_b32_e32 v29, s16
	s_and_saveexec_b64 s[4:5], s[6:7]
	s_cbranch_execz .LBB45_53
.LBB45_99:
	ds_read_u8 v29, v17 offset:2
	s_waitcnt lgkmcnt(0)
	v_xor_b32_e32 v29, 1, v29
	s_or_b64 exec, exec, s[4:5]
	v_cmp_eq_u32_e64 s[4:5], v29, v28
	s_and_saveexec_b64 s[6:7], s[4:5]
	s_cbranch_execnz .LBB45_54
	s_branch .LBB45_55
.LBB45_100:
	ds_read_u8 v29, v14
	s_andn2_b64 s[6:7], s[6:7], exec
	s_mov_b32 s16, 1
	s_waitcnt lgkmcnt(0)
	v_and_b32_e32 v29, 1, v29
	v_cmp_eq_u32_e64 s[4:5], 1, v29
	s_xor_b64 s[4:5], s[4:5], -1
	s_and_b64 s[4:5], s[4:5], exec
	s_or_b64 s[6:7], s[6:7], s[4:5]
	s_or_b64 exec, exec, s[12:13]
	v_mov_b32_e32 v29, s16
	s_and_saveexec_b64 s[4:5], s[6:7]
	s_cbranch_execz .LBB45_57
.LBB45_101:
	ds_read_u8 v29, v14 offset:1
	s_waitcnt lgkmcnt(0)
	v_xor_b32_e32 v29, 1, v29
	s_or_b64 exec, exec, s[4:5]
	v_cmp_eq_u32_e64 s[4:5], v29, v28
	s_and_saveexec_b64 s[6:7], s[4:5]
	s_cbranch_execnz .LBB45_58
	s_branch .LBB45_59
	.section	.rodata,"a",@progbits
	.p2align	6, 0x0
	.amdhsa_kernel _ZN2at6native20bitonicSortKVInPlaceILin1ELin1ELi16ELi16EdlNS0_4GTOpIdLb1EEEjEEvNS_4cuda6detail10TensorInfoIT3_T6_EES8_S8_S8_NS6_IT4_S8_EES8_T5_
		.amdhsa_group_segment_fixed_size 8704
		.amdhsa_private_segment_fixed_size 0
		.amdhsa_kernarg_size 712
		.amdhsa_user_sgpr_count 6
		.amdhsa_user_sgpr_private_segment_buffer 1
		.amdhsa_user_sgpr_dispatch_ptr 0
		.amdhsa_user_sgpr_queue_ptr 0
		.amdhsa_user_sgpr_kernarg_segment_ptr 1
		.amdhsa_user_sgpr_dispatch_id 0
		.amdhsa_user_sgpr_flat_scratch_init 0
		.amdhsa_user_sgpr_kernarg_preload_length 0
		.amdhsa_user_sgpr_kernarg_preload_offset 0
		.amdhsa_user_sgpr_private_segment_size 0
		.amdhsa_uses_dynamic_stack 0
		.amdhsa_system_sgpr_private_segment_wavefront_offset 0
		.amdhsa_system_sgpr_workgroup_id_x 1
		.amdhsa_system_sgpr_workgroup_id_y 1
		.amdhsa_system_sgpr_workgroup_id_z 1
		.amdhsa_system_sgpr_workgroup_info 0
		.amdhsa_system_vgpr_workitem_id 1
		.amdhsa_next_free_vgpr 37
		.amdhsa_next_free_sgpr 18
		.amdhsa_accum_offset 40
		.amdhsa_reserve_vcc 1
		.amdhsa_reserve_flat_scratch 0
		.amdhsa_float_round_mode_32 0
		.amdhsa_float_round_mode_16_64 0
		.amdhsa_float_denorm_mode_32 3
		.amdhsa_float_denorm_mode_16_64 3
		.amdhsa_dx10_clamp 1
		.amdhsa_ieee_mode 1
		.amdhsa_fp16_overflow 0
		.amdhsa_tg_split 0
		.amdhsa_exception_fp_ieee_invalid_op 0
		.amdhsa_exception_fp_denorm_src 0
		.amdhsa_exception_fp_ieee_div_zero 0
		.amdhsa_exception_fp_ieee_overflow 0
		.amdhsa_exception_fp_ieee_underflow 0
		.amdhsa_exception_fp_ieee_inexact 0
		.amdhsa_exception_int_div_zero 0
	.end_amdhsa_kernel
	.section	.text._ZN2at6native20bitonicSortKVInPlaceILin1ELin1ELi16ELi16EdlNS0_4GTOpIdLb1EEEjEEvNS_4cuda6detail10TensorInfoIT3_T6_EES8_S8_S8_NS6_IT4_S8_EES8_T5_,"axG",@progbits,_ZN2at6native20bitonicSortKVInPlaceILin1ELin1ELi16ELi16EdlNS0_4GTOpIdLb1EEEjEEvNS_4cuda6detail10TensorInfoIT3_T6_EES8_S8_S8_NS6_IT4_S8_EES8_T5_,comdat
.Lfunc_end45:
	.size	_ZN2at6native20bitonicSortKVInPlaceILin1ELin1ELi16ELi16EdlNS0_4GTOpIdLb1EEEjEEvNS_4cuda6detail10TensorInfoIT3_T6_EES8_S8_S8_NS6_IT4_S8_EES8_T5_, .Lfunc_end45-_ZN2at6native20bitonicSortKVInPlaceILin1ELin1ELi16ELi16EdlNS0_4GTOpIdLb1EEEjEEvNS_4cuda6detail10TensorInfoIT3_T6_EES8_S8_S8_NS6_IT4_S8_EES8_T5_
                                        ; -- End function
	.section	.AMDGPU.csdata,"",@progbits
; Kernel info:
; codeLenInByte = 5200
; NumSgprs: 22
; NumVgprs: 37
; NumAgprs: 0
; TotalNumVgprs: 37
; ScratchSize: 0
; MemoryBound: 0
; FloatMode: 240
; IeeeMode: 1
; LDSByteSize: 8704 bytes/workgroup (compile time only)
; SGPRBlocks: 2
; VGPRBlocks: 4
; NumSGPRsForWavesPerEU: 22
; NumVGPRsForWavesPerEU: 37
; AccumOffset: 40
; Occupancy: 7
; WaveLimiterHint : 1
; COMPUTE_PGM_RSRC2:SCRATCH_EN: 0
; COMPUTE_PGM_RSRC2:USER_SGPR: 6
; COMPUTE_PGM_RSRC2:TRAP_HANDLER: 0
; COMPUTE_PGM_RSRC2:TGID_X_EN: 1
; COMPUTE_PGM_RSRC2:TGID_Y_EN: 1
; COMPUTE_PGM_RSRC2:TGID_Z_EN: 1
; COMPUTE_PGM_RSRC2:TIDIG_COMP_CNT: 1
; COMPUTE_PGM_RSRC3_GFX90A:ACCUM_OFFSET: 9
; COMPUTE_PGM_RSRC3_GFX90A:TG_SPLIT: 0
	.section	.text._ZN2at6native20bitonicSortKVInPlaceILin1ELin1ELi16ELi16EdlNS0_4LTOpIdLb1EEEmEEvNS_4cuda6detail10TensorInfoIT3_T6_EES8_S8_S8_NS6_IT4_S8_EES8_T5_,"axG",@progbits,_ZN2at6native20bitonicSortKVInPlaceILin1ELin1ELi16ELi16EdlNS0_4LTOpIdLb1EEEmEEvNS_4cuda6detail10TensorInfoIT3_T6_EES8_S8_S8_NS6_IT4_S8_EES8_T5_,comdat
	.protected	_ZN2at6native20bitonicSortKVInPlaceILin1ELin1ELi16ELi16EdlNS0_4LTOpIdLb1EEEmEEvNS_4cuda6detail10TensorInfoIT3_T6_EES8_S8_S8_NS6_IT4_S8_EES8_T5_ ; -- Begin function _ZN2at6native20bitonicSortKVInPlaceILin1ELin1ELi16ELi16EdlNS0_4LTOpIdLb1EEEmEEvNS_4cuda6detail10TensorInfoIT3_T6_EES8_S8_S8_NS6_IT4_S8_EES8_T5_
	.globl	_ZN2at6native20bitonicSortKVInPlaceILin1ELin1ELi16ELi16EdlNS0_4LTOpIdLb1EEEmEEvNS_4cuda6detail10TensorInfoIT3_T6_EES8_S8_S8_NS6_IT4_S8_EES8_T5_
	.p2align	8
	.type	_ZN2at6native20bitonicSortKVInPlaceILin1ELin1ELi16ELi16EdlNS0_4LTOpIdLb1EEEmEEvNS_4cuda6detail10TensorInfoIT3_T6_EES8_S8_S8_NS6_IT4_S8_EES8_T5_,@function
_ZN2at6native20bitonicSortKVInPlaceILin1ELin1ELi16ELi16EdlNS0_4LTOpIdLb1EEEmEEvNS_4cuda6detail10TensorInfoIT3_T6_EES8_S8_S8_NS6_IT4_S8_EES8_T5_: ; @_ZN2at6native20bitonicSortKVInPlaceILin1ELin1ELi16ELi16EdlNS0_4LTOpIdLb1EEEmEEvNS_4cuda6detail10TensorInfoIT3_T6_EES8_S8_S8_NS6_IT4_S8_EES8_T5_
; %bb.0:
	s_load_dwordx2 s[0:1], s[4:5], 0x368
	s_load_dwordx4 s[12:15], s[4:5], 0x1a0
	s_load_dword s9, s[4:5], 0x374
	s_add_u32 s2, s4, 0x368
	s_addc_u32 s3, s5, 0
	s_waitcnt lgkmcnt(0)
	s_mul_i32 s1, s1, s8
	s_add_i32 s1, s1, s7
	s_mul_i32 s0, s1, s0
	s_add_i32 s0, s0, s6
	s_lshr_b32 s6, s9, 16
	s_mul_hi_u32 s1, s0, s6
	s_mul_i32 s0, s0, s6
	v_pk_mov_b32 v[2:3], s[12:13], s[12:13] op_sel:[0,1]
	v_cmp_ge_u64_e32 vcc, s[0:1], v[2:3]
	s_cbranch_vccnz .LBB46_99
; %bb.1:
	v_mov_b32_e32 v1, s1
	s_load_dwordx2 s[8:9], s[4:5], 0x1b0
	s_load_dword s1, s[4:5], 0x198
	v_bfe_u32 v16, v0, 10, 10
	v_add_co_u32_e32 v4, vcc, s0, v16
	v_addc_co_u32_e32 v5, vcc, 0, v1, vcc
	v_mov_b32_e32 v8, 0
	s_waitcnt lgkmcnt(0)
	s_cmp_lt_i32 s1, 2
	v_pk_mov_b32 v[2:3], 0, 0
	v_pk_mov_b32 v[6:7], v[4:5], v[4:5] op_sel:[0,1]
	s_cbranch_scc1 .LBB46_9
; %bb.2:
	s_add_i32 s18, s1, 1
	s_add_i32 s0, s1, -1
	s_mov_b32 s1, 0
	s_lshl_b64 s[0:1], s[0:1], 3
	s_add_u32 s0, s0, s4
	s_addc_u32 s1, s1, s5
	s_add_u32 s6, s0, 8
	s_addc_u32 s7, s1, 0
	v_pk_mov_b32 v[2:3], 0, 0
	v_pk_mov_b32 v[10:11], v[4:5], v[4:5] op_sel:[0,1]
.LBB46_3:                               ; =>This Inner Loop Header: Depth=1
	s_load_dwordx2 s[10:11], s[6:7], 0x0
                                        ; implicit-def: $vgpr6_vgpr7
	s_waitcnt lgkmcnt(0)
	v_or_b32_e32 v9, s11, v11
	v_cmp_ne_u64_e32 vcc, 0, v[8:9]
	s_and_saveexec_b64 s[0:1], vcc
	s_xor_b64 s[16:17], exec, s[0:1]
	s_cbranch_execz .LBB46_5
; %bb.4:                                ;   in Loop: Header=BB46_3 Depth=1
	v_cvt_f32_u32_e32 v1, s10
	v_cvt_f32_u32_e32 v6, s11
	s_sub_u32 s0, 0, s10
	s_subb_u32 s1, 0, s11
	v_mac_f32_e32 v1, 0x4f800000, v6
	v_rcp_f32_e32 v1, v1
	v_mul_f32_e32 v1, 0x5f7ffffc, v1
	v_mul_f32_e32 v6, 0x2f800000, v1
	v_trunc_f32_e32 v6, v6
	v_mac_f32_e32 v1, 0xcf800000, v6
	v_cvt_u32_f32_e32 v6, v6
	v_cvt_u32_f32_e32 v1, v1
	v_mul_lo_u32 v7, s0, v6
	v_mul_hi_u32 v12, s0, v1
	v_mul_lo_u32 v9, s1, v1
	v_add_u32_e32 v7, v12, v7
	v_mul_lo_u32 v13, s0, v1
	v_add_u32_e32 v7, v7, v9
	v_mul_hi_u32 v12, v1, v13
	v_mul_lo_u32 v14, v1, v7
	v_mul_hi_u32 v9, v1, v7
	v_add_co_u32_e32 v12, vcc, v12, v14
	v_addc_co_u32_e32 v9, vcc, 0, v9, vcc
	v_mul_hi_u32 v15, v6, v13
	v_mul_lo_u32 v13, v6, v13
	v_add_co_u32_e32 v12, vcc, v12, v13
	v_mul_hi_u32 v14, v6, v7
	v_addc_co_u32_e32 v9, vcc, v9, v15, vcc
	v_addc_co_u32_e32 v12, vcc, 0, v14, vcc
	v_mul_lo_u32 v7, v6, v7
	v_add_co_u32_e32 v7, vcc, v9, v7
	v_addc_co_u32_e32 v9, vcc, 0, v12, vcc
	v_add_co_u32_e32 v1, vcc, v1, v7
	v_addc_co_u32_e32 v6, vcc, v6, v9, vcc
	v_mul_lo_u32 v7, s0, v6
	v_mul_hi_u32 v9, s0, v1
	v_add_u32_e32 v7, v9, v7
	v_mul_lo_u32 v9, s1, v1
	v_add_u32_e32 v7, v7, v9
	v_mul_lo_u32 v12, s0, v1
	v_mul_hi_u32 v13, v6, v12
	v_mul_lo_u32 v14, v6, v12
	v_mul_lo_u32 v17, v1, v7
	v_mul_hi_u32 v12, v1, v12
	v_mul_hi_u32 v15, v1, v7
	v_add_co_u32_e32 v12, vcc, v12, v17
	v_addc_co_u32_e32 v15, vcc, 0, v15, vcc
	v_add_co_u32_e32 v12, vcc, v12, v14
	v_mul_hi_u32 v9, v6, v7
	v_addc_co_u32_e32 v12, vcc, v15, v13, vcc
	v_addc_co_u32_e32 v9, vcc, 0, v9, vcc
	v_mul_lo_u32 v7, v6, v7
	v_add_co_u32_e32 v7, vcc, v12, v7
	v_addc_co_u32_e32 v9, vcc, 0, v9, vcc
	v_add_co_u32_e32 v1, vcc, v1, v7
	v_addc_co_u32_e32 v9, vcc, v6, v9, vcc
	v_mad_u64_u32 v[6:7], s[0:1], v10, v9, 0
	v_mul_hi_u32 v12, v10, v1
	v_add_co_u32_e32 v14, vcc, v12, v6
	v_addc_co_u32_e32 v15, vcc, 0, v7, vcc
	v_mad_u64_u32 v[12:13], s[0:1], v11, v1, 0
	v_add_co_u32_e32 v1, vcc, v14, v12
	v_mad_u64_u32 v[6:7], s[0:1], v11, v9, 0
	v_addc_co_u32_e32 v1, vcc, v15, v13, vcc
	v_addc_co_u32_e32 v7, vcc, 0, v7, vcc
	v_add_co_u32_e32 v1, vcc, v1, v6
	v_addc_co_u32_e32 v9, vcc, 0, v7, vcc
	v_mul_lo_u32 v12, s11, v1
	v_mul_lo_u32 v13, s10, v9
	v_mad_u64_u32 v[6:7], s[0:1], s10, v1, 0
	v_add3_u32 v7, v7, v13, v12
	v_sub_u32_e32 v12, v11, v7
	v_mov_b32_e32 v13, s11
	v_sub_co_u32_e32 v6, vcc, v10, v6
	v_subb_co_u32_e64 v12, s[0:1], v12, v13, vcc
	v_subrev_co_u32_e64 v13, s[0:1], s10, v6
	v_subbrev_co_u32_e64 v12, s[0:1], 0, v12, s[0:1]
	v_cmp_le_u32_e64 s[0:1], s11, v12
	v_cndmask_b32_e64 v14, 0, -1, s[0:1]
	v_cmp_le_u32_e64 s[0:1], s10, v13
	v_cndmask_b32_e64 v13, 0, -1, s[0:1]
	v_cmp_eq_u32_e64 s[0:1], s11, v12
	v_cndmask_b32_e64 v12, v14, v13, s[0:1]
	v_add_co_u32_e64 v13, s[0:1], 2, v1
	v_addc_co_u32_e64 v14, s[0:1], 0, v9, s[0:1]
	v_add_co_u32_e64 v15, s[0:1], 1, v1
	v_addc_co_u32_e64 v17, s[0:1], 0, v9, s[0:1]
	v_subb_co_u32_e32 v7, vcc, v11, v7, vcc
	v_cmp_ne_u32_e64 s[0:1], 0, v12
	v_cmp_le_u32_e32 vcc, s11, v7
	v_cndmask_b32_e64 v12, v17, v14, s[0:1]
	v_cndmask_b32_e64 v14, 0, -1, vcc
	v_cmp_le_u32_e32 vcc, s10, v6
	v_cndmask_b32_e64 v6, 0, -1, vcc
	v_cmp_eq_u32_e32 vcc, s11, v7
	v_cndmask_b32_e32 v6, v14, v6, vcc
	v_cmp_ne_u32_e32 vcc, 0, v6
	v_cndmask_b32_e64 v6, v15, v13, s[0:1]
	v_cndmask_b32_e32 v7, v9, v12, vcc
	v_cndmask_b32_e32 v6, v1, v6, vcc
.LBB46_5:                               ;   in Loop: Header=BB46_3 Depth=1
	s_andn2_saveexec_b64 s[0:1], s[16:17]
	s_cbranch_execz .LBB46_7
; %bb.6:                                ;   in Loop: Header=BB46_3 Depth=1
	v_cvt_f32_u32_e32 v1, s10
	s_sub_i32 s16, 0, s10
	v_rcp_iflag_f32_e32 v1, v1
	v_mul_f32_e32 v1, 0x4f7ffffe, v1
	v_cvt_u32_f32_e32 v1, v1
	v_mul_lo_u32 v6, s16, v1
	v_mul_hi_u32 v6, v1, v6
	v_add_u32_e32 v1, v1, v6
	v_mul_hi_u32 v1, v10, v1
	v_mul_lo_u32 v6, v1, s10
	v_sub_u32_e32 v6, v10, v6
	v_add_u32_e32 v7, 1, v1
	v_subrev_u32_e32 v9, s10, v6
	v_cmp_le_u32_e32 vcc, s10, v6
	v_cndmask_b32_e32 v6, v6, v9, vcc
	v_cndmask_b32_e32 v1, v1, v7, vcc
	v_add_u32_e32 v7, 1, v1
	v_cmp_le_u32_e32 vcc, s10, v6
	v_cndmask_b32_e32 v6, v1, v7, vcc
	v_mov_b32_e32 v7, v8
.LBB46_7:                               ;   in Loop: Header=BB46_3 Depth=1
	s_or_b64 exec, exec, s[0:1]
	v_mad_u64_u32 v[12:13], s[0:1], v6, s10, 0
	s_load_dwordx2 s[0:1], s[6:7], 0xc8
	v_mul_lo_u32 v1, v7, s10
	v_mul_lo_u32 v9, v6, s11
	v_add3_u32 v1, v13, v9, v1
	v_sub_co_u32_e32 v9, vcc, v10, v12
	s_add_i32 s18, s18, -1
	v_subb_co_u32_e32 v1, vcc, v11, v1, vcc
	s_add_u32 s6, s6, -8
	s_waitcnt lgkmcnt(0)
	v_mul_lo_u32 v1, s0, v1
	v_mul_lo_u32 v10, s1, v9
	v_mad_u64_u32 v[2:3], s[0:1], s0, v9, v[2:3]
	s_addc_u32 s7, s7, -1
	s_cmp_gt_u32 s18, 2
	v_add3_u32 v3, v10, v3, v1
	s_cbranch_scc0 .LBB46_9
; %bb.8:                                ;   in Loop: Header=BB46_3 Depth=1
	v_pk_mov_b32 v[10:11], v[6:7], v[6:7] op_sel:[0,1]
	s_branch .LBB46_3
.LBB46_9:
	s_load_dword s0, s[4:5], 0x350
	s_load_dwordx2 s[6:7], s[4:5], 0xd0
	v_pk_mov_b32 v[8:9], 0, 0
	v_pk_mov_b32 v[14:15], v[4:5], v[4:5] op_sel:[0,1]
	s_waitcnt lgkmcnt(0)
	s_cmp_lt_i32 s0, 2
	s_cbranch_scc1 .LBB46_17
; %bb.10:
	s_add_i32 s20, s0, 1
	s_add_i32 s0, s0, -1
	s_mov_b32 s1, 0
	s_lshl_b64 s[0:1], s[0:1], 3
	s_add_u32 s0, s0, s4
	s_addc_u32 s1, s1, s5
	s_add_u32 s10, s0, 0x1c0
	s_addc_u32 s11, s1, 0
	v_pk_mov_b32 v[8:9], 0, 0
	v_mov_b32_e32 v10, 0
	v_pk_mov_b32 v[12:13], v[4:5], v[4:5] op_sel:[0,1]
.LBB46_11:                              ; =>This Inner Loop Header: Depth=1
	s_load_dwordx2 s[16:17], s[10:11], 0x0
                                        ; implicit-def: $vgpr14_vgpr15
	s_waitcnt lgkmcnt(0)
	v_or_b32_e32 v11, s17, v13
	v_cmp_ne_u64_e32 vcc, 0, v[10:11]
	s_and_saveexec_b64 s[0:1], vcc
	s_xor_b64 s[18:19], exec, s[0:1]
	s_cbranch_execz .LBB46_13
; %bb.12:                               ;   in Loop: Header=BB46_11 Depth=1
	v_cvt_f32_u32_e32 v1, s16
	v_cvt_f32_u32_e32 v11, s17
	s_sub_u32 s0, 0, s16
	s_subb_u32 s1, 0, s17
	v_mac_f32_e32 v1, 0x4f800000, v11
	v_rcp_f32_e32 v1, v1
	v_mul_f32_e32 v1, 0x5f7ffffc, v1
	v_mul_f32_e32 v11, 0x2f800000, v1
	v_trunc_f32_e32 v11, v11
	v_mac_f32_e32 v1, 0xcf800000, v11
	v_cvt_u32_f32_e32 v11, v11
	v_cvt_u32_f32_e32 v1, v1
	v_mul_lo_u32 v14, s0, v11
	v_mul_hi_u32 v17, s0, v1
	v_mul_lo_u32 v15, s1, v1
	v_add_u32_e32 v14, v17, v14
	v_mul_lo_u32 v18, s0, v1
	v_add_u32_e32 v14, v14, v15
	v_mul_hi_u32 v17, v1, v18
	v_mul_lo_u32 v19, v1, v14
	v_mul_hi_u32 v15, v1, v14
	v_add_co_u32_e32 v17, vcc, v17, v19
	v_addc_co_u32_e32 v15, vcc, 0, v15, vcc
	v_mul_hi_u32 v20, v11, v18
	v_mul_lo_u32 v18, v11, v18
	v_add_co_u32_e32 v17, vcc, v17, v18
	v_mul_hi_u32 v19, v11, v14
	v_addc_co_u32_e32 v15, vcc, v15, v20, vcc
	v_addc_co_u32_e32 v17, vcc, 0, v19, vcc
	v_mul_lo_u32 v14, v11, v14
	v_add_co_u32_e32 v14, vcc, v15, v14
	v_addc_co_u32_e32 v15, vcc, 0, v17, vcc
	v_add_co_u32_e32 v1, vcc, v1, v14
	v_addc_co_u32_e32 v11, vcc, v11, v15, vcc
	v_mul_lo_u32 v14, s0, v11
	v_mul_hi_u32 v15, s0, v1
	v_add_u32_e32 v14, v15, v14
	v_mul_lo_u32 v15, s1, v1
	v_add_u32_e32 v14, v14, v15
	v_mul_lo_u32 v17, s0, v1
	v_mul_hi_u32 v18, v11, v17
	v_mul_lo_u32 v19, v11, v17
	v_mul_lo_u32 v21, v1, v14
	v_mul_hi_u32 v17, v1, v17
	v_mul_hi_u32 v20, v1, v14
	v_add_co_u32_e32 v17, vcc, v17, v21
	v_addc_co_u32_e32 v20, vcc, 0, v20, vcc
	v_add_co_u32_e32 v17, vcc, v17, v19
	v_mul_hi_u32 v15, v11, v14
	v_addc_co_u32_e32 v17, vcc, v20, v18, vcc
	v_addc_co_u32_e32 v15, vcc, 0, v15, vcc
	v_mul_lo_u32 v14, v11, v14
	v_add_co_u32_e32 v14, vcc, v17, v14
	v_addc_co_u32_e32 v15, vcc, 0, v15, vcc
	v_add_co_u32_e32 v1, vcc, v1, v14
	v_addc_co_u32_e32 v11, vcc, v11, v15, vcc
	v_mad_u64_u32 v[14:15], s[0:1], v12, v11, 0
	v_mul_hi_u32 v17, v12, v1
	v_add_co_u32_e32 v17, vcc, v17, v14
	v_addc_co_u32_e32 v20, vcc, 0, v15, vcc
	v_mad_u64_u32 v[18:19], s[0:1], v13, v1, 0
	v_add_co_u32_e32 v1, vcc, v17, v18
	v_mad_u64_u32 v[14:15], s[0:1], v13, v11, 0
	v_addc_co_u32_e32 v1, vcc, v20, v19, vcc
	v_addc_co_u32_e32 v11, vcc, 0, v15, vcc
	v_add_co_u32_e32 v1, vcc, v1, v14
	v_addc_co_u32_e32 v11, vcc, 0, v11, vcc
	v_mul_lo_u32 v17, s17, v1
	v_mul_lo_u32 v18, s16, v11
	v_mad_u64_u32 v[14:15], s[0:1], s16, v1, 0
	v_add3_u32 v15, v15, v18, v17
	v_sub_u32_e32 v17, v13, v15
	v_mov_b32_e32 v18, s17
	v_sub_co_u32_e32 v14, vcc, v12, v14
	v_subb_co_u32_e64 v17, s[0:1], v17, v18, vcc
	v_subrev_co_u32_e64 v18, s[0:1], s16, v14
	v_subbrev_co_u32_e64 v17, s[0:1], 0, v17, s[0:1]
	v_cmp_le_u32_e64 s[0:1], s17, v17
	v_cndmask_b32_e64 v19, 0, -1, s[0:1]
	v_cmp_le_u32_e64 s[0:1], s16, v18
	v_cndmask_b32_e64 v18, 0, -1, s[0:1]
	v_cmp_eq_u32_e64 s[0:1], s17, v17
	v_cndmask_b32_e64 v17, v19, v18, s[0:1]
	v_add_co_u32_e64 v18, s[0:1], 2, v1
	v_addc_co_u32_e64 v19, s[0:1], 0, v11, s[0:1]
	v_add_co_u32_e64 v20, s[0:1], 1, v1
	v_addc_co_u32_e64 v21, s[0:1], 0, v11, s[0:1]
	v_subb_co_u32_e32 v15, vcc, v13, v15, vcc
	v_cmp_ne_u32_e64 s[0:1], 0, v17
	v_cmp_le_u32_e32 vcc, s17, v15
	v_cndmask_b32_e64 v17, v21, v19, s[0:1]
	v_cndmask_b32_e64 v19, 0, -1, vcc
	v_cmp_le_u32_e32 vcc, s16, v14
	v_cndmask_b32_e64 v14, 0, -1, vcc
	v_cmp_eq_u32_e32 vcc, s17, v15
	v_cndmask_b32_e32 v14, v19, v14, vcc
	v_cmp_ne_u32_e32 vcc, 0, v14
	v_cndmask_b32_e32 v15, v11, v17, vcc
	v_cndmask_b32_e64 v11, v20, v18, s[0:1]
	v_cndmask_b32_e32 v14, v1, v11, vcc
.LBB46_13:                              ;   in Loop: Header=BB46_11 Depth=1
	s_andn2_saveexec_b64 s[0:1], s[18:19]
	s_cbranch_execz .LBB46_15
; %bb.14:                               ;   in Loop: Header=BB46_11 Depth=1
	v_cvt_f32_u32_e32 v1, s16
	s_sub_i32 s18, 0, s16
	v_rcp_iflag_f32_e32 v1, v1
	v_mul_f32_e32 v1, 0x4f7ffffe, v1
	v_cvt_u32_f32_e32 v1, v1
	v_mul_lo_u32 v11, s18, v1
	v_mul_hi_u32 v11, v1, v11
	v_add_u32_e32 v1, v1, v11
	v_mul_hi_u32 v1, v12, v1
	v_mul_lo_u32 v11, v1, s16
	v_sub_u32_e32 v11, v12, v11
	v_add_u32_e32 v14, 1, v1
	v_subrev_u32_e32 v15, s16, v11
	v_cmp_le_u32_e32 vcc, s16, v11
	v_cndmask_b32_e32 v11, v11, v15, vcc
	v_cndmask_b32_e32 v1, v1, v14, vcc
	v_add_u32_e32 v14, 1, v1
	v_cmp_le_u32_e32 vcc, s16, v11
	v_cndmask_b32_e32 v14, v1, v14, vcc
	v_mov_b32_e32 v15, v10
.LBB46_15:                              ;   in Loop: Header=BB46_11 Depth=1
	s_or_b64 exec, exec, s[0:1]
	v_mad_u64_u32 v[18:19], s[0:1], v14, s16, 0
	s_load_dwordx2 s[0:1], s[10:11], 0xc8
	v_mul_lo_u32 v1, v15, s16
	v_mul_lo_u32 v11, v14, s17
	v_add3_u32 v1, v19, v11, v1
	v_sub_co_u32_e32 v11, vcc, v12, v18
	s_add_i32 s20, s20, -1
	v_subb_co_u32_e32 v1, vcc, v13, v1, vcc
	s_add_u32 s10, s10, -8
	s_waitcnt lgkmcnt(0)
	v_mul_lo_u32 v1, s0, v1
	v_mul_lo_u32 v12, s1, v11
	v_mad_u64_u32 v[8:9], s[0:1], s0, v11, v[8:9]
	s_addc_u32 s11, s11, -1
	s_cmp_gt_u32 s20, 2
	v_add3_u32 v9, v12, v9, v1
	s_cbranch_scc0 .LBB46_17
; %bb.16:                               ;   in Loop: Header=BB46_11 Depth=1
	v_pk_mov_b32 v[12:13], v[14:15], v[14:15] op_sel:[0,1]
	s_branch .LBB46_11
.LBB46_17:
	v_mul_lo_u32 v1, s7, v6
	v_mul_lo_u32 v10, s6, v7
	v_mad_u64_u32 v[6:7], s[0:1], s6, v6, 0
	s_load_dwordx2 s[10:11], s[4:5], 0x358
	s_load_dwordx2 s[0:1], s[4:5], 0x288
	;; [unrolled: 1-line block ×4, first 2 shown]
	v_add3_u32 v7, v7, v10, v1
	v_cmp_gt_u64_e32 vcc, s[12:13], v[4:5]
	v_lshlrev_b64 v[6:7], 3, v[6:7]
	s_waitcnt lgkmcnt(0)
	v_mul_lo_u32 v1, s1, v14
	v_mul_lo_u32 v10, s0, v15
	v_mad_u64_u32 v[4:5], s[0:1], s0, v14, 0
	v_add3_u32 v5, v5, v10, v1
	v_mov_b32_e32 v1, s7
	v_add_co_u32_e64 v6, s[0:1], s6, v6
	v_addc_co_u32_e64 v1, s[0:1], v1, v7, s[0:1]
	v_lshlrev_b64 v[2:3], 3, v[2:3]
	v_add_co_u32_e64 v12, s[0:1], v6, v2
	v_addc_co_u32_e64 v13, s[0:1], v1, v3, s[0:1]
	v_lshlrev_b64 v[2:3], 3, v[4:5]
	v_mov_b32_e32 v1, s17
	v_add_co_u32_e64 v4, s[0:1], s16, v2
	s_load_dword s12, s[2:3], 0xc
	v_addc_co_u32_e64 v1, s[0:1], v1, v3, s[0:1]
	v_lshlrev_b64 v[2:3], 3, v[8:9]
	v_add_co_u32_e64 v10, s[0:1], v4, v2
	v_mov_b32_e32 v5, 0
	v_addc_co_u32_e64 v11, s[0:1], v1, v3, s[0:1]
	v_and_b32_e32 v6, 0x3ff, v0
	v_mov_b32_e32 v7, v5
	v_cmp_gt_u64_e64 s[0:1], s[14:15], v[6:7]
	v_pk_mov_b32 v[0:1], 0, 0
	s_and_b64 s[4:5], vcc, s[0:1]
	v_pk_mov_b32 v[2:3], 0, 0
	v_pk_mov_b32 v[8:9], v[0:1], v[0:1] op_sel:[0,1]
	s_and_saveexec_b64 s[6:7], s[4:5]
	s_cbranch_execz .LBB46_19
; %bb.18:
	v_mad_u64_u32 v[2:3], s[2:3], v6, s8, 0
	v_mov_b32_e32 v4, v3
	v_mad_u64_u32 v[8:9], s[2:3], v6, s9, v[4:5]
	v_mov_b32_e32 v3, v8
	v_lshlrev_b64 v[2:3], 3, v[2:3]
	v_add_co_u32_e64 v2, s[2:3], v12, v2
	v_addc_co_u32_e64 v3, s[2:3], v13, v3, s[2:3]
	v_mad_u64_u32 v[8:9], s[2:3], v6, s10, 0
	v_mov_b32_e32 v4, v9
	v_mad_u64_u32 v[14:15], s[2:3], v6, s11, v[4:5]
	v_mov_b32_e32 v9, v14
	v_lshlrev_b64 v[8:9], 3, v[8:9]
	v_add_co_u32_e64 v8, s[2:3], v10, v8
	v_addc_co_u32_e64 v9, s[2:3], v11, v9, s[2:3]
	global_load_dwordx2 v[2:3], v[2:3], off
	s_nop 0
	global_load_dwordx2 v[8:9], v[8:9], off
.LBB46_19:
	s_or_b64 exec, exec, s[6:7]
	v_lshlrev_b32_e32 v21, 8, v16
	v_mov_b32_e32 v7, 0x2000
	v_lshlrev_b32_e32 v15, 3, v6
	v_lshl_add_u32 v20, v16, 5, v7
	v_add_u32_e32 v14, v21, v15
	s_waitcnt lgkmcnt(0)
	s_and_b32 s16, 0xffff, s12
	v_cndmask_b32_e64 v4, 0, 1, s[4:5]
	s_waitcnt vmcnt(1)
	ds_write_b64 v14, v[2:3]
	v_add_u32_e32 v2, v20, v6
	ds_write_b8 v2, v4
	v_add_u32_e32 v4, s16, v6
	v_add_u32_e32 v17, 0x1000, v21
	v_cmp_gt_u64_e64 s[2:3], s[14:15], v[4:5]
	v_add_u32_e32 v7, v17, v15
	s_and_b64 s[6:7], vcc, s[2:3]
	v_pk_mov_b32 v[2:3], v[0:1], v[0:1] op_sel:[0,1]
	s_waitcnt vmcnt(0)
	ds_write_b64 v7, v[8:9]
	s_and_saveexec_b64 s[12:13], s[6:7]
	s_cbranch_execz .LBB46_21
; %bb.20:
	v_mad_u64_u32 v[0:1], s[4:5], v4, s8, 0
	v_mov_b32_e32 v2, v1
	v_mad_u64_u32 v[2:3], s[4:5], v4, s9, v[2:3]
	v_mov_b32_e32 v1, v2
	v_lshlrev_b64 v[0:1], 3, v[0:1]
	v_add_co_u32_e64 v0, s[4:5], v12, v0
	v_addc_co_u32_e64 v1, s[4:5], v13, v1, s[4:5]
	v_mad_u64_u32 v[2:3], s[4:5], v4, s10, 0
	v_mov_b32_e32 v8, v3
	v_mad_u64_u32 v[8:9], s[4:5], v4, s11, v[8:9]
	v_mov_b32_e32 v3, v8
	v_lshlrev_b64 v[2:3], 3, v[2:3]
	v_add_co_u32_e64 v2, s[4:5], v10, v2
	v_addc_co_u32_e64 v3, s[4:5], v11, v3, s[4:5]
	global_load_dwordx2 v[0:1], v[0:1], off
	s_nop 0
	global_load_dwordx2 v[2:3], v[2:3], off
.LBB46_21:
	s_or_b64 exec, exec, s[12:13]
	s_lshl_b32 s4, s16, 3
	v_add_u32_e32 v8, s4, v14
	v_cndmask_b32_e64 v9, 0, 1, s[6:7]
	s_waitcnt vmcnt(1)
	ds_write_b64 v8, v[0:1]
	v_add_u32_e32 v0, v20, v4
	v_add_u32_e32 v5, s4, v7
	ds_write_b8 v0, v9
	v_add_u32_e32 v9, v14, v15
	s_waitcnt vmcnt(0)
	ds_write_b64 v5, v[2:3]
	s_waitcnt lgkmcnt(0)
	s_barrier
	ds_read_b128 v[0:3], v9
	v_lshlrev_b32_e32 v23, 1, v6
	s_mov_b32 s14, 1
	v_add_u32_e32 v16, v20, v23
	s_waitcnt lgkmcnt(0)
	v_cmp_u_f64_e64 s[4:5], v[2:3], v[2:3]
	v_cmp_o_f64_e64 s[6:7], v[0:1], v[0:1]
	s_and_b64 s[6:7], s[4:5], s[6:7]
	v_cmp_lt_f64_e64 s[4:5], v[0:1], v[2:3]
	s_or_b64 s[4:5], s[6:7], s[4:5]
	s_xor_b64 s[6:7], s[4:5], -1
	s_and_saveexec_b64 s[12:13], s[4:5]
	s_xor_b64 s[12:13], exec, s[12:13]
	s_cbranch_execz .LBB46_23
; %bb.22:
	ds_read_u8 v18, v16
	s_andn2_b64 s[6:7], s[6:7], exec
	s_waitcnt lgkmcnt(0)
	v_and_b32_e32 v18, 1, v18
	v_cmp_eq_u32_e64 s[4:5], 1, v18
	s_xor_b64 s[4:5], s[4:5], -1
	s_and_b64 s[4:5], s[4:5], exec
	s_or_b64 s[6:7], s[6:7], s[4:5]
.LBB46_23:
	s_or_b64 exec, exec, s[12:13]
	v_mov_b32_e32 v19, s14
	s_and_saveexec_b64 s[4:5], s[6:7]
	s_cbranch_execz .LBB46_25
; %bb.24:
	ds_read_u8 v18, v16 offset:1
	s_waitcnt lgkmcnt(0)
	v_xor_b32_e32 v19, 1, v18
.LBB46_25:
	s_or_b64 exec, exec, s[4:5]
	v_and_b32_e32 v18, 1, v6
	v_cmp_eq_u32_e64 s[4:5], v19, v18
	s_and_saveexec_b64 s[6:7], s[4:5]
	s_cbranch_execz .LBB46_27
; %bb.26:
	v_add_u32_e32 v19, v7, v15
	ds_read_b128 v[28:31], v19
	ds_read_u16 v22, v16
	v_mov_b32_e32 v24, v2
	v_mov_b32_e32 v25, v3
	;; [unrolled: 1-line block ×4, first 2 shown]
	s_waitcnt lgkmcnt(1)
	v_mov_b32_e32 v0, v30
	v_mov_b32_e32 v1, v31
	;; [unrolled: 1-line block ×4, first 2 shown]
	s_mov_b32 s4, 0xc0c0001
	ds_write_b128 v19, v[0:3]
	s_waitcnt lgkmcnt(1)
	v_perm_b32 v0, 0, v22, s4
	ds_write_b128 v9, v[24:27]
	ds_write_b16 v16, v0
.LBB46_27:
	s_or_b64 exec, exec, s[6:7]
	v_sub_u32_e32 v22, v23, v18
	v_lshl_add_u32 v18, v22, 3, v21
	s_waitcnt lgkmcnt(0)
	s_barrier
	ds_read2_b64 v[0:3], v18 offset1:2
	v_add_u32_e32 v19, v20, v22
                                        ; implicit-def: $sgpr12
	s_waitcnt lgkmcnt(0)
	v_cmp_u_f64_e64 s[4:5], v[2:3], v[2:3]
	v_cmp_o_f64_e64 s[6:7], v[0:1], v[0:1]
	s_and_b64 s[6:7], s[4:5], s[6:7]
	v_cmp_lt_f64_e64 s[4:5], v[0:1], v[2:3]
	s_or_b64 s[6:7], s[6:7], s[4:5]
	s_mov_b64 s[4:5], -1
	s_and_saveexec_b64 s[14:15], s[6:7]
	s_xor_b64 s[6:7], exec, s[14:15]
	s_cbranch_execz .LBB46_29
; %bb.28:
	ds_read_u8 v24, v19
	s_mov_b32 s12, 1
	s_waitcnt lgkmcnt(0)
	v_and_b32_e32 v24, 1, v24
	v_cmp_eq_u32_e64 s[4:5], 1, v24
	s_xor_b64 s[4:5], s[4:5], -1
	s_orn2_b64 s[4:5], s[4:5], exec
.LBB46_29:
	s_or_b64 exec, exec, s[6:7]
	v_mov_b32_e32 v25, s12
	s_and_saveexec_b64 s[6:7], s[4:5]
	s_cbranch_execz .LBB46_31
; %bb.30:
	ds_read_u8 v24, v19 offset:2
	s_waitcnt lgkmcnt(0)
	v_xor_b32_e32 v25, 1, v24
.LBB46_31:
	s_or_b64 exec, exec, s[6:7]
	v_bfe_u32 v24, v6, 1, 1
	v_lshl_add_u32 v22, v22, 3, v17
	v_cmp_eq_u32_e64 s[4:5], v25, v24
	s_and_saveexec_b64 s[6:7], s[4:5]
	s_cbranch_execz .LBB46_33
; %bb.32:
	ds_read2_b64 v[26:29], v22 offset1:2
	ds_read_u8 v25, v19 offset:2
	ds_read_u8 v30, v19
	ds_write2_b64 v18, v[2:3], v[0:1] offset1:2
	s_waitcnt lgkmcnt(3)
	ds_write2_b64 v22, v[28:29], v[26:27] offset1:2
	s_waitcnt lgkmcnt(3)
	ds_write_b8 v19, v25
	s_waitcnt lgkmcnt(3)
	ds_write_b8 v19, v30 offset:2
.LBB46_33:
	s_or_b64 exec, exec, s[6:7]
	s_waitcnt lgkmcnt(0)
	s_barrier
	ds_read_b128 v[0:3], v9
                                        ; implicit-def: $sgpr14
	s_waitcnt lgkmcnt(0)
	v_cmp_u_f64_e64 s[4:5], v[2:3], v[2:3]
	v_cmp_o_f64_e64 s[6:7], v[0:1], v[0:1]
	s_and_b64 s[6:7], s[4:5], s[6:7]
	v_cmp_lt_f64_e64 s[4:5], v[0:1], v[2:3]
	s_or_b64 s[4:5], s[6:7], s[4:5]
	s_xor_b64 s[6:7], s[4:5], -1
	s_and_saveexec_b64 s[12:13], s[4:5]
	s_cbranch_execnz .LBB46_100
; %bb.34:
	s_or_b64 exec, exec, s[12:13]
	v_mov_b32_e32 v25, s14
	s_and_saveexec_b64 s[4:5], s[6:7]
	s_cbranch_execnz .LBB46_101
.LBB46_35:
	s_or_b64 exec, exec, s[4:5]
	v_cmp_eq_u32_e64 s[4:5], v25, v24
	s_and_saveexec_b64 s[6:7], s[4:5]
	s_cbranch_execz .LBB46_37
.LBB46_36:
	v_add_u32_e32 v32, v7, v15
	v_mov_b32_e32 v24, v2
	v_mov_b32_e32 v25, v3
	ds_read_b128 v[28:31], v32
	v_mov_b32_e32 v26, v0
	v_mov_b32_e32 v27, v1
	ds_write_b128 v9, v[24:27]
	ds_read_u16 v24, v16
	s_waitcnt lgkmcnt(2)
	v_mov_b32_e32 v0, v30
	v_mov_b32_e32 v1, v31
	;; [unrolled: 1-line block ×4, first 2 shown]
	s_mov_b32 s4, 0xc0c0001
	ds_write_b128 v32, v[0:3]
	s_waitcnt lgkmcnt(1)
	v_perm_b32 v0, 0, v24, s4
	ds_write_b16 v16, v0
.LBB46_37:
	s_or_b64 exec, exec, s[6:7]
	v_and_b32_e32 v0, 3, v6
	v_sub_u32_e32 v26, v23, v0
	v_lshl_add_u32 v24, v26, 3, v21
	s_waitcnt lgkmcnt(0)
	s_barrier
	ds_read2_b64 v[0:3], v24 offset1:4
	v_add_u32_e32 v25, v20, v26
                                        ; implicit-def: $sgpr14
	s_waitcnt lgkmcnt(0)
	v_cmp_u_f64_e64 s[4:5], v[2:3], v[2:3]
	v_cmp_o_f64_e64 s[6:7], v[0:1], v[0:1]
	s_and_b64 s[6:7], s[4:5], s[6:7]
	v_cmp_lt_f64_e64 s[4:5], v[0:1], v[2:3]
	s_or_b64 s[4:5], s[6:7], s[4:5]
	s_xor_b64 s[6:7], s[4:5], -1
	s_and_saveexec_b64 s[12:13], s[4:5]
	s_cbranch_execz .LBB46_39
; %bb.38:
	ds_read_u8 v27, v25
	s_andn2_b64 s[6:7], s[6:7], exec
	s_mov_b32 s14, 1
	s_waitcnt lgkmcnt(0)
	v_and_b32_e32 v27, 1, v27
	v_cmp_eq_u32_e64 s[4:5], 1, v27
	s_xor_b64 s[4:5], s[4:5], -1
	s_and_b64 s[4:5], s[4:5], exec
	s_or_b64 s[6:7], s[6:7], s[4:5]
.LBB46_39:
	s_or_b64 exec, exec, s[12:13]
	v_mov_b32_e32 v28, s14
	s_and_saveexec_b64 s[4:5], s[6:7]
	s_cbranch_execz .LBB46_41
; %bb.40:
	ds_read_u8 v27, v25 offset:4
	s_waitcnt lgkmcnt(0)
	v_xor_b32_e32 v28, 1, v27
.LBB46_41:
	s_or_b64 exec, exec, s[4:5]
	v_bfe_u32 v27, v6, 2, 1
	v_lshl_add_u32 v26, v26, 3, v17
	v_cmp_eq_u32_e64 s[4:5], v28, v27
	s_and_saveexec_b64 s[6:7], s[4:5]
	s_cbranch_execz .LBB46_43
; %bb.42:
	ds_read2_b64 v[28:31], v26 offset1:4
	ds_read_u8 v32, v25 offset:4
	ds_read_u8 v33, v25
	ds_write2_b64 v24, v[2:3], v[0:1] offset1:4
	s_waitcnt lgkmcnt(3)
	ds_write2_b64 v26, v[30:31], v[28:29] offset1:4
	s_waitcnt lgkmcnt(3)
	ds_write_b8 v25, v32
	s_waitcnt lgkmcnt(3)
	ds_write_b8 v25, v33 offset:4
.LBB46_43:
	s_or_b64 exec, exec, s[6:7]
	s_waitcnt lgkmcnt(0)
	s_barrier
	ds_read2_b64 v[0:3], v18 offset1:2
                                        ; implicit-def: $sgpr14
	s_waitcnt lgkmcnt(0)
	v_cmp_u_f64_e64 s[4:5], v[2:3], v[2:3]
	v_cmp_o_f64_e64 s[6:7], v[0:1], v[0:1]
	s_and_b64 s[6:7], s[4:5], s[6:7]
	v_cmp_lt_f64_e64 s[4:5], v[0:1], v[2:3]
	s_or_b64 s[4:5], s[6:7], s[4:5]
	s_xor_b64 s[6:7], s[4:5], -1
	s_and_saveexec_b64 s[12:13], s[4:5]
	s_cbranch_execnz .LBB46_102
; %bb.44:
	s_or_b64 exec, exec, s[12:13]
	v_mov_b32_e32 v28, s14
	s_and_saveexec_b64 s[4:5], s[6:7]
	s_cbranch_execnz .LBB46_103
.LBB46_45:
	s_or_b64 exec, exec, s[4:5]
	v_cmp_eq_u32_e64 s[4:5], v28, v27
	s_and_saveexec_b64 s[6:7], s[4:5]
	s_cbranch_execz .LBB46_47
.LBB46_46:
	ds_read2_b64 v[28:31], v22 offset1:2
	ds_read_u8 v32, v19 offset:2
	ds_read_u8 v33, v19
	ds_write2_b64 v18, v[2:3], v[0:1] offset1:2
	s_waitcnt lgkmcnt(3)
	ds_write2_b64 v22, v[30:31], v[28:29] offset1:2
	s_waitcnt lgkmcnt(3)
	ds_write_b8 v19, v32
	s_waitcnt lgkmcnt(3)
	ds_write_b8 v19, v33 offset:2
.LBB46_47:
	s_or_b64 exec, exec, s[6:7]
	s_waitcnt lgkmcnt(0)
	s_barrier
	ds_read_b128 v[0:3], v9
                                        ; implicit-def: $sgpr14
	s_waitcnt lgkmcnt(0)
	v_cmp_u_f64_e64 s[4:5], v[2:3], v[2:3]
	v_cmp_o_f64_e64 s[6:7], v[0:1], v[0:1]
	s_and_b64 s[6:7], s[4:5], s[6:7]
	v_cmp_lt_f64_e64 s[4:5], v[0:1], v[2:3]
	s_or_b64 s[4:5], s[6:7], s[4:5]
	s_xor_b64 s[6:7], s[4:5], -1
	s_and_saveexec_b64 s[12:13], s[4:5]
	s_cbranch_execnz .LBB46_104
; %bb.48:
	s_or_b64 exec, exec, s[12:13]
	v_mov_b32_e32 v28, s14
	s_and_saveexec_b64 s[4:5], s[6:7]
	s_cbranch_execnz .LBB46_105
.LBB46_49:
	s_or_b64 exec, exec, s[4:5]
	v_cmp_eq_u32_e64 s[4:5], v28, v27
	s_and_saveexec_b64 s[6:7], s[4:5]
	s_cbranch_execz .LBB46_51
.LBB46_50:
	v_add_u32_e32 v27, v7, v15
	v_mov_b32_e32 v28, v2
	v_mov_b32_e32 v29, v3
	ds_read_b128 v[32:35], v27
	v_mov_b32_e32 v30, v0
	v_mov_b32_e32 v31, v1
	ds_write_b128 v9, v[28:31]
	ds_read_u16 v28, v16
	s_waitcnt lgkmcnt(2)
	v_mov_b32_e32 v0, v34
	v_mov_b32_e32 v1, v35
	;; [unrolled: 1-line block ×4, first 2 shown]
	s_mov_b32 s4, 0xc0c0001
	ds_write_b128 v27, v[0:3]
	s_waitcnt lgkmcnt(1)
	v_perm_b32 v0, 0, v28, s4
	ds_write_b16 v16, v0
.LBB46_51:
	s_or_b64 exec, exec, s[6:7]
	v_and_b32_e32 v0, 7, v6
	v_sub_u32_e32 v29, v23, v0
	v_lshl_add_u32 v27, v29, 3, v21
	s_waitcnt lgkmcnt(0)
	s_barrier
	ds_read2_b64 v[0:3], v27 offset1:8
	v_add_u32_e32 v28, v20, v29
                                        ; implicit-def: $sgpr14
	s_waitcnt lgkmcnt(0)
	v_cmp_u_f64_e64 s[4:5], v[2:3], v[2:3]
	v_cmp_o_f64_e64 s[6:7], v[0:1], v[0:1]
	s_and_b64 s[6:7], s[4:5], s[6:7]
	v_cmp_lt_f64_e64 s[4:5], v[0:1], v[2:3]
	s_or_b64 s[4:5], s[6:7], s[4:5]
	s_xor_b64 s[6:7], s[4:5], -1
	s_and_saveexec_b64 s[12:13], s[4:5]
	s_cbranch_execz .LBB46_53
; %bb.52:
	ds_read_u8 v30, v28
	s_andn2_b64 s[6:7], s[6:7], exec
	s_mov_b32 s14, 1
	s_waitcnt lgkmcnt(0)
	v_and_b32_e32 v30, 1, v30
	v_cmp_eq_u32_e64 s[4:5], 1, v30
	s_xor_b64 s[4:5], s[4:5], -1
	s_and_b64 s[4:5], s[4:5], exec
	s_or_b64 s[6:7], s[6:7], s[4:5]
.LBB46_53:
	s_or_b64 exec, exec, s[12:13]
	v_mov_b32_e32 v31, s14
	s_and_saveexec_b64 s[4:5], s[6:7]
	s_cbranch_execz .LBB46_55
; %bb.54:
	ds_read_u8 v30, v28 offset:8
	s_waitcnt lgkmcnt(0)
	v_xor_b32_e32 v31, 1, v30
.LBB46_55:
	s_or_b64 exec, exec, s[4:5]
	v_bfe_u32 v30, v6, 3, 1
	v_lshl_add_u32 v29, v29, 3, v17
	v_cmp_eq_u32_e64 s[4:5], v31, v30
	s_and_saveexec_b64 s[6:7], s[4:5]
	s_cbranch_execz .LBB46_57
; %bb.56:
	ds_read2_b64 v[32:35], v29 offset1:8
	ds_read_u8 v31, v28 offset:8
	ds_read_u8 v36, v28
	ds_write2_b64 v27, v[2:3], v[0:1] offset1:8
	s_waitcnt lgkmcnt(3)
	ds_write2_b64 v29, v[34:35], v[32:33] offset1:8
	s_waitcnt lgkmcnt(3)
	ds_write_b8 v28, v31
	s_waitcnt lgkmcnt(3)
	ds_write_b8 v28, v36 offset:8
.LBB46_57:
	s_or_b64 exec, exec, s[6:7]
	s_waitcnt lgkmcnt(0)
	s_barrier
	ds_read2_b64 v[0:3], v24 offset1:4
                                        ; implicit-def: $sgpr14
	s_waitcnt lgkmcnt(0)
	v_cmp_u_f64_e64 s[4:5], v[2:3], v[2:3]
	v_cmp_o_f64_e64 s[6:7], v[0:1], v[0:1]
	s_and_b64 s[6:7], s[4:5], s[6:7]
	v_cmp_lt_f64_e64 s[4:5], v[0:1], v[2:3]
	s_or_b64 s[4:5], s[6:7], s[4:5]
	s_xor_b64 s[6:7], s[4:5], -1
	s_and_saveexec_b64 s[12:13], s[4:5]
	s_cbranch_execnz .LBB46_106
; %bb.58:
	s_or_b64 exec, exec, s[12:13]
	v_mov_b32_e32 v31, s14
	s_and_saveexec_b64 s[4:5], s[6:7]
	s_cbranch_execnz .LBB46_107
.LBB46_59:
	s_or_b64 exec, exec, s[4:5]
	v_cmp_eq_u32_e64 s[4:5], v31, v30
	s_and_saveexec_b64 s[6:7], s[4:5]
	s_cbranch_execz .LBB46_61
.LBB46_60:
	ds_read2_b64 v[32:35], v26 offset1:4
	ds_read_u8 v31, v25 offset:4
	ds_read_u8 v36, v25
	ds_write2_b64 v24, v[2:3], v[0:1] offset1:4
	s_waitcnt lgkmcnt(3)
	ds_write2_b64 v26, v[34:35], v[32:33] offset1:4
	s_waitcnt lgkmcnt(3)
	ds_write_b8 v25, v31
	s_waitcnt lgkmcnt(3)
	ds_write_b8 v25, v36 offset:4
.LBB46_61:
	s_or_b64 exec, exec, s[6:7]
	s_waitcnt lgkmcnt(0)
	s_barrier
	ds_read2_b64 v[0:3], v18 offset1:2
                                        ; implicit-def: $sgpr14
	s_waitcnt lgkmcnt(0)
	v_cmp_u_f64_e64 s[4:5], v[2:3], v[2:3]
	v_cmp_o_f64_e64 s[6:7], v[0:1], v[0:1]
	s_and_b64 s[6:7], s[4:5], s[6:7]
	v_cmp_lt_f64_e64 s[4:5], v[0:1], v[2:3]
	s_or_b64 s[4:5], s[6:7], s[4:5]
	s_xor_b64 s[6:7], s[4:5], -1
	s_and_saveexec_b64 s[12:13], s[4:5]
	s_cbranch_execnz .LBB46_108
; %bb.62:
	s_or_b64 exec, exec, s[12:13]
	v_mov_b32_e32 v31, s14
	s_and_saveexec_b64 s[4:5], s[6:7]
	s_cbranch_execnz .LBB46_109
.LBB46_63:
	s_or_b64 exec, exec, s[4:5]
	v_cmp_eq_u32_e64 s[4:5], v31, v30
	s_and_saveexec_b64 s[6:7], s[4:5]
	s_cbranch_execz .LBB46_65
.LBB46_64:
	ds_read2_b64 v[32:35], v22 offset1:2
	ds_read_u8 v31, v19 offset:2
	ds_read_u8 v36, v19
	ds_write2_b64 v18, v[2:3], v[0:1] offset1:2
	s_waitcnt lgkmcnt(3)
	ds_write2_b64 v22, v[34:35], v[32:33] offset1:2
	s_waitcnt lgkmcnt(3)
	ds_write_b8 v19, v31
	s_waitcnt lgkmcnt(3)
	ds_write_b8 v19, v36 offset:2
.LBB46_65:
	s_or_b64 exec, exec, s[6:7]
	s_waitcnt lgkmcnt(0)
	s_barrier
	ds_read_b128 v[0:3], v9
                                        ; implicit-def: $sgpr14
	s_waitcnt lgkmcnt(0)
	v_cmp_u_f64_e64 s[4:5], v[2:3], v[2:3]
	v_cmp_o_f64_e64 s[6:7], v[0:1], v[0:1]
	s_and_b64 s[6:7], s[4:5], s[6:7]
	v_cmp_lt_f64_e64 s[4:5], v[0:1], v[2:3]
	s_or_b64 s[4:5], s[6:7], s[4:5]
	s_xor_b64 s[6:7], s[4:5], -1
	s_and_saveexec_b64 s[12:13], s[4:5]
	s_cbranch_execnz .LBB46_110
; %bb.66:
	s_or_b64 exec, exec, s[12:13]
	v_mov_b32_e32 v31, s14
	s_and_saveexec_b64 s[4:5], s[6:7]
	s_cbranch_execnz .LBB46_111
.LBB46_67:
	s_or_b64 exec, exec, s[4:5]
	v_cmp_eq_u32_e64 s[4:5], v31, v30
	s_and_saveexec_b64 s[6:7], s[4:5]
	s_cbranch_execz .LBB46_69
.LBB46_68:
	v_add_u32_e32 v38, v7, v15
	v_mov_b32_e32 v30, v2
	v_mov_b32_e32 v31, v3
	ds_read_b128 v[34:37], v38
	v_mov_b32_e32 v32, v0
	v_mov_b32_e32 v33, v1
	ds_write_b128 v9, v[30:33]
	ds_read_u16 v30, v16
	s_waitcnt lgkmcnt(2)
	v_mov_b32_e32 v0, v36
	v_mov_b32_e32 v1, v37
	;; [unrolled: 1-line block ×4, first 2 shown]
	s_mov_b32 s4, 0xc0c0001
	ds_write_b128 v38, v[0:3]
	s_waitcnt lgkmcnt(1)
	v_perm_b32 v0, 0, v30, s4
	ds_write_b16 v16, v0
.LBB46_69:
	s_or_b64 exec, exec, s[6:7]
	v_and_b32_e32 v0, 15, v6
	v_sub_u32_e32 v23, v23, v0
	v_lshl_add_u32 v21, v23, 3, v21
	s_waitcnt lgkmcnt(0)
	s_barrier
	ds_read2_b64 v[0:3], v21 offset1:16
	v_add_u32_e32 v20, v20, v23
	s_waitcnt lgkmcnt(0)
	v_cmp_u_f64_e64 s[4:5], v[2:3], v[2:3]
	v_cmp_o_f64_e64 s[6:7], v[0:1], v[0:1]
	s_and_b64 s[6:7], s[4:5], s[6:7]
	v_cmp_lt_f64_e64 s[4:5], v[0:1], v[2:3]
	s_or_b64 s[4:5], s[6:7], s[4:5]
	s_xor_b64 s[12:13], s[4:5], -1
	s_and_saveexec_b64 s[6:7], s[4:5]
	s_cbranch_execz .LBB46_71
; %bb.70:
	ds_read_u8 v30, v20
	s_andn2_b64 s[12:13], s[12:13], exec
	s_waitcnt lgkmcnt(0)
	v_and_b32_e32 v30, 1, v30
	v_cmp_eq_u32_e64 s[4:5], 1, v30
	s_xor_b64 s[4:5], s[4:5], -1
	s_and_b64 s[4:5], s[4:5], exec
	s_or_b64 s[12:13], s[12:13], s[4:5]
.LBB46_71:
	s_or_b64 exec, exec, s[6:7]
	s_and_saveexec_b64 s[6:7], s[12:13]
	s_cbranch_execz .LBB46_74
; %bb.72:
	ds_read_u8 v30, v20 offset:16
	s_waitcnt lgkmcnt(0)
	v_cmp_ne_u16_e64 s[4:5], 0, v30
	s_and_b64 exec, exec, s[4:5]
	s_cbranch_execz .LBB46_74
; %bb.73:
	v_lshl_add_u32 v17, v23, 3, v17
	ds_read2_b64 v[32:35], v17 offset1:16
	ds_read_u8 v23, v20
	ds_write2_b64 v21, v[2:3], v[0:1] offset1:16
	ds_write_b8 v20, v30
	s_waitcnt lgkmcnt(3)
	ds_write2_b64 v17, v[34:35], v[32:33] offset1:16
	s_waitcnt lgkmcnt(3)
	ds_write_b8 v20, v23 offset:16
.LBB46_74:
	s_or_b64 exec, exec, s[6:7]
	s_waitcnt lgkmcnt(0)
	s_barrier
	ds_read2_b64 v[0:3], v27 offset1:8
	s_waitcnt lgkmcnt(0)
	v_cmp_u_f64_e64 s[4:5], v[2:3], v[2:3]
	v_cmp_o_f64_e64 s[6:7], v[0:1], v[0:1]
	s_and_b64 s[6:7], s[4:5], s[6:7]
	v_cmp_lt_f64_e64 s[4:5], v[0:1], v[2:3]
	s_or_b64 s[4:5], s[6:7], s[4:5]
	s_xor_b64 s[12:13], s[4:5], -1
	s_and_saveexec_b64 s[6:7], s[4:5]
	s_cbranch_execz .LBB46_76
; %bb.75:
	ds_read_u8 v17, v28
	s_andn2_b64 s[12:13], s[12:13], exec
	s_waitcnt lgkmcnt(0)
	v_and_b32_e32 v17, 1, v17
	v_cmp_eq_u32_e64 s[4:5], 1, v17
	s_xor_b64 s[4:5], s[4:5], -1
	s_and_b64 s[4:5], s[4:5], exec
	s_or_b64 s[12:13], s[12:13], s[4:5]
.LBB46_76:
	s_or_b64 exec, exec, s[6:7]
	s_and_saveexec_b64 s[6:7], s[12:13]
	s_cbranch_execz .LBB46_79
; %bb.77:
	ds_read_u8 v17, v28 offset:8
	s_waitcnt lgkmcnt(0)
	v_cmp_ne_u16_e64 s[4:5], 0, v17
	s_and_b64 exec, exec, s[4:5]
	s_cbranch_execz .LBB46_79
; %bb.78:
	ds_read2_b64 v[30:33], v29 offset1:8
	ds_read_u8 v20, v28
	ds_write2_b64 v27, v[2:3], v[0:1] offset1:8
	ds_write_b8 v28, v17
	s_waitcnt lgkmcnt(3)
	ds_write2_b64 v29, v[32:33], v[30:31] offset1:8
	s_waitcnt lgkmcnt(3)
	ds_write_b8 v28, v20 offset:8
.LBB46_79:
	s_or_b64 exec, exec, s[6:7]
	s_waitcnt lgkmcnt(0)
	s_barrier
	ds_read2_b64 v[0:3], v24 offset1:4
	s_waitcnt lgkmcnt(0)
	v_cmp_u_f64_e64 s[4:5], v[2:3], v[2:3]
	v_cmp_o_f64_e64 s[6:7], v[0:1], v[0:1]
	s_and_b64 s[6:7], s[4:5], s[6:7]
	v_cmp_lt_f64_e64 s[4:5], v[0:1], v[2:3]
	s_or_b64 s[4:5], s[6:7], s[4:5]
	s_xor_b64 s[12:13], s[4:5], -1
	s_and_saveexec_b64 s[6:7], s[4:5]
	s_cbranch_execz .LBB46_81
; %bb.80:
	ds_read_u8 v17, v25
	s_andn2_b64 s[12:13], s[12:13], exec
	s_waitcnt lgkmcnt(0)
	v_and_b32_e32 v17, 1, v17
	v_cmp_eq_u32_e64 s[4:5], 1, v17
	s_xor_b64 s[4:5], s[4:5], -1
	s_and_b64 s[4:5], s[4:5], exec
	s_or_b64 s[12:13], s[12:13], s[4:5]
.LBB46_81:
	s_or_b64 exec, exec, s[6:7]
	s_and_saveexec_b64 s[6:7], s[12:13]
	s_cbranch_execz .LBB46_84
; %bb.82:
	ds_read_u8 v17, v25 offset:4
	s_waitcnt lgkmcnt(0)
	v_cmp_ne_u16_e64 s[4:5], 0, v17
	s_and_b64 exec, exec, s[4:5]
	s_cbranch_execz .LBB46_84
; %bb.83:
	ds_read2_b64 v[28:31], v26 offset1:4
	ds_read_u8 v20, v25
	ds_write2_b64 v24, v[2:3], v[0:1] offset1:4
	ds_write_b8 v25, v17
	s_waitcnt lgkmcnt(3)
	ds_write2_b64 v26, v[30:31], v[28:29] offset1:4
	s_waitcnt lgkmcnt(3)
	ds_write_b8 v25, v20 offset:4
.LBB46_84:
	;; [unrolled: 42-line block ×3, first 2 shown]
	s_or_b64 exec, exec, s[6:7]
	s_waitcnt lgkmcnt(0)
	s_barrier
	ds_read_b128 v[0:3], v9
	s_waitcnt lgkmcnt(0)
	v_cmp_u_f64_e64 s[4:5], v[2:3], v[2:3]
	v_cmp_o_f64_e64 s[6:7], v[0:1], v[0:1]
	s_and_b64 s[6:7], s[4:5], s[6:7]
	v_cmp_lt_f64_e64 s[4:5], v[0:1], v[2:3]
	s_or_b64 s[4:5], s[6:7], s[4:5]
	s_xor_b64 s[12:13], s[4:5], -1
	s_and_saveexec_b64 s[6:7], s[4:5]
	s_cbranch_execz .LBB46_91
; %bb.90:
	ds_read_u8 v17, v16
	s_andn2_b64 s[12:13], s[12:13], exec
	s_waitcnt lgkmcnt(0)
	v_and_b32_e32 v17, 1, v17
	v_cmp_eq_u32_e64 s[4:5], 1, v17
	s_xor_b64 s[4:5], s[4:5], -1
	s_and_b64 s[4:5], s[4:5], exec
	s_or_b64 s[12:13], s[12:13], s[4:5]
.LBB46_91:
	s_or_b64 exec, exec, s[6:7]
	s_and_saveexec_b64 s[6:7], s[12:13]
	s_cbranch_execz .LBB46_94
; %bb.92:
	ds_read_u8 v17, v16 offset:1
	s_waitcnt lgkmcnt(0)
	v_cmp_ne_u16_e64 s[4:5], 0, v17
	s_and_b64 exec, exec, s[4:5]
	s_cbranch_execz .LBB46_94
; %bb.93:
	v_add_u32_e32 v15, v7, v15
	v_mov_b32_e32 v18, v2
	v_mov_b32_e32 v19, v3
	ds_read_b128 v[22:25], v15
	v_mov_b32_e32 v20, v0
	v_mov_b32_e32 v21, v1
	ds_write_b128 v9, v[18:21]
	ds_read_u8 v9, v16
	s_waitcnt lgkmcnt(2)
	v_mov_b32_e32 v0, v24
	v_mov_b32_e32 v1, v25
	;; [unrolled: 1-line block ×4, first 2 shown]
	ds_write_b128 v15, v[0:3]
	s_waitcnt lgkmcnt(1)
	v_lshlrev_b16_e32 v0, 8, v9
	v_or_b32_e32 v0, v17, v0
	ds_write_b16 v16, v0
.LBB46_94:
	s_or_b64 exec, exec, s[6:7]
	s_waitcnt lgkmcnt(0)
	s_barrier
	s_and_saveexec_b64 s[4:5], vcc
	s_cbranch_execz .LBB46_99
; %bb.95:
	s_and_saveexec_b64 s[4:5], s[0:1]
	s_cbranch_execz .LBB46_97
; %bb.96:
	v_mad_u64_u32 v[2:3], s[0:1], v6, s8, 0
	ds_read_b64 v[0:1], v14
	v_mov_b32_e32 v14, v3
	v_mad_u64_u32 v[14:15], s[0:1], v6, s9, v[14:15]
	v_mov_b32_e32 v3, v14
	v_lshlrev_b64 v[2:3], 3, v[2:3]
	v_add_co_u32_e32 v2, vcc, v12, v2
	v_addc_co_u32_e32 v3, vcc, v13, v3, vcc
	s_waitcnt lgkmcnt(0)
	global_store_dwordx2 v[2:3], v[0:1], off
	v_mad_u64_u32 v[0:1], s[0:1], v6, s10, 0
	v_mov_b32_e32 v2, v1
	ds_read_b64 v[14:15], v7
	v_mad_u64_u32 v[2:3], s[0:1], v6, s11, v[2:3]
	v_mov_b32_e32 v1, v2
	v_lshlrev_b64 v[0:1], 3, v[0:1]
	v_add_co_u32_e32 v0, vcc, v10, v0
	v_addc_co_u32_e32 v1, vcc, v11, v1, vcc
	s_waitcnt lgkmcnt(0)
	global_store_dwordx2 v[0:1], v[14:15], off
.LBB46_97:
	s_or_b64 exec, exec, s[4:5]
	s_and_b64 exec, exec, s[2:3]
	s_cbranch_execz .LBB46_99
; %bb.98:
	v_mad_u64_u32 v[2:3], s[0:1], v4, s8, 0
	v_mov_b32_e32 v6, v3
	ds_read_b64 v[0:1], v8
	v_mad_u64_u32 v[6:7], s[0:1], v4, s9, v[6:7]
	v_mov_b32_e32 v3, v6
	ds_read_b64 v[6:7], v5
	v_lshlrev_b64 v[2:3], 3, v[2:3]
	v_add_co_u32_e32 v2, vcc, v12, v2
	v_addc_co_u32_e32 v3, vcc, v13, v3, vcc
	s_waitcnt lgkmcnt(1)
	global_store_dwordx2 v[2:3], v[0:1], off
	v_mad_u64_u32 v[0:1], s[0:1], v4, s10, 0
	v_mov_b32_e32 v2, v1
	v_mad_u64_u32 v[2:3], s[0:1], v4, s11, v[2:3]
	v_mov_b32_e32 v1, v2
	v_lshlrev_b64 v[0:1], 3, v[0:1]
	v_add_co_u32_e32 v0, vcc, v10, v0
	v_addc_co_u32_e32 v1, vcc, v11, v1, vcc
	s_waitcnt lgkmcnt(0)
	global_store_dwordx2 v[0:1], v[6:7], off
.LBB46_99:
	s_endpgm
.LBB46_100:
	ds_read_u8 v25, v16
	s_andn2_b64 s[6:7], s[6:7], exec
	s_mov_b32 s14, 1
	s_waitcnt lgkmcnt(0)
	v_and_b32_e32 v25, 1, v25
	v_cmp_eq_u32_e64 s[4:5], 1, v25
	s_xor_b64 s[4:5], s[4:5], -1
	s_and_b64 s[4:5], s[4:5], exec
	s_or_b64 s[6:7], s[6:7], s[4:5]
	s_or_b64 exec, exec, s[12:13]
	v_mov_b32_e32 v25, s14
	s_and_saveexec_b64 s[4:5], s[6:7]
	s_cbranch_execz .LBB46_35
.LBB46_101:
	ds_read_u8 v25, v16 offset:1
	s_waitcnt lgkmcnt(0)
	v_xor_b32_e32 v25, 1, v25
	s_or_b64 exec, exec, s[4:5]
	v_cmp_eq_u32_e64 s[4:5], v25, v24
	s_and_saveexec_b64 s[6:7], s[4:5]
	s_cbranch_execnz .LBB46_36
	s_branch .LBB46_37
.LBB46_102:
	ds_read_u8 v28, v19
	s_andn2_b64 s[6:7], s[6:7], exec
	s_mov_b32 s14, 1
	s_waitcnt lgkmcnt(0)
	v_and_b32_e32 v28, 1, v28
	v_cmp_eq_u32_e64 s[4:5], 1, v28
	s_xor_b64 s[4:5], s[4:5], -1
	s_and_b64 s[4:5], s[4:5], exec
	s_or_b64 s[6:7], s[6:7], s[4:5]
	s_or_b64 exec, exec, s[12:13]
	v_mov_b32_e32 v28, s14
	s_and_saveexec_b64 s[4:5], s[6:7]
	s_cbranch_execz .LBB46_45
.LBB46_103:
	ds_read_u8 v28, v19 offset:2
	s_waitcnt lgkmcnt(0)
	v_xor_b32_e32 v28, 1, v28
	s_or_b64 exec, exec, s[4:5]
	v_cmp_eq_u32_e64 s[4:5], v28, v27
	s_and_saveexec_b64 s[6:7], s[4:5]
	s_cbranch_execnz .LBB46_46
	s_branch .LBB46_47
.LBB46_104:
	ds_read_u8 v28, v16
	s_andn2_b64 s[6:7], s[6:7], exec
	s_mov_b32 s14, 1
	s_waitcnt lgkmcnt(0)
	v_and_b32_e32 v28, 1, v28
	v_cmp_eq_u32_e64 s[4:5], 1, v28
	s_xor_b64 s[4:5], s[4:5], -1
	s_and_b64 s[4:5], s[4:5], exec
	s_or_b64 s[6:7], s[6:7], s[4:5]
	s_or_b64 exec, exec, s[12:13]
	v_mov_b32_e32 v28, s14
	s_and_saveexec_b64 s[4:5], s[6:7]
	s_cbranch_execz .LBB46_49
.LBB46_105:
	ds_read_u8 v28, v16 offset:1
	s_waitcnt lgkmcnt(0)
	v_xor_b32_e32 v28, 1, v28
	s_or_b64 exec, exec, s[4:5]
	v_cmp_eq_u32_e64 s[4:5], v28, v27
	s_and_saveexec_b64 s[6:7], s[4:5]
	s_cbranch_execnz .LBB46_50
	s_branch .LBB46_51
.LBB46_106:
	ds_read_u8 v31, v25
	s_andn2_b64 s[6:7], s[6:7], exec
	s_mov_b32 s14, 1
	s_waitcnt lgkmcnt(0)
	v_and_b32_e32 v31, 1, v31
	v_cmp_eq_u32_e64 s[4:5], 1, v31
	s_xor_b64 s[4:5], s[4:5], -1
	s_and_b64 s[4:5], s[4:5], exec
	s_or_b64 s[6:7], s[6:7], s[4:5]
	s_or_b64 exec, exec, s[12:13]
	v_mov_b32_e32 v31, s14
	s_and_saveexec_b64 s[4:5], s[6:7]
	s_cbranch_execz .LBB46_59
.LBB46_107:
	ds_read_u8 v31, v25 offset:4
	s_waitcnt lgkmcnt(0)
	v_xor_b32_e32 v31, 1, v31
	s_or_b64 exec, exec, s[4:5]
	v_cmp_eq_u32_e64 s[4:5], v31, v30
	s_and_saveexec_b64 s[6:7], s[4:5]
	s_cbranch_execnz .LBB46_60
	s_branch .LBB46_61
.LBB46_108:
	ds_read_u8 v31, v19
	s_andn2_b64 s[6:7], s[6:7], exec
	s_mov_b32 s14, 1
	s_waitcnt lgkmcnt(0)
	v_and_b32_e32 v31, 1, v31
	v_cmp_eq_u32_e64 s[4:5], 1, v31
	s_xor_b64 s[4:5], s[4:5], -1
	s_and_b64 s[4:5], s[4:5], exec
	s_or_b64 s[6:7], s[6:7], s[4:5]
	s_or_b64 exec, exec, s[12:13]
	v_mov_b32_e32 v31, s14
	s_and_saveexec_b64 s[4:5], s[6:7]
	s_cbranch_execz .LBB46_63
.LBB46_109:
	ds_read_u8 v31, v19 offset:2
	s_waitcnt lgkmcnt(0)
	v_xor_b32_e32 v31, 1, v31
	s_or_b64 exec, exec, s[4:5]
	v_cmp_eq_u32_e64 s[4:5], v31, v30
	s_and_saveexec_b64 s[6:7], s[4:5]
	s_cbranch_execnz .LBB46_64
	s_branch .LBB46_65
.LBB46_110:
	ds_read_u8 v31, v16
	s_andn2_b64 s[6:7], s[6:7], exec
	s_mov_b32 s14, 1
	s_waitcnt lgkmcnt(0)
	v_and_b32_e32 v31, 1, v31
	v_cmp_eq_u32_e64 s[4:5], 1, v31
	s_xor_b64 s[4:5], s[4:5], -1
	s_and_b64 s[4:5], s[4:5], exec
	s_or_b64 s[6:7], s[6:7], s[4:5]
	s_or_b64 exec, exec, s[12:13]
	v_mov_b32_e32 v31, s14
	s_and_saveexec_b64 s[4:5], s[6:7]
	s_cbranch_execz .LBB46_67
.LBB46_111:
	ds_read_u8 v31, v16 offset:1
	s_waitcnt lgkmcnt(0)
	v_xor_b32_e32 v31, 1, v31
	s_or_b64 exec, exec, s[4:5]
	v_cmp_eq_u32_e64 s[4:5], v31, v30
	s_and_saveexec_b64 s[6:7], s[4:5]
	s_cbranch_execnz .LBB46_68
	s_branch .LBB46_69
	.section	.rodata,"a",@progbits
	.p2align	6, 0x0
	.amdhsa_kernel _ZN2at6native20bitonicSortKVInPlaceILin1ELin1ELi16ELi16EdlNS0_4LTOpIdLb1EEEmEEvNS_4cuda6detail10TensorInfoIT3_T6_EES8_S8_S8_NS6_IT4_S8_EES8_T5_
		.amdhsa_group_segment_fixed_size 8704
		.amdhsa_private_segment_fixed_size 0
		.amdhsa_kernarg_size 1128
		.amdhsa_user_sgpr_count 6
		.amdhsa_user_sgpr_private_segment_buffer 1
		.amdhsa_user_sgpr_dispatch_ptr 0
		.amdhsa_user_sgpr_queue_ptr 0
		.amdhsa_user_sgpr_kernarg_segment_ptr 1
		.amdhsa_user_sgpr_dispatch_id 0
		.amdhsa_user_sgpr_flat_scratch_init 0
		.amdhsa_user_sgpr_kernarg_preload_length 0
		.amdhsa_user_sgpr_kernarg_preload_offset 0
		.amdhsa_user_sgpr_private_segment_size 0
		.amdhsa_uses_dynamic_stack 0
		.amdhsa_system_sgpr_private_segment_wavefront_offset 0
		.amdhsa_system_sgpr_workgroup_id_x 1
		.amdhsa_system_sgpr_workgroup_id_y 1
		.amdhsa_system_sgpr_workgroup_id_z 1
		.amdhsa_system_sgpr_workgroup_info 0
		.amdhsa_system_vgpr_workitem_id 1
		.amdhsa_next_free_vgpr 39
		.amdhsa_next_free_sgpr 21
		.amdhsa_accum_offset 40
		.amdhsa_reserve_vcc 1
		.amdhsa_reserve_flat_scratch 0
		.amdhsa_float_round_mode_32 0
		.amdhsa_float_round_mode_16_64 0
		.amdhsa_float_denorm_mode_32 3
		.amdhsa_float_denorm_mode_16_64 3
		.amdhsa_dx10_clamp 1
		.amdhsa_ieee_mode 1
		.amdhsa_fp16_overflow 0
		.amdhsa_tg_split 0
		.amdhsa_exception_fp_ieee_invalid_op 0
		.amdhsa_exception_fp_denorm_src 0
		.amdhsa_exception_fp_ieee_div_zero 0
		.amdhsa_exception_fp_ieee_overflow 0
		.amdhsa_exception_fp_ieee_underflow 0
		.amdhsa_exception_fp_ieee_inexact 0
		.amdhsa_exception_int_div_zero 0
	.end_amdhsa_kernel
	.section	.text._ZN2at6native20bitonicSortKVInPlaceILin1ELin1ELi16ELi16EdlNS0_4LTOpIdLb1EEEmEEvNS_4cuda6detail10TensorInfoIT3_T6_EES8_S8_S8_NS6_IT4_S8_EES8_T5_,"axG",@progbits,_ZN2at6native20bitonicSortKVInPlaceILin1ELin1ELi16ELi16EdlNS0_4LTOpIdLb1EEEmEEvNS_4cuda6detail10TensorInfoIT3_T6_EES8_S8_S8_NS6_IT4_S8_EES8_T5_,comdat
.Lfunc_end46:
	.size	_ZN2at6native20bitonicSortKVInPlaceILin1ELin1ELi16ELi16EdlNS0_4LTOpIdLb1EEEmEEvNS_4cuda6detail10TensorInfoIT3_T6_EES8_S8_S8_NS6_IT4_S8_EES8_T5_, .Lfunc_end46-_ZN2at6native20bitonicSortKVInPlaceILin1ELin1ELi16ELi16EdlNS0_4LTOpIdLb1EEEmEEvNS_4cuda6detail10TensorInfoIT3_T6_EES8_S8_S8_NS6_IT4_S8_EES8_T5_
                                        ; -- End function
	.section	.AMDGPU.csdata,"",@progbits
; Kernel info:
; codeLenInByte = 6908
; NumSgprs: 25
; NumVgprs: 39
; NumAgprs: 0
; TotalNumVgprs: 39
; ScratchSize: 0
; MemoryBound: 0
; FloatMode: 240
; IeeeMode: 1
; LDSByteSize: 8704 bytes/workgroup (compile time only)
; SGPRBlocks: 3
; VGPRBlocks: 4
; NumSGPRsForWavesPerEU: 25
; NumVGPRsForWavesPerEU: 39
; AccumOffset: 40
; Occupancy: 7
; WaveLimiterHint : 1
; COMPUTE_PGM_RSRC2:SCRATCH_EN: 0
; COMPUTE_PGM_RSRC2:USER_SGPR: 6
; COMPUTE_PGM_RSRC2:TRAP_HANDLER: 0
; COMPUTE_PGM_RSRC2:TGID_X_EN: 1
; COMPUTE_PGM_RSRC2:TGID_Y_EN: 1
; COMPUTE_PGM_RSRC2:TGID_Z_EN: 1
; COMPUTE_PGM_RSRC2:TIDIG_COMP_CNT: 1
; COMPUTE_PGM_RSRC3_GFX90A:ACCUM_OFFSET: 9
; COMPUTE_PGM_RSRC3_GFX90A:TG_SPLIT: 0
	.section	.text._ZN2at6native20bitonicSortKVInPlaceILin1ELin1ELi16ELi16EdlNS0_4GTOpIdLb1EEEmEEvNS_4cuda6detail10TensorInfoIT3_T6_EES8_S8_S8_NS6_IT4_S8_EES8_T5_,"axG",@progbits,_ZN2at6native20bitonicSortKVInPlaceILin1ELin1ELi16ELi16EdlNS0_4GTOpIdLb1EEEmEEvNS_4cuda6detail10TensorInfoIT3_T6_EES8_S8_S8_NS6_IT4_S8_EES8_T5_,comdat
	.protected	_ZN2at6native20bitonicSortKVInPlaceILin1ELin1ELi16ELi16EdlNS0_4GTOpIdLb1EEEmEEvNS_4cuda6detail10TensorInfoIT3_T6_EES8_S8_S8_NS6_IT4_S8_EES8_T5_ ; -- Begin function _ZN2at6native20bitonicSortKVInPlaceILin1ELin1ELi16ELi16EdlNS0_4GTOpIdLb1EEEmEEvNS_4cuda6detail10TensorInfoIT3_T6_EES8_S8_S8_NS6_IT4_S8_EES8_T5_
	.globl	_ZN2at6native20bitonicSortKVInPlaceILin1ELin1ELi16ELi16EdlNS0_4GTOpIdLb1EEEmEEvNS_4cuda6detail10TensorInfoIT3_T6_EES8_S8_S8_NS6_IT4_S8_EES8_T5_
	.p2align	8
	.type	_ZN2at6native20bitonicSortKVInPlaceILin1ELin1ELi16ELi16EdlNS0_4GTOpIdLb1EEEmEEvNS_4cuda6detail10TensorInfoIT3_T6_EES8_S8_S8_NS6_IT4_S8_EES8_T5_,@function
_ZN2at6native20bitonicSortKVInPlaceILin1ELin1ELi16ELi16EdlNS0_4GTOpIdLb1EEEmEEvNS_4cuda6detail10TensorInfoIT3_T6_EES8_S8_S8_NS6_IT4_S8_EES8_T5_: ; @_ZN2at6native20bitonicSortKVInPlaceILin1ELin1ELi16ELi16EdlNS0_4GTOpIdLb1EEEmEEvNS_4cuda6detail10TensorInfoIT3_T6_EES8_S8_S8_NS6_IT4_S8_EES8_T5_
; %bb.0:
	s_load_dwordx2 s[0:1], s[4:5], 0x368
	s_load_dwordx4 s[12:15], s[4:5], 0x1a0
	s_load_dword s9, s[4:5], 0x374
	s_add_u32 s2, s4, 0x368
	s_addc_u32 s3, s5, 0
	s_waitcnt lgkmcnt(0)
	s_mul_i32 s1, s1, s8
	s_add_i32 s1, s1, s7
	s_mul_i32 s0, s1, s0
	s_add_i32 s0, s0, s6
	s_lshr_b32 s6, s9, 16
	s_mul_hi_u32 s1, s0, s6
	s_mul_i32 s0, s0, s6
	v_pk_mov_b32 v[2:3], s[12:13], s[12:13] op_sel:[0,1]
	v_cmp_ge_u64_e32 vcc, s[0:1], v[2:3]
	s_cbranch_vccnz .LBB47_99
; %bb.1:
	v_mov_b32_e32 v1, s1
	s_load_dwordx2 s[8:9], s[4:5], 0x1b0
	s_load_dword s1, s[4:5], 0x198
	v_bfe_u32 v16, v0, 10, 10
	v_add_co_u32_e32 v4, vcc, s0, v16
	v_addc_co_u32_e32 v5, vcc, 0, v1, vcc
	v_mov_b32_e32 v8, 0
	s_waitcnt lgkmcnt(0)
	s_cmp_lt_i32 s1, 2
	v_pk_mov_b32 v[2:3], 0, 0
	v_pk_mov_b32 v[6:7], v[4:5], v[4:5] op_sel:[0,1]
	s_cbranch_scc1 .LBB47_9
; %bb.2:
	s_add_i32 s18, s1, 1
	s_add_i32 s0, s1, -1
	s_mov_b32 s1, 0
	s_lshl_b64 s[0:1], s[0:1], 3
	s_add_u32 s0, s0, s4
	s_addc_u32 s1, s1, s5
	s_add_u32 s6, s0, 8
	s_addc_u32 s7, s1, 0
	v_pk_mov_b32 v[2:3], 0, 0
	v_pk_mov_b32 v[10:11], v[4:5], v[4:5] op_sel:[0,1]
.LBB47_3:                               ; =>This Inner Loop Header: Depth=1
	s_load_dwordx2 s[10:11], s[6:7], 0x0
                                        ; implicit-def: $vgpr6_vgpr7
	s_waitcnt lgkmcnt(0)
	v_or_b32_e32 v9, s11, v11
	v_cmp_ne_u64_e32 vcc, 0, v[8:9]
	s_and_saveexec_b64 s[0:1], vcc
	s_xor_b64 s[16:17], exec, s[0:1]
	s_cbranch_execz .LBB47_5
; %bb.4:                                ;   in Loop: Header=BB47_3 Depth=1
	v_cvt_f32_u32_e32 v1, s10
	v_cvt_f32_u32_e32 v6, s11
	s_sub_u32 s0, 0, s10
	s_subb_u32 s1, 0, s11
	v_mac_f32_e32 v1, 0x4f800000, v6
	v_rcp_f32_e32 v1, v1
	v_mul_f32_e32 v1, 0x5f7ffffc, v1
	v_mul_f32_e32 v6, 0x2f800000, v1
	v_trunc_f32_e32 v6, v6
	v_mac_f32_e32 v1, 0xcf800000, v6
	v_cvt_u32_f32_e32 v6, v6
	v_cvt_u32_f32_e32 v1, v1
	v_mul_lo_u32 v7, s0, v6
	v_mul_hi_u32 v12, s0, v1
	v_mul_lo_u32 v9, s1, v1
	v_add_u32_e32 v7, v12, v7
	v_mul_lo_u32 v13, s0, v1
	v_add_u32_e32 v7, v7, v9
	v_mul_hi_u32 v12, v1, v13
	v_mul_lo_u32 v14, v1, v7
	v_mul_hi_u32 v9, v1, v7
	v_add_co_u32_e32 v12, vcc, v12, v14
	v_addc_co_u32_e32 v9, vcc, 0, v9, vcc
	v_mul_hi_u32 v15, v6, v13
	v_mul_lo_u32 v13, v6, v13
	v_add_co_u32_e32 v12, vcc, v12, v13
	v_mul_hi_u32 v14, v6, v7
	v_addc_co_u32_e32 v9, vcc, v9, v15, vcc
	v_addc_co_u32_e32 v12, vcc, 0, v14, vcc
	v_mul_lo_u32 v7, v6, v7
	v_add_co_u32_e32 v7, vcc, v9, v7
	v_addc_co_u32_e32 v9, vcc, 0, v12, vcc
	v_add_co_u32_e32 v1, vcc, v1, v7
	v_addc_co_u32_e32 v6, vcc, v6, v9, vcc
	v_mul_lo_u32 v7, s0, v6
	v_mul_hi_u32 v9, s0, v1
	v_add_u32_e32 v7, v9, v7
	v_mul_lo_u32 v9, s1, v1
	v_add_u32_e32 v7, v7, v9
	v_mul_lo_u32 v12, s0, v1
	v_mul_hi_u32 v13, v6, v12
	v_mul_lo_u32 v14, v6, v12
	v_mul_lo_u32 v17, v1, v7
	v_mul_hi_u32 v12, v1, v12
	v_mul_hi_u32 v15, v1, v7
	v_add_co_u32_e32 v12, vcc, v12, v17
	v_addc_co_u32_e32 v15, vcc, 0, v15, vcc
	v_add_co_u32_e32 v12, vcc, v12, v14
	v_mul_hi_u32 v9, v6, v7
	v_addc_co_u32_e32 v12, vcc, v15, v13, vcc
	v_addc_co_u32_e32 v9, vcc, 0, v9, vcc
	v_mul_lo_u32 v7, v6, v7
	v_add_co_u32_e32 v7, vcc, v12, v7
	v_addc_co_u32_e32 v9, vcc, 0, v9, vcc
	v_add_co_u32_e32 v1, vcc, v1, v7
	v_addc_co_u32_e32 v9, vcc, v6, v9, vcc
	v_mad_u64_u32 v[6:7], s[0:1], v10, v9, 0
	v_mul_hi_u32 v12, v10, v1
	v_add_co_u32_e32 v14, vcc, v12, v6
	v_addc_co_u32_e32 v15, vcc, 0, v7, vcc
	v_mad_u64_u32 v[12:13], s[0:1], v11, v1, 0
	v_add_co_u32_e32 v1, vcc, v14, v12
	v_mad_u64_u32 v[6:7], s[0:1], v11, v9, 0
	v_addc_co_u32_e32 v1, vcc, v15, v13, vcc
	v_addc_co_u32_e32 v7, vcc, 0, v7, vcc
	v_add_co_u32_e32 v1, vcc, v1, v6
	v_addc_co_u32_e32 v9, vcc, 0, v7, vcc
	v_mul_lo_u32 v12, s11, v1
	v_mul_lo_u32 v13, s10, v9
	v_mad_u64_u32 v[6:7], s[0:1], s10, v1, 0
	v_add3_u32 v7, v7, v13, v12
	v_sub_u32_e32 v12, v11, v7
	v_mov_b32_e32 v13, s11
	v_sub_co_u32_e32 v6, vcc, v10, v6
	v_subb_co_u32_e64 v12, s[0:1], v12, v13, vcc
	v_subrev_co_u32_e64 v13, s[0:1], s10, v6
	v_subbrev_co_u32_e64 v12, s[0:1], 0, v12, s[0:1]
	v_cmp_le_u32_e64 s[0:1], s11, v12
	v_cndmask_b32_e64 v14, 0, -1, s[0:1]
	v_cmp_le_u32_e64 s[0:1], s10, v13
	v_cndmask_b32_e64 v13, 0, -1, s[0:1]
	v_cmp_eq_u32_e64 s[0:1], s11, v12
	v_cndmask_b32_e64 v12, v14, v13, s[0:1]
	v_add_co_u32_e64 v13, s[0:1], 2, v1
	v_addc_co_u32_e64 v14, s[0:1], 0, v9, s[0:1]
	v_add_co_u32_e64 v15, s[0:1], 1, v1
	v_addc_co_u32_e64 v17, s[0:1], 0, v9, s[0:1]
	v_subb_co_u32_e32 v7, vcc, v11, v7, vcc
	v_cmp_ne_u32_e64 s[0:1], 0, v12
	v_cmp_le_u32_e32 vcc, s11, v7
	v_cndmask_b32_e64 v12, v17, v14, s[0:1]
	v_cndmask_b32_e64 v14, 0, -1, vcc
	v_cmp_le_u32_e32 vcc, s10, v6
	v_cndmask_b32_e64 v6, 0, -1, vcc
	v_cmp_eq_u32_e32 vcc, s11, v7
	v_cndmask_b32_e32 v6, v14, v6, vcc
	v_cmp_ne_u32_e32 vcc, 0, v6
	v_cndmask_b32_e64 v6, v15, v13, s[0:1]
	v_cndmask_b32_e32 v7, v9, v12, vcc
	v_cndmask_b32_e32 v6, v1, v6, vcc
.LBB47_5:                               ;   in Loop: Header=BB47_3 Depth=1
	s_andn2_saveexec_b64 s[0:1], s[16:17]
	s_cbranch_execz .LBB47_7
; %bb.6:                                ;   in Loop: Header=BB47_3 Depth=1
	v_cvt_f32_u32_e32 v1, s10
	s_sub_i32 s16, 0, s10
	v_rcp_iflag_f32_e32 v1, v1
	v_mul_f32_e32 v1, 0x4f7ffffe, v1
	v_cvt_u32_f32_e32 v1, v1
	v_mul_lo_u32 v6, s16, v1
	v_mul_hi_u32 v6, v1, v6
	v_add_u32_e32 v1, v1, v6
	v_mul_hi_u32 v1, v10, v1
	v_mul_lo_u32 v6, v1, s10
	v_sub_u32_e32 v6, v10, v6
	v_add_u32_e32 v7, 1, v1
	v_subrev_u32_e32 v9, s10, v6
	v_cmp_le_u32_e32 vcc, s10, v6
	v_cndmask_b32_e32 v6, v6, v9, vcc
	v_cndmask_b32_e32 v1, v1, v7, vcc
	v_add_u32_e32 v7, 1, v1
	v_cmp_le_u32_e32 vcc, s10, v6
	v_cndmask_b32_e32 v6, v1, v7, vcc
	v_mov_b32_e32 v7, v8
.LBB47_7:                               ;   in Loop: Header=BB47_3 Depth=1
	s_or_b64 exec, exec, s[0:1]
	v_mad_u64_u32 v[12:13], s[0:1], v6, s10, 0
	s_load_dwordx2 s[0:1], s[6:7], 0xc8
	v_mul_lo_u32 v1, v7, s10
	v_mul_lo_u32 v9, v6, s11
	v_add3_u32 v1, v13, v9, v1
	v_sub_co_u32_e32 v9, vcc, v10, v12
	s_add_i32 s18, s18, -1
	v_subb_co_u32_e32 v1, vcc, v11, v1, vcc
	s_add_u32 s6, s6, -8
	s_waitcnt lgkmcnt(0)
	v_mul_lo_u32 v1, s0, v1
	v_mul_lo_u32 v10, s1, v9
	v_mad_u64_u32 v[2:3], s[0:1], s0, v9, v[2:3]
	s_addc_u32 s7, s7, -1
	s_cmp_gt_u32 s18, 2
	v_add3_u32 v3, v10, v3, v1
	s_cbranch_scc0 .LBB47_9
; %bb.8:                                ;   in Loop: Header=BB47_3 Depth=1
	v_pk_mov_b32 v[10:11], v[6:7], v[6:7] op_sel:[0,1]
	s_branch .LBB47_3
.LBB47_9:
	s_load_dword s0, s[4:5], 0x350
	s_load_dwordx2 s[6:7], s[4:5], 0xd0
	v_pk_mov_b32 v[8:9], 0, 0
	v_pk_mov_b32 v[14:15], v[4:5], v[4:5] op_sel:[0,1]
	s_waitcnt lgkmcnt(0)
	s_cmp_lt_i32 s0, 2
	s_cbranch_scc1 .LBB47_17
; %bb.10:
	s_add_i32 s20, s0, 1
	s_add_i32 s0, s0, -1
	s_mov_b32 s1, 0
	s_lshl_b64 s[0:1], s[0:1], 3
	s_add_u32 s0, s0, s4
	s_addc_u32 s1, s1, s5
	s_add_u32 s10, s0, 0x1c0
	s_addc_u32 s11, s1, 0
	v_pk_mov_b32 v[8:9], 0, 0
	v_mov_b32_e32 v10, 0
	v_pk_mov_b32 v[12:13], v[4:5], v[4:5] op_sel:[0,1]
.LBB47_11:                              ; =>This Inner Loop Header: Depth=1
	s_load_dwordx2 s[16:17], s[10:11], 0x0
                                        ; implicit-def: $vgpr14_vgpr15
	s_waitcnt lgkmcnt(0)
	v_or_b32_e32 v11, s17, v13
	v_cmp_ne_u64_e32 vcc, 0, v[10:11]
	s_and_saveexec_b64 s[0:1], vcc
	s_xor_b64 s[18:19], exec, s[0:1]
	s_cbranch_execz .LBB47_13
; %bb.12:                               ;   in Loop: Header=BB47_11 Depth=1
	v_cvt_f32_u32_e32 v1, s16
	v_cvt_f32_u32_e32 v11, s17
	s_sub_u32 s0, 0, s16
	s_subb_u32 s1, 0, s17
	v_mac_f32_e32 v1, 0x4f800000, v11
	v_rcp_f32_e32 v1, v1
	v_mul_f32_e32 v1, 0x5f7ffffc, v1
	v_mul_f32_e32 v11, 0x2f800000, v1
	v_trunc_f32_e32 v11, v11
	v_mac_f32_e32 v1, 0xcf800000, v11
	v_cvt_u32_f32_e32 v11, v11
	v_cvt_u32_f32_e32 v1, v1
	v_mul_lo_u32 v14, s0, v11
	v_mul_hi_u32 v17, s0, v1
	v_mul_lo_u32 v15, s1, v1
	v_add_u32_e32 v14, v17, v14
	v_mul_lo_u32 v18, s0, v1
	v_add_u32_e32 v14, v14, v15
	v_mul_hi_u32 v17, v1, v18
	v_mul_lo_u32 v19, v1, v14
	v_mul_hi_u32 v15, v1, v14
	v_add_co_u32_e32 v17, vcc, v17, v19
	v_addc_co_u32_e32 v15, vcc, 0, v15, vcc
	v_mul_hi_u32 v20, v11, v18
	v_mul_lo_u32 v18, v11, v18
	v_add_co_u32_e32 v17, vcc, v17, v18
	v_mul_hi_u32 v19, v11, v14
	v_addc_co_u32_e32 v15, vcc, v15, v20, vcc
	v_addc_co_u32_e32 v17, vcc, 0, v19, vcc
	v_mul_lo_u32 v14, v11, v14
	v_add_co_u32_e32 v14, vcc, v15, v14
	v_addc_co_u32_e32 v15, vcc, 0, v17, vcc
	v_add_co_u32_e32 v1, vcc, v1, v14
	v_addc_co_u32_e32 v11, vcc, v11, v15, vcc
	v_mul_lo_u32 v14, s0, v11
	v_mul_hi_u32 v15, s0, v1
	v_add_u32_e32 v14, v15, v14
	v_mul_lo_u32 v15, s1, v1
	v_add_u32_e32 v14, v14, v15
	v_mul_lo_u32 v17, s0, v1
	v_mul_hi_u32 v18, v11, v17
	v_mul_lo_u32 v19, v11, v17
	v_mul_lo_u32 v21, v1, v14
	v_mul_hi_u32 v17, v1, v17
	v_mul_hi_u32 v20, v1, v14
	v_add_co_u32_e32 v17, vcc, v17, v21
	v_addc_co_u32_e32 v20, vcc, 0, v20, vcc
	v_add_co_u32_e32 v17, vcc, v17, v19
	v_mul_hi_u32 v15, v11, v14
	v_addc_co_u32_e32 v17, vcc, v20, v18, vcc
	v_addc_co_u32_e32 v15, vcc, 0, v15, vcc
	v_mul_lo_u32 v14, v11, v14
	v_add_co_u32_e32 v14, vcc, v17, v14
	v_addc_co_u32_e32 v15, vcc, 0, v15, vcc
	v_add_co_u32_e32 v1, vcc, v1, v14
	v_addc_co_u32_e32 v11, vcc, v11, v15, vcc
	v_mad_u64_u32 v[14:15], s[0:1], v12, v11, 0
	v_mul_hi_u32 v17, v12, v1
	v_add_co_u32_e32 v17, vcc, v17, v14
	v_addc_co_u32_e32 v20, vcc, 0, v15, vcc
	v_mad_u64_u32 v[18:19], s[0:1], v13, v1, 0
	v_add_co_u32_e32 v1, vcc, v17, v18
	v_mad_u64_u32 v[14:15], s[0:1], v13, v11, 0
	v_addc_co_u32_e32 v1, vcc, v20, v19, vcc
	v_addc_co_u32_e32 v11, vcc, 0, v15, vcc
	v_add_co_u32_e32 v1, vcc, v1, v14
	v_addc_co_u32_e32 v11, vcc, 0, v11, vcc
	v_mul_lo_u32 v17, s17, v1
	v_mul_lo_u32 v18, s16, v11
	v_mad_u64_u32 v[14:15], s[0:1], s16, v1, 0
	v_add3_u32 v15, v15, v18, v17
	v_sub_u32_e32 v17, v13, v15
	v_mov_b32_e32 v18, s17
	v_sub_co_u32_e32 v14, vcc, v12, v14
	v_subb_co_u32_e64 v17, s[0:1], v17, v18, vcc
	v_subrev_co_u32_e64 v18, s[0:1], s16, v14
	v_subbrev_co_u32_e64 v17, s[0:1], 0, v17, s[0:1]
	v_cmp_le_u32_e64 s[0:1], s17, v17
	v_cndmask_b32_e64 v19, 0, -1, s[0:1]
	v_cmp_le_u32_e64 s[0:1], s16, v18
	v_cndmask_b32_e64 v18, 0, -1, s[0:1]
	v_cmp_eq_u32_e64 s[0:1], s17, v17
	v_cndmask_b32_e64 v17, v19, v18, s[0:1]
	v_add_co_u32_e64 v18, s[0:1], 2, v1
	v_addc_co_u32_e64 v19, s[0:1], 0, v11, s[0:1]
	v_add_co_u32_e64 v20, s[0:1], 1, v1
	v_addc_co_u32_e64 v21, s[0:1], 0, v11, s[0:1]
	v_subb_co_u32_e32 v15, vcc, v13, v15, vcc
	v_cmp_ne_u32_e64 s[0:1], 0, v17
	v_cmp_le_u32_e32 vcc, s17, v15
	v_cndmask_b32_e64 v17, v21, v19, s[0:1]
	v_cndmask_b32_e64 v19, 0, -1, vcc
	v_cmp_le_u32_e32 vcc, s16, v14
	v_cndmask_b32_e64 v14, 0, -1, vcc
	v_cmp_eq_u32_e32 vcc, s17, v15
	v_cndmask_b32_e32 v14, v19, v14, vcc
	v_cmp_ne_u32_e32 vcc, 0, v14
	v_cndmask_b32_e32 v15, v11, v17, vcc
	v_cndmask_b32_e64 v11, v20, v18, s[0:1]
	v_cndmask_b32_e32 v14, v1, v11, vcc
.LBB47_13:                              ;   in Loop: Header=BB47_11 Depth=1
	s_andn2_saveexec_b64 s[0:1], s[18:19]
	s_cbranch_execz .LBB47_15
; %bb.14:                               ;   in Loop: Header=BB47_11 Depth=1
	v_cvt_f32_u32_e32 v1, s16
	s_sub_i32 s18, 0, s16
	v_rcp_iflag_f32_e32 v1, v1
	v_mul_f32_e32 v1, 0x4f7ffffe, v1
	v_cvt_u32_f32_e32 v1, v1
	v_mul_lo_u32 v11, s18, v1
	v_mul_hi_u32 v11, v1, v11
	v_add_u32_e32 v1, v1, v11
	v_mul_hi_u32 v1, v12, v1
	v_mul_lo_u32 v11, v1, s16
	v_sub_u32_e32 v11, v12, v11
	v_add_u32_e32 v14, 1, v1
	v_subrev_u32_e32 v15, s16, v11
	v_cmp_le_u32_e32 vcc, s16, v11
	v_cndmask_b32_e32 v11, v11, v15, vcc
	v_cndmask_b32_e32 v1, v1, v14, vcc
	v_add_u32_e32 v14, 1, v1
	v_cmp_le_u32_e32 vcc, s16, v11
	v_cndmask_b32_e32 v14, v1, v14, vcc
	v_mov_b32_e32 v15, v10
.LBB47_15:                              ;   in Loop: Header=BB47_11 Depth=1
	s_or_b64 exec, exec, s[0:1]
	v_mad_u64_u32 v[18:19], s[0:1], v14, s16, 0
	s_load_dwordx2 s[0:1], s[10:11], 0xc8
	v_mul_lo_u32 v1, v15, s16
	v_mul_lo_u32 v11, v14, s17
	v_add3_u32 v1, v19, v11, v1
	v_sub_co_u32_e32 v11, vcc, v12, v18
	s_add_i32 s20, s20, -1
	v_subb_co_u32_e32 v1, vcc, v13, v1, vcc
	s_add_u32 s10, s10, -8
	s_waitcnt lgkmcnt(0)
	v_mul_lo_u32 v1, s0, v1
	v_mul_lo_u32 v12, s1, v11
	v_mad_u64_u32 v[8:9], s[0:1], s0, v11, v[8:9]
	s_addc_u32 s11, s11, -1
	s_cmp_gt_u32 s20, 2
	v_add3_u32 v9, v12, v9, v1
	s_cbranch_scc0 .LBB47_17
; %bb.16:                               ;   in Loop: Header=BB47_11 Depth=1
	v_pk_mov_b32 v[12:13], v[14:15], v[14:15] op_sel:[0,1]
	s_branch .LBB47_11
.LBB47_17:
	v_mul_lo_u32 v1, s7, v6
	v_mul_lo_u32 v10, s6, v7
	v_mad_u64_u32 v[6:7], s[0:1], s6, v6, 0
	s_load_dwordx2 s[10:11], s[4:5], 0x358
	s_load_dwordx2 s[0:1], s[4:5], 0x288
	;; [unrolled: 1-line block ×4, first 2 shown]
	v_add3_u32 v7, v7, v10, v1
	v_cmp_gt_u64_e32 vcc, s[12:13], v[4:5]
	v_lshlrev_b64 v[6:7], 3, v[6:7]
	s_waitcnt lgkmcnt(0)
	v_mul_lo_u32 v1, s1, v14
	v_mul_lo_u32 v10, s0, v15
	v_mad_u64_u32 v[4:5], s[0:1], s0, v14, 0
	v_add3_u32 v5, v5, v10, v1
	v_mov_b32_e32 v1, s7
	v_add_co_u32_e64 v6, s[0:1], s6, v6
	v_addc_co_u32_e64 v1, s[0:1], v1, v7, s[0:1]
	v_lshlrev_b64 v[2:3], 3, v[2:3]
	v_add_co_u32_e64 v12, s[0:1], v6, v2
	v_addc_co_u32_e64 v13, s[0:1], v1, v3, s[0:1]
	v_lshlrev_b64 v[2:3], 3, v[4:5]
	v_mov_b32_e32 v1, s17
	v_add_co_u32_e64 v4, s[0:1], s16, v2
	s_load_dword s12, s[2:3], 0xc
	v_addc_co_u32_e64 v1, s[0:1], v1, v3, s[0:1]
	v_lshlrev_b64 v[2:3], 3, v[8:9]
	v_add_co_u32_e64 v10, s[0:1], v4, v2
	v_mov_b32_e32 v5, 0
	v_addc_co_u32_e64 v11, s[0:1], v1, v3, s[0:1]
	v_and_b32_e32 v6, 0x3ff, v0
	v_mov_b32_e32 v7, v5
	v_cmp_gt_u64_e64 s[0:1], s[14:15], v[6:7]
	v_pk_mov_b32 v[0:1], 0, 0
	s_and_b64 s[4:5], vcc, s[0:1]
	v_pk_mov_b32 v[2:3], 0, 0
	v_pk_mov_b32 v[8:9], v[0:1], v[0:1] op_sel:[0,1]
	s_and_saveexec_b64 s[6:7], s[4:5]
	s_cbranch_execz .LBB47_19
; %bb.18:
	v_mad_u64_u32 v[2:3], s[2:3], v6, s8, 0
	v_mov_b32_e32 v4, v3
	v_mad_u64_u32 v[8:9], s[2:3], v6, s9, v[4:5]
	v_mov_b32_e32 v3, v8
	v_lshlrev_b64 v[2:3], 3, v[2:3]
	v_add_co_u32_e64 v2, s[2:3], v12, v2
	v_addc_co_u32_e64 v3, s[2:3], v13, v3, s[2:3]
	v_mad_u64_u32 v[8:9], s[2:3], v6, s10, 0
	v_mov_b32_e32 v4, v9
	v_mad_u64_u32 v[14:15], s[2:3], v6, s11, v[4:5]
	v_mov_b32_e32 v9, v14
	v_lshlrev_b64 v[8:9], 3, v[8:9]
	v_add_co_u32_e64 v8, s[2:3], v10, v8
	v_addc_co_u32_e64 v9, s[2:3], v11, v9, s[2:3]
	global_load_dwordx2 v[2:3], v[2:3], off
	s_nop 0
	global_load_dwordx2 v[8:9], v[8:9], off
.LBB47_19:
	s_or_b64 exec, exec, s[6:7]
	v_lshlrev_b32_e32 v21, 8, v16
	v_mov_b32_e32 v7, 0x2000
	v_lshlrev_b32_e32 v15, 3, v6
	v_lshl_add_u32 v20, v16, 5, v7
	v_add_u32_e32 v14, v21, v15
	s_waitcnt lgkmcnt(0)
	s_and_b32 s16, 0xffff, s12
	v_cndmask_b32_e64 v4, 0, 1, s[4:5]
	s_waitcnt vmcnt(1)
	ds_write_b64 v14, v[2:3]
	v_add_u32_e32 v2, v20, v6
	ds_write_b8 v2, v4
	v_add_u32_e32 v4, s16, v6
	v_add_u32_e32 v17, 0x1000, v21
	v_cmp_gt_u64_e64 s[2:3], s[14:15], v[4:5]
	v_add_u32_e32 v7, v17, v15
	s_and_b64 s[6:7], vcc, s[2:3]
	v_pk_mov_b32 v[2:3], v[0:1], v[0:1] op_sel:[0,1]
	s_waitcnt vmcnt(0)
	ds_write_b64 v7, v[8:9]
	s_and_saveexec_b64 s[12:13], s[6:7]
	s_cbranch_execz .LBB47_21
; %bb.20:
	v_mad_u64_u32 v[0:1], s[4:5], v4, s8, 0
	v_mov_b32_e32 v2, v1
	v_mad_u64_u32 v[2:3], s[4:5], v4, s9, v[2:3]
	v_mov_b32_e32 v1, v2
	v_lshlrev_b64 v[0:1], 3, v[0:1]
	v_add_co_u32_e64 v0, s[4:5], v12, v0
	v_addc_co_u32_e64 v1, s[4:5], v13, v1, s[4:5]
	v_mad_u64_u32 v[2:3], s[4:5], v4, s10, 0
	v_mov_b32_e32 v8, v3
	v_mad_u64_u32 v[8:9], s[4:5], v4, s11, v[8:9]
	v_mov_b32_e32 v3, v8
	v_lshlrev_b64 v[2:3], 3, v[2:3]
	v_add_co_u32_e64 v2, s[4:5], v10, v2
	v_addc_co_u32_e64 v3, s[4:5], v11, v3, s[4:5]
	global_load_dwordx2 v[0:1], v[0:1], off
	s_nop 0
	global_load_dwordx2 v[2:3], v[2:3], off
.LBB47_21:
	s_or_b64 exec, exec, s[12:13]
	s_lshl_b32 s4, s16, 3
	v_add_u32_e32 v8, s4, v14
	v_cndmask_b32_e64 v9, 0, 1, s[6:7]
	s_waitcnt vmcnt(1)
	ds_write_b64 v8, v[0:1]
	v_add_u32_e32 v0, v20, v4
	v_add_u32_e32 v5, s4, v7
	ds_write_b8 v0, v9
	v_add_u32_e32 v9, v14, v15
	s_waitcnt vmcnt(0)
	ds_write_b64 v5, v[2:3]
	s_waitcnt lgkmcnt(0)
	s_barrier
	ds_read_b128 v[0:3], v9
	v_lshlrev_b32_e32 v23, 1, v6
	s_mov_b32 s14, 1
	v_add_u32_e32 v16, v20, v23
	s_waitcnt lgkmcnt(0)
	v_cmp_u_f64_e64 s[4:5], v[0:1], v[0:1]
	v_cmp_o_f64_e64 s[6:7], v[2:3], v[2:3]
	s_and_b64 s[6:7], s[4:5], s[6:7]
	v_cmp_gt_f64_e64 s[4:5], v[0:1], v[2:3]
	s_or_b64 s[4:5], s[6:7], s[4:5]
	s_xor_b64 s[6:7], s[4:5], -1
	s_and_saveexec_b64 s[12:13], s[4:5]
	s_xor_b64 s[12:13], exec, s[12:13]
	s_cbranch_execz .LBB47_23
; %bb.22:
	ds_read_u8 v18, v16
	s_andn2_b64 s[6:7], s[6:7], exec
	s_waitcnt lgkmcnt(0)
	v_and_b32_e32 v18, 1, v18
	v_cmp_eq_u32_e64 s[4:5], 1, v18
	s_xor_b64 s[4:5], s[4:5], -1
	s_and_b64 s[4:5], s[4:5], exec
	s_or_b64 s[6:7], s[6:7], s[4:5]
.LBB47_23:
	s_or_b64 exec, exec, s[12:13]
	v_mov_b32_e32 v19, s14
	s_and_saveexec_b64 s[4:5], s[6:7]
	s_cbranch_execz .LBB47_25
; %bb.24:
	ds_read_u8 v18, v16 offset:1
	s_waitcnt lgkmcnt(0)
	v_xor_b32_e32 v19, 1, v18
.LBB47_25:
	s_or_b64 exec, exec, s[4:5]
	v_and_b32_e32 v18, 1, v6
	v_cmp_eq_u32_e64 s[4:5], v19, v18
	s_and_saveexec_b64 s[6:7], s[4:5]
	s_cbranch_execz .LBB47_27
; %bb.26:
	v_add_u32_e32 v19, v7, v15
	ds_read_b128 v[28:31], v19
	ds_read_u16 v22, v16
	v_mov_b32_e32 v24, v2
	v_mov_b32_e32 v25, v3
	;; [unrolled: 1-line block ×4, first 2 shown]
	s_waitcnt lgkmcnt(1)
	v_mov_b32_e32 v0, v30
	v_mov_b32_e32 v1, v31
	;; [unrolled: 1-line block ×4, first 2 shown]
	s_mov_b32 s4, 0xc0c0001
	ds_write_b128 v19, v[0:3]
	s_waitcnt lgkmcnt(1)
	v_perm_b32 v0, 0, v22, s4
	ds_write_b128 v9, v[24:27]
	ds_write_b16 v16, v0
.LBB47_27:
	s_or_b64 exec, exec, s[6:7]
	v_sub_u32_e32 v22, v23, v18
	v_lshl_add_u32 v18, v22, 3, v21
	s_waitcnt lgkmcnt(0)
	s_barrier
	ds_read2_b64 v[0:3], v18 offset1:2
	v_add_u32_e32 v19, v20, v22
                                        ; implicit-def: $sgpr12
	s_waitcnt lgkmcnt(0)
	v_cmp_u_f64_e64 s[4:5], v[0:1], v[0:1]
	v_cmp_o_f64_e64 s[6:7], v[2:3], v[2:3]
	s_and_b64 s[6:7], s[4:5], s[6:7]
	v_cmp_gt_f64_e64 s[4:5], v[0:1], v[2:3]
	s_or_b64 s[6:7], s[6:7], s[4:5]
	s_mov_b64 s[4:5], -1
	s_and_saveexec_b64 s[14:15], s[6:7]
	s_xor_b64 s[6:7], exec, s[14:15]
	s_cbranch_execz .LBB47_29
; %bb.28:
	ds_read_u8 v24, v19
	s_mov_b32 s12, 1
	s_waitcnt lgkmcnt(0)
	v_and_b32_e32 v24, 1, v24
	v_cmp_eq_u32_e64 s[4:5], 1, v24
	s_xor_b64 s[4:5], s[4:5], -1
	s_orn2_b64 s[4:5], s[4:5], exec
.LBB47_29:
	s_or_b64 exec, exec, s[6:7]
	v_mov_b32_e32 v25, s12
	s_and_saveexec_b64 s[6:7], s[4:5]
	s_cbranch_execz .LBB47_31
; %bb.30:
	ds_read_u8 v24, v19 offset:2
	s_waitcnt lgkmcnt(0)
	v_xor_b32_e32 v25, 1, v24
.LBB47_31:
	s_or_b64 exec, exec, s[6:7]
	v_bfe_u32 v24, v6, 1, 1
	v_lshl_add_u32 v22, v22, 3, v17
	v_cmp_eq_u32_e64 s[4:5], v25, v24
	s_and_saveexec_b64 s[6:7], s[4:5]
	s_cbranch_execz .LBB47_33
; %bb.32:
	ds_read2_b64 v[26:29], v22 offset1:2
	ds_read_u8 v25, v19 offset:2
	ds_read_u8 v30, v19
	ds_write2_b64 v18, v[2:3], v[0:1] offset1:2
	s_waitcnt lgkmcnt(3)
	ds_write2_b64 v22, v[28:29], v[26:27] offset1:2
	s_waitcnt lgkmcnt(3)
	ds_write_b8 v19, v25
	s_waitcnt lgkmcnt(3)
	ds_write_b8 v19, v30 offset:2
.LBB47_33:
	s_or_b64 exec, exec, s[6:7]
	s_waitcnt lgkmcnt(0)
	s_barrier
	ds_read_b128 v[0:3], v9
                                        ; implicit-def: $sgpr14
	s_waitcnt lgkmcnt(0)
	v_cmp_u_f64_e64 s[4:5], v[0:1], v[0:1]
	v_cmp_o_f64_e64 s[6:7], v[2:3], v[2:3]
	s_and_b64 s[6:7], s[4:5], s[6:7]
	v_cmp_gt_f64_e64 s[4:5], v[0:1], v[2:3]
	s_or_b64 s[4:5], s[6:7], s[4:5]
	s_xor_b64 s[6:7], s[4:5], -1
	s_and_saveexec_b64 s[12:13], s[4:5]
	s_cbranch_execnz .LBB47_100
; %bb.34:
	s_or_b64 exec, exec, s[12:13]
	v_mov_b32_e32 v25, s14
	s_and_saveexec_b64 s[4:5], s[6:7]
	s_cbranch_execnz .LBB47_101
.LBB47_35:
	s_or_b64 exec, exec, s[4:5]
	v_cmp_eq_u32_e64 s[4:5], v25, v24
	s_and_saveexec_b64 s[6:7], s[4:5]
	s_cbranch_execz .LBB47_37
.LBB47_36:
	v_add_u32_e32 v32, v7, v15
	v_mov_b32_e32 v24, v2
	v_mov_b32_e32 v25, v3
	ds_read_b128 v[28:31], v32
	v_mov_b32_e32 v26, v0
	v_mov_b32_e32 v27, v1
	ds_write_b128 v9, v[24:27]
	ds_read_u16 v24, v16
	s_waitcnt lgkmcnt(2)
	v_mov_b32_e32 v0, v30
	v_mov_b32_e32 v1, v31
	;; [unrolled: 1-line block ×4, first 2 shown]
	s_mov_b32 s4, 0xc0c0001
	ds_write_b128 v32, v[0:3]
	s_waitcnt lgkmcnt(1)
	v_perm_b32 v0, 0, v24, s4
	ds_write_b16 v16, v0
.LBB47_37:
	s_or_b64 exec, exec, s[6:7]
	v_and_b32_e32 v0, 3, v6
	v_sub_u32_e32 v26, v23, v0
	v_lshl_add_u32 v24, v26, 3, v21
	s_waitcnt lgkmcnt(0)
	s_barrier
	ds_read2_b64 v[0:3], v24 offset1:4
	v_add_u32_e32 v25, v20, v26
                                        ; implicit-def: $sgpr14
	s_waitcnt lgkmcnt(0)
	v_cmp_u_f64_e64 s[4:5], v[0:1], v[0:1]
	v_cmp_o_f64_e64 s[6:7], v[2:3], v[2:3]
	s_and_b64 s[6:7], s[4:5], s[6:7]
	v_cmp_gt_f64_e64 s[4:5], v[0:1], v[2:3]
	s_or_b64 s[4:5], s[6:7], s[4:5]
	s_xor_b64 s[6:7], s[4:5], -1
	s_and_saveexec_b64 s[12:13], s[4:5]
	s_cbranch_execz .LBB47_39
; %bb.38:
	ds_read_u8 v27, v25
	s_andn2_b64 s[6:7], s[6:7], exec
	s_mov_b32 s14, 1
	s_waitcnt lgkmcnt(0)
	v_and_b32_e32 v27, 1, v27
	v_cmp_eq_u32_e64 s[4:5], 1, v27
	s_xor_b64 s[4:5], s[4:5], -1
	s_and_b64 s[4:5], s[4:5], exec
	s_or_b64 s[6:7], s[6:7], s[4:5]
.LBB47_39:
	s_or_b64 exec, exec, s[12:13]
	v_mov_b32_e32 v28, s14
	s_and_saveexec_b64 s[4:5], s[6:7]
	s_cbranch_execz .LBB47_41
; %bb.40:
	ds_read_u8 v27, v25 offset:4
	s_waitcnt lgkmcnt(0)
	v_xor_b32_e32 v28, 1, v27
.LBB47_41:
	s_or_b64 exec, exec, s[4:5]
	v_bfe_u32 v27, v6, 2, 1
	v_lshl_add_u32 v26, v26, 3, v17
	v_cmp_eq_u32_e64 s[4:5], v28, v27
	s_and_saveexec_b64 s[6:7], s[4:5]
	s_cbranch_execz .LBB47_43
; %bb.42:
	ds_read2_b64 v[28:31], v26 offset1:4
	ds_read_u8 v32, v25 offset:4
	ds_read_u8 v33, v25
	ds_write2_b64 v24, v[2:3], v[0:1] offset1:4
	s_waitcnt lgkmcnt(3)
	ds_write2_b64 v26, v[30:31], v[28:29] offset1:4
	s_waitcnt lgkmcnt(3)
	ds_write_b8 v25, v32
	s_waitcnt lgkmcnt(3)
	ds_write_b8 v25, v33 offset:4
.LBB47_43:
	s_or_b64 exec, exec, s[6:7]
	s_waitcnt lgkmcnt(0)
	s_barrier
	ds_read2_b64 v[0:3], v18 offset1:2
                                        ; implicit-def: $sgpr14
	s_waitcnt lgkmcnt(0)
	v_cmp_u_f64_e64 s[4:5], v[0:1], v[0:1]
	v_cmp_o_f64_e64 s[6:7], v[2:3], v[2:3]
	s_and_b64 s[6:7], s[4:5], s[6:7]
	v_cmp_gt_f64_e64 s[4:5], v[0:1], v[2:3]
	s_or_b64 s[4:5], s[6:7], s[4:5]
	s_xor_b64 s[6:7], s[4:5], -1
	s_and_saveexec_b64 s[12:13], s[4:5]
	s_cbranch_execnz .LBB47_102
; %bb.44:
	s_or_b64 exec, exec, s[12:13]
	v_mov_b32_e32 v28, s14
	s_and_saveexec_b64 s[4:5], s[6:7]
	s_cbranch_execnz .LBB47_103
.LBB47_45:
	s_or_b64 exec, exec, s[4:5]
	v_cmp_eq_u32_e64 s[4:5], v28, v27
	s_and_saveexec_b64 s[6:7], s[4:5]
	s_cbranch_execz .LBB47_47
.LBB47_46:
	ds_read2_b64 v[28:31], v22 offset1:2
	ds_read_u8 v32, v19 offset:2
	ds_read_u8 v33, v19
	ds_write2_b64 v18, v[2:3], v[0:1] offset1:2
	s_waitcnt lgkmcnt(3)
	ds_write2_b64 v22, v[30:31], v[28:29] offset1:2
	s_waitcnt lgkmcnt(3)
	ds_write_b8 v19, v32
	s_waitcnt lgkmcnt(3)
	ds_write_b8 v19, v33 offset:2
.LBB47_47:
	s_or_b64 exec, exec, s[6:7]
	s_waitcnt lgkmcnt(0)
	s_barrier
	ds_read_b128 v[0:3], v9
                                        ; implicit-def: $sgpr14
	s_waitcnt lgkmcnt(0)
	v_cmp_u_f64_e64 s[4:5], v[0:1], v[0:1]
	v_cmp_o_f64_e64 s[6:7], v[2:3], v[2:3]
	s_and_b64 s[6:7], s[4:5], s[6:7]
	v_cmp_gt_f64_e64 s[4:5], v[0:1], v[2:3]
	s_or_b64 s[4:5], s[6:7], s[4:5]
	s_xor_b64 s[6:7], s[4:5], -1
	s_and_saveexec_b64 s[12:13], s[4:5]
	s_cbranch_execnz .LBB47_104
; %bb.48:
	s_or_b64 exec, exec, s[12:13]
	v_mov_b32_e32 v28, s14
	s_and_saveexec_b64 s[4:5], s[6:7]
	s_cbranch_execnz .LBB47_105
.LBB47_49:
	s_or_b64 exec, exec, s[4:5]
	v_cmp_eq_u32_e64 s[4:5], v28, v27
	s_and_saveexec_b64 s[6:7], s[4:5]
	s_cbranch_execz .LBB47_51
.LBB47_50:
	v_add_u32_e32 v27, v7, v15
	v_mov_b32_e32 v28, v2
	v_mov_b32_e32 v29, v3
	ds_read_b128 v[32:35], v27
	v_mov_b32_e32 v30, v0
	v_mov_b32_e32 v31, v1
	ds_write_b128 v9, v[28:31]
	ds_read_u16 v28, v16
	s_waitcnt lgkmcnt(2)
	v_mov_b32_e32 v0, v34
	v_mov_b32_e32 v1, v35
	;; [unrolled: 1-line block ×4, first 2 shown]
	s_mov_b32 s4, 0xc0c0001
	ds_write_b128 v27, v[0:3]
	s_waitcnt lgkmcnt(1)
	v_perm_b32 v0, 0, v28, s4
	ds_write_b16 v16, v0
.LBB47_51:
	s_or_b64 exec, exec, s[6:7]
	v_and_b32_e32 v0, 7, v6
	v_sub_u32_e32 v29, v23, v0
	v_lshl_add_u32 v27, v29, 3, v21
	s_waitcnt lgkmcnt(0)
	s_barrier
	ds_read2_b64 v[0:3], v27 offset1:8
	v_add_u32_e32 v28, v20, v29
                                        ; implicit-def: $sgpr14
	s_waitcnt lgkmcnt(0)
	v_cmp_u_f64_e64 s[4:5], v[0:1], v[0:1]
	v_cmp_o_f64_e64 s[6:7], v[2:3], v[2:3]
	s_and_b64 s[6:7], s[4:5], s[6:7]
	v_cmp_gt_f64_e64 s[4:5], v[0:1], v[2:3]
	s_or_b64 s[4:5], s[6:7], s[4:5]
	s_xor_b64 s[6:7], s[4:5], -1
	s_and_saveexec_b64 s[12:13], s[4:5]
	s_cbranch_execz .LBB47_53
; %bb.52:
	ds_read_u8 v30, v28
	s_andn2_b64 s[6:7], s[6:7], exec
	s_mov_b32 s14, 1
	s_waitcnt lgkmcnt(0)
	v_and_b32_e32 v30, 1, v30
	v_cmp_eq_u32_e64 s[4:5], 1, v30
	s_xor_b64 s[4:5], s[4:5], -1
	s_and_b64 s[4:5], s[4:5], exec
	s_or_b64 s[6:7], s[6:7], s[4:5]
.LBB47_53:
	s_or_b64 exec, exec, s[12:13]
	v_mov_b32_e32 v31, s14
	s_and_saveexec_b64 s[4:5], s[6:7]
	s_cbranch_execz .LBB47_55
; %bb.54:
	ds_read_u8 v30, v28 offset:8
	s_waitcnt lgkmcnt(0)
	v_xor_b32_e32 v31, 1, v30
.LBB47_55:
	s_or_b64 exec, exec, s[4:5]
	v_bfe_u32 v30, v6, 3, 1
	v_lshl_add_u32 v29, v29, 3, v17
	v_cmp_eq_u32_e64 s[4:5], v31, v30
	s_and_saveexec_b64 s[6:7], s[4:5]
	s_cbranch_execz .LBB47_57
; %bb.56:
	ds_read2_b64 v[32:35], v29 offset1:8
	ds_read_u8 v31, v28 offset:8
	ds_read_u8 v36, v28
	ds_write2_b64 v27, v[2:3], v[0:1] offset1:8
	s_waitcnt lgkmcnt(3)
	ds_write2_b64 v29, v[34:35], v[32:33] offset1:8
	s_waitcnt lgkmcnt(3)
	ds_write_b8 v28, v31
	s_waitcnt lgkmcnt(3)
	ds_write_b8 v28, v36 offset:8
.LBB47_57:
	s_or_b64 exec, exec, s[6:7]
	s_waitcnt lgkmcnt(0)
	s_barrier
	ds_read2_b64 v[0:3], v24 offset1:4
                                        ; implicit-def: $sgpr14
	s_waitcnt lgkmcnt(0)
	v_cmp_u_f64_e64 s[4:5], v[0:1], v[0:1]
	v_cmp_o_f64_e64 s[6:7], v[2:3], v[2:3]
	s_and_b64 s[6:7], s[4:5], s[6:7]
	v_cmp_gt_f64_e64 s[4:5], v[0:1], v[2:3]
	s_or_b64 s[4:5], s[6:7], s[4:5]
	s_xor_b64 s[6:7], s[4:5], -1
	s_and_saveexec_b64 s[12:13], s[4:5]
	s_cbranch_execnz .LBB47_106
; %bb.58:
	s_or_b64 exec, exec, s[12:13]
	v_mov_b32_e32 v31, s14
	s_and_saveexec_b64 s[4:5], s[6:7]
	s_cbranch_execnz .LBB47_107
.LBB47_59:
	s_or_b64 exec, exec, s[4:5]
	v_cmp_eq_u32_e64 s[4:5], v31, v30
	s_and_saveexec_b64 s[6:7], s[4:5]
	s_cbranch_execz .LBB47_61
.LBB47_60:
	ds_read2_b64 v[32:35], v26 offset1:4
	ds_read_u8 v31, v25 offset:4
	ds_read_u8 v36, v25
	ds_write2_b64 v24, v[2:3], v[0:1] offset1:4
	s_waitcnt lgkmcnt(3)
	ds_write2_b64 v26, v[34:35], v[32:33] offset1:4
	s_waitcnt lgkmcnt(3)
	ds_write_b8 v25, v31
	s_waitcnt lgkmcnt(3)
	ds_write_b8 v25, v36 offset:4
.LBB47_61:
	s_or_b64 exec, exec, s[6:7]
	s_waitcnt lgkmcnt(0)
	s_barrier
	ds_read2_b64 v[0:3], v18 offset1:2
                                        ; implicit-def: $sgpr14
	s_waitcnt lgkmcnt(0)
	v_cmp_u_f64_e64 s[4:5], v[0:1], v[0:1]
	v_cmp_o_f64_e64 s[6:7], v[2:3], v[2:3]
	s_and_b64 s[6:7], s[4:5], s[6:7]
	v_cmp_gt_f64_e64 s[4:5], v[0:1], v[2:3]
	s_or_b64 s[4:5], s[6:7], s[4:5]
	s_xor_b64 s[6:7], s[4:5], -1
	s_and_saveexec_b64 s[12:13], s[4:5]
	s_cbranch_execnz .LBB47_108
; %bb.62:
	s_or_b64 exec, exec, s[12:13]
	v_mov_b32_e32 v31, s14
	s_and_saveexec_b64 s[4:5], s[6:7]
	s_cbranch_execnz .LBB47_109
.LBB47_63:
	s_or_b64 exec, exec, s[4:5]
	v_cmp_eq_u32_e64 s[4:5], v31, v30
	s_and_saveexec_b64 s[6:7], s[4:5]
	s_cbranch_execz .LBB47_65
.LBB47_64:
	ds_read2_b64 v[32:35], v22 offset1:2
	ds_read_u8 v31, v19 offset:2
	ds_read_u8 v36, v19
	ds_write2_b64 v18, v[2:3], v[0:1] offset1:2
	s_waitcnt lgkmcnt(3)
	ds_write2_b64 v22, v[34:35], v[32:33] offset1:2
	s_waitcnt lgkmcnt(3)
	ds_write_b8 v19, v31
	s_waitcnt lgkmcnt(3)
	ds_write_b8 v19, v36 offset:2
.LBB47_65:
	s_or_b64 exec, exec, s[6:7]
	s_waitcnt lgkmcnt(0)
	s_barrier
	ds_read_b128 v[0:3], v9
                                        ; implicit-def: $sgpr14
	s_waitcnt lgkmcnt(0)
	v_cmp_u_f64_e64 s[4:5], v[0:1], v[0:1]
	v_cmp_o_f64_e64 s[6:7], v[2:3], v[2:3]
	s_and_b64 s[6:7], s[4:5], s[6:7]
	v_cmp_gt_f64_e64 s[4:5], v[0:1], v[2:3]
	s_or_b64 s[4:5], s[6:7], s[4:5]
	s_xor_b64 s[6:7], s[4:5], -1
	s_and_saveexec_b64 s[12:13], s[4:5]
	s_cbranch_execnz .LBB47_110
; %bb.66:
	s_or_b64 exec, exec, s[12:13]
	v_mov_b32_e32 v31, s14
	s_and_saveexec_b64 s[4:5], s[6:7]
	s_cbranch_execnz .LBB47_111
.LBB47_67:
	s_or_b64 exec, exec, s[4:5]
	v_cmp_eq_u32_e64 s[4:5], v31, v30
	s_and_saveexec_b64 s[6:7], s[4:5]
	s_cbranch_execz .LBB47_69
.LBB47_68:
	v_add_u32_e32 v38, v7, v15
	v_mov_b32_e32 v30, v2
	v_mov_b32_e32 v31, v3
	ds_read_b128 v[34:37], v38
	v_mov_b32_e32 v32, v0
	v_mov_b32_e32 v33, v1
	ds_write_b128 v9, v[30:33]
	ds_read_u16 v30, v16
	s_waitcnt lgkmcnt(2)
	v_mov_b32_e32 v0, v36
	v_mov_b32_e32 v1, v37
	;; [unrolled: 1-line block ×4, first 2 shown]
	s_mov_b32 s4, 0xc0c0001
	ds_write_b128 v38, v[0:3]
	s_waitcnt lgkmcnt(1)
	v_perm_b32 v0, 0, v30, s4
	ds_write_b16 v16, v0
.LBB47_69:
	s_or_b64 exec, exec, s[6:7]
	v_and_b32_e32 v0, 15, v6
	v_sub_u32_e32 v23, v23, v0
	v_lshl_add_u32 v21, v23, 3, v21
	s_waitcnt lgkmcnt(0)
	s_barrier
	ds_read2_b64 v[0:3], v21 offset1:16
	v_add_u32_e32 v20, v20, v23
	s_waitcnt lgkmcnt(0)
	v_cmp_u_f64_e64 s[4:5], v[0:1], v[0:1]
	v_cmp_o_f64_e64 s[6:7], v[2:3], v[2:3]
	s_and_b64 s[6:7], s[4:5], s[6:7]
	v_cmp_gt_f64_e64 s[4:5], v[0:1], v[2:3]
	s_or_b64 s[4:5], s[6:7], s[4:5]
	s_xor_b64 s[12:13], s[4:5], -1
	s_and_saveexec_b64 s[6:7], s[4:5]
	s_cbranch_execz .LBB47_71
; %bb.70:
	ds_read_u8 v30, v20
	s_andn2_b64 s[12:13], s[12:13], exec
	s_waitcnt lgkmcnt(0)
	v_and_b32_e32 v30, 1, v30
	v_cmp_eq_u32_e64 s[4:5], 1, v30
	s_xor_b64 s[4:5], s[4:5], -1
	s_and_b64 s[4:5], s[4:5], exec
	s_or_b64 s[12:13], s[12:13], s[4:5]
.LBB47_71:
	s_or_b64 exec, exec, s[6:7]
	s_and_saveexec_b64 s[6:7], s[12:13]
	s_cbranch_execz .LBB47_74
; %bb.72:
	ds_read_u8 v30, v20 offset:16
	s_waitcnt lgkmcnt(0)
	v_cmp_ne_u16_e64 s[4:5], 0, v30
	s_and_b64 exec, exec, s[4:5]
	s_cbranch_execz .LBB47_74
; %bb.73:
	v_lshl_add_u32 v17, v23, 3, v17
	ds_read2_b64 v[32:35], v17 offset1:16
	ds_read_u8 v23, v20
	ds_write2_b64 v21, v[2:3], v[0:1] offset1:16
	ds_write_b8 v20, v30
	s_waitcnt lgkmcnt(3)
	ds_write2_b64 v17, v[34:35], v[32:33] offset1:16
	s_waitcnt lgkmcnt(3)
	ds_write_b8 v20, v23 offset:16
.LBB47_74:
	s_or_b64 exec, exec, s[6:7]
	s_waitcnt lgkmcnt(0)
	s_barrier
	ds_read2_b64 v[0:3], v27 offset1:8
	s_waitcnt lgkmcnt(0)
	v_cmp_u_f64_e64 s[4:5], v[0:1], v[0:1]
	v_cmp_o_f64_e64 s[6:7], v[2:3], v[2:3]
	s_and_b64 s[6:7], s[4:5], s[6:7]
	v_cmp_gt_f64_e64 s[4:5], v[0:1], v[2:3]
	s_or_b64 s[4:5], s[6:7], s[4:5]
	s_xor_b64 s[12:13], s[4:5], -1
	s_and_saveexec_b64 s[6:7], s[4:5]
	s_cbranch_execz .LBB47_76
; %bb.75:
	ds_read_u8 v17, v28
	s_andn2_b64 s[12:13], s[12:13], exec
	s_waitcnt lgkmcnt(0)
	v_and_b32_e32 v17, 1, v17
	v_cmp_eq_u32_e64 s[4:5], 1, v17
	s_xor_b64 s[4:5], s[4:5], -1
	s_and_b64 s[4:5], s[4:5], exec
	s_or_b64 s[12:13], s[12:13], s[4:5]
.LBB47_76:
	s_or_b64 exec, exec, s[6:7]
	s_and_saveexec_b64 s[6:7], s[12:13]
	s_cbranch_execz .LBB47_79
; %bb.77:
	ds_read_u8 v17, v28 offset:8
	s_waitcnt lgkmcnt(0)
	v_cmp_ne_u16_e64 s[4:5], 0, v17
	s_and_b64 exec, exec, s[4:5]
	s_cbranch_execz .LBB47_79
; %bb.78:
	ds_read2_b64 v[30:33], v29 offset1:8
	ds_read_u8 v20, v28
	ds_write2_b64 v27, v[2:3], v[0:1] offset1:8
	ds_write_b8 v28, v17
	s_waitcnt lgkmcnt(3)
	ds_write2_b64 v29, v[32:33], v[30:31] offset1:8
	s_waitcnt lgkmcnt(3)
	ds_write_b8 v28, v20 offset:8
.LBB47_79:
	s_or_b64 exec, exec, s[6:7]
	s_waitcnt lgkmcnt(0)
	s_barrier
	ds_read2_b64 v[0:3], v24 offset1:4
	s_waitcnt lgkmcnt(0)
	v_cmp_u_f64_e64 s[4:5], v[0:1], v[0:1]
	v_cmp_o_f64_e64 s[6:7], v[2:3], v[2:3]
	s_and_b64 s[6:7], s[4:5], s[6:7]
	v_cmp_gt_f64_e64 s[4:5], v[0:1], v[2:3]
	s_or_b64 s[4:5], s[6:7], s[4:5]
	s_xor_b64 s[12:13], s[4:5], -1
	s_and_saveexec_b64 s[6:7], s[4:5]
	s_cbranch_execz .LBB47_81
; %bb.80:
	ds_read_u8 v17, v25
	s_andn2_b64 s[12:13], s[12:13], exec
	s_waitcnt lgkmcnt(0)
	v_and_b32_e32 v17, 1, v17
	v_cmp_eq_u32_e64 s[4:5], 1, v17
	s_xor_b64 s[4:5], s[4:5], -1
	s_and_b64 s[4:5], s[4:5], exec
	s_or_b64 s[12:13], s[12:13], s[4:5]
.LBB47_81:
	s_or_b64 exec, exec, s[6:7]
	s_and_saveexec_b64 s[6:7], s[12:13]
	s_cbranch_execz .LBB47_84
; %bb.82:
	ds_read_u8 v17, v25 offset:4
	s_waitcnt lgkmcnt(0)
	v_cmp_ne_u16_e64 s[4:5], 0, v17
	s_and_b64 exec, exec, s[4:5]
	s_cbranch_execz .LBB47_84
; %bb.83:
	ds_read2_b64 v[28:31], v26 offset1:4
	ds_read_u8 v20, v25
	ds_write2_b64 v24, v[2:3], v[0:1] offset1:4
	ds_write_b8 v25, v17
	s_waitcnt lgkmcnt(3)
	ds_write2_b64 v26, v[30:31], v[28:29] offset1:4
	s_waitcnt lgkmcnt(3)
	ds_write_b8 v25, v20 offset:4
.LBB47_84:
	;; [unrolled: 42-line block ×3, first 2 shown]
	s_or_b64 exec, exec, s[6:7]
	s_waitcnt lgkmcnt(0)
	s_barrier
	ds_read_b128 v[0:3], v9
	s_waitcnt lgkmcnt(0)
	v_cmp_u_f64_e64 s[4:5], v[0:1], v[0:1]
	v_cmp_o_f64_e64 s[6:7], v[2:3], v[2:3]
	s_and_b64 s[6:7], s[4:5], s[6:7]
	v_cmp_gt_f64_e64 s[4:5], v[0:1], v[2:3]
	s_or_b64 s[4:5], s[6:7], s[4:5]
	s_xor_b64 s[12:13], s[4:5], -1
	s_and_saveexec_b64 s[6:7], s[4:5]
	s_cbranch_execz .LBB47_91
; %bb.90:
	ds_read_u8 v17, v16
	s_andn2_b64 s[12:13], s[12:13], exec
	s_waitcnt lgkmcnt(0)
	v_and_b32_e32 v17, 1, v17
	v_cmp_eq_u32_e64 s[4:5], 1, v17
	s_xor_b64 s[4:5], s[4:5], -1
	s_and_b64 s[4:5], s[4:5], exec
	s_or_b64 s[12:13], s[12:13], s[4:5]
.LBB47_91:
	s_or_b64 exec, exec, s[6:7]
	s_and_saveexec_b64 s[6:7], s[12:13]
	s_cbranch_execz .LBB47_94
; %bb.92:
	ds_read_u8 v17, v16 offset:1
	s_waitcnt lgkmcnt(0)
	v_cmp_ne_u16_e64 s[4:5], 0, v17
	s_and_b64 exec, exec, s[4:5]
	s_cbranch_execz .LBB47_94
; %bb.93:
	v_add_u32_e32 v15, v7, v15
	v_mov_b32_e32 v18, v2
	v_mov_b32_e32 v19, v3
	ds_read_b128 v[22:25], v15
	v_mov_b32_e32 v20, v0
	v_mov_b32_e32 v21, v1
	ds_write_b128 v9, v[18:21]
	ds_read_u8 v9, v16
	s_waitcnt lgkmcnt(2)
	v_mov_b32_e32 v0, v24
	v_mov_b32_e32 v1, v25
	;; [unrolled: 1-line block ×4, first 2 shown]
	ds_write_b128 v15, v[0:3]
	s_waitcnt lgkmcnt(1)
	v_lshlrev_b16_e32 v0, 8, v9
	v_or_b32_e32 v0, v17, v0
	ds_write_b16 v16, v0
.LBB47_94:
	s_or_b64 exec, exec, s[6:7]
	s_waitcnt lgkmcnt(0)
	s_barrier
	s_and_saveexec_b64 s[4:5], vcc
	s_cbranch_execz .LBB47_99
; %bb.95:
	s_and_saveexec_b64 s[4:5], s[0:1]
	s_cbranch_execz .LBB47_97
; %bb.96:
	v_mad_u64_u32 v[2:3], s[0:1], v6, s8, 0
	ds_read_b64 v[0:1], v14
	v_mov_b32_e32 v14, v3
	v_mad_u64_u32 v[14:15], s[0:1], v6, s9, v[14:15]
	v_mov_b32_e32 v3, v14
	v_lshlrev_b64 v[2:3], 3, v[2:3]
	v_add_co_u32_e32 v2, vcc, v12, v2
	v_addc_co_u32_e32 v3, vcc, v13, v3, vcc
	s_waitcnt lgkmcnt(0)
	global_store_dwordx2 v[2:3], v[0:1], off
	v_mad_u64_u32 v[0:1], s[0:1], v6, s10, 0
	v_mov_b32_e32 v2, v1
	ds_read_b64 v[14:15], v7
	v_mad_u64_u32 v[2:3], s[0:1], v6, s11, v[2:3]
	v_mov_b32_e32 v1, v2
	v_lshlrev_b64 v[0:1], 3, v[0:1]
	v_add_co_u32_e32 v0, vcc, v10, v0
	v_addc_co_u32_e32 v1, vcc, v11, v1, vcc
	s_waitcnt lgkmcnt(0)
	global_store_dwordx2 v[0:1], v[14:15], off
.LBB47_97:
	s_or_b64 exec, exec, s[4:5]
	s_and_b64 exec, exec, s[2:3]
	s_cbranch_execz .LBB47_99
; %bb.98:
	v_mad_u64_u32 v[2:3], s[0:1], v4, s8, 0
	v_mov_b32_e32 v6, v3
	ds_read_b64 v[0:1], v8
	v_mad_u64_u32 v[6:7], s[0:1], v4, s9, v[6:7]
	v_mov_b32_e32 v3, v6
	ds_read_b64 v[6:7], v5
	v_lshlrev_b64 v[2:3], 3, v[2:3]
	v_add_co_u32_e32 v2, vcc, v12, v2
	v_addc_co_u32_e32 v3, vcc, v13, v3, vcc
	s_waitcnt lgkmcnt(1)
	global_store_dwordx2 v[2:3], v[0:1], off
	v_mad_u64_u32 v[0:1], s[0:1], v4, s10, 0
	v_mov_b32_e32 v2, v1
	v_mad_u64_u32 v[2:3], s[0:1], v4, s11, v[2:3]
	v_mov_b32_e32 v1, v2
	v_lshlrev_b64 v[0:1], 3, v[0:1]
	v_add_co_u32_e32 v0, vcc, v10, v0
	v_addc_co_u32_e32 v1, vcc, v11, v1, vcc
	s_waitcnt lgkmcnt(0)
	global_store_dwordx2 v[0:1], v[6:7], off
.LBB47_99:
	s_endpgm
.LBB47_100:
	ds_read_u8 v25, v16
	s_andn2_b64 s[6:7], s[6:7], exec
	s_mov_b32 s14, 1
	s_waitcnt lgkmcnt(0)
	v_and_b32_e32 v25, 1, v25
	v_cmp_eq_u32_e64 s[4:5], 1, v25
	s_xor_b64 s[4:5], s[4:5], -1
	s_and_b64 s[4:5], s[4:5], exec
	s_or_b64 s[6:7], s[6:7], s[4:5]
	s_or_b64 exec, exec, s[12:13]
	v_mov_b32_e32 v25, s14
	s_and_saveexec_b64 s[4:5], s[6:7]
	s_cbranch_execz .LBB47_35
.LBB47_101:
	ds_read_u8 v25, v16 offset:1
	s_waitcnt lgkmcnt(0)
	v_xor_b32_e32 v25, 1, v25
	s_or_b64 exec, exec, s[4:5]
	v_cmp_eq_u32_e64 s[4:5], v25, v24
	s_and_saveexec_b64 s[6:7], s[4:5]
	s_cbranch_execnz .LBB47_36
	s_branch .LBB47_37
.LBB47_102:
	ds_read_u8 v28, v19
	s_andn2_b64 s[6:7], s[6:7], exec
	s_mov_b32 s14, 1
	s_waitcnt lgkmcnt(0)
	v_and_b32_e32 v28, 1, v28
	v_cmp_eq_u32_e64 s[4:5], 1, v28
	s_xor_b64 s[4:5], s[4:5], -1
	s_and_b64 s[4:5], s[4:5], exec
	s_or_b64 s[6:7], s[6:7], s[4:5]
	s_or_b64 exec, exec, s[12:13]
	v_mov_b32_e32 v28, s14
	s_and_saveexec_b64 s[4:5], s[6:7]
	s_cbranch_execz .LBB47_45
.LBB47_103:
	ds_read_u8 v28, v19 offset:2
	s_waitcnt lgkmcnt(0)
	v_xor_b32_e32 v28, 1, v28
	s_or_b64 exec, exec, s[4:5]
	v_cmp_eq_u32_e64 s[4:5], v28, v27
	s_and_saveexec_b64 s[6:7], s[4:5]
	s_cbranch_execnz .LBB47_46
	s_branch .LBB47_47
.LBB47_104:
	ds_read_u8 v28, v16
	s_andn2_b64 s[6:7], s[6:7], exec
	s_mov_b32 s14, 1
	s_waitcnt lgkmcnt(0)
	v_and_b32_e32 v28, 1, v28
	v_cmp_eq_u32_e64 s[4:5], 1, v28
	s_xor_b64 s[4:5], s[4:5], -1
	s_and_b64 s[4:5], s[4:5], exec
	s_or_b64 s[6:7], s[6:7], s[4:5]
	s_or_b64 exec, exec, s[12:13]
	v_mov_b32_e32 v28, s14
	s_and_saveexec_b64 s[4:5], s[6:7]
	s_cbranch_execz .LBB47_49
.LBB47_105:
	ds_read_u8 v28, v16 offset:1
	s_waitcnt lgkmcnt(0)
	v_xor_b32_e32 v28, 1, v28
	s_or_b64 exec, exec, s[4:5]
	v_cmp_eq_u32_e64 s[4:5], v28, v27
	s_and_saveexec_b64 s[6:7], s[4:5]
	s_cbranch_execnz .LBB47_50
	s_branch .LBB47_51
.LBB47_106:
	ds_read_u8 v31, v25
	s_andn2_b64 s[6:7], s[6:7], exec
	s_mov_b32 s14, 1
	s_waitcnt lgkmcnt(0)
	v_and_b32_e32 v31, 1, v31
	v_cmp_eq_u32_e64 s[4:5], 1, v31
	s_xor_b64 s[4:5], s[4:5], -1
	s_and_b64 s[4:5], s[4:5], exec
	s_or_b64 s[6:7], s[6:7], s[4:5]
	s_or_b64 exec, exec, s[12:13]
	v_mov_b32_e32 v31, s14
	s_and_saveexec_b64 s[4:5], s[6:7]
	s_cbranch_execz .LBB47_59
.LBB47_107:
	ds_read_u8 v31, v25 offset:4
	s_waitcnt lgkmcnt(0)
	v_xor_b32_e32 v31, 1, v31
	s_or_b64 exec, exec, s[4:5]
	v_cmp_eq_u32_e64 s[4:5], v31, v30
	s_and_saveexec_b64 s[6:7], s[4:5]
	s_cbranch_execnz .LBB47_60
	s_branch .LBB47_61
.LBB47_108:
	ds_read_u8 v31, v19
	s_andn2_b64 s[6:7], s[6:7], exec
	s_mov_b32 s14, 1
	s_waitcnt lgkmcnt(0)
	v_and_b32_e32 v31, 1, v31
	v_cmp_eq_u32_e64 s[4:5], 1, v31
	s_xor_b64 s[4:5], s[4:5], -1
	s_and_b64 s[4:5], s[4:5], exec
	s_or_b64 s[6:7], s[6:7], s[4:5]
	s_or_b64 exec, exec, s[12:13]
	v_mov_b32_e32 v31, s14
	s_and_saveexec_b64 s[4:5], s[6:7]
	s_cbranch_execz .LBB47_63
.LBB47_109:
	ds_read_u8 v31, v19 offset:2
	s_waitcnt lgkmcnt(0)
	v_xor_b32_e32 v31, 1, v31
	s_or_b64 exec, exec, s[4:5]
	v_cmp_eq_u32_e64 s[4:5], v31, v30
	s_and_saveexec_b64 s[6:7], s[4:5]
	s_cbranch_execnz .LBB47_64
	s_branch .LBB47_65
.LBB47_110:
	ds_read_u8 v31, v16
	s_andn2_b64 s[6:7], s[6:7], exec
	s_mov_b32 s14, 1
	s_waitcnt lgkmcnt(0)
	v_and_b32_e32 v31, 1, v31
	v_cmp_eq_u32_e64 s[4:5], 1, v31
	s_xor_b64 s[4:5], s[4:5], -1
	s_and_b64 s[4:5], s[4:5], exec
	s_or_b64 s[6:7], s[6:7], s[4:5]
	s_or_b64 exec, exec, s[12:13]
	v_mov_b32_e32 v31, s14
	s_and_saveexec_b64 s[4:5], s[6:7]
	s_cbranch_execz .LBB47_67
.LBB47_111:
	ds_read_u8 v31, v16 offset:1
	s_waitcnt lgkmcnt(0)
	v_xor_b32_e32 v31, 1, v31
	s_or_b64 exec, exec, s[4:5]
	v_cmp_eq_u32_e64 s[4:5], v31, v30
	s_and_saveexec_b64 s[6:7], s[4:5]
	s_cbranch_execnz .LBB47_68
	s_branch .LBB47_69
	.section	.rodata,"a",@progbits
	.p2align	6, 0x0
	.amdhsa_kernel _ZN2at6native20bitonicSortKVInPlaceILin1ELin1ELi16ELi16EdlNS0_4GTOpIdLb1EEEmEEvNS_4cuda6detail10TensorInfoIT3_T6_EES8_S8_S8_NS6_IT4_S8_EES8_T5_
		.amdhsa_group_segment_fixed_size 8704
		.amdhsa_private_segment_fixed_size 0
		.amdhsa_kernarg_size 1128
		.amdhsa_user_sgpr_count 6
		.amdhsa_user_sgpr_private_segment_buffer 1
		.amdhsa_user_sgpr_dispatch_ptr 0
		.amdhsa_user_sgpr_queue_ptr 0
		.amdhsa_user_sgpr_kernarg_segment_ptr 1
		.amdhsa_user_sgpr_dispatch_id 0
		.amdhsa_user_sgpr_flat_scratch_init 0
		.amdhsa_user_sgpr_kernarg_preload_length 0
		.amdhsa_user_sgpr_kernarg_preload_offset 0
		.amdhsa_user_sgpr_private_segment_size 0
		.amdhsa_uses_dynamic_stack 0
		.amdhsa_system_sgpr_private_segment_wavefront_offset 0
		.amdhsa_system_sgpr_workgroup_id_x 1
		.amdhsa_system_sgpr_workgroup_id_y 1
		.amdhsa_system_sgpr_workgroup_id_z 1
		.amdhsa_system_sgpr_workgroup_info 0
		.amdhsa_system_vgpr_workitem_id 1
		.amdhsa_next_free_vgpr 39
		.amdhsa_next_free_sgpr 21
		.amdhsa_accum_offset 40
		.amdhsa_reserve_vcc 1
		.amdhsa_reserve_flat_scratch 0
		.amdhsa_float_round_mode_32 0
		.amdhsa_float_round_mode_16_64 0
		.amdhsa_float_denorm_mode_32 3
		.amdhsa_float_denorm_mode_16_64 3
		.amdhsa_dx10_clamp 1
		.amdhsa_ieee_mode 1
		.amdhsa_fp16_overflow 0
		.amdhsa_tg_split 0
		.amdhsa_exception_fp_ieee_invalid_op 0
		.amdhsa_exception_fp_denorm_src 0
		.amdhsa_exception_fp_ieee_div_zero 0
		.amdhsa_exception_fp_ieee_overflow 0
		.amdhsa_exception_fp_ieee_underflow 0
		.amdhsa_exception_fp_ieee_inexact 0
		.amdhsa_exception_int_div_zero 0
	.end_amdhsa_kernel
	.section	.text._ZN2at6native20bitonicSortKVInPlaceILin1ELin1ELi16ELi16EdlNS0_4GTOpIdLb1EEEmEEvNS_4cuda6detail10TensorInfoIT3_T6_EES8_S8_S8_NS6_IT4_S8_EES8_T5_,"axG",@progbits,_ZN2at6native20bitonicSortKVInPlaceILin1ELin1ELi16ELi16EdlNS0_4GTOpIdLb1EEEmEEvNS_4cuda6detail10TensorInfoIT3_T6_EES8_S8_S8_NS6_IT4_S8_EES8_T5_,comdat
.Lfunc_end47:
	.size	_ZN2at6native20bitonicSortKVInPlaceILin1ELin1ELi16ELi16EdlNS0_4GTOpIdLb1EEEmEEvNS_4cuda6detail10TensorInfoIT3_T6_EES8_S8_S8_NS6_IT4_S8_EES8_T5_, .Lfunc_end47-_ZN2at6native20bitonicSortKVInPlaceILin1ELin1ELi16ELi16EdlNS0_4GTOpIdLb1EEEmEEvNS_4cuda6detail10TensorInfoIT3_T6_EES8_S8_S8_NS6_IT4_S8_EES8_T5_
                                        ; -- End function
	.section	.AMDGPU.csdata,"",@progbits
; Kernel info:
; codeLenInByte = 6908
; NumSgprs: 25
; NumVgprs: 39
; NumAgprs: 0
; TotalNumVgprs: 39
; ScratchSize: 0
; MemoryBound: 0
; FloatMode: 240
; IeeeMode: 1
; LDSByteSize: 8704 bytes/workgroup (compile time only)
; SGPRBlocks: 3
; VGPRBlocks: 4
; NumSGPRsForWavesPerEU: 25
; NumVGPRsForWavesPerEU: 39
; AccumOffset: 40
; Occupancy: 7
; WaveLimiterHint : 1
; COMPUTE_PGM_RSRC2:SCRATCH_EN: 0
; COMPUTE_PGM_RSRC2:USER_SGPR: 6
; COMPUTE_PGM_RSRC2:TRAP_HANDLER: 0
; COMPUTE_PGM_RSRC2:TGID_X_EN: 1
; COMPUTE_PGM_RSRC2:TGID_Y_EN: 1
; COMPUTE_PGM_RSRC2:TGID_Z_EN: 1
; COMPUTE_PGM_RSRC2:TIDIG_COMP_CNT: 1
; COMPUTE_PGM_RSRC3_GFX90A:ACCUM_OFFSET: 9
; COMPUTE_PGM_RSRC3_GFX90A:TG_SPLIT: 0
	.section	.text._ZN2at6native20bitonicSortKVInPlaceILin2ELin1ELi16ELi16EflNS0_4LTOpIfLb1EEEjEEvNS_4cuda6detail10TensorInfoIT3_T6_EES8_S8_S8_NS6_IT4_S8_EES8_T5_,"axG",@progbits,_ZN2at6native20bitonicSortKVInPlaceILin2ELin1ELi16ELi16EflNS0_4LTOpIfLb1EEEjEEvNS_4cuda6detail10TensorInfoIT3_T6_EES8_S8_S8_NS6_IT4_S8_EES8_T5_,comdat
	.protected	_ZN2at6native20bitonicSortKVInPlaceILin2ELin1ELi16ELi16EflNS0_4LTOpIfLb1EEEjEEvNS_4cuda6detail10TensorInfoIT3_T6_EES8_S8_S8_NS6_IT4_S8_EES8_T5_ ; -- Begin function _ZN2at6native20bitonicSortKVInPlaceILin2ELin1ELi16ELi16EflNS0_4LTOpIfLb1EEEjEEvNS_4cuda6detail10TensorInfoIT3_T6_EES8_S8_S8_NS6_IT4_S8_EES8_T5_
	.globl	_ZN2at6native20bitonicSortKVInPlaceILin2ELin1ELi16ELi16EflNS0_4LTOpIfLb1EEEjEEvNS_4cuda6detail10TensorInfoIT3_T6_EES8_S8_S8_NS6_IT4_S8_EES8_T5_
	.p2align	8
	.type	_ZN2at6native20bitonicSortKVInPlaceILin2ELin1ELi16ELi16EflNS0_4LTOpIfLb1EEEjEEvNS_4cuda6detail10TensorInfoIT3_T6_EES8_S8_S8_NS6_IT4_S8_EES8_T5_,@function
_ZN2at6native20bitonicSortKVInPlaceILin2ELin1ELi16ELi16EflNS0_4LTOpIfLb1EEEjEEvNS_4cuda6detail10TensorInfoIT3_T6_EES8_S8_S8_NS6_IT4_S8_EES8_T5_: ; @_ZN2at6native20bitonicSortKVInPlaceILin2ELin1ELi16ELi16EflNS0_4LTOpIfLb1EEEjEEvNS_4cuda6detail10TensorInfoIT3_T6_EES8_S8_S8_NS6_IT4_S8_EES8_T5_
; %bb.0:
	s_load_dwordx2 s[2:3], s[4:5], 0x1c8
	s_load_dwordx4 s[12:15], s[4:5], 0xd8
	s_load_dword s9, s[4:5], 0x1d4
	s_add_u32 s0, s4, 0x1c8
	s_addc_u32 s1, s5, 0
	s_waitcnt lgkmcnt(0)
	s_mul_i32 s3, s3, s8
	s_add_i32 s3, s3, s7
	s_mul_i32 s2, s3, s2
	s_add_i32 s6, s2, s6
	s_lshr_b32 s2, s9, 16
	s_mul_i32 s6, s6, s2
	s_cmp_ge_u32 s6, s12
	s_cbranch_scc1 .LBB48_86
; %bb.1:
	s_load_dwordx2 s[8:9], s[4:5], 0x0
	s_load_dword s7, s[4:5], 0x1b8
	s_add_u32 s2, s4, 0xe8
	v_bfe_u32 v5, v0, 10, 10
	s_addc_u32 s3, s5, 0
	v_add_u32_e32 v1, s6, v5
	s_waitcnt lgkmcnt(0)
	s_cmp_lt_i32 s7, 2
	v_mov_b32_e32 v2, 0
	v_mov_b32_e32 v6, v1
	s_cbranch_scc1 .LBB48_4
; %bb.2:
	s_add_i32 s10, s7, 1
	s_add_i32 s6, s7, -1
	s_mov_b32 s7, 0
	s_lshl_b64 s[6:7], s[6:7], 2
	s_add_u32 s6, s6, s2
	s_addc_u32 s7, s7, s3
	s_add_u32 s6, s6, 8
	s_addc_u32 s7, s7, 0
	v_mov_b32_e32 v2, 0
	v_mov_b32_e32 v6, v1
.LBB48_3:                               ; =>This Inner Loop Header: Depth=1
	s_load_dword s11, s[6:7], 0x0
	s_load_dword s15, s[6:7], 0x64
	v_mov_b32_e32 v3, v6
	s_add_i32 s10, s10, -1
	s_waitcnt lgkmcnt(0)
	v_cvt_f32_u32_e32 v4, s11
	s_sub_i32 s16, 0, s11
	s_add_u32 s6, s6, -4
	s_addc_u32 s7, s7, -1
	v_rcp_iflag_f32_e32 v4, v4
	s_cmp_gt_u32 s10, 2
	v_mul_f32_e32 v4, 0x4f7ffffe, v4
	v_cvt_u32_f32_e32 v4, v4
	v_mul_lo_u32 v6, s16, v4
	v_mul_hi_u32 v6, v4, v6
	v_add_u32_e32 v4, v4, v6
	v_mul_hi_u32 v4, v3, v4
	v_mul_lo_u32 v6, v4, s11
	v_sub_u32_e32 v6, v3, v6
	v_add_u32_e32 v7, 1, v4
	v_cmp_le_u32_e32 vcc, s11, v6
	v_cndmask_b32_e32 v4, v4, v7, vcc
	v_subrev_u32_e32 v7, s11, v6
	v_cndmask_b32_e32 v6, v6, v7, vcc
	v_add_u32_e32 v7, 1, v4
	v_cmp_le_u32_e32 vcc, s11, v6
	v_cndmask_b32_e32 v6, v4, v7, vcc
	v_mul_lo_u32 v4, v6, s11
	v_sub_u32_e32 v3, v3, v4
	v_mad_u64_u32 v[2:3], s[16:17], s15, v3, v[2:3]
	s_cbranch_scc1 .LBB48_3
.LBB48_4:
	s_load_dword s6, s[4:5], 0x6c
	s_load_dword s15, s[4:5], 0x1c0
	;; [unrolled: 1-line block ×3, first 2 shown]
	v_cmp_gt_u32_e32 vcc, s12, v1
	s_load_dwordx2 s[10:11], s[2:3], 0x0
	s_load_dword s12, s[0:1], 0xc
	s_waitcnt lgkmcnt(0)
	v_mul_lo_u32 v4, s6, v1
	v_mad_u64_u32 v[2:3], s[2:3], s7, v6, v[2:3]
	v_and_b32_e32 v3, 0x3ff, v0
	v_cmp_gt_u32_e64 s[0:1], s13, v3
	v_pk_mov_b32 v[0:1], 0, 0
	s_and_b64 s[4:5], vcc, s[0:1]
	v_mov_b32_e32 v10, 0
	v_mov_b32_e32 v8, 0
	v_pk_mov_b32 v[6:7], v[0:1], v[0:1] op_sel:[0,1]
	s_and_saveexec_b64 s[6:7], s[4:5]
	s_cbranch_execz .LBB48_6
; %bb.5:
	v_mad_u64_u32 v[6:7], s[2:3], v3, s14, v[4:5]
	v_mov_b32_e32 v7, 0
	v_lshlrev_b64 v[8:9], 2, v[6:7]
	v_mov_b32_e32 v6, s9
	v_add_co_u32_e64 v8, s[2:3], s8, v8
	v_addc_co_u32_e64 v9, s[2:3], v6, v9, s[2:3]
	v_mad_u64_u32 v[12:13], s[2:3], v3, s15, v[2:3]
	v_mov_b32_e32 v13, v7
	v_lshlrev_b64 v[6:7], 3, v[12:13]
	global_load_dword v8, v[8:9], off
	v_mov_b32_e32 v9, s11
	v_add_co_u32_e64 v6, s[2:3], s10, v6
	v_addc_co_u32_e64 v7, s[2:3], v9, v7, s[2:3]
	global_load_dwordx2 v[6:7], v[6:7], off
.LBB48_6:
	s_or_b64 exec, exec, s[6:7]
	v_mov_b32_e32 v9, 0x1000
	v_lshl_add_u32 v18, v5, 7, v9
	v_mov_b32_e32 v9, 0x1800
	v_lshl_add_u32 v17, v5, 5, v9
	s_and_b32 s16, 0xffff, s12
	v_cndmask_b32_e64 v11, 0, 1, s[4:5]
	v_lshlrev_b32_e32 v15, 8, v5
	v_add_u32_e32 v5, v17, v3
	ds_write_b8 v5, v11
	v_add_u32_e32 v5, s16, v3
	v_lshl_add_u32 v9, v3, 2, v18
	v_cmp_gt_u32_e64 s[2:3], s13, v5
	s_waitcnt vmcnt(1)
	ds_write_b32 v9, v8
	v_lshl_add_u32 v8, v3, 3, v15
	s_and_b64 s[6:7], vcc, s[2:3]
	s_waitcnt vmcnt(0)
	ds_write_b64 v8, v[6:7]
	s_and_saveexec_b64 s[12:13], s[6:7]
	s_cbranch_execz .LBB48_8
; %bb.7:
	v_mad_u64_u32 v[0:1], s[4:5], v5, s14, v[4:5]
	v_mov_b32_e32 v1, 0
	v_lshlrev_b64 v[6:7], 2, v[0:1]
	v_mov_b32_e32 v0, s9
	v_add_co_u32_e64 v6, s[4:5], s8, v6
	v_addc_co_u32_e64 v7, s[4:5], v0, v7, s[4:5]
	global_load_dword v10, v[6:7], off
	v_mad_u64_u32 v[6:7], s[4:5], v5, s15, v[2:3]
	v_mov_b32_e32 v7, v1
	v_lshlrev_b64 v[0:1], 3, v[6:7]
	v_mov_b32_e32 v6, s11
	v_add_co_u32_e64 v0, s[4:5], s10, v0
	v_addc_co_u32_e64 v1, s[4:5], v6, v1, s[4:5]
	global_load_dwordx2 v[0:1], v[0:1], off
.LBB48_8:
	s_or_b64 exec, exec, s[12:13]
	v_lshl_add_u32 v6, s16, 3, v8
	v_cndmask_b32_e64 v11, 0, 1, s[6:7]
	s_waitcnt vmcnt(0)
	ds_write_b64 v6, v[0:1]
	v_add_u32_e32 v0, v17, v5
	ds_write_b8 v0, v11
	v_lshlrev_b32_e32 v0, 2, v3
	v_lshl_add_u32 v7, s16, 2, v9
	v_add_u32_e32 v11, v9, v0
	ds_write_b32 v7, v10
	s_waitcnt lgkmcnt(0)
	s_barrier
	ds_read_b64 v[0:1], v11
	v_lshlrev_b32_e32 v19, 1, v3
	s_mov_b32 s16, 1
	v_add_u32_e32 v10, v17, v19
	s_waitcnt lgkmcnt(0)
	v_cmp_u_f32_e64 s[4:5], v1, v1
	v_cmp_o_f32_e64 s[6:7], v0, v0
	s_and_b64 s[6:7], s[4:5], s[6:7]
	v_cmp_lt_f32_e64 s[4:5], v0, v1
	s_or_b64 s[4:5], s[6:7], s[4:5]
	s_xor_b64 s[6:7], s[4:5], -1
	s_and_saveexec_b64 s[12:13], s[4:5]
	s_xor_b64 s[12:13], exec, s[12:13]
	s_cbranch_execz .LBB48_10
; %bb.9:
	ds_read_u8 v12, v10
	s_andn2_b64 s[6:7], s[6:7], exec
	s_waitcnt lgkmcnt(0)
	v_and_b32_e32 v12, 1, v12
	v_cmp_eq_u32_e64 s[4:5], 1, v12
	s_xor_b64 s[4:5], s[4:5], -1
	s_and_b64 s[4:5], s[4:5], exec
	s_or_b64 s[6:7], s[6:7], s[4:5]
.LBB48_10:
	s_or_b64 exec, exec, s[12:13]
	v_mov_b32_e32 v14, s16
	s_and_saveexec_b64 s[4:5], s[6:7]
	s_cbranch_execz .LBB48_12
; %bb.11:
	ds_read_u8 v12, v10 offset:1
	s_waitcnt lgkmcnt(0)
	v_xor_b32_e32 v14, 1, v12
.LBB48_12:
	s_or_b64 exec, exec, s[4:5]
	v_and_b32_e32 v13, 1, v3
	v_lshlrev_b32_e32 v12, 3, v3
	v_cmp_eq_u32_e64 s[4:5], v14, v13
	s_and_saveexec_b64 s[6:7], s[4:5]
	s_cbranch_execz .LBB48_14
; %bb.13:
	v_add_u32_e32 v14, v8, v12
	ds_read_b128 v[20:23], v14
	v_mov_b32_e32 v25, v0
	ds_read_u16 v0, v10
	v_mov_b32_e32 v24, v1
	s_mov_b32 s4, 0xc0c0001
	ds_write_b64 v11, v[24:25]
	s_waitcnt lgkmcnt(2)
	v_mov_b32_e32 v24, v20
	v_mov_b32_e32 v25, v21
	s_waitcnt lgkmcnt(1)
	v_perm_b32 v0, 0, v0, s4
	ds_write_b128 v14, v[22:25]
	ds_write_b16 v10, v0
.LBB48_14:
	s_or_b64 exec, exec, s[6:7]
	v_sub_u32_e32 v16, v19, v13
	v_lshl_add_u32 v13, v16, 2, v18
	s_waitcnt lgkmcnt(0)
	s_barrier
	ds_read2_b32 v[0:1], v13 offset1:2
	v_add_u32_e32 v14, v17, v16
                                        ; implicit-def: $sgpr12
	s_waitcnt lgkmcnt(0)
	v_cmp_u_f32_e64 s[4:5], v1, v1
	v_cmp_o_f32_e64 s[6:7], v0, v0
	s_and_b64 s[6:7], s[4:5], s[6:7]
	v_cmp_lt_f32_e64 s[4:5], v0, v1
	s_or_b64 s[6:7], s[6:7], s[4:5]
	s_mov_b64 s[4:5], -1
	s_and_saveexec_b64 s[16:17], s[6:7]
	s_xor_b64 s[6:7], exec, s[16:17]
	s_cbranch_execz .LBB48_16
; %bb.15:
	ds_read_u8 v20, v14
	s_mov_b32 s12, 1
	s_waitcnt lgkmcnt(0)
	v_and_b32_e32 v20, 1, v20
	v_cmp_eq_u32_e64 s[4:5], 1, v20
	s_xor_b64 s[4:5], s[4:5], -1
	s_orn2_b64 s[4:5], s[4:5], exec
.LBB48_16:
	s_or_b64 exec, exec, s[6:7]
	v_mov_b32_e32 v21, s12
	s_and_saveexec_b64 s[6:7], s[4:5]
	s_cbranch_execz .LBB48_18
; %bb.17:
	ds_read_u8 v20, v14 offset:2
	s_waitcnt lgkmcnt(0)
	v_xor_b32_e32 v21, 1, v20
.LBB48_18:
	s_or_b64 exec, exec, s[6:7]
	v_bfe_u32 v20, v3, 1, 1
	v_lshl_add_u32 v16, v16, 3, v15
	v_cmp_eq_u32_e64 s[4:5], v21, v20
	s_and_saveexec_b64 s[6:7], s[4:5]
	s_cbranch_execz .LBB48_20
; %bb.19:
	ds_read2_b64 v[22:25], v16 offset1:2
	ds_read_u8 v21, v14 offset:2
	ds_read_u8 v26, v14
	ds_write2_b32 v13, v1, v0 offset1:2
	s_waitcnt lgkmcnt(3)
	ds_write2_b64 v16, v[24:25], v[22:23] offset1:2
	s_waitcnt lgkmcnt(3)
	ds_write_b8 v14, v21
	s_waitcnt lgkmcnt(3)
	ds_write_b8 v14, v26 offset:2
.LBB48_20:
	s_or_b64 exec, exec, s[6:7]
	s_waitcnt lgkmcnt(0)
	s_barrier
	ds_read_b64 v[0:1], v11
                                        ; implicit-def: $sgpr16
	s_waitcnt lgkmcnt(0)
	v_cmp_u_f32_e64 s[4:5], v1, v1
	v_cmp_o_f32_e64 s[6:7], v0, v0
	s_and_b64 s[6:7], s[4:5], s[6:7]
	v_cmp_lt_f32_e64 s[4:5], v0, v1
	s_or_b64 s[4:5], s[6:7], s[4:5]
	s_xor_b64 s[6:7], s[4:5], -1
	s_and_saveexec_b64 s[12:13], s[4:5]
	s_cbranch_execnz .LBB48_87
; %bb.21:
	s_or_b64 exec, exec, s[12:13]
	v_mov_b32_e32 v21, s16
	s_and_saveexec_b64 s[4:5], s[6:7]
	s_cbranch_execnz .LBB48_88
.LBB48_22:
	s_or_b64 exec, exec, s[4:5]
	v_cmp_eq_u32_e64 s[4:5], v21, v20
	s_and_saveexec_b64 s[6:7], s[4:5]
	s_cbranch_execz .LBB48_24
.LBB48_23:
	v_add_u32_e32 v26, v8, v12
	ds_read_b128 v[20:23], v26
	v_mov_b32_e32 v25, v0
	ds_read_u16 v0, v10
	v_mov_b32_e32 v24, v1
	s_mov_b32 s4, 0xc0c0001
	ds_write_b64 v11, v[24:25]
	s_waitcnt lgkmcnt(2)
	v_mov_b32_e32 v24, v20
	v_mov_b32_e32 v25, v21
	s_waitcnt lgkmcnt(1)
	v_perm_b32 v0, 0, v0, s4
	ds_write_b128 v26, v[22:25]
	ds_write_b16 v10, v0
.LBB48_24:
	s_or_b64 exec, exec, s[6:7]
	v_and_b32_e32 v0, 3, v3
	v_sub_u32_e32 v22, v19, v0
	v_lshl_add_u32 v20, v22, 2, v18
	s_waitcnt lgkmcnt(0)
	s_barrier
	ds_read2_b32 v[0:1], v20 offset1:4
	v_add_u32_e32 v21, v17, v22
                                        ; implicit-def: $sgpr16
	s_waitcnt lgkmcnt(0)
	v_cmp_u_f32_e64 s[4:5], v1, v1
	v_cmp_o_f32_e64 s[6:7], v0, v0
	s_and_b64 s[6:7], s[4:5], s[6:7]
	v_cmp_lt_f32_e64 s[4:5], v0, v1
	s_or_b64 s[4:5], s[6:7], s[4:5]
	s_xor_b64 s[6:7], s[4:5], -1
	s_and_saveexec_b64 s[12:13], s[4:5]
	s_cbranch_execz .LBB48_26
; %bb.25:
	ds_read_u8 v23, v21
	s_andn2_b64 s[6:7], s[6:7], exec
	s_mov_b32 s16, 1
	s_waitcnt lgkmcnt(0)
	v_and_b32_e32 v23, 1, v23
	v_cmp_eq_u32_e64 s[4:5], 1, v23
	s_xor_b64 s[4:5], s[4:5], -1
	s_and_b64 s[4:5], s[4:5], exec
	s_or_b64 s[6:7], s[6:7], s[4:5]
.LBB48_26:
	s_or_b64 exec, exec, s[12:13]
	v_mov_b32_e32 v24, s16
	s_and_saveexec_b64 s[4:5], s[6:7]
	s_cbranch_execz .LBB48_28
; %bb.27:
	ds_read_u8 v23, v21 offset:4
	s_waitcnt lgkmcnt(0)
	v_xor_b32_e32 v24, 1, v23
.LBB48_28:
	s_or_b64 exec, exec, s[4:5]
	v_bfe_u32 v23, v3, 2, 1
	v_lshl_add_u32 v22, v22, 3, v15
	v_cmp_eq_u32_e64 s[4:5], v24, v23
	s_and_saveexec_b64 s[6:7], s[4:5]
	s_cbranch_execz .LBB48_30
; %bb.29:
	ds_read2_b64 v[24:27], v22 offset1:4
	ds_read_u8 v28, v21 offset:4
	ds_read_u8 v29, v21
	ds_write2_b32 v20, v1, v0 offset1:4
	s_waitcnt lgkmcnt(3)
	ds_write2_b64 v22, v[26:27], v[24:25] offset1:4
	s_waitcnt lgkmcnt(3)
	ds_write_b8 v21, v28
	s_waitcnt lgkmcnt(3)
	ds_write_b8 v21, v29 offset:4
.LBB48_30:
	s_or_b64 exec, exec, s[6:7]
	s_waitcnt lgkmcnt(0)
	s_barrier
	ds_read2_b32 v[0:1], v13 offset1:2
                                        ; implicit-def: $sgpr16
	s_waitcnt lgkmcnt(0)
	v_cmp_u_f32_e64 s[4:5], v1, v1
	v_cmp_o_f32_e64 s[6:7], v0, v0
	s_and_b64 s[6:7], s[4:5], s[6:7]
	v_cmp_lt_f32_e64 s[4:5], v0, v1
	s_or_b64 s[4:5], s[6:7], s[4:5]
	s_xor_b64 s[6:7], s[4:5], -1
	s_and_saveexec_b64 s[12:13], s[4:5]
	s_cbranch_execnz .LBB48_89
; %bb.31:
	s_or_b64 exec, exec, s[12:13]
	v_mov_b32_e32 v24, s16
	s_and_saveexec_b64 s[4:5], s[6:7]
	s_cbranch_execnz .LBB48_90
.LBB48_32:
	s_or_b64 exec, exec, s[4:5]
	v_cmp_eq_u32_e64 s[4:5], v24, v23
	s_and_saveexec_b64 s[6:7], s[4:5]
	s_cbranch_execz .LBB48_34
.LBB48_33:
	ds_read2_b64 v[24:27], v16 offset1:2
	ds_read_u8 v28, v14 offset:2
	ds_read_u8 v29, v14
	ds_write2_b32 v13, v1, v0 offset1:2
	s_waitcnt lgkmcnt(3)
	ds_write2_b64 v16, v[26:27], v[24:25] offset1:2
	s_waitcnt lgkmcnt(3)
	ds_write_b8 v14, v28
	s_waitcnt lgkmcnt(3)
	ds_write_b8 v14, v29 offset:2
.LBB48_34:
	s_or_b64 exec, exec, s[6:7]
	s_waitcnt lgkmcnt(0)
	s_barrier
	ds_read_b64 v[0:1], v11
                                        ; implicit-def: $sgpr16
	s_waitcnt lgkmcnt(0)
	v_cmp_u_f32_e64 s[4:5], v1, v1
	v_cmp_o_f32_e64 s[6:7], v0, v0
	s_and_b64 s[6:7], s[4:5], s[6:7]
	v_cmp_lt_f32_e64 s[4:5], v0, v1
	s_or_b64 s[4:5], s[6:7], s[4:5]
	s_xor_b64 s[6:7], s[4:5], -1
	s_and_saveexec_b64 s[12:13], s[4:5]
	s_cbranch_execnz .LBB48_91
; %bb.35:
	s_or_b64 exec, exec, s[12:13]
	v_mov_b32_e32 v24, s16
	s_and_saveexec_b64 s[4:5], s[6:7]
	s_cbranch_execnz .LBB48_92
.LBB48_36:
	s_or_b64 exec, exec, s[4:5]
	v_cmp_eq_u32_e64 s[4:5], v24, v23
	s_and_saveexec_b64 s[6:7], s[4:5]
	s_cbranch_execz .LBB48_38
.LBB48_37:
	v_add_u32_e32 v23, v8, v12
	ds_read_b128 v[24:27], v23
	v_mov_b32_e32 v29, v0
	ds_read_u16 v0, v10
	v_mov_b32_e32 v28, v1
	s_mov_b32 s4, 0xc0c0001
	ds_write_b64 v11, v[28:29]
	s_waitcnt lgkmcnt(2)
	v_mov_b32_e32 v28, v24
	v_mov_b32_e32 v29, v25
	s_waitcnt lgkmcnt(1)
	v_perm_b32 v0, 0, v0, s4
	ds_write_b128 v23, v[26:29]
	ds_write_b16 v10, v0
.LBB48_38:
	s_or_b64 exec, exec, s[6:7]
	v_and_b32_e32 v0, 7, v3
	v_sub_u32_e32 v25, v19, v0
	v_lshl_add_u32 v23, v25, 2, v18
	s_waitcnt lgkmcnt(0)
	s_barrier
	ds_read2_b32 v[0:1], v23 offset1:8
	v_add_u32_e32 v24, v17, v25
                                        ; implicit-def: $sgpr16
	s_waitcnt lgkmcnt(0)
	v_cmp_u_f32_e64 s[4:5], v1, v1
	v_cmp_o_f32_e64 s[6:7], v0, v0
	s_and_b64 s[6:7], s[4:5], s[6:7]
	v_cmp_lt_f32_e64 s[4:5], v0, v1
	s_or_b64 s[4:5], s[6:7], s[4:5]
	s_xor_b64 s[6:7], s[4:5], -1
	s_and_saveexec_b64 s[12:13], s[4:5]
	s_cbranch_execz .LBB48_40
; %bb.39:
	ds_read_u8 v26, v24
	s_andn2_b64 s[6:7], s[6:7], exec
	s_mov_b32 s16, 1
	s_waitcnt lgkmcnt(0)
	v_and_b32_e32 v26, 1, v26
	v_cmp_eq_u32_e64 s[4:5], 1, v26
	s_xor_b64 s[4:5], s[4:5], -1
	s_and_b64 s[4:5], s[4:5], exec
	s_or_b64 s[6:7], s[6:7], s[4:5]
.LBB48_40:
	s_or_b64 exec, exec, s[12:13]
	v_mov_b32_e32 v27, s16
	s_and_saveexec_b64 s[4:5], s[6:7]
	s_cbranch_execz .LBB48_42
; %bb.41:
	ds_read_u8 v26, v24 offset:8
	s_waitcnt lgkmcnt(0)
	v_xor_b32_e32 v27, 1, v26
.LBB48_42:
	s_or_b64 exec, exec, s[4:5]
	v_bfe_u32 v26, v3, 3, 1
	v_lshl_add_u32 v25, v25, 3, v15
	v_cmp_eq_u32_e64 s[4:5], v27, v26
	s_and_saveexec_b64 s[6:7], s[4:5]
	s_cbranch_execz .LBB48_44
; %bb.43:
	ds_read2_b64 v[28:31], v25 offset1:8
	ds_read_u8 v27, v24 offset:8
	ds_read_u8 v32, v24
	ds_write2_b32 v23, v1, v0 offset1:8
	s_waitcnt lgkmcnt(3)
	ds_write2_b64 v25, v[30:31], v[28:29] offset1:8
	s_waitcnt lgkmcnt(3)
	ds_write_b8 v24, v27
	s_waitcnt lgkmcnt(3)
	ds_write_b8 v24, v32 offset:8
.LBB48_44:
	s_or_b64 exec, exec, s[6:7]
	s_waitcnt lgkmcnt(0)
	s_barrier
	ds_read2_b32 v[0:1], v20 offset1:4
                                        ; implicit-def: $sgpr16
	s_waitcnt lgkmcnt(0)
	v_cmp_u_f32_e64 s[4:5], v1, v1
	v_cmp_o_f32_e64 s[6:7], v0, v0
	s_and_b64 s[6:7], s[4:5], s[6:7]
	v_cmp_lt_f32_e64 s[4:5], v0, v1
	s_or_b64 s[4:5], s[6:7], s[4:5]
	s_xor_b64 s[6:7], s[4:5], -1
	s_and_saveexec_b64 s[12:13], s[4:5]
	s_cbranch_execnz .LBB48_93
; %bb.45:
	s_or_b64 exec, exec, s[12:13]
	v_mov_b32_e32 v27, s16
	s_and_saveexec_b64 s[4:5], s[6:7]
	s_cbranch_execnz .LBB48_94
.LBB48_46:
	s_or_b64 exec, exec, s[4:5]
	v_cmp_eq_u32_e64 s[4:5], v27, v26
	s_and_saveexec_b64 s[6:7], s[4:5]
	s_cbranch_execz .LBB48_48
.LBB48_47:
	ds_read2_b64 v[28:31], v22 offset1:4
	ds_read_u8 v27, v21 offset:4
	ds_read_u8 v32, v21
	ds_write2_b32 v20, v1, v0 offset1:4
	s_waitcnt lgkmcnt(3)
	ds_write2_b64 v22, v[30:31], v[28:29] offset1:4
	s_waitcnt lgkmcnt(3)
	ds_write_b8 v21, v27
	s_waitcnt lgkmcnt(3)
	ds_write_b8 v21, v32 offset:4
.LBB48_48:
	s_or_b64 exec, exec, s[6:7]
	s_waitcnt lgkmcnt(0)
	s_barrier
	ds_read2_b32 v[0:1], v13 offset1:2
                                        ; implicit-def: $sgpr16
	s_waitcnt lgkmcnt(0)
	v_cmp_u_f32_e64 s[4:5], v1, v1
	v_cmp_o_f32_e64 s[6:7], v0, v0
	s_and_b64 s[6:7], s[4:5], s[6:7]
	v_cmp_lt_f32_e64 s[4:5], v0, v1
	s_or_b64 s[4:5], s[6:7], s[4:5]
	s_xor_b64 s[6:7], s[4:5], -1
	s_and_saveexec_b64 s[12:13], s[4:5]
	s_cbranch_execnz .LBB48_95
; %bb.49:
	s_or_b64 exec, exec, s[12:13]
	v_mov_b32_e32 v27, s16
	s_and_saveexec_b64 s[4:5], s[6:7]
	s_cbranch_execnz .LBB48_96
.LBB48_50:
	s_or_b64 exec, exec, s[4:5]
	v_cmp_eq_u32_e64 s[4:5], v27, v26
	s_and_saveexec_b64 s[6:7], s[4:5]
	s_cbranch_execz .LBB48_52
.LBB48_51:
	ds_read2_b64 v[28:31], v16 offset1:2
	ds_read_u8 v27, v14 offset:2
	ds_read_u8 v32, v14
	ds_write2_b32 v13, v1, v0 offset1:2
	s_waitcnt lgkmcnt(3)
	ds_write2_b64 v16, v[30:31], v[28:29] offset1:2
	s_waitcnt lgkmcnt(3)
	ds_write_b8 v14, v27
	s_waitcnt lgkmcnt(3)
	ds_write_b8 v14, v32 offset:2
.LBB48_52:
	s_or_b64 exec, exec, s[6:7]
	s_waitcnt lgkmcnt(0)
	s_barrier
	ds_read_b64 v[0:1], v11
                                        ; implicit-def: $sgpr16
	s_waitcnt lgkmcnt(0)
	v_cmp_u_f32_e64 s[4:5], v1, v1
	v_cmp_o_f32_e64 s[6:7], v0, v0
	s_and_b64 s[6:7], s[4:5], s[6:7]
	v_cmp_lt_f32_e64 s[4:5], v0, v1
	s_or_b64 s[4:5], s[6:7], s[4:5]
	s_xor_b64 s[6:7], s[4:5], -1
	s_and_saveexec_b64 s[12:13], s[4:5]
	s_cbranch_execnz .LBB48_97
; %bb.53:
	s_or_b64 exec, exec, s[12:13]
	v_mov_b32_e32 v27, s16
	s_and_saveexec_b64 s[4:5], s[6:7]
	s_cbranch_execnz .LBB48_98
.LBB48_54:
	s_or_b64 exec, exec, s[4:5]
	v_cmp_eq_u32_e64 s[4:5], v27, v26
	s_and_saveexec_b64 s[6:7], s[4:5]
	s_cbranch_execz .LBB48_56
.LBB48_55:
	v_add_u32_e32 v32, v8, v12
	ds_read_b128 v[26:29], v32
	v_mov_b32_e32 v31, v0
	ds_read_u16 v0, v10
	v_mov_b32_e32 v30, v1
	s_mov_b32 s4, 0xc0c0001
	ds_write_b64 v11, v[30:31]
	s_waitcnt lgkmcnt(2)
	v_mov_b32_e32 v30, v26
	v_mov_b32_e32 v31, v27
	s_waitcnt lgkmcnt(1)
	v_perm_b32 v0, 0, v0, s4
	ds_write_b128 v32, v[28:31]
	ds_write_b16 v10, v0
.LBB48_56:
	s_or_b64 exec, exec, s[6:7]
	v_and_b32_e32 v0, 15, v3
	v_sub_u32_e32 v19, v19, v0
	v_lshl_add_u32 v18, v19, 2, v18
	s_waitcnt lgkmcnt(0)
	s_barrier
	ds_read2_b32 v[0:1], v18 offset1:16
	v_add_u32_e32 v17, v17, v19
	s_waitcnt lgkmcnt(0)
	v_cmp_u_f32_e64 s[4:5], v1, v1
	v_cmp_o_f32_e64 s[6:7], v0, v0
	s_and_b64 s[6:7], s[4:5], s[6:7]
	v_cmp_lt_f32_e64 s[4:5], v0, v1
	s_or_b64 s[4:5], s[6:7], s[4:5]
	s_xor_b64 s[12:13], s[4:5], -1
	s_and_saveexec_b64 s[6:7], s[4:5]
	s_cbranch_execz .LBB48_58
; %bb.57:
	ds_read_u8 v26, v17
	s_andn2_b64 s[12:13], s[12:13], exec
	s_waitcnt lgkmcnt(0)
	v_and_b32_e32 v26, 1, v26
	v_cmp_eq_u32_e64 s[4:5], 1, v26
	s_xor_b64 s[4:5], s[4:5], -1
	s_and_b64 s[4:5], s[4:5], exec
	s_or_b64 s[12:13], s[12:13], s[4:5]
.LBB48_58:
	s_or_b64 exec, exec, s[6:7]
	s_and_saveexec_b64 s[6:7], s[12:13]
	s_cbranch_execz .LBB48_61
; %bb.59:
	ds_read_u8 v26, v17 offset:16
	s_waitcnt lgkmcnt(0)
	v_cmp_ne_u16_e64 s[4:5], 0, v26
	s_and_b64 exec, exec, s[4:5]
	s_cbranch_execz .LBB48_61
; %bb.60:
	v_lshl_add_u32 v15, v19, 3, v15
	ds_read2_b64 v[28:31], v15 offset1:16
	ds_read_u8 v19, v17
	ds_write2_b32 v18, v1, v0 offset1:16
	ds_write_b8 v17, v26
	s_waitcnt lgkmcnt(3)
	ds_write2_b64 v15, v[30:31], v[28:29] offset1:16
	s_waitcnt lgkmcnt(3)
	ds_write_b8 v17, v19 offset:16
.LBB48_61:
	s_or_b64 exec, exec, s[6:7]
	s_waitcnt lgkmcnt(0)
	s_barrier
	ds_read2_b32 v[0:1], v23 offset1:8
	s_waitcnt lgkmcnt(0)
	v_cmp_u_f32_e64 s[4:5], v1, v1
	v_cmp_o_f32_e64 s[6:7], v0, v0
	s_and_b64 s[6:7], s[4:5], s[6:7]
	v_cmp_lt_f32_e64 s[4:5], v0, v1
	s_or_b64 s[4:5], s[6:7], s[4:5]
	s_xor_b64 s[12:13], s[4:5], -1
	s_and_saveexec_b64 s[6:7], s[4:5]
	s_cbranch_execz .LBB48_63
; %bb.62:
	ds_read_u8 v15, v24
	s_andn2_b64 s[12:13], s[12:13], exec
	s_waitcnt lgkmcnt(0)
	v_and_b32_e32 v15, 1, v15
	v_cmp_eq_u32_e64 s[4:5], 1, v15
	s_xor_b64 s[4:5], s[4:5], -1
	s_and_b64 s[4:5], s[4:5], exec
	s_or_b64 s[12:13], s[12:13], s[4:5]
.LBB48_63:
	s_or_b64 exec, exec, s[6:7]
	s_and_saveexec_b64 s[6:7], s[12:13]
	s_cbranch_execz .LBB48_66
; %bb.64:
	ds_read_u8 v15, v24 offset:8
	s_waitcnt lgkmcnt(0)
	v_cmp_ne_u16_e64 s[4:5], 0, v15
	s_and_b64 exec, exec, s[4:5]
	s_cbranch_execz .LBB48_66
; %bb.65:
	ds_read2_b64 v[26:29], v25 offset1:8
	ds_read_u8 v17, v24
	ds_write2_b32 v23, v1, v0 offset1:8
	ds_write_b8 v24, v15
	s_waitcnt lgkmcnt(3)
	ds_write2_b64 v25, v[28:29], v[26:27] offset1:8
	s_waitcnt lgkmcnt(3)
	ds_write_b8 v24, v17 offset:8
.LBB48_66:
	s_or_b64 exec, exec, s[6:7]
	s_waitcnt lgkmcnt(0)
	s_barrier
	ds_read2_b32 v[0:1], v20 offset1:4
	s_waitcnt lgkmcnt(0)
	v_cmp_u_f32_e64 s[4:5], v1, v1
	v_cmp_o_f32_e64 s[6:7], v0, v0
	s_and_b64 s[6:7], s[4:5], s[6:7]
	v_cmp_lt_f32_e64 s[4:5], v0, v1
	s_or_b64 s[4:5], s[6:7], s[4:5]
	s_xor_b64 s[12:13], s[4:5], -1
	s_and_saveexec_b64 s[6:7], s[4:5]
	s_cbranch_execz .LBB48_68
; %bb.67:
	ds_read_u8 v15, v21
	s_andn2_b64 s[12:13], s[12:13], exec
	s_waitcnt lgkmcnt(0)
	v_and_b32_e32 v15, 1, v15
	v_cmp_eq_u32_e64 s[4:5], 1, v15
	s_xor_b64 s[4:5], s[4:5], -1
	s_and_b64 s[4:5], s[4:5], exec
	s_or_b64 s[12:13], s[12:13], s[4:5]
.LBB48_68:
	s_or_b64 exec, exec, s[6:7]
	s_and_saveexec_b64 s[6:7], s[12:13]
	s_cbranch_execz .LBB48_71
; %bb.69:
	ds_read_u8 v15, v21 offset:4
	s_waitcnt lgkmcnt(0)
	v_cmp_ne_u16_e64 s[4:5], 0, v15
	s_and_b64 exec, exec, s[4:5]
	s_cbranch_execz .LBB48_71
; %bb.70:
	ds_read2_b64 v[24:27], v22 offset1:4
	ds_read_u8 v17, v21
	ds_write2_b32 v20, v1, v0 offset1:4
	ds_write_b8 v21, v15
	s_waitcnt lgkmcnt(3)
	ds_write2_b64 v22, v[26:27], v[24:25] offset1:4
	s_waitcnt lgkmcnt(3)
	ds_write_b8 v21, v17 offset:4
.LBB48_71:
	;; [unrolled: 42-line block ×3, first 2 shown]
	s_or_b64 exec, exec, s[6:7]
	s_waitcnt lgkmcnt(0)
	s_barrier
	ds_read_b64 v[0:1], v11
	s_waitcnt lgkmcnt(0)
	v_cmp_u_f32_e64 s[4:5], v1, v1
	v_cmp_o_f32_e64 s[6:7], v0, v0
	s_and_b64 s[6:7], s[4:5], s[6:7]
	v_cmp_lt_f32_e64 s[4:5], v0, v1
	s_or_b64 s[4:5], s[6:7], s[4:5]
	s_xor_b64 s[12:13], s[4:5], -1
	s_and_saveexec_b64 s[6:7], s[4:5]
	s_cbranch_execz .LBB48_78
; %bb.77:
	ds_read_u8 v13, v10
	s_andn2_b64 s[12:13], s[12:13], exec
	s_waitcnt lgkmcnt(0)
	v_and_b32_e32 v13, 1, v13
	v_cmp_eq_u32_e64 s[4:5], 1, v13
	s_xor_b64 s[4:5], s[4:5], -1
	s_and_b64 s[4:5], s[4:5], exec
	s_or_b64 s[12:13], s[12:13], s[4:5]
.LBB48_78:
	s_or_b64 exec, exec, s[6:7]
	s_and_saveexec_b64 s[6:7], s[12:13]
	s_cbranch_execz .LBB48_81
; %bb.79:
	ds_read_u8 v13, v10 offset:1
	s_waitcnt lgkmcnt(0)
	v_cmp_ne_u16_e64 s[4:5], 0, v13
	s_and_b64 exec, exec, s[4:5]
	s_cbranch_execz .LBB48_81
; %bb.80:
	v_add_u32_e32 v12, v8, v12
	ds_read_b128 v[14:17], v12
	v_mov_b32_e32 v19, v0
	ds_read_u8 v0, v10
	v_mov_b32_e32 v18, v1
	ds_write_b64 v11, v[18:19]
	s_waitcnt lgkmcnt(2)
	v_mov_b32_e32 v18, v14
	v_mov_b32_e32 v19, v15
	s_waitcnt lgkmcnt(1)
	v_lshlrev_b16_e32 v0, 8, v0
	v_or_b32_e32 v0, v13, v0
	ds_write_b128 v12, v[16:19]
	ds_write_b16 v10, v0
.LBB48_81:
	s_or_b64 exec, exec, s[6:7]
	s_waitcnt lgkmcnt(0)
	s_barrier
	s_and_saveexec_b64 s[4:5], vcc
	s_cbranch_execz .LBB48_86
; %bb.82:
	s_and_saveexec_b64 s[4:5], s[0:1]
	s_cbranch_execz .LBB48_84
; %bb.83:
	ds_read_b32 v12, v9
	v_mad_u64_u32 v[0:1], s[0:1], v3, s14, v[4:5]
	v_mov_b32_e32 v1, 0
	v_lshlrev_b64 v[10:11], 2, v[0:1]
	v_mov_b32_e32 v0, s9
	v_add_co_u32_e32 v10, vcc, s8, v10
	v_addc_co_u32_e32 v11, vcc, v0, v11, vcc
	ds_read_b64 v[8:9], v8
	s_waitcnt lgkmcnt(1)
	global_store_dword v[10:11], v12, off
	v_mad_u64_u32 v[10:11], s[0:1], v3, s15, v[2:3]
	v_mov_b32_e32 v11, v1
	v_lshlrev_b64 v[0:1], 3, v[10:11]
	v_mov_b32_e32 v3, s11
	v_add_co_u32_e32 v0, vcc, s10, v0
	v_addc_co_u32_e32 v1, vcc, v3, v1, vcc
	s_waitcnt lgkmcnt(0)
	global_store_dwordx2 v[0:1], v[8:9], off
.LBB48_84:
	s_or_b64 exec, exec, s[4:5]
	s_and_b64 exec, exec, s[2:3]
	s_cbranch_execz .LBB48_86
; %bb.85:
	ds_read_b32 v3, v7
	v_mad_u64_u32 v[0:1], s[0:1], v5, s14, v[4:5]
	v_mov_b32_e32 v1, 0
	v_lshlrev_b64 v[8:9], 2, v[0:1]
	v_mov_b32_e32 v0, s9
	v_add_co_u32_e32 v8, vcc, s8, v8
	v_addc_co_u32_e32 v9, vcc, v0, v9, vcc
	ds_read_b64 v[6:7], v6
	s_waitcnt lgkmcnt(1)
	global_store_dword v[8:9], v3, off
	v_mad_u64_u32 v[2:3], s[0:1], v5, s15, v[2:3]
	v_mov_b32_e32 v3, v1
	v_lshlrev_b64 v[0:1], 3, v[2:3]
	v_mov_b32_e32 v2, s11
	v_add_co_u32_e32 v0, vcc, s10, v0
	v_addc_co_u32_e32 v1, vcc, v2, v1, vcc
	s_waitcnt lgkmcnt(0)
	global_store_dwordx2 v[0:1], v[6:7], off
.LBB48_86:
	s_endpgm
.LBB48_87:
	ds_read_u8 v21, v10
	s_andn2_b64 s[6:7], s[6:7], exec
	s_mov_b32 s16, 1
	s_waitcnt lgkmcnt(0)
	v_and_b32_e32 v21, 1, v21
	v_cmp_eq_u32_e64 s[4:5], 1, v21
	s_xor_b64 s[4:5], s[4:5], -1
	s_and_b64 s[4:5], s[4:5], exec
	s_or_b64 s[6:7], s[6:7], s[4:5]
	s_or_b64 exec, exec, s[12:13]
	v_mov_b32_e32 v21, s16
	s_and_saveexec_b64 s[4:5], s[6:7]
	s_cbranch_execz .LBB48_22
.LBB48_88:
	ds_read_u8 v21, v10 offset:1
	s_waitcnt lgkmcnt(0)
	v_xor_b32_e32 v21, 1, v21
	s_or_b64 exec, exec, s[4:5]
	v_cmp_eq_u32_e64 s[4:5], v21, v20
	s_and_saveexec_b64 s[6:7], s[4:5]
	s_cbranch_execnz .LBB48_23
	s_branch .LBB48_24
.LBB48_89:
	ds_read_u8 v24, v14
	s_andn2_b64 s[6:7], s[6:7], exec
	s_mov_b32 s16, 1
	s_waitcnt lgkmcnt(0)
	v_and_b32_e32 v24, 1, v24
	v_cmp_eq_u32_e64 s[4:5], 1, v24
	s_xor_b64 s[4:5], s[4:5], -1
	s_and_b64 s[4:5], s[4:5], exec
	s_or_b64 s[6:7], s[6:7], s[4:5]
	s_or_b64 exec, exec, s[12:13]
	v_mov_b32_e32 v24, s16
	s_and_saveexec_b64 s[4:5], s[6:7]
	s_cbranch_execz .LBB48_32
.LBB48_90:
	ds_read_u8 v24, v14 offset:2
	s_waitcnt lgkmcnt(0)
	v_xor_b32_e32 v24, 1, v24
	s_or_b64 exec, exec, s[4:5]
	v_cmp_eq_u32_e64 s[4:5], v24, v23
	s_and_saveexec_b64 s[6:7], s[4:5]
	s_cbranch_execnz .LBB48_33
	s_branch .LBB48_34
.LBB48_91:
	ds_read_u8 v24, v10
	s_andn2_b64 s[6:7], s[6:7], exec
	s_mov_b32 s16, 1
	s_waitcnt lgkmcnt(0)
	v_and_b32_e32 v24, 1, v24
	v_cmp_eq_u32_e64 s[4:5], 1, v24
	s_xor_b64 s[4:5], s[4:5], -1
	s_and_b64 s[4:5], s[4:5], exec
	s_or_b64 s[6:7], s[6:7], s[4:5]
	s_or_b64 exec, exec, s[12:13]
	v_mov_b32_e32 v24, s16
	s_and_saveexec_b64 s[4:5], s[6:7]
	s_cbranch_execz .LBB48_36
.LBB48_92:
	ds_read_u8 v24, v10 offset:1
	s_waitcnt lgkmcnt(0)
	v_xor_b32_e32 v24, 1, v24
	s_or_b64 exec, exec, s[4:5]
	v_cmp_eq_u32_e64 s[4:5], v24, v23
	s_and_saveexec_b64 s[6:7], s[4:5]
	s_cbranch_execnz .LBB48_37
	s_branch .LBB48_38
.LBB48_93:
	ds_read_u8 v27, v21
	s_andn2_b64 s[6:7], s[6:7], exec
	s_mov_b32 s16, 1
	s_waitcnt lgkmcnt(0)
	v_and_b32_e32 v27, 1, v27
	v_cmp_eq_u32_e64 s[4:5], 1, v27
	s_xor_b64 s[4:5], s[4:5], -1
	s_and_b64 s[4:5], s[4:5], exec
	s_or_b64 s[6:7], s[6:7], s[4:5]
	s_or_b64 exec, exec, s[12:13]
	v_mov_b32_e32 v27, s16
	s_and_saveexec_b64 s[4:5], s[6:7]
	s_cbranch_execz .LBB48_46
.LBB48_94:
	ds_read_u8 v27, v21 offset:4
	s_waitcnt lgkmcnt(0)
	v_xor_b32_e32 v27, 1, v27
	s_or_b64 exec, exec, s[4:5]
	v_cmp_eq_u32_e64 s[4:5], v27, v26
	s_and_saveexec_b64 s[6:7], s[4:5]
	s_cbranch_execnz .LBB48_47
	s_branch .LBB48_48
.LBB48_95:
	ds_read_u8 v27, v14
	s_andn2_b64 s[6:7], s[6:7], exec
	s_mov_b32 s16, 1
	s_waitcnt lgkmcnt(0)
	v_and_b32_e32 v27, 1, v27
	v_cmp_eq_u32_e64 s[4:5], 1, v27
	s_xor_b64 s[4:5], s[4:5], -1
	s_and_b64 s[4:5], s[4:5], exec
	s_or_b64 s[6:7], s[6:7], s[4:5]
	s_or_b64 exec, exec, s[12:13]
	v_mov_b32_e32 v27, s16
	s_and_saveexec_b64 s[4:5], s[6:7]
	s_cbranch_execz .LBB48_50
.LBB48_96:
	ds_read_u8 v27, v14 offset:2
	s_waitcnt lgkmcnt(0)
	v_xor_b32_e32 v27, 1, v27
	s_or_b64 exec, exec, s[4:5]
	v_cmp_eq_u32_e64 s[4:5], v27, v26
	s_and_saveexec_b64 s[6:7], s[4:5]
	s_cbranch_execnz .LBB48_51
	s_branch .LBB48_52
.LBB48_97:
	ds_read_u8 v27, v10
	s_andn2_b64 s[6:7], s[6:7], exec
	s_mov_b32 s16, 1
	s_waitcnt lgkmcnt(0)
	v_and_b32_e32 v27, 1, v27
	v_cmp_eq_u32_e64 s[4:5], 1, v27
	s_xor_b64 s[4:5], s[4:5], -1
	s_and_b64 s[4:5], s[4:5], exec
	s_or_b64 s[6:7], s[6:7], s[4:5]
	s_or_b64 exec, exec, s[12:13]
	v_mov_b32_e32 v27, s16
	s_and_saveexec_b64 s[4:5], s[6:7]
	s_cbranch_execz .LBB48_54
.LBB48_98:
	ds_read_u8 v27, v10 offset:1
	s_waitcnt lgkmcnt(0)
	v_xor_b32_e32 v27, 1, v27
	s_or_b64 exec, exec, s[4:5]
	v_cmp_eq_u32_e64 s[4:5], v27, v26
	s_and_saveexec_b64 s[6:7], s[4:5]
	s_cbranch_execnz .LBB48_55
	s_branch .LBB48_56
	.section	.rodata,"a",@progbits
	.p2align	6, 0x0
	.amdhsa_kernel _ZN2at6native20bitonicSortKVInPlaceILin2ELin1ELi16ELi16EflNS0_4LTOpIfLb1EEEjEEvNS_4cuda6detail10TensorInfoIT3_T6_EES8_S8_S8_NS6_IT4_S8_EES8_T5_
		.amdhsa_group_segment_fixed_size 6656
		.amdhsa_private_segment_fixed_size 0
		.amdhsa_kernarg_size 712
		.amdhsa_user_sgpr_count 6
		.amdhsa_user_sgpr_private_segment_buffer 1
		.amdhsa_user_sgpr_dispatch_ptr 0
		.amdhsa_user_sgpr_queue_ptr 0
		.amdhsa_user_sgpr_kernarg_segment_ptr 1
		.amdhsa_user_sgpr_dispatch_id 0
		.amdhsa_user_sgpr_flat_scratch_init 0
		.amdhsa_user_sgpr_kernarg_preload_length 0
		.amdhsa_user_sgpr_kernarg_preload_offset 0
		.amdhsa_user_sgpr_private_segment_size 0
		.amdhsa_uses_dynamic_stack 0
		.amdhsa_system_sgpr_private_segment_wavefront_offset 0
		.amdhsa_system_sgpr_workgroup_id_x 1
		.amdhsa_system_sgpr_workgroup_id_y 1
		.amdhsa_system_sgpr_workgroup_id_z 1
		.amdhsa_system_sgpr_workgroup_info 0
		.amdhsa_system_vgpr_workitem_id 1
		.amdhsa_next_free_vgpr 33
		.amdhsa_next_free_sgpr 18
		.amdhsa_accum_offset 36
		.amdhsa_reserve_vcc 1
		.amdhsa_reserve_flat_scratch 0
		.amdhsa_float_round_mode_32 0
		.amdhsa_float_round_mode_16_64 0
		.amdhsa_float_denorm_mode_32 3
		.amdhsa_float_denorm_mode_16_64 3
		.amdhsa_dx10_clamp 1
		.amdhsa_ieee_mode 1
		.amdhsa_fp16_overflow 0
		.amdhsa_tg_split 0
		.amdhsa_exception_fp_ieee_invalid_op 0
		.amdhsa_exception_fp_denorm_src 0
		.amdhsa_exception_fp_ieee_div_zero 0
		.amdhsa_exception_fp_ieee_overflow 0
		.amdhsa_exception_fp_ieee_underflow 0
		.amdhsa_exception_fp_ieee_inexact 0
		.amdhsa_exception_int_div_zero 0
	.end_amdhsa_kernel
	.section	.text._ZN2at6native20bitonicSortKVInPlaceILin2ELin1ELi16ELi16EflNS0_4LTOpIfLb1EEEjEEvNS_4cuda6detail10TensorInfoIT3_T6_EES8_S8_S8_NS6_IT4_S8_EES8_T5_,"axG",@progbits,_ZN2at6native20bitonicSortKVInPlaceILin2ELin1ELi16ELi16EflNS0_4LTOpIfLb1EEEjEEvNS_4cuda6detail10TensorInfoIT3_T6_EES8_S8_S8_NS6_IT4_S8_EES8_T5_,comdat
.Lfunc_end48:
	.size	_ZN2at6native20bitonicSortKVInPlaceILin2ELin1ELi16ELi16EflNS0_4LTOpIfLb1EEEjEEvNS_4cuda6detail10TensorInfoIT3_T6_EES8_S8_S8_NS6_IT4_S8_EES8_T5_, .Lfunc_end48-_ZN2at6native20bitonicSortKVInPlaceILin2ELin1ELi16ELi16EflNS0_4LTOpIfLb1EEEjEEvNS_4cuda6detail10TensorInfoIT3_T6_EES8_S8_S8_NS6_IT4_S8_EES8_T5_
                                        ; -- End function
	.section	.AMDGPU.csdata,"",@progbits
; Kernel info:
; codeLenInByte = 4900
; NumSgprs: 22
; NumVgprs: 33
; NumAgprs: 0
; TotalNumVgprs: 33
; ScratchSize: 0
; MemoryBound: 0
; FloatMode: 240
; IeeeMode: 1
; LDSByteSize: 6656 bytes/workgroup (compile time only)
; SGPRBlocks: 2
; VGPRBlocks: 4
; NumSGPRsForWavesPerEU: 22
; NumVGPRsForWavesPerEU: 33
; AccumOffset: 36
; Occupancy: 8
; WaveLimiterHint : 1
; COMPUTE_PGM_RSRC2:SCRATCH_EN: 0
; COMPUTE_PGM_RSRC2:USER_SGPR: 6
; COMPUTE_PGM_RSRC2:TRAP_HANDLER: 0
; COMPUTE_PGM_RSRC2:TGID_X_EN: 1
; COMPUTE_PGM_RSRC2:TGID_Y_EN: 1
; COMPUTE_PGM_RSRC2:TGID_Z_EN: 1
; COMPUTE_PGM_RSRC2:TIDIG_COMP_CNT: 1
; COMPUTE_PGM_RSRC3_GFX90A:ACCUM_OFFSET: 8
; COMPUTE_PGM_RSRC3_GFX90A:TG_SPLIT: 0
	.section	.text._ZN2at6native20bitonicSortKVInPlaceILin2ELin1ELi16ELi16EflNS0_4GTOpIfLb1EEEjEEvNS_4cuda6detail10TensorInfoIT3_T6_EES8_S8_S8_NS6_IT4_S8_EES8_T5_,"axG",@progbits,_ZN2at6native20bitonicSortKVInPlaceILin2ELin1ELi16ELi16EflNS0_4GTOpIfLb1EEEjEEvNS_4cuda6detail10TensorInfoIT3_T6_EES8_S8_S8_NS6_IT4_S8_EES8_T5_,comdat
	.protected	_ZN2at6native20bitonicSortKVInPlaceILin2ELin1ELi16ELi16EflNS0_4GTOpIfLb1EEEjEEvNS_4cuda6detail10TensorInfoIT3_T6_EES8_S8_S8_NS6_IT4_S8_EES8_T5_ ; -- Begin function _ZN2at6native20bitonicSortKVInPlaceILin2ELin1ELi16ELi16EflNS0_4GTOpIfLb1EEEjEEvNS_4cuda6detail10TensorInfoIT3_T6_EES8_S8_S8_NS6_IT4_S8_EES8_T5_
	.globl	_ZN2at6native20bitonicSortKVInPlaceILin2ELin1ELi16ELi16EflNS0_4GTOpIfLb1EEEjEEvNS_4cuda6detail10TensorInfoIT3_T6_EES8_S8_S8_NS6_IT4_S8_EES8_T5_
	.p2align	8
	.type	_ZN2at6native20bitonicSortKVInPlaceILin2ELin1ELi16ELi16EflNS0_4GTOpIfLb1EEEjEEvNS_4cuda6detail10TensorInfoIT3_T6_EES8_S8_S8_NS6_IT4_S8_EES8_T5_,@function
_ZN2at6native20bitonicSortKVInPlaceILin2ELin1ELi16ELi16EflNS0_4GTOpIfLb1EEEjEEvNS_4cuda6detail10TensorInfoIT3_T6_EES8_S8_S8_NS6_IT4_S8_EES8_T5_: ; @_ZN2at6native20bitonicSortKVInPlaceILin2ELin1ELi16ELi16EflNS0_4GTOpIfLb1EEEjEEvNS_4cuda6detail10TensorInfoIT3_T6_EES8_S8_S8_NS6_IT4_S8_EES8_T5_
; %bb.0:
	s_load_dwordx2 s[2:3], s[4:5], 0x1c8
	s_load_dwordx4 s[12:15], s[4:5], 0xd8
	s_load_dword s9, s[4:5], 0x1d4
	s_add_u32 s0, s4, 0x1c8
	s_addc_u32 s1, s5, 0
	s_waitcnt lgkmcnt(0)
	s_mul_i32 s3, s3, s8
	s_add_i32 s3, s3, s7
	s_mul_i32 s2, s3, s2
	s_add_i32 s6, s2, s6
	s_lshr_b32 s2, s9, 16
	s_mul_i32 s6, s6, s2
	s_cmp_ge_u32 s6, s12
	s_cbranch_scc1 .LBB49_86
; %bb.1:
	s_load_dwordx2 s[8:9], s[4:5], 0x0
	s_load_dword s7, s[4:5], 0x1b8
	s_add_u32 s2, s4, 0xe8
	v_bfe_u32 v5, v0, 10, 10
	s_addc_u32 s3, s5, 0
	v_add_u32_e32 v1, s6, v5
	s_waitcnt lgkmcnt(0)
	s_cmp_lt_i32 s7, 2
	v_mov_b32_e32 v2, 0
	v_mov_b32_e32 v6, v1
	s_cbranch_scc1 .LBB49_4
; %bb.2:
	s_add_i32 s10, s7, 1
	s_add_i32 s6, s7, -1
	s_mov_b32 s7, 0
	s_lshl_b64 s[6:7], s[6:7], 2
	s_add_u32 s6, s6, s2
	s_addc_u32 s7, s7, s3
	s_add_u32 s6, s6, 8
	s_addc_u32 s7, s7, 0
	v_mov_b32_e32 v2, 0
	v_mov_b32_e32 v6, v1
.LBB49_3:                               ; =>This Inner Loop Header: Depth=1
	s_load_dword s11, s[6:7], 0x0
	s_load_dword s15, s[6:7], 0x64
	v_mov_b32_e32 v3, v6
	s_add_i32 s10, s10, -1
	s_waitcnt lgkmcnt(0)
	v_cvt_f32_u32_e32 v4, s11
	s_sub_i32 s16, 0, s11
	s_add_u32 s6, s6, -4
	s_addc_u32 s7, s7, -1
	v_rcp_iflag_f32_e32 v4, v4
	s_cmp_gt_u32 s10, 2
	v_mul_f32_e32 v4, 0x4f7ffffe, v4
	v_cvt_u32_f32_e32 v4, v4
	v_mul_lo_u32 v6, s16, v4
	v_mul_hi_u32 v6, v4, v6
	v_add_u32_e32 v4, v4, v6
	v_mul_hi_u32 v4, v3, v4
	v_mul_lo_u32 v6, v4, s11
	v_sub_u32_e32 v6, v3, v6
	v_add_u32_e32 v7, 1, v4
	v_cmp_le_u32_e32 vcc, s11, v6
	v_cndmask_b32_e32 v4, v4, v7, vcc
	v_subrev_u32_e32 v7, s11, v6
	v_cndmask_b32_e32 v6, v6, v7, vcc
	v_add_u32_e32 v7, 1, v4
	v_cmp_le_u32_e32 vcc, s11, v6
	v_cndmask_b32_e32 v6, v4, v7, vcc
	v_mul_lo_u32 v4, v6, s11
	v_sub_u32_e32 v3, v3, v4
	v_mad_u64_u32 v[2:3], s[16:17], s15, v3, v[2:3]
	s_cbranch_scc1 .LBB49_3
.LBB49_4:
	s_load_dword s6, s[4:5], 0x6c
	s_load_dword s15, s[4:5], 0x1c0
	s_load_dword s7, s[2:3], 0x6c
	v_cmp_gt_u32_e32 vcc, s12, v1
	s_load_dwordx2 s[10:11], s[2:3], 0x0
	s_load_dword s12, s[0:1], 0xc
	s_waitcnt lgkmcnt(0)
	v_mul_lo_u32 v4, s6, v1
	v_mad_u64_u32 v[2:3], s[2:3], s7, v6, v[2:3]
	v_and_b32_e32 v3, 0x3ff, v0
	v_cmp_gt_u32_e64 s[0:1], s13, v3
	v_pk_mov_b32 v[0:1], 0, 0
	s_and_b64 s[4:5], vcc, s[0:1]
	v_mov_b32_e32 v10, 0
	v_mov_b32_e32 v8, 0
	v_pk_mov_b32 v[6:7], v[0:1], v[0:1] op_sel:[0,1]
	s_and_saveexec_b64 s[6:7], s[4:5]
	s_cbranch_execz .LBB49_6
; %bb.5:
	v_mad_u64_u32 v[6:7], s[2:3], v3, s14, v[4:5]
	v_mov_b32_e32 v7, 0
	v_lshlrev_b64 v[8:9], 2, v[6:7]
	v_mov_b32_e32 v6, s9
	v_add_co_u32_e64 v8, s[2:3], s8, v8
	v_addc_co_u32_e64 v9, s[2:3], v6, v9, s[2:3]
	v_mad_u64_u32 v[12:13], s[2:3], v3, s15, v[2:3]
	v_mov_b32_e32 v13, v7
	v_lshlrev_b64 v[6:7], 3, v[12:13]
	global_load_dword v8, v[8:9], off
	v_mov_b32_e32 v9, s11
	v_add_co_u32_e64 v6, s[2:3], s10, v6
	v_addc_co_u32_e64 v7, s[2:3], v9, v7, s[2:3]
	global_load_dwordx2 v[6:7], v[6:7], off
.LBB49_6:
	s_or_b64 exec, exec, s[6:7]
	v_mov_b32_e32 v9, 0x1000
	v_lshl_add_u32 v18, v5, 7, v9
	v_mov_b32_e32 v9, 0x1800
	v_lshl_add_u32 v17, v5, 5, v9
	s_and_b32 s16, 0xffff, s12
	v_cndmask_b32_e64 v11, 0, 1, s[4:5]
	v_lshlrev_b32_e32 v15, 8, v5
	v_add_u32_e32 v5, v17, v3
	ds_write_b8 v5, v11
	v_add_u32_e32 v5, s16, v3
	v_lshl_add_u32 v9, v3, 2, v18
	v_cmp_gt_u32_e64 s[2:3], s13, v5
	s_waitcnt vmcnt(1)
	ds_write_b32 v9, v8
	v_lshl_add_u32 v8, v3, 3, v15
	s_and_b64 s[6:7], vcc, s[2:3]
	s_waitcnt vmcnt(0)
	ds_write_b64 v8, v[6:7]
	s_and_saveexec_b64 s[12:13], s[6:7]
	s_cbranch_execz .LBB49_8
; %bb.7:
	v_mad_u64_u32 v[0:1], s[4:5], v5, s14, v[4:5]
	v_mov_b32_e32 v1, 0
	v_lshlrev_b64 v[6:7], 2, v[0:1]
	v_mov_b32_e32 v0, s9
	v_add_co_u32_e64 v6, s[4:5], s8, v6
	v_addc_co_u32_e64 v7, s[4:5], v0, v7, s[4:5]
	global_load_dword v10, v[6:7], off
	v_mad_u64_u32 v[6:7], s[4:5], v5, s15, v[2:3]
	v_mov_b32_e32 v7, v1
	v_lshlrev_b64 v[0:1], 3, v[6:7]
	v_mov_b32_e32 v6, s11
	v_add_co_u32_e64 v0, s[4:5], s10, v0
	v_addc_co_u32_e64 v1, s[4:5], v6, v1, s[4:5]
	global_load_dwordx2 v[0:1], v[0:1], off
.LBB49_8:
	s_or_b64 exec, exec, s[12:13]
	v_lshl_add_u32 v6, s16, 3, v8
	v_cndmask_b32_e64 v11, 0, 1, s[6:7]
	s_waitcnt vmcnt(0)
	ds_write_b64 v6, v[0:1]
	v_add_u32_e32 v0, v17, v5
	ds_write_b8 v0, v11
	v_lshlrev_b32_e32 v0, 2, v3
	v_lshl_add_u32 v7, s16, 2, v9
	v_add_u32_e32 v11, v9, v0
	ds_write_b32 v7, v10
	s_waitcnt lgkmcnt(0)
	s_barrier
	ds_read_b64 v[0:1], v11
	v_lshlrev_b32_e32 v19, 1, v3
	s_mov_b32 s16, 1
	v_add_u32_e32 v10, v17, v19
	s_waitcnt lgkmcnt(0)
	v_cmp_u_f32_e64 s[4:5], v0, v0
	v_cmp_o_f32_e64 s[6:7], v1, v1
	s_and_b64 s[6:7], s[4:5], s[6:7]
	v_cmp_gt_f32_e64 s[4:5], v0, v1
	s_or_b64 s[4:5], s[6:7], s[4:5]
	s_xor_b64 s[6:7], s[4:5], -1
	s_and_saveexec_b64 s[12:13], s[4:5]
	s_xor_b64 s[12:13], exec, s[12:13]
	s_cbranch_execz .LBB49_10
; %bb.9:
	ds_read_u8 v12, v10
	s_andn2_b64 s[6:7], s[6:7], exec
	s_waitcnt lgkmcnt(0)
	v_and_b32_e32 v12, 1, v12
	v_cmp_eq_u32_e64 s[4:5], 1, v12
	s_xor_b64 s[4:5], s[4:5], -1
	s_and_b64 s[4:5], s[4:5], exec
	s_or_b64 s[6:7], s[6:7], s[4:5]
.LBB49_10:
	s_or_b64 exec, exec, s[12:13]
	v_mov_b32_e32 v14, s16
	s_and_saveexec_b64 s[4:5], s[6:7]
	s_cbranch_execz .LBB49_12
; %bb.11:
	ds_read_u8 v12, v10 offset:1
	s_waitcnt lgkmcnt(0)
	v_xor_b32_e32 v14, 1, v12
.LBB49_12:
	s_or_b64 exec, exec, s[4:5]
	v_and_b32_e32 v13, 1, v3
	v_lshlrev_b32_e32 v12, 3, v3
	v_cmp_eq_u32_e64 s[4:5], v14, v13
	s_and_saveexec_b64 s[6:7], s[4:5]
	s_cbranch_execz .LBB49_14
; %bb.13:
	v_add_u32_e32 v14, v8, v12
	ds_read_b128 v[20:23], v14
	v_mov_b32_e32 v25, v0
	ds_read_u16 v0, v10
	v_mov_b32_e32 v24, v1
	s_mov_b32 s4, 0xc0c0001
	ds_write_b64 v11, v[24:25]
	s_waitcnt lgkmcnt(2)
	v_mov_b32_e32 v24, v20
	v_mov_b32_e32 v25, v21
	s_waitcnt lgkmcnt(1)
	v_perm_b32 v0, 0, v0, s4
	ds_write_b128 v14, v[22:25]
	ds_write_b16 v10, v0
.LBB49_14:
	s_or_b64 exec, exec, s[6:7]
	v_sub_u32_e32 v16, v19, v13
	v_lshl_add_u32 v13, v16, 2, v18
	s_waitcnt lgkmcnt(0)
	s_barrier
	ds_read2_b32 v[0:1], v13 offset1:2
	v_add_u32_e32 v14, v17, v16
                                        ; implicit-def: $sgpr12
	s_waitcnt lgkmcnt(0)
	v_cmp_u_f32_e64 s[4:5], v0, v0
	v_cmp_o_f32_e64 s[6:7], v1, v1
	s_and_b64 s[6:7], s[4:5], s[6:7]
	v_cmp_gt_f32_e64 s[4:5], v0, v1
	s_or_b64 s[6:7], s[6:7], s[4:5]
	s_mov_b64 s[4:5], -1
	s_and_saveexec_b64 s[16:17], s[6:7]
	s_xor_b64 s[6:7], exec, s[16:17]
	s_cbranch_execz .LBB49_16
; %bb.15:
	ds_read_u8 v20, v14
	s_mov_b32 s12, 1
	s_waitcnt lgkmcnt(0)
	v_and_b32_e32 v20, 1, v20
	v_cmp_eq_u32_e64 s[4:5], 1, v20
	s_xor_b64 s[4:5], s[4:5], -1
	s_orn2_b64 s[4:5], s[4:5], exec
.LBB49_16:
	s_or_b64 exec, exec, s[6:7]
	v_mov_b32_e32 v21, s12
	s_and_saveexec_b64 s[6:7], s[4:5]
	s_cbranch_execz .LBB49_18
; %bb.17:
	ds_read_u8 v20, v14 offset:2
	s_waitcnt lgkmcnt(0)
	v_xor_b32_e32 v21, 1, v20
.LBB49_18:
	s_or_b64 exec, exec, s[6:7]
	v_bfe_u32 v20, v3, 1, 1
	v_lshl_add_u32 v16, v16, 3, v15
	v_cmp_eq_u32_e64 s[4:5], v21, v20
	s_and_saveexec_b64 s[6:7], s[4:5]
	s_cbranch_execz .LBB49_20
; %bb.19:
	ds_read2_b64 v[22:25], v16 offset1:2
	ds_read_u8 v21, v14 offset:2
	ds_read_u8 v26, v14
	ds_write2_b32 v13, v1, v0 offset1:2
	s_waitcnt lgkmcnt(3)
	ds_write2_b64 v16, v[24:25], v[22:23] offset1:2
	s_waitcnt lgkmcnt(3)
	ds_write_b8 v14, v21
	s_waitcnt lgkmcnt(3)
	ds_write_b8 v14, v26 offset:2
.LBB49_20:
	s_or_b64 exec, exec, s[6:7]
	s_waitcnt lgkmcnt(0)
	s_barrier
	ds_read_b64 v[0:1], v11
                                        ; implicit-def: $sgpr16
	s_waitcnt lgkmcnt(0)
	v_cmp_u_f32_e64 s[4:5], v0, v0
	v_cmp_o_f32_e64 s[6:7], v1, v1
	s_and_b64 s[6:7], s[4:5], s[6:7]
	v_cmp_gt_f32_e64 s[4:5], v0, v1
	s_or_b64 s[4:5], s[6:7], s[4:5]
	s_xor_b64 s[6:7], s[4:5], -1
	s_and_saveexec_b64 s[12:13], s[4:5]
	s_cbranch_execnz .LBB49_87
; %bb.21:
	s_or_b64 exec, exec, s[12:13]
	v_mov_b32_e32 v21, s16
	s_and_saveexec_b64 s[4:5], s[6:7]
	s_cbranch_execnz .LBB49_88
.LBB49_22:
	s_or_b64 exec, exec, s[4:5]
	v_cmp_eq_u32_e64 s[4:5], v21, v20
	s_and_saveexec_b64 s[6:7], s[4:5]
	s_cbranch_execz .LBB49_24
.LBB49_23:
	v_add_u32_e32 v26, v8, v12
	ds_read_b128 v[20:23], v26
	v_mov_b32_e32 v25, v0
	ds_read_u16 v0, v10
	v_mov_b32_e32 v24, v1
	s_mov_b32 s4, 0xc0c0001
	ds_write_b64 v11, v[24:25]
	s_waitcnt lgkmcnt(2)
	v_mov_b32_e32 v24, v20
	v_mov_b32_e32 v25, v21
	s_waitcnt lgkmcnt(1)
	v_perm_b32 v0, 0, v0, s4
	ds_write_b128 v26, v[22:25]
	ds_write_b16 v10, v0
.LBB49_24:
	s_or_b64 exec, exec, s[6:7]
	v_and_b32_e32 v0, 3, v3
	v_sub_u32_e32 v22, v19, v0
	v_lshl_add_u32 v20, v22, 2, v18
	s_waitcnt lgkmcnt(0)
	s_barrier
	ds_read2_b32 v[0:1], v20 offset1:4
	v_add_u32_e32 v21, v17, v22
                                        ; implicit-def: $sgpr16
	s_waitcnt lgkmcnt(0)
	v_cmp_u_f32_e64 s[4:5], v0, v0
	v_cmp_o_f32_e64 s[6:7], v1, v1
	s_and_b64 s[6:7], s[4:5], s[6:7]
	v_cmp_gt_f32_e64 s[4:5], v0, v1
	s_or_b64 s[4:5], s[6:7], s[4:5]
	s_xor_b64 s[6:7], s[4:5], -1
	s_and_saveexec_b64 s[12:13], s[4:5]
	s_cbranch_execz .LBB49_26
; %bb.25:
	ds_read_u8 v23, v21
	s_andn2_b64 s[6:7], s[6:7], exec
	s_mov_b32 s16, 1
	s_waitcnt lgkmcnt(0)
	v_and_b32_e32 v23, 1, v23
	v_cmp_eq_u32_e64 s[4:5], 1, v23
	s_xor_b64 s[4:5], s[4:5], -1
	s_and_b64 s[4:5], s[4:5], exec
	s_or_b64 s[6:7], s[6:7], s[4:5]
.LBB49_26:
	s_or_b64 exec, exec, s[12:13]
	v_mov_b32_e32 v24, s16
	s_and_saveexec_b64 s[4:5], s[6:7]
	s_cbranch_execz .LBB49_28
; %bb.27:
	ds_read_u8 v23, v21 offset:4
	s_waitcnt lgkmcnt(0)
	v_xor_b32_e32 v24, 1, v23
.LBB49_28:
	s_or_b64 exec, exec, s[4:5]
	v_bfe_u32 v23, v3, 2, 1
	v_lshl_add_u32 v22, v22, 3, v15
	v_cmp_eq_u32_e64 s[4:5], v24, v23
	s_and_saveexec_b64 s[6:7], s[4:5]
	s_cbranch_execz .LBB49_30
; %bb.29:
	ds_read2_b64 v[24:27], v22 offset1:4
	ds_read_u8 v28, v21 offset:4
	ds_read_u8 v29, v21
	ds_write2_b32 v20, v1, v0 offset1:4
	s_waitcnt lgkmcnt(3)
	ds_write2_b64 v22, v[26:27], v[24:25] offset1:4
	s_waitcnt lgkmcnt(3)
	ds_write_b8 v21, v28
	s_waitcnt lgkmcnt(3)
	ds_write_b8 v21, v29 offset:4
.LBB49_30:
	s_or_b64 exec, exec, s[6:7]
	s_waitcnt lgkmcnt(0)
	s_barrier
	ds_read2_b32 v[0:1], v13 offset1:2
                                        ; implicit-def: $sgpr16
	s_waitcnt lgkmcnt(0)
	v_cmp_u_f32_e64 s[4:5], v0, v0
	v_cmp_o_f32_e64 s[6:7], v1, v1
	s_and_b64 s[6:7], s[4:5], s[6:7]
	v_cmp_gt_f32_e64 s[4:5], v0, v1
	s_or_b64 s[4:5], s[6:7], s[4:5]
	s_xor_b64 s[6:7], s[4:5], -1
	s_and_saveexec_b64 s[12:13], s[4:5]
	s_cbranch_execnz .LBB49_89
; %bb.31:
	s_or_b64 exec, exec, s[12:13]
	v_mov_b32_e32 v24, s16
	s_and_saveexec_b64 s[4:5], s[6:7]
	s_cbranch_execnz .LBB49_90
.LBB49_32:
	s_or_b64 exec, exec, s[4:5]
	v_cmp_eq_u32_e64 s[4:5], v24, v23
	s_and_saveexec_b64 s[6:7], s[4:5]
	s_cbranch_execz .LBB49_34
.LBB49_33:
	ds_read2_b64 v[24:27], v16 offset1:2
	ds_read_u8 v28, v14 offset:2
	ds_read_u8 v29, v14
	ds_write2_b32 v13, v1, v0 offset1:2
	s_waitcnt lgkmcnt(3)
	ds_write2_b64 v16, v[26:27], v[24:25] offset1:2
	s_waitcnt lgkmcnt(3)
	ds_write_b8 v14, v28
	s_waitcnt lgkmcnt(3)
	ds_write_b8 v14, v29 offset:2
.LBB49_34:
	s_or_b64 exec, exec, s[6:7]
	s_waitcnt lgkmcnt(0)
	s_barrier
	ds_read_b64 v[0:1], v11
                                        ; implicit-def: $sgpr16
	s_waitcnt lgkmcnt(0)
	v_cmp_u_f32_e64 s[4:5], v0, v0
	v_cmp_o_f32_e64 s[6:7], v1, v1
	s_and_b64 s[6:7], s[4:5], s[6:7]
	v_cmp_gt_f32_e64 s[4:5], v0, v1
	s_or_b64 s[4:5], s[6:7], s[4:5]
	s_xor_b64 s[6:7], s[4:5], -1
	s_and_saveexec_b64 s[12:13], s[4:5]
	s_cbranch_execnz .LBB49_91
; %bb.35:
	s_or_b64 exec, exec, s[12:13]
	v_mov_b32_e32 v24, s16
	s_and_saveexec_b64 s[4:5], s[6:7]
	s_cbranch_execnz .LBB49_92
.LBB49_36:
	s_or_b64 exec, exec, s[4:5]
	v_cmp_eq_u32_e64 s[4:5], v24, v23
	s_and_saveexec_b64 s[6:7], s[4:5]
	s_cbranch_execz .LBB49_38
.LBB49_37:
	v_add_u32_e32 v23, v8, v12
	ds_read_b128 v[24:27], v23
	v_mov_b32_e32 v29, v0
	ds_read_u16 v0, v10
	v_mov_b32_e32 v28, v1
	s_mov_b32 s4, 0xc0c0001
	ds_write_b64 v11, v[28:29]
	s_waitcnt lgkmcnt(2)
	v_mov_b32_e32 v28, v24
	v_mov_b32_e32 v29, v25
	s_waitcnt lgkmcnt(1)
	v_perm_b32 v0, 0, v0, s4
	ds_write_b128 v23, v[26:29]
	ds_write_b16 v10, v0
.LBB49_38:
	s_or_b64 exec, exec, s[6:7]
	v_and_b32_e32 v0, 7, v3
	v_sub_u32_e32 v25, v19, v0
	v_lshl_add_u32 v23, v25, 2, v18
	s_waitcnt lgkmcnt(0)
	s_barrier
	ds_read2_b32 v[0:1], v23 offset1:8
	v_add_u32_e32 v24, v17, v25
                                        ; implicit-def: $sgpr16
	s_waitcnt lgkmcnt(0)
	v_cmp_u_f32_e64 s[4:5], v0, v0
	v_cmp_o_f32_e64 s[6:7], v1, v1
	s_and_b64 s[6:7], s[4:5], s[6:7]
	v_cmp_gt_f32_e64 s[4:5], v0, v1
	s_or_b64 s[4:5], s[6:7], s[4:5]
	s_xor_b64 s[6:7], s[4:5], -1
	s_and_saveexec_b64 s[12:13], s[4:5]
	s_cbranch_execz .LBB49_40
; %bb.39:
	ds_read_u8 v26, v24
	s_andn2_b64 s[6:7], s[6:7], exec
	s_mov_b32 s16, 1
	s_waitcnt lgkmcnt(0)
	v_and_b32_e32 v26, 1, v26
	v_cmp_eq_u32_e64 s[4:5], 1, v26
	s_xor_b64 s[4:5], s[4:5], -1
	s_and_b64 s[4:5], s[4:5], exec
	s_or_b64 s[6:7], s[6:7], s[4:5]
.LBB49_40:
	s_or_b64 exec, exec, s[12:13]
	v_mov_b32_e32 v27, s16
	s_and_saveexec_b64 s[4:5], s[6:7]
	s_cbranch_execz .LBB49_42
; %bb.41:
	ds_read_u8 v26, v24 offset:8
	s_waitcnt lgkmcnt(0)
	v_xor_b32_e32 v27, 1, v26
.LBB49_42:
	s_or_b64 exec, exec, s[4:5]
	v_bfe_u32 v26, v3, 3, 1
	v_lshl_add_u32 v25, v25, 3, v15
	v_cmp_eq_u32_e64 s[4:5], v27, v26
	s_and_saveexec_b64 s[6:7], s[4:5]
	s_cbranch_execz .LBB49_44
; %bb.43:
	ds_read2_b64 v[28:31], v25 offset1:8
	ds_read_u8 v27, v24 offset:8
	ds_read_u8 v32, v24
	ds_write2_b32 v23, v1, v0 offset1:8
	s_waitcnt lgkmcnt(3)
	ds_write2_b64 v25, v[30:31], v[28:29] offset1:8
	s_waitcnt lgkmcnt(3)
	ds_write_b8 v24, v27
	s_waitcnt lgkmcnt(3)
	ds_write_b8 v24, v32 offset:8
.LBB49_44:
	s_or_b64 exec, exec, s[6:7]
	s_waitcnt lgkmcnt(0)
	s_barrier
	ds_read2_b32 v[0:1], v20 offset1:4
                                        ; implicit-def: $sgpr16
	s_waitcnt lgkmcnt(0)
	v_cmp_u_f32_e64 s[4:5], v0, v0
	v_cmp_o_f32_e64 s[6:7], v1, v1
	s_and_b64 s[6:7], s[4:5], s[6:7]
	v_cmp_gt_f32_e64 s[4:5], v0, v1
	s_or_b64 s[4:5], s[6:7], s[4:5]
	s_xor_b64 s[6:7], s[4:5], -1
	s_and_saveexec_b64 s[12:13], s[4:5]
	s_cbranch_execnz .LBB49_93
; %bb.45:
	s_or_b64 exec, exec, s[12:13]
	v_mov_b32_e32 v27, s16
	s_and_saveexec_b64 s[4:5], s[6:7]
	s_cbranch_execnz .LBB49_94
.LBB49_46:
	s_or_b64 exec, exec, s[4:5]
	v_cmp_eq_u32_e64 s[4:5], v27, v26
	s_and_saveexec_b64 s[6:7], s[4:5]
	s_cbranch_execz .LBB49_48
.LBB49_47:
	ds_read2_b64 v[28:31], v22 offset1:4
	ds_read_u8 v27, v21 offset:4
	ds_read_u8 v32, v21
	ds_write2_b32 v20, v1, v0 offset1:4
	s_waitcnt lgkmcnt(3)
	ds_write2_b64 v22, v[30:31], v[28:29] offset1:4
	s_waitcnt lgkmcnt(3)
	ds_write_b8 v21, v27
	s_waitcnt lgkmcnt(3)
	ds_write_b8 v21, v32 offset:4
.LBB49_48:
	s_or_b64 exec, exec, s[6:7]
	s_waitcnt lgkmcnt(0)
	s_barrier
	ds_read2_b32 v[0:1], v13 offset1:2
                                        ; implicit-def: $sgpr16
	s_waitcnt lgkmcnt(0)
	v_cmp_u_f32_e64 s[4:5], v0, v0
	v_cmp_o_f32_e64 s[6:7], v1, v1
	s_and_b64 s[6:7], s[4:5], s[6:7]
	v_cmp_gt_f32_e64 s[4:5], v0, v1
	s_or_b64 s[4:5], s[6:7], s[4:5]
	s_xor_b64 s[6:7], s[4:5], -1
	s_and_saveexec_b64 s[12:13], s[4:5]
	s_cbranch_execnz .LBB49_95
; %bb.49:
	s_or_b64 exec, exec, s[12:13]
	v_mov_b32_e32 v27, s16
	s_and_saveexec_b64 s[4:5], s[6:7]
	s_cbranch_execnz .LBB49_96
.LBB49_50:
	s_or_b64 exec, exec, s[4:5]
	v_cmp_eq_u32_e64 s[4:5], v27, v26
	s_and_saveexec_b64 s[6:7], s[4:5]
	s_cbranch_execz .LBB49_52
.LBB49_51:
	ds_read2_b64 v[28:31], v16 offset1:2
	ds_read_u8 v27, v14 offset:2
	ds_read_u8 v32, v14
	ds_write2_b32 v13, v1, v0 offset1:2
	s_waitcnt lgkmcnt(3)
	ds_write2_b64 v16, v[30:31], v[28:29] offset1:2
	s_waitcnt lgkmcnt(3)
	ds_write_b8 v14, v27
	s_waitcnt lgkmcnt(3)
	ds_write_b8 v14, v32 offset:2
.LBB49_52:
	s_or_b64 exec, exec, s[6:7]
	s_waitcnt lgkmcnt(0)
	s_barrier
	ds_read_b64 v[0:1], v11
                                        ; implicit-def: $sgpr16
	s_waitcnt lgkmcnt(0)
	v_cmp_u_f32_e64 s[4:5], v0, v0
	v_cmp_o_f32_e64 s[6:7], v1, v1
	s_and_b64 s[6:7], s[4:5], s[6:7]
	v_cmp_gt_f32_e64 s[4:5], v0, v1
	s_or_b64 s[4:5], s[6:7], s[4:5]
	s_xor_b64 s[6:7], s[4:5], -1
	s_and_saveexec_b64 s[12:13], s[4:5]
	s_cbranch_execnz .LBB49_97
; %bb.53:
	s_or_b64 exec, exec, s[12:13]
	v_mov_b32_e32 v27, s16
	s_and_saveexec_b64 s[4:5], s[6:7]
	s_cbranch_execnz .LBB49_98
.LBB49_54:
	s_or_b64 exec, exec, s[4:5]
	v_cmp_eq_u32_e64 s[4:5], v27, v26
	s_and_saveexec_b64 s[6:7], s[4:5]
	s_cbranch_execz .LBB49_56
.LBB49_55:
	v_add_u32_e32 v32, v8, v12
	ds_read_b128 v[26:29], v32
	v_mov_b32_e32 v31, v0
	ds_read_u16 v0, v10
	v_mov_b32_e32 v30, v1
	s_mov_b32 s4, 0xc0c0001
	ds_write_b64 v11, v[30:31]
	s_waitcnt lgkmcnt(2)
	v_mov_b32_e32 v30, v26
	v_mov_b32_e32 v31, v27
	s_waitcnt lgkmcnt(1)
	v_perm_b32 v0, 0, v0, s4
	ds_write_b128 v32, v[28:31]
	ds_write_b16 v10, v0
.LBB49_56:
	s_or_b64 exec, exec, s[6:7]
	v_and_b32_e32 v0, 15, v3
	v_sub_u32_e32 v19, v19, v0
	v_lshl_add_u32 v18, v19, 2, v18
	s_waitcnt lgkmcnt(0)
	s_barrier
	ds_read2_b32 v[0:1], v18 offset1:16
	v_add_u32_e32 v17, v17, v19
	s_waitcnt lgkmcnt(0)
	v_cmp_u_f32_e64 s[4:5], v0, v0
	v_cmp_o_f32_e64 s[6:7], v1, v1
	s_and_b64 s[6:7], s[4:5], s[6:7]
	v_cmp_gt_f32_e64 s[4:5], v0, v1
	s_or_b64 s[4:5], s[6:7], s[4:5]
	s_xor_b64 s[12:13], s[4:5], -1
	s_and_saveexec_b64 s[6:7], s[4:5]
	s_cbranch_execz .LBB49_58
; %bb.57:
	ds_read_u8 v26, v17
	s_andn2_b64 s[12:13], s[12:13], exec
	s_waitcnt lgkmcnt(0)
	v_and_b32_e32 v26, 1, v26
	v_cmp_eq_u32_e64 s[4:5], 1, v26
	s_xor_b64 s[4:5], s[4:5], -1
	s_and_b64 s[4:5], s[4:5], exec
	s_or_b64 s[12:13], s[12:13], s[4:5]
.LBB49_58:
	s_or_b64 exec, exec, s[6:7]
	s_and_saveexec_b64 s[6:7], s[12:13]
	s_cbranch_execz .LBB49_61
; %bb.59:
	ds_read_u8 v26, v17 offset:16
	s_waitcnt lgkmcnt(0)
	v_cmp_ne_u16_e64 s[4:5], 0, v26
	s_and_b64 exec, exec, s[4:5]
	s_cbranch_execz .LBB49_61
; %bb.60:
	v_lshl_add_u32 v15, v19, 3, v15
	ds_read2_b64 v[28:31], v15 offset1:16
	ds_read_u8 v19, v17
	ds_write2_b32 v18, v1, v0 offset1:16
	ds_write_b8 v17, v26
	s_waitcnt lgkmcnt(3)
	ds_write2_b64 v15, v[30:31], v[28:29] offset1:16
	s_waitcnt lgkmcnt(3)
	ds_write_b8 v17, v19 offset:16
.LBB49_61:
	s_or_b64 exec, exec, s[6:7]
	s_waitcnt lgkmcnt(0)
	s_barrier
	ds_read2_b32 v[0:1], v23 offset1:8
	s_waitcnt lgkmcnt(0)
	v_cmp_u_f32_e64 s[4:5], v0, v0
	v_cmp_o_f32_e64 s[6:7], v1, v1
	s_and_b64 s[6:7], s[4:5], s[6:7]
	v_cmp_gt_f32_e64 s[4:5], v0, v1
	s_or_b64 s[4:5], s[6:7], s[4:5]
	s_xor_b64 s[12:13], s[4:5], -1
	s_and_saveexec_b64 s[6:7], s[4:5]
	s_cbranch_execz .LBB49_63
; %bb.62:
	ds_read_u8 v15, v24
	s_andn2_b64 s[12:13], s[12:13], exec
	s_waitcnt lgkmcnt(0)
	v_and_b32_e32 v15, 1, v15
	v_cmp_eq_u32_e64 s[4:5], 1, v15
	s_xor_b64 s[4:5], s[4:5], -1
	s_and_b64 s[4:5], s[4:5], exec
	s_or_b64 s[12:13], s[12:13], s[4:5]
.LBB49_63:
	s_or_b64 exec, exec, s[6:7]
	s_and_saveexec_b64 s[6:7], s[12:13]
	s_cbranch_execz .LBB49_66
; %bb.64:
	ds_read_u8 v15, v24 offset:8
	s_waitcnt lgkmcnt(0)
	v_cmp_ne_u16_e64 s[4:5], 0, v15
	s_and_b64 exec, exec, s[4:5]
	s_cbranch_execz .LBB49_66
; %bb.65:
	ds_read2_b64 v[26:29], v25 offset1:8
	ds_read_u8 v17, v24
	ds_write2_b32 v23, v1, v0 offset1:8
	ds_write_b8 v24, v15
	s_waitcnt lgkmcnt(3)
	ds_write2_b64 v25, v[28:29], v[26:27] offset1:8
	s_waitcnt lgkmcnt(3)
	ds_write_b8 v24, v17 offset:8
.LBB49_66:
	s_or_b64 exec, exec, s[6:7]
	s_waitcnt lgkmcnt(0)
	s_barrier
	ds_read2_b32 v[0:1], v20 offset1:4
	s_waitcnt lgkmcnt(0)
	v_cmp_u_f32_e64 s[4:5], v0, v0
	v_cmp_o_f32_e64 s[6:7], v1, v1
	s_and_b64 s[6:7], s[4:5], s[6:7]
	v_cmp_gt_f32_e64 s[4:5], v0, v1
	s_or_b64 s[4:5], s[6:7], s[4:5]
	s_xor_b64 s[12:13], s[4:5], -1
	s_and_saveexec_b64 s[6:7], s[4:5]
	s_cbranch_execz .LBB49_68
; %bb.67:
	ds_read_u8 v15, v21
	s_andn2_b64 s[12:13], s[12:13], exec
	s_waitcnt lgkmcnt(0)
	v_and_b32_e32 v15, 1, v15
	v_cmp_eq_u32_e64 s[4:5], 1, v15
	s_xor_b64 s[4:5], s[4:5], -1
	s_and_b64 s[4:5], s[4:5], exec
	s_or_b64 s[12:13], s[12:13], s[4:5]
.LBB49_68:
	s_or_b64 exec, exec, s[6:7]
	s_and_saveexec_b64 s[6:7], s[12:13]
	s_cbranch_execz .LBB49_71
; %bb.69:
	ds_read_u8 v15, v21 offset:4
	s_waitcnt lgkmcnt(0)
	v_cmp_ne_u16_e64 s[4:5], 0, v15
	s_and_b64 exec, exec, s[4:5]
	s_cbranch_execz .LBB49_71
; %bb.70:
	ds_read2_b64 v[24:27], v22 offset1:4
	ds_read_u8 v17, v21
	ds_write2_b32 v20, v1, v0 offset1:4
	ds_write_b8 v21, v15
	s_waitcnt lgkmcnt(3)
	ds_write2_b64 v22, v[26:27], v[24:25] offset1:4
	s_waitcnt lgkmcnt(3)
	ds_write_b8 v21, v17 offset:4
.LBB49_71:
	;; [unrolled: 42-line block ×3, first 2 shown]
	s_or_b64 exec, exec, s[6:7]
	s_waitcnt lgkmcnt(0)
	s_barrier
	ds_read_b64 v[0:1], v11
	s_waitcnt lgkmcnt(0)
	v_cmp_u_f32_e64 s[4:5], v0, v0
	v_cmp_o_f32_e64 s[6:7], v1, v1
	s_and_b64 s[6:7], s[4:5], s[6:7]
	v_cmp_gt_f32_e64 s[4:5], v0, v1
	s_or_b64 s[4:5], s[6:7], s[4:5]
	s_xor_b64 s[12:13], s[4:5], -1
	s_and_saveexec_b64 s[6:7], s[4:5]
	s_cbranch_execz .LBB49_78
; %bb.77:
	ds_read_u8 v13, v10
	s_andn2_b64 s[12:13], s[12:13], exec
	s_waitcnt lgkmcnt(0)
	v_and_b32_e32 v13, 1, v13
	v_cmp_eq_u32_e64 s[4:5], 1, v13
	s_xor_b64 s[4:5], s[4:5], -1
	s_and_b64 s[4:5], s[4:5], exec
	s_or_b64 s[12:13], s[12:13], s[4:5]
.LBB49_78:
	s_or_b64 exec, exec, s[6:7]
	s_and_saveexec_b64 s[6:7], s[12:13]
	s_cbranch_execz .LBB49_81
; %bb.79:
	ds_read_u8 v13, v10 offset:1
	s_waitcnt lgkmcnt(0)
	v_cmp_ne_u16_e64 s[4:5], 0, v13
	s_and_b64 exec, exec, s[4:5]
	s_cbranch_execz .LBB49_81
; %bb.80:
	v_add_u32_e32 v12, v8, v12
	ds_read_b128 v[14:17], v12
	v_mov_b32_e32 v19, v0
	ds_read_u8 v0, v10
	v_mov_b32_e32 v18, v1
	ds_write_b64 v11, v[18:19]
	s_waitcnt lgkmcnt(2)
	v_mov_b32_e32 v18, v14
	v_mov_b32_e32 v19, v15
	s_waitcnt lgkmcnt(1)
	v_lshlrev_b16_e32 v0, 8, v0
	v_or_b32_e32 v0, v13, v0
	ds_write_b128 v12, v[16:19]
	ds_write_b16 v10, v0
.LBB49_81:
	s_or_b64 exec, exec, s[6:7]
	s_waitcnt lgkmcnt(0)
	s_barrier
	s_and_saveexec_b64 s[4:5], vcc
	s_cbranch_execz .LBB49_86
; %bb.82:
	s_and_saveexec_b64 s[4:5], s[0:1]
	s_cbranch_execz .LBB49_84
; %bb.83:
	ds_read_b32 v12, v9
	v_mad_u64_u32 v[0:1], s[0:1], v3, s14, v[4:5]
	v_mov_b32_e32 v1, 0
	v_lshlrev_b64 v[10:11], 2, v[0:1]
	v_mov_b32_e32 v0, s9
	v_add_co_u32_e32 v10, vcc, s8, v10
	v_addc_co_u32_e32 v11, vcc, v0, v11, vcc
	ds_read_b64 v[8:9], v8
	s_waitcnt lgkmcnt(1)
	global_store_dword v[10:11], v12, off
	v_mad_u64_u32 v[10:11], s[0:1], v3, s15, v[2:3]
	v_mov_b32_e32 v11, v1
	v_lshlrev_b64 v[0:1], 3, v[10:11]
	v_mov_b32_e32 v3, s11
	v_add_co_u32_e32 v0, vcc, s10, v0
	v_addc_co_u32_e32 v1, vcc, v3, v1, vcc
	s_waitcnt lgkmcnt(0)
	global_store_dwordx2 v[0:1], v[8:9], off
.LBB49_84:
	s_or_b64 exec, exec, s[4:5]
	s_and_b64 exec, exec, s[2:3]
	s_cbranch_execz .LBB49_86
; %bb.85:
	ds_read_b32 v3, v7
	v_mad_u64_u32 v[0:1], s[0:1], v5, s14, v[4:5]
	v_mov_b32_e32 v1, 0
	v_lshlrev_b64 v[8:9], 2, v[0:1]
	v_mov_b32_e32 v0, s9
	v_add_co_u32_e32 v8, vcc, s8, v8
	v_addc_co_u32_e32 v9, vcc, v0, v9, vcc
	ds_read_b64 v[6:7], v6
	s_waitcnt lgkmcnt(1)
	global_store_dword v[8:9], v3, off
	v_mad_u64_u32 v[2:3], s[0:1], v5, s15, v[2:3]
	v_mov_b32_e32 v3, v1
	v_lshlrev_b64 v[0:1], 3, v[2:3]
	v_mov_b32_e32 v2, s11
	v_add_co_u32_e32 v0, vcc, s10, v0
	v_addc_co_u32_e32 v1, vcc, v2, v1, vcc
	s_waitcnt lgkmcnt(0)
	global_store_dwordx2 v[0:1], v[6:7], off
.LBB49_86:
	s_endpgm
.LBB49_87:
	ds_read_u8 v21, v10
	s_andn2_b64 s[6:7], s[6:7], exec
	s_mov_b32 s16, 1
	s_waitcnt lgkmcnt(0)
	v_and_b32_e32 v21, 1, v21
	v_cmp_eq_u32_e64 s[4:5], 1, v21
	s_xor_b64 s[4:5], s[4:5], -1
	s_and_b64 s[4:5], s[4:5], exec
	s_or_b64 s[6:7], s[6:7], s[4:5]
	s_or_b64 exec, exec, s[12:13]
	v_mov_b32_e32 v21, s16
	s_and_saveexec_b64 s[4:5], s[6:7]
	s_cbranch_execz .LBB49_22
.LBB49_88:
	ds_read_u8 v21, v10 offset:1
	s_waitcnt lgkmcnt(0)
	v_xor_b32_e32 v21, 1, v21
	s_or_b64 exec, exec, s[4:5]
	v_cmp_eq_u32_e64 s[4:5], v21, v20
	s_and_saveexec_b64 s[6:7], s[4:5]
	s_cbranch_execnz .LBB49_23
	s_branch .LBB49_24
.LBB49_89:
	ds_read_u8 v24, v14
	s_andn2_b64 s[6:7], s[6:7], exec
	s_mov_b32 s16, 1
	s_waitcnt lgkmcnt(0)
	v_and_b32_e32 v24, 1, v24
	v_cmp_eq_u32_e64 s[4:5], 1, v24
	s_xor_b64 s[4:5], s[4:5], -1
	s_and_b64 s[4:5], s[4:5], exec
	s_or_b64 s[6:7], s[6:7], s[4:5]
	s_or_b64 exec, exec, s[12:13]
	v_mov_b32_e32 v24, s16
	s_and_saveexec_b64 s[4:5], s[6:7]
	s_cbranch_execz .LBB49_32
.LBB49_90:
	ds_read_u8 v24, v14 offset:2
	s_waitcnt lgkmcnt(0)
	v_xor_b32_e32 v24, 1, v24
	s_or_b64 exec, exec, s[4:5]
	v_cmp_eq_u32_e64 s[4:5], v24, v23
	s_and_saveexec_b64 s[6:7], s[4:5]
	s_cbranch_execnz .LBB49_33
	s_branch .LBB49_34
.LBB49_91:
	ds_read_u8 v24, v10
	s_andn2_b64 s[6:7], s[6:7], exec
	s_mov_b32 s16, 1
	s_waitcnt lgkmcnt(0)
	v_and_b32_e32 v24, 1, v24
	v_cmp_eq_u32_e64 s[4:5], 1, v24
	s_xor_b64 s[4:5], s[4:5], -1
	s_and_b64 s[4:5], s[4:5], exec
	s_or_b64 s[6:7], s[6:7], s[4:5]
	s_or_b64 exec, exec, s[12:13]
	v_mov_b32_e32 v24, s16
	s_and_saveexec_b64 s[4:5], s[6:7]
	s_cbranch_execz .LBB49_36
.LBB49_92:
	ds_read_u8 v24, v10 offset:1
	s_waitcnt lgkmcnt(0)
	v_xor_b32_e32 v24, 1, v24
	s_or_b64 exec, exec, s[4:5]
	v_cmp_eq_u32_e64 s[4:5], v24, v23
	s_and_saveexec_b64 s[6:7], s[4:5]
	s_cbranch_execnz .LBB49_37
	s_branch .LBB49_38
.LBB49_93:
	ds_read_u8 v27, v21
	s_andn2_b64 s[6:7], s[6:7], exec
	s_mov_b32 s16, 1
	s_waitcnt lgkmcnt(0)
	v_and_b32_e32 v27, 1, v27
	v_cmp_eq_u32_e64 s[4:5], 1, v27
	s_xor_b64 s[4:5], s[4:5], -1
	s_and_b64 s[4:5], s[4:5], exec
	s_or_b64 s[6:7], s[6:7], s[4:5]
	s_or_b64 exec, exec, s[12:13]
	v_mov_b32_e32 v27, s16
	s_and_saveexec_b64 s[4:5], s[6:7]
	s_cbranch_execz .LBB49_46
.LBB49_94:
	ds_read_u8 v27, v21 offset:4
	s_waitcnt lgkmcnt(0)
	v_xor_b32_e32 v27, 1, v27
	s_or_b64 exec, exec, s[4:5]
	v_cmp_eq_u32_e64 s[4:5], v27, v26
	s_and_saveexec_b64 s[6:7], s[4:5]
	s_cbranch_execnz .LBB49_47
	s_branch .LBB49_48
.LBB49_95:
	ds_read_u8 v27, v14
	s_andn2_b64 s[6:7], s[6:7], exec
	s_mov_b32 s16, 1
	s_waitcnt lgkmcnt(0)
	v_and_b32_e32 v27, 1, v27
	v_cmp_eq_u32_e64 s[4:5], 1, v27
	s_xor_b64 s[4:5], s[4:5], -1
	s_and_b64 s[4:5], s[4:5], exec
	s_or_b64 s[6:7], s[6:7], s[4:5]
	s_or_b64 exec, exec, s[12:13]
	v_mov_b32_e32 v27, s16
	s_and_saveexec_b64 s[4:5], s[6:7]
	s_cbranch_execz .LBB49_50
.LBB49_96:
	ds_read_u8 v27, v14 offset:2
	s_waitcnt lgkmcnt(0)
	v_xor_b32_e32 v27, 1, v27
	s_or_b64 exec, exec, s[4:5]
	v_cmp_eq_u32_e64 s[4:5], v27, v26
	s_and_saveexec_b64 s[6:7], s[4:5]
	s_cbranch_execnz .LBB49_51
	s_branch .LBB49_52
.LBB49_97:
	ds_read_u8 v27, v10
	s_andn2_b64 s[6:7], s[6:7], exec
	s_mov_b32 s16, 1
	s_waitcnt lgkmcnt(0)
	v_and_b32_e32 v27, 1, v27
	v_cmp_eq_u32_e64 s[4:5], 1, v27
	s_xor_b64 s[4:5], s[4:5], -1
	s_and_b64 s[4:5], s[4:5], exec
	s_or_b64 s[6:7], s[6:7], s[4:5]
	s_or_b64 exec, exec, s[12:13]
	v_mov_b32_e32 v27, s16
	s_and_saveexec_b64 s[4:5], s[6:7]
	s_cbranch_execz .LBB49_54
.LBB49_98:
	ds_read_u8 v27, v10 offset:1
	s_waitcnt lgkmcnt(0)
	v_xor_b32_e32 v27, 1, v27
	s_or_b64 exec, exec, s[4:5]
	v_cmp_eq_u32_e64 s[4:5], v27, v26
	s_and_saveexec_b64 s[6:7], s[4:5]
	s_cbranch_execnz .LBB49_55
	s_branch .LBB49_56
	.section	.rodata,"a",@progbits
	.p2align	6, 0x0
	.amdhsa_kernel _ZN2at6native20bitonicSortKVInPlaceILin2ELin1ELi16ELi16EflNS0_4GTOpIfLb1EEEjEEvNS_4cuda6detail10TensorInfoIT3_T6_EES8_S8_S8_NS6_IT4_S8_EES8_T5_
		.amdhsa_group_segment_fixed_size 6656
		.amdhsa_private_segment_fixed_size 0
		.amdhsa_kernarg_size 712
		.amdhsa_user_sgpr_count 6
		.amdhsa_user_sgpr_private_segment_buffer 1
		.amdhsa_user_sgpr_dispatch_ptr 0
		.amdhsa_user_sgpr_queue_ptr 0
		.amdhsa_user_sgpr_kernarg_segment_ptr 1
		.amdhsa_user_sgpr_dispatch_id 0
		.amdhsa_user_sgpr_flat_scratch_init 0
		.amdhsa_user_sgpr_kernarg_preload_length 0
		.amdhsa_user_sgpr_kernarg_preload_offset 0
		.amdhsa_user_sgpr_private_segment_size 0
		.amdhsa_uses_dynamic_stack 0
		.amdhsa_system_sgpr_private_segment_wavefront_offset 0
		.amdhsa_system_sgpr_workgroup_id_x 1
		.amdhsa_system_sgpr_workgroup_id_y 1
		.amdhsa_system_sgpr_workgroup_id_z 1
		.amdhsa_system_sgpr_workgroup_info 0
		.amdhsa_system_vgpr_workitem_id 1
		.amdhsa_next_free_vgpr 33
		.amdhsa_next_free_sgpr 18
		.amdhsa_accum_offset 36
		.amdhsa_reserve_vcc 1
		.amdhsa_reserve_flat_scratch 0
		.amdhsa_float_round_mode_32 0
		.amdhsa_float_round_mode_16_64 0
		.amdhsa_float_denorm_mode_32 3
		.amdhsa_float_denorm_mode_16_64 3
		.amdhsa_dx10_clamp 1
		.amdhsa_ieee_mode 1
		.amdhsa_fp16_overflow 0
		.amdhsa_tg_split 0
		.amdhsa_exception_fp_ieee_invalid_op 0
		.amdhsa_exception_fp_denorm_src 0
		.amdhsa_exception_fp_ieee_div_zero 0
		.amdhsa_exception_fp_ieee_overflow 0
		.amdhsa_exception_fp_ieee_underflow 0
		.amdhsa_exception_fp_ieee_inexact 0
		.amdhsa_exception_int_div_zero 0
	.end_amdhsa_kernel
	.section	.text._ZN2at6native20bitonicSortKVInPlaceILin2ELin1ELi16ELi16EflNS0_4GTOpIfLb1EEEjEEvNS_4cuda6detail10TensorInfoIT3_T6_EES8_S8_S8_NS6_IT4_S8_EES8_T5_,"axG",@progbits,_ZN2at6native20bitonicSortKVInPlaceILin2ELin1ELi16ELi16EflNS0_4GTOpIfLb1EEEjEEvNS_4cuda6detail10TensorInfoIT3_T6_EES8_S8_S8_NS6_IT4_S8_EES8_T5_,comdat
.Lfunc_end49:
	.size	_ZN2at6native20bitonicSortKVInPlaceILin2ELin1ELi16ELi16EflNS0_4GTOpIfLb1EEEjEEvNS_4cuda6detail10TensorInfoIT3_T6_EES8_S8_S8_NS6_IT4_S8_EES8_T5_, .Lfunc_end49-_ZN2at6native20bitonicSortKVInPlaceILin2ELin1ELi16ELi16EflNS0_4GTOpIfLb1EEEjEEvNS_4cuda6detail10TensorInfoIT3_T6_EES8_S8_S8_NS6_IT4_S8_EES8_T5_
                                        ; -- End function
	.section	.AMDGPU.csdata,"",@progbits
; Kernel info:
; codeLenInByte = 4900
; NumSgprs: 22
; NumVgprs: 33
; NumAgprs: 0
; TotalNumVgprs: 33
; ScratchSize: 0
; MemoryBound: 0
; FloatMode: 240
; IeeeMode: 1
; LDSByteSize: 6656 bytes/workgroup (compile time only)
; SGPRBlocks: 2
; VGPRBlocks: 4
; NumSGPRsForWavesPerEU: 22
; NumVGPRsForWavesPerEU: 33
; AccumOffset: 36
; Occupancy: 8
; WaveLimiterHint : 1
; COMPUTE_PGM_RSRC2:SCRATCH_EN: 0
; COMPUTE_PGM_RSRC2:USER_SGPR: 6
; COMPUTE_PGM_RSRC2:TRAP_HANDLER: 0
; COMPUTE_PGM_RSRC2:TGID_X_EN: 1
; COMPUTE_PGM_RSRC2:TGID_Y_EN: 1
; COMPUTE_PGM_RSRC2:TGID_Z_EN: 1
; COMPUTE_PGM_RSRC2:TIDIG_COMP_CNT: 1
; COMPUTE_PGM_RSRC3_GFX90A:ACCUM_OFFSET: 8
; COMPUTE_PGM_RSRC3_GFX90A:TG_SPLIT: 0
	.section	.text._ZN2at6native20bitonicSortKVInPlaceILi2ELin1ELi16ELi16EflNS0_4LTOpIfLb1EEEjEEvNS_4cuda6detail10TensorInfoIT3_T6_EES8_S8_S8_NS6_IT4_S8_EES8_T5_,"axG",@progbits,_ZN2at6native20bitonicSortKVInPlaceILi2ELin1ELi16ELi16EflNS0_4LTOpIfLb1EEEjEEvNS_4cuda6detail10TensorInfoIT3_T6_EES8_S8_S8_NS6_IT4_S8_EES8_T5_,comdat
	.protected	_ZN2at6native20bitonicSortKVInPlaceILi2ELin1ELi16ELi16EflNS0_4LTOpIfLb1EEEjEEvNS_4cuda6detail10TensorInfoIT3_T6_EES8_S8_S8_NS6_IT4_S8_EES8_T5_ ; -- Begin function _ZN2at6native20bitonicSortKVInPlaceILi2ELin1ELi16ELi16EflNS0_4LTOpIfLb1EEEjEEvNS_4cuda6detail10TensorInfoIT3_T6_EES8_S8_S8_NS6_IT4_S8_EES8_T5_
	.globl	_ZN2at6native20bitonicSortKVInPlaceILi2ELin1ELi16ELi16EflNS0_4LTOpIfLb1EEEjEEvNS_4cuda6detail10TensorInfoIT3_T6_EES8_S8_S8_NS6_IT4_S8_EES8_T5_
	.p2align	8
	.type	_ZN2at6native20bitonicSortKVInPlaceILi2ELin1ELi16ELi16EflNS0_4LTOpIfLb1EEEjEEvNS_4cuda6detail10TensorInfoIT3_T6_EES8_S8_S8_NS6_IT4_S8_EES8_T5_,@function
_ZN2at6native20bitonicSortKVInPlaceILi2ELin1ELi16ELi16EflNS0_4LTOpIfLb1EEEjEEvNS_4cuda6detail10TensorInfoIT3_T6_EES8_S8_S8_NS6_IT4_S8_EES8_T5_: ; @_ZN2at6native20bitonicSortKVInPlaceILi2ELin1ELi16ELi16EflNS0_4LTOpIfLb1EEEjEEvNS_4cuda6detail10TensorInfoIT3_T6_EES8_S8_S8_NS6_IT4_S8_EES8_T5_
; %bb.0:
	s_load_dwordx2 s[0:1], s[4:5], 0x1c8
	s_load_dwordx4 s[12:15], s[4:5], 0xd8
	s_load_dword s9, s[4:5], 0x1d4
	s_add_u32 s2, s4, 0x1c8
	s_addc_u32 s3, s5, 0
	s_waitcnt lgkmcnt(0)
	s_mul_i32 s1, s1, s8
	s_add_i32 s1, s1, s7
	s_mul_i32 s0, s1, s0
	s_add_i32 s0, s0, s6
	s_lshr_b32 s1, s9, 16
	s_mul_i32 s0, s0, s1
	s_cmp_ge_u32 s0, s12
	s_cbranch_scc1 .LBB50_86
; %bb.1:
	s_load_dword s15, s[4:5], 0xc
	s_load_dwordx2 s[6:7], s[4:5], 0x6c
	s_load_dword s17, s[4:5], 0x1b8
	s_add_u32 s10, s4, 0xe8
	v_bfe_u32 v8, v0, 10, 10
	s_waitcnt lgkmcnt(0)
	v_cvt_f32_u32_e32 v1, s15
	s_load_dwordx2 s[8:9], s[4:5], 0x0
	s_addc_u32 s11, s5, 0
	s_mov_b32 s1, 0
	v_rcp_iflag_f32_e32 v1, v1
	v_mov_b32_e32 v2, 0
	v_mul_f32_e32 v1, 0x4f7ffffe, v1
	v_cvt_u32_f32_e32 v3, v1
	v_add_u32_e32 v1, s0, v8
	s_sub_i32 s0, 0, s15
	s_cmp_lt_i32 s17, 2
	v_mul_lo_u32 v4, s0, v3
	v_mul_hi_u32 v4, v3, v4
	v_add_u32_e32 v3, v3, v4
	v_mad_u64_u32 v[4:5], s[18:19], v1, v3, 0
	v_mov_b32_e32 v6, v1
	s_cbranch_scc1 .LBB50_4
; %bb.2:
	s_add_i32 s0, s17, -1
	s_add_i32 s16, s17, 1
	s_lshl_b64 s[0:1], s[0:1], 2
	s_add_u32 s0, s0, s10
	s_addc_u32 s1, s1, s11
	s_add_u32 s0, s0, 8
	s_addc_u32 s1, s1, 0
	v_mov_b32_e32 v2, 0
	v_mov_b32_e32 v6, v1
.LBB50_3:                               ; =>This Inner Loop Header: Depth=1
	s_load_dword s17, s[0:1], 0x0
	s_load_dword s18, s[0:1], 0x64
	v_mov_b32_e32 v3, v6
	s_add_i32 s16, s16, -1
	s_waitcnt lgkmcnt(0)
	v_cvt_f32_u32_e32 v4, s17
	s_sub_i32 s19, 0, s17
	s_add_u32 s0, s0, -4
	s_addc_u32 s1, s1, -1
	v_rcp_iflag_f32_e32 v4, v4
	s_cmp_gt_u32 s16, 2
	v_mul_f32_e32 v4, 0x4f7ffffe, v4
	v_cvt_u32_f32_e32 v4, v4
	v_mul_lo_u32 v6, s19, v4
	v_mul_hi_u32 v6, v4, v6
	v_add_u32_e32 v4, v4, v6
	v_mul_hi_u32 v4, v3, v4
	v_mul_lo_u32 v6, v4, s17
	v_sub_u32_e32 v6, v3, v6
	v_add_u32_e32 v7, 1, v4
	v_cmp_le_u32_e32 vcc, s17, v6
	v_cndmask_b32_e32 v4, v4, v7, vcc
	v_subrev_u32_e32 v7, s17, v6
	v_cndmask_b32_e32 v6, v6, v7, vcc
	v_add_u32_e32 v7, 1, v4
	v_cmp_le_u32_e32 vcc, s17, v6
	v_cndmask_b32_e32 v6, v4, v7, vcc
	v_mul_lo_u32 v4, v6, s17
	v_sub_u32_e32 v3, v3, v4
	v_mad_u64_u32 v[2:3], s[18:19], s18, v3, v[2:3]
	s_cbranch_scc1 .LBB50_3
.LBB50_4:
	v_mul_lo_u32 v3, v5, s15
	v_sub_u32_e32 v3, v1, v3
	v_add_u32_e32 v4, 1, v5
	v_cmp_le_u32_e64 s[0:1], s15, v3
	v_cndmask_b32_e64 v4, v5, v4, s[0:1]
	v_subrev_u32_e32 v5, s15, v3
	v_cndmask_b32_e64 v3, v3, v5, s[0:1]
	v_add_u32_e32 v5, 1, v4
	v_cmp_le_u32_e64 s[0:1], s15, v3
	v_cndmask_b32_e64 v3, v4, v5, s[0:1]
	v_mul_lo_u32 v4, v3, s15
	v_cmp_gt_u32_e32 vcc, s12, v1
	v_sub_u32_e32 v1, v1, v4
	v_mul_lo_u32 v4, v1, s7
	s_load_dword s15, s[4:5], 0x1c0
	s_load_dword s7, s[10:11], 0x6c
	;; [unrolled: 1-line block ×3, first 2 shown]
	v_mad_u64_u32 v[4:5], s[0:1], v3, s6, v[4:5]
	s_load_dwordx2 s[10:11], s[10:11], 0x0
	s_waitcnt lgkmcnt(0)
	v_mad_u64_u32 v[2:3], s[0:1], s7, v6, v[2:3]
	v_and_b32_e32 v3, 0x3ff, v0
	v_cmp_gt_u32_e64 s[0:1], s13, v3
	v_pk_mov_b32 v[0:1], 0, 0
	s_and_b64 s[4:5], vcc, s[0:1]
	v_mov_b32_e32 v10, 0
	v_mov_b32_e32 v5, 0
	v_pk_mov_b32 v[6:7], v[0:1], v[0:1] op_sel:[0,1]
	s_and_saveexec_b64 s[6:7], s[4:5]
	s_cbranch_execz .LBB50_6
; %bb.5:
	v_mad_u64_u32 v[6:7], s[2:3], v3, s14, v[4:5]
	v_mov_b32_e32 v7, 0
	v_lshlrev_b64 v[12:13], 2, v[6:7]
	v_mov_b32_e32 v5, s9
	v_add_co_u32_e64 v12, s[2:3], s8, v12
	v_addc_co_u32_e64 v13, s[2:3], v5, v13, s[2:3]
	global_load_dword v5, v[12:13], off
	v_mad_u64_u32 v[12:13], s[2:3], v3, s15, v[2:3]
	v_mov_b32_e32 v13, v7
	v_lshlrev_b64 v[6:7], 3, v[12:13]
	v_mov_b32_e32 v9, s11
	v_add_co_u32_e64 v6, s[2:3], s10, v6
	v_addc_co_u32_e64 v7, s[2:3], v9, v7, s[2:3]
	global_load_dwordx2 v[6:7], v[6:7], off
.LBB50_6:
	s_or_b64 exec, exec, s[6:7]
	v_mov_b32_e32 v9, 0x1000
	v_lshl_add_u32 v18, v8, 7, v9
	v_mov_b32_e32 v9, 0x1800
	v_lshl_add_u32 v17, v8, 5, v9
	v_lshl_add_u32 v9, v3, 2, v18
	s_and_b32 s16, 0xffff, s12
	v_cndmask_b32_e64 v11, 0, 1, s[4:5]
	s_waitcnt vmcnt(1)
	ds_write_b32 v9, v5
	v_add_u32_e32 v5, v17, v3
	ds_write_b8 v5, v11
	v_add_u32_e32 v5, s16, v3
	v_lshlrev_b32_e32 v15, 8, v8
	v_cmp_gt_u32_e64 s[2:3], s13, v5
	v_lshl_add_u32 v8, v3, 3, v15
	s_and_b64 s[6:7], vcc, s[2:3]
	s_waitcnt vmcnt(0)
	ds_write_b64 v8, v[6:7]
	s_and_saveexec_b64 s[12:13], s[6:7]
	s_cbranch_execz .LBB50_8
; %bb.7:
	v_mad_u64_u32 v[0:1], s[4:5], v5, s14, v[4:5]
	v_mov_b32_e32 v1, 0
	v_lshlrev_b64 v[6:7], 2, v[0:1]
	v_mov_b32_e32 v0, s9
	v_add_co_u32_e64 v6, s[4:5], s8, v6
	v_addc_co_u32_e64 v7, s[4:5], v0, v7, s[4:5]
	global_load_dword v10, v[6:7], off
	v_mad_u64_u32 v[6:7], s[4:5], v5, s15, v[2:3]
	v_mov_b32_e32 v7, v1
	v_lshlrev_b64 v[0:1], 3, v[6:7]
	v_mov_b32_e32 v6, s11
	v_add_co_u32_e64 v0, s[4:5], s10, v0
	v_addc_co_u32_e64 v1, s[4:5], v6, v1, s[4:5]
	global_load_dwordx2 v[0:1], v[0:1], off
.LBB50_8:
	s_or_b64 exec, exec, s[12:13]
	v_lshl_add_u32 v6, s16, 3, v8
	v_cndmask_b32_e64 v11, 0, 1, s[6:7]
	s_waitcnt vmcnt(0)
	ds_write_b64 v6, v[0:1]
	v_add_u32_e32 v0, v17, v5
	ds_write_b8 v0, v11
	v_lshlrev_b32_e32 v0, 2, v3
	v_lshl_add_u32 v7, s16, 2, v9
	v_add_u32_e32 v11, v9, v0
	ds_write_b32 v7, v10
	s_waitcnt lgkmcnt(0)
	s_barrier
	ds_read_b64 v[0:1], v11
	v_lshlrev_b32_e32 v19, 1, v3
	s_mov_b32 s16, 1
	v_add_u32_e32 v10, v17, v19
	s_waitcnt lgkmcnt(0)
	v_cmp_u_f32_e64 s[4:5], v1, v1
	v_cmp_o_f32_e64 s[6:7], v0, v0
	s_and_b64 s[6:7], s[4:5], s[6:7]
	v_cmp_lt_f32_e64 s[4:5], v0, v1
	s_or_b64 s[4:5], s[6:7], s[4:5]
	s_xor_b64 s[6:7], s[4:5], -1
	s_and_saveexec_b64 s[12:13], s[4:5]
	s_xor_b64 s[12:13], exec, s[12:13]
	s_cbranch_execz .LBB50_10
; %bb.9:
	ds_read_u8 v12, v10
	s_andn2_b64 s[6:7], s[6:7], exec
	s_waitcnt lgkmcnt(0)
	v_and_b32_e32 v12, 1, v12
	v_cmp_eq_u32_e64 s[4:5], 1, v12
	s_xor_b64 s[4:5], s[4:5], -1
	s_and_b64 s[4:5], s[4:5], exec
	s_or_b64 s[6:7], s[6:7], s[4:5]
.LBB50_10:
	s_or_b64 exec, exec, s[12:13]
	v_mov_b32_e32 v14, s16
	s_and_saveexec_b64 s[4:5], s[6:7]
	s_cbranch_execz .LBB50_12
; %bb.11:
	ds_read_u8 v12, v10 offset:1
	s_waitcnt lgkmcnt(0)
	v_xor_b32_e32 v14, 1, v12
.LBB50_12:
	s_or_b64 exec, exec, s[4:5]
	v_and_b32_e32 v13, 1, v3
	v_lshlrev_b32_e32 v12, 3, v3
	v_cmp_eq_u32_e64 s[4:5], v14, v13
	s_and_saveexec_b64 s[6:7], s[4:5]
	s_cbranch_execz .LBB50_14
; %bb.13:
	v_add_u32_e32 v14, v8, v12
	ds_read_b128 v[20:23], v14
	v_mov_b32_e32 v25, v0
	ds_read_u16 v0, v10
	v_mov_b32_e32 v24, v1
	s_mov_b32 s4, 0xc0c0001
	ds_write_b64 v11, v[24:25]
	s_waitcnt lgkmcnt(2)
	v_mov_b32_e32 v24, v20
	v_mov_b32_e32 v25, v21
	s_waitcnt lgkmcnt(1)
	v_perm_b32 v0, 0, v0, s4
	ds_write_b128 v14, v[22:25]
	ds_write_b16 v10, v0
.LBB50_14:
	s_or_b64 exec, exec, s[6:7]
	v_sub_u32_e32 v16, v19, v13
	v_lshl_add_u32 v13, v16, 2, v18
	s_waitcnt lgkmcnt(0)
	s_barrier
	ds_read2_b32 v[0:1], v13 offset1:2
	v_add_u32_e32 v14, v17, v16
                                        ; implicit-def: $sgpr12
	s_waitcnt lgkmcnt(0)
	v_cmp_u_f32_e64 s[4:5], v1, v1
	v_cmp_o_f32_e64 s[6:7], v0, v0
	s_and_b64 s[6:7], s[4:5], s[6:7]
	v_cmp_lt_f32_e64 s[4:5], v0, v1
	s_or_b64 s[6:7], s[6:7], s[4:5]
	s_mov_b64 s[4:5], -1
	s_and_saveexec_b64 s[16:17], s[6:7]
	s_xor_b64 s[6:7], exec, s[16:17]
	s_cbranch_execz .LBB50_16
; %bb.15:
	ds_read_u8 v20, v14
	s_mov_b32 s12, 1
	s_waitcnt lgkmcnt(0)
	v_and_b32_e32 v20, 1, v20
	v_cmp_eq_u32_e64 s[4:5], 1, v20
	s_xor_b64 s[4:5], s[4:5], -1
	s_orn2_b64 s[4:5], s[4:5], exec
.LBB50_16:
	s_or_b64 exec, exec, s[6:7]
	v_mov_b32_e32 v21, s12
	s_and_saveexec_b64 s[6:7], s[4:5]
	s_cbranch_execz .LBB50_18
; %bb.17:
	ds_read_u8 v20, v14 offset:2
	s_waitcnt lgkmcnt(0)
	v_xor_b32_e32 v21, 1, v20
.LBB50_18:
	s_or_b64 exec, exec, s[6:7]
	v_bfe_u32 v20, v3, 1, 1
	v_lshl_add_u32 v16, v16, 3, v15
	v_cmp_eq_u32_e64 s[4:5], v21, v20
	s_and_saveexec_b64 s[6:7], s[4:5]
	s_cbranch_execz .LBB50_20
; %bb.19:
	ds_read2_b64 v[22:25], v16 offset1:2
	ds_read_u8 v21, v14 offset:2
	ds_read_u8 v26, v14
	ds_write2_b32 v13, v1, v0 offset1:2
	s_waitcnt lgkmcnt(3)
	ds_write2_b64 v16, v[24:25], v[22:23] offset1:2
	s_waitcnt lgkmcnt(3)
	ds_write_b8 v14, v21
	s_waitcnt lgkmcnt(3)
	ds_write_b8 v14, v26 offset:2
.LBB50_20:
	s_or_b64 exec, exec, s[6:7]
	s_waitcnt lgkmcnt(0)
	s_barrier
	ds_read_b64 v[0:1], v11
                                        ; implicit-def: $sgpr16
	s_waitcnt lgkmcnt(0)
	v_cmp_u_f32_e64 s[4:5], v1, v1
	v_cmp_o_f32_e64 s[6:7], v0, v0
	s_and_b64 s[6:7], s[4:5], s[6:7]
	v_cmp_lt_f32_e64 s[4:5], v0, v1
	s_or_b64 s[4:5], s[6:7], s[4:5]
	s_xor_b64 s[6:7], s[4:5], -1
	s_and_saveexec_b64 s[12:13], s[4:5]
	s_cbranch_execnz .LBB50_87
; %bb.21:
	s_or_b64 exec, exec, s[12:13]
	v_mov_b32_e32 v21, s16
	s_and_saveexec_b64 s[4:5], s[6:7]
	s_cbranch_execnz .LBB50_88
.LBB50_22:
	s_or_b64 exec, exec, s[4:5]
	v_cmp_eq_u32_e64 s[4:5], v21, v20
	s_and_saveexec_b64 s[6:7], s[4:5]
	s_cbranch_execz .LBB50_24
.LBB50_23:
	v_add_u32_e32 v26, v8, v12
	ds_read_b128 v[20:23], v26
	v_mov_b32_e32 v25, v0
	ds_read_u16 v0, v10
	v_mov_b32_e32 v24, v1
	s_mov_b32 s4, 0xc0c0001
	ds_write_b64 v11, v[24:25]
	s_waitcnt lgkmcnt(2)
	v_mov_b32_e32 v24, v20
	v_mov_b32_e32 v25, v21
	s_waitcnt lgkmcnt(1)
	v_perm_b32 v0, 0, v0, s4
	ds_write_b128 v26, v[22:25]
	ds_write_b16 v10, v0
.LBB50_24:
	s_or_b64 exec, exec, s[6:7]
	v_and_b32_e32 v0, 3, v3
	v_sub_u32_e32 v22, v19, v0
	v_lshl_add_u32 v20, v22, 2, v18
	s_waitcnt lgkmcnt(0)
	s_barrier
	ds_read2_b32 v[0:1], v20 offset1:4
	v_add_u32_e32 v21, v17, v22
                                        ; implicit-def: $sgpr16
	s_waitcnt lgkmcnt(0)
	v_cmp_u_f32_e64 s[4:5], v1, v1
	v_cmp_o_f32_e64 s[6:7], v0, v0
	s_and_b64 s[6:7], s[4:5], s[6:7]
	v_cmp_lt_f32_e64 s[4:5], v0, v1
	s_or_b64 s[4:5], s[6:7], s[4:5]
	s_xor_b64 s[6:7], s[4:5], -1
	s_and_saveexec_b64 s[12:13], s[4:5]
	s_cbranch_execz .LBB50_26
; %bb.25:
	ds_read_u8 v23, v21
	s_andn2_b64 s[6:7], s[6:7], exec
	s_mov_b32 s16, 1
	s_waitcnt lgkmcnt(0)
	v_and_b32_e32 v23, 1, v23
	v_cmp_eq_u32_e64 s[4:5], 1, v23
	s_xor_b64 s[4:5], s[4:5], -1
	s_and_b64 s[4:5], s[4:5], exec
	s_or_b64 s[6:7], s[6:7], s[4:5]
.LBB50_26:
	s_or_b64 exec, exec, s[12:13]
	v_mov_b32_e32 v24, s16
	s_and_saveexec_b64 s[4:5], s[6:7]
	s_cbranch_execz .LBB50_28
; %bb.27:
	ds_read_u8 v23, v21 offset:4
	s_waitcnt lgkmcnt(0)
	v_xor_b32_e32 v24, 1, v23
.LBB50_28:
	s_or_b64 exec, exec, s[4:5]
	v_bfe_u32 v23, v3, 2, 1
	v_lshl_add_u32 v22, v22, 3, v15
	v_cmp_eq_u32_e64 s[4:5], v24, v23
	s_and_saveexec_b64 s[6:7], s[4:5]
	s_cbranch_execz .LBB50_30
; %bb.29:
	ds_read2_b64 v[24:27], v22 offset1:4
	ds_read_u8 v28, v21 offset:4
	ds_read_u8 v29, v21
	ds_write2_b32 v20, v1, v0 offset1:4
	s_waitcnt lgkmcnt(3)
	ds_write2_b64 v22, v[26:27], v[24:25] offset1:4
	s_waitcnt lgkmcnt(3)
	ds_write_b8 v21, v28
	s_waitcnt lgkmcnt(3)
	ds_write_b8 v21, v29 offset:4
.LBB50_30:
	s_or_b64 exec, exec, s[6:7]
	s_waitcnt lgkmcnt(0)
	s_barrier
	ds_read2_b32 v[0:1], v13 offset1:2
                                        ; implicit-def: $sgpr16
	s_waitcnt lgkmcnt(0)
	v_cmp_u_f32_e64 s[4:5], v1, v1
	v_cmp_o_f32_e64 s[6:7], v0, v0
	s_and_b64 s[6:7], s[4:5], s[6:7]
	v_cmp_lt_f32_e64 s[4:5], v0, v1
	s_or_b64 s[4:5], s[6:7], s[4:5]
	s_xor_b64 s[6:7], s[4:5], -1
	s_and_saveexec_b64 s[12:13], s[4:5]
	s_cbranch_execnz .LBB50_89
; %bb.31:
	s_or_b64 exec, exec, s[12:13]
	v_mov_b32_e32 v24, s16
	s_and_saveexec_b64 s[4:5], s[6:7]
	s_cbranch_execnz .LBB50_90
.LBB50_32:
	s_or_b64 exec, exec, s[4:5]
	v_cmp_eq_u32_e64 s[4:5], v24, v23
	s_and_saveexec_b64 s[6:7], s[4:5]
	s_cbranch_execz .LBB50_34
.LBB50_33:
	ds_read2_b64 v[24:27], v16 offset1:2
	ds_read_u8 v28, v14 offset:2
	ds_read_u8 v29, v14
	ds_write2_b32 v13, v1, v0 offset1:2
	s_waitcnt lgkmcnt(3)
	ds_write2_b64 v16, v[26:27], v[24:25] offset1:2
	s_waitcnt lgkmcnt(3)
	ds_write_b8 v14, v28
	s_waitcnt lgkmcnt(3)
	ds_write_b8 v14, v29 offset:2
.LBB50_34:
	s_or_b64 exec, exec, s[6:7]
	s_waitcnt lgkmcnt(0)
	s_barrier
	ds_read_b64 v[0:1], v11
                                        ; implicit-def: $sgpr16
	s_waitcnt lgkmcnt(0)
	v_cmp_u_f32_e64 s[4:5], v1, v1
	v_cmp_o_f32_e64 s[6:7], v0, v0
	s_and_b64 s[6:7], s[4:5], s[6:7]
	v_cmp_lt_f32_e64 s[4:5], v0, v1
	s_or_b64 s[4:5], s[6:7], s[4:5]
	s_xor_b64 s[6:7], s[4:5], -1
	s_and_saveexec_b64 s[12:13], s[4:5]
	s_cbranch_execnz .LBB50_91
; %bb.35:
	s_or_b64 exec, exec, s[12:13]
	v_mov_b32_e32 v24, s16
	s_and_saveexec_b64 s[4:5], s[6:7]
	s_cbranch_execnz .LBB50_92
.LBB50_36:
	s_or_b64 exec, exec, s[4:5]
	v_cmp_eq_u32_e64 s[4:5], v24, v23
	s_and_saveexec_b64 s[6:7], s[4:5]
	s_cbranch_execz .LBB50_38
.LBB50_37:
	v_add_u32_e32 v23, v8, v12
	ds_read_b128 v[24:27], v23
	v_mov_b32_e32 v29, v0
	ds_read_u16 v0, v10
	v_mov_b32_e32 v28, v1
	s_mov_b32 s4, 0xc0c0001
	ds_write_b64 v11, v[28:29]
	s_waitcnt lgkmcnt(2)
	v_mov_b32_e32 v28, v24
	v_mov_b32_e32 v29, v25
	s_waitcnt lgkmcnt(1)
	v_perm_b32 v0, 0, v0, s4
	ds_write_b128 v23, v[26:29]
	ds_write_b16 v10, v0
.LBB50_38:
	s_or_b64 exec, exec, s[6:7]
	v_and_b32_e32 v0, 7, v3
	v_sub_u32_e32 v25, v19, v0
	v_lshl_add_u32 v23, v25, 2, v18
	s_waitcnt lgkmcnt(0)
	s_barrier
	ds_read2_b32 v[0:1], v23 offset1:8
	v_add_u32_e32 v24, v17, v25
                                        ; implicit-def: $sgpr16
	s_waitcnt lgkmcnt(0)
	v_cmp_u_f32_e64 s[4:5], v1, v1
	v_cmp_o_f32_e64 s[6:7], v0, v0
	s_and_b64 s[6:7], s[4:5], s[6:7]
	v_cmp_lt_f32_e64 s[4:5], v0, v1
	s_or_b64 s[4:5], s[6:7], s[4:5]
	s_xor_b64 s[6:7], s[4:5], -1
	s_and_saveexec_b64 s[12:13], s[4:5]
	s_cbranch_execz .LBB50_40
; %bb.39:
	ds_read_u8 v26, v24
	s_andn2_b64 s[6:7], s[6:7], exec
	s_mov_b32 s16, 1
	s_waitcnt lgkmcnt(0)
	v_and_b32_e32 v26, 1, v26
	v_cmp_eq_u32_e64 s[4:5], 1, v26
	s_xor_b64 s[4:5], s[4:5], -1
	s_and_b64 s[4:5], s[4:5], exec
	s_or_b64 s[6:7], s[6:7], s[4:5]
.LBB50_40:
	s_or_b64 exec, exec, s[12:13]
	v_mov_b32_e32 v27, s16
	s_and_saveexec_b64 s[4:5], s[6:7]
	s_cbranch_execz .LBB50_42
; %bb.41:
	ds_read_u8 v26, v24 offset:8
	s_waitcnt lgkmcnt(0)
	v_xor_b32_e32 v27, 1, v26
.LBB50_42:
	s_or_b64 exec, exec, s[4:5]
	v_bfe_u32 v26, v3, 3, 1
	v_lshl_add_u32 v25, v25, 3, v15
	v_cmp_eq_u32_e64 s[4:5], v27, v26
	s_and_saveexec_b64 s[6:7], s[4:5]
	s_cbranch_execz .LBB50_44
; %bb.43:
	ds_read2_b64 v[28:31], v25 offset1:8
	ds_read_u8 v27, v24 offset:8
	ds_read_u8 v32, v24
	ds_write2_b32 v23, v1, v0 offset1:8
	s_waitcnt lgkmcnt(3)
	ds_write2_b64 v25, v[30:31], v[28:29] offset1:8
	s_waitcnt lgkmcnt(3)
	ds_write_b8 v24, v27
	s_waitcnt lgkmcnt(3)
	ds_write_b8 v24, v32 offset:8
.LBB50_44:
	s_or_b64 exec, exec, s[6:7]
	s_waitcnt lgkmcnt(0)
	s_barrier
	ds_read2_b32 v[0:1], v20 offset1:4
                                        ; implicit-def: $sgpr16
	s_waitcnt lgkmcnt(0)
	v_cmp_u_f32_e64 s[4:5], v1, v1
	v_cmp_o_f32_e64 s[6:7], v0, v0
	s_and_b64 s[6:7], s[4:5], s[6:7]
	v_cmp_lt_f32_e64 s[4:5], v0, v1
	s_or_b64 s[4:5], s[6:7], s[4:5]
	s_xor_b64 s[6:7], s[4:5], -1
	s_and_saveexec_b64 s[12:13], s[4:5]
	s_cbranch_execnz .LBB50_93
; %bb.45:
	s_or_b64 exec, exec, s[12:13]
	v_mov_b32_e32 v27, s16
	s_and_saveexec_b64 s[4:5], s[6:7]
	s_cbranch_execnz .LBB50_94
.LBB50_46:
	s_or_b64 exec, exec, s[4:5]
	v_cmp_eq_u32_e64 s[4:5], v27, v26
	s_and_saveexec_b64 s[6:7], s[4:5]
	s_cbranch_execz .LBB50_48
.LBB50_47:
	ds_read2_b64 v[28:31], v22 offset1:4
	ds_read_u8 v27, v21 offset:4
	ds_read_u8 v32, v21
	ds_write2_b32 v20, v1, v0 offset1:4
	s_waitcnt lgkmcnt(3)
	ds_write2_b64 v22, v[30:31], v[28:29] offset1:4
	s_waitcnt lgkmcnt(3)
	ds_write_b8 v21, v27
	s_waitcnt lgkmcnt(3)
	ds_write_b8 v21, v32 offset:4
.LBB50_48:
	s_or_b64 exec, exec, s[6:7]
	s_waitcnt lgkmcnt(0)
	s_barrier
	ds_read2_b32 v[0:1], v13 offset1:2
                                        ; implicit-def: $sgpr16
	s_waitcnt lgkmcnt(0)
	v_cmp_u_f32_e64 s[4:5], v1, v1
	v_cmp_o_f32_e64 s[6:7], v0, v0
	s_and_b64 s[6:7], s[4:5], s[6:7]
	v_cmp_lt_f32_e64 s[4:5], v0, v1
	s_or_b64 s[4:5], s[6:7], s[4:5]
	s_xor_b64 s[6:7], s[4:5], -1
	s_and_saveexec_b64 s[12:13], s[4:5]
	s_cbranch_execnz .LBB50_95
; %bb.49:
	s_or_b64 exec, exec, s[12:13]
	v_mov_b32_e32 v27, s16
	s_and_saveexec_b64 s[4:5], s[6:7]
	s_cbranch_execnz .LBB50_96
.LBB50_50:
	s_or_b64 exec, exec, s[4:5]
	v_cmp_eq_u32_e64 s[4:5], v27, v26
	s_and_saveexec_b64 s[6:7], s[4:5]
	s_cbranch_execz .LBB50_52
.LBB50_51:
	ds_read2_b64 v[28:31], v16 offset1:2
	ds_read_u8 v27, v14 offset:2
	ds_read_u8 v32, v14
	ds_write2_b32 v13, v1, v0 offset1:2
	s_waitcnt lgkmcnt(3)
	ds_write2_b64 v16, v[30:31], v[28:29] offset1:2
	s_waitcnt lgkmcnt(3)
	ds_write_b8 v14, v27
	s_waitcnt lgkmcnt(3)
	ds_write_b8 v14, v32 offset:2
.LBB50_52:
	s_or_b64 exec, exec, s[6:7]
	s_waitcnt lgkmcnt(0)
	s_barrier
	ds_read_b64 v[0:1], v11
                                        ; implicit-def: $sgpr16
	s_waitcnt lgkmcnt(0)
	v_cmp_u_f32_e64 s[4:5], v1, v1
	v_cmp_o_f32_e64 s[6:7], v0, v0
	s_and_b64 s[6:7], s[4:5], s[6:7]
	v_cmp_lt_f32_e64 s[4:5], v0, v1
	s_or_b64 s[4:5], s[6:7], s[4:5]
	s_xor_b64 s[6:7], s[4:5], -1
	s_and_saveexec_b64 s[12:13], s[4:5]
	s_cbranch_execnz .LBB50_97
; %bb.53:
	s_or_b64 exec, exec, s[12:13]
	v_mov_b32_e32 v27, s16
	s_and_saveexec_b64 s[4:5], s[6:7]
	s_cbranch_execnz .LBB50_98
.LBB50_54:
	s_or_b64 exec, exec, s[4:5]
	v_cmp_eq_u32_e64 s[4:5], v27, v26
	s_and_saveexec_b64 s[6:7], s[4:5]
	s_cbranch_execz .LBB50_56
.LBB50_55:
	v_add_u32_e32 v32, v8, v12
	ds_read_b128 v[26:29], v32
	v_mov_b32_e32 v31, v0
	ds_read_u16 v0, v10
	v_mov_b32_e32 v30, v1
	s_mov_b32 s4, 0xc0c0001
	ds_write_b64 v11, v[30:31]
	s_waitcnt lgkmcnt(2)
	v_mov_b32_e32 v30, v26
	v_mov_b32_e32 v31, v27
	s_waitcnt lgkmcnt(1)
	v_perm_b32 v0, 0, v0, s4
	ds_write_b128 v32, v[28:31]
	ds_write_b16 v10, v0
.LBB50_56:
	s_or_b64 exec, exec, s[6:7]
	v_and_b32_e32 v0, 15, v3
	v_sub_u32_e32 v19, v19, v0
	v_lshl_add_u32 v18, v19, 2, v18
	s_waitcnt lgkmcnt(0)
	s_barrier
	ds_read2_b32 v[0:1], v18 offset1:16
	v_add_u32_e32 v17, v17, v19
	s_waitcnt lgkmcnt(0)
	v_cmp_u_f32_e64 s[4:5], v1, v1
	v_cmp_o_f32_e64 s[6:7], v0, v0
	s_and_b64 s[6:7], s[4:5], s[6:7]
	v_cmp_lt_f32_e64 s[4:5], v0, v1
	s_or_b64 s[4:5], s[6:7], s[4:5]
	s_xor_b64 s[12:13], s[4:5], -1
	s_and_saveexec_b64 s[6:7], s[4:5]
	s_cbranch_execz .LBB50_58
; %bb.57:
	ds_read_u8 v26, v17
	s_andn2_b64 s[12:13], s[12:13], exec
	s_waitcnt lgkmcnt(0)
	v_and_b32_e32 v26, 1, v26
	v_cmp_eq_u32_e64 s[4:5], 1, v26
	s_xor_b64 s[4:5], s[4:5], -1
	s_and_b64 s[4:5], s[4:5], exec
	s_or_b64 s[12:13], s[12:13], s[4:5]
.LBB50_58:
	s_or_b64 exec, exec, s[6:7]
	s_and_saveexec_b64 s[6:7], s[12:13]
	s_cbranch_execz .LBB50_61
; %bb.59:
	ds_read_u8 v26, v17 offset:16
	s_waitcnt lgkmcnt(0)
	v_cmp_ne_u16_e64 s[4:5], 0, v26
	s_and_b64 exec, exec, s[4:5]
	s_cbranch_execz .LBB50_61
; %bb.60:
	v_lshl_add_u32 v15, v19, 3, v15
	ds_read2_b64 v[28:31], v15 offset1:16
	ds_read_u8 v19, v17
	ds_write2_b32 v18, v1, v0 offset1:16
	ds_write_b8 v17, v26
	s_waitcnt lgkmcnt(3)
	ds_write2_b64 v15, v[30:31], v[28:29] offset1:16
	s_waitcnt lgkmcnt(3)
	ds_write_b8 v17, v19 offset:16
.LBB50_61:
	s_or_b64 exec, exec, s[6:7]
	s_waitcnt lgkmcnt(0)
	s_barrier
	ds_read2_b32 v[0:1], v23 offset1:8
	s_waitcnt lgkmcnt(0)
	v_cmp_u_f32_e64 s[4:5], v1, v1
	v_cmp_o_f32_e64 s[6:7], v0, v0
	s_and_b64 s[6:7], s[4:5], s[6:7]
	v_cmp_lt_f32_e64 s[4:5], v0, v1
	s_or_b64 s[4:5], s[6:7], s[4:5]
	s_xor_b64 s[12:13], s[4:5], -1
	s_and_saveexec_b64 s[6:7], s[4:5]
	s_cbranch_execz .LBB50_63
; %bb.62:
	ds_read_u8 v15, v24
	s_andn2_b64 s[12:13], s[12:13], exec
	s_waitcnt lgkmcnt(0)
	v_and_b32_e32 v15, 1, v15
	v_cmp_eq_u32_e64 s[4:5], 1, v15
	s_xor_b64 s[4:5], s[4:5], -1
	s_and_b64 s[4:5], s[4:5], exec
	s_or_b64 s[12:13], s[12:13], s[4:5]
.LBB50_63:
	s_or_b64 exec, exec, s[6:7]
	s_and_saveexec_b64 s[6:7], s[12:13]
	s_cbranch_execz .LBB50_66
; %bb.64:
	ds_read_u8 v15, v24 offset:8
	s_waitcnt lgkmcnt(0)
	v_cmp_ne_u16_e64 s[4:5], 0, v15
	s_and_b64 exec, exec, s[4:5]
	s_cbranch_execz .LBB50_66
; %bb.65:
	ds_read2_b64 v[26:29], v25 offset1:8
	ds_read_u8 v17, v24
	ds_write2_b32 v23, v1, v0 offset1:8
	ds_write_b8 v24, v15
	s_waitcnt lgkmcnt(3)
	ds_write2_b64 v25, v[28:29], v[26:27] offset1:8
	s_waitcnt lgkmcnt(3)
	ds_write_b8 v24, v17 offset:8
.LBB50_66:
	s_or_b64 exec, exec, s[6:7]
	s_waitcnt lgkmcnt(0)
	s_barrier
	ds_read2_b32 v[0:1], v20 offset1:4
	s_waitcnt lgkmcnt(0)
	v_cmp_u_f32_e64 s[4:5], v1, v1
	v_cmp_o_f32_e64 s[6:7], v0, v0
	s_and_b64 s[6:7], s[4:5], s[6:7]
	v_cmp_lt_f32_e64 s[4:5], v0, v1
	s_or_b64 s[4:5], s[6:7], s[4:5]
	s_xor_b64 s[12:13], s[4:5], -1
	s_and_saveexec_b64 s[6:7], s[4:5]
	s_cbranch_execz .LBB50_68
; %bb.67:
	ds_read_u8 v15, v21
	s_andn2_b64 s[12:13], s[12:13], exec
	s_waitcnt lgkmcnt(0)
	v_and_b32_e32 v15, 1, v15
	v_cmp_eq_u32_e64 s[4:5], 1, v15
	s_xor_b64 s[4:5], s[4:5], -1
	s_and_b64 s[4:5], s[4:5], exec
	s_or_b64 s[12:13], s[12:13], s[4:5]
.LBB50_68:
	s_or_b64 exec, exec, s[6:7]
	s_and_saveexec_b64 s[6:7], s[12:13]
	s_cbranch_execz .LBB50_71
; %bb.69:
	ds_read_u8 v15, v21 offset:4
	s_waitcnt lgkmcnt(0)
	v_cmp_ne_u16_e64 s[4:5], 0, v15
	s_and_b64 exec, exec, s[4:5]
	s_cbranch_execz .LBB50_71
; %bb.70:
	ds_read2_b64 v[24:27], v22 offset1:4
	ds_read_u8 v17, v21
	ds_write2_b32 v20, v1, v0 offset1:4
	ds_write_b8 v21, v15
	s_waitcnt lgkmcnt(3)
	ds_write2_b64 v22, v[26:27], v[24:25] offset1:4
	s_waitcnt lgkmcnt(3)
	ds_write_b8 v21, v17 offset:4
.LBB50_71:
	;; [unrolled: 42-line block ×3, first 2 shown]
	s_or_b64 exec, exec, s[6:7]
	s_waitcnt lgkmcnt(0)
	s_barrier
	ds_read_b64 v[0:1], v11
	s_waitcnt lgkmcnt(0)
	v_cmp_u_f32_e64 s[4:5], v1, v1
	v_cmp_o_f32_e64 s[6:7], v0, v0
	s_and_b64 s[6:7], s[4:5], s[6:7]
	v_cmp_lt_f32_e64 s[4:5], v0, v1
	s_or_b64 s[4:5], s[6:7], s[4:5]
	s_xor_b64 s[12:13], s[4:5], -1
	s_and_saveexec_b64 s[6:7], s[4:5]
	s_cbranch_execz .LBB50_78
; %bb.77:
	ds_read_u8 v13, v10
	s_andn2_b64 s[12:13], s[12:13], exec
	s_waitcnt lgkmcnt(0)
	v_and_b32_e32 v13, 1, v13
	v_cmp_eq_u32_e64 s[4:5], 1, v13
	s_xor_b64 s[4:5], s[4:5], -1
	s_and_b64 s[4:5], s[4:5], exec
	s_or_b64 s[12:13], s[12:13], s[4:5]
.LBB50_78:
	s_or_b64 exec, exec, s[6:7]
	s_and_saveexec_b64 s[6:7], s[12:13]
	s_cbranch_execz .LBB50_81
; %bb.79:
	ds_read_u8 v13, v10 offset:1
	s_waitcnt lgkmcnt(0)
	v_cmp_ne_u16_e64 s[4:5], 0, v13
	s_and_b64 exec, exec, s[4:5]
	s_cbranch_execz .LBB50_81
; %bb.80:
	v_add_u32_e32 v12, v8, v12
	ds_read_b128 v[14:17], v12
	v_mov_b32_e32 v19, v0
	ds_read_u8 v0, v10
	v_mov_b32_e32 v18, v1
	ds_write_b64 v11, v[18:19]
	s_waitcnt lgkmcnt(2)
	v_mov_b32_e32 v18, v14
	v_mov_b32_e32 v19, v15
	s_waitcnt lgkmcnt(1)
	v_lshlrev_b16_e32 v0, 8, v0
	v_or_b32_e32 v0, v13, v0
	ds_write_b128 v12, v[16:19]
	ds_write_b16 v10, v0
.LBB50_81:
	s_or_b64 exec, exec, s[6:7]
	s_waitcnt lgkmcnt(0)
	s_barrier
	s_and_saveexec_b64 s[4:5], vcc
	s_cbranch_execz .LBB50_86
; %bb.82:
	s_and_saveexec_b64 s[4:5], s[0:1]
	s_cbranch_execz .LBB50_84
; %bb.83:
	ds_read_b32 v12, v9
	v_mad_u64_u32 v[0:1], s[0:1], v3, s14, v[4:5]
	v_mov_b32_e32 v1, 0
	v_lshlrev_b64 v[10:11], 2, v[0:1]
	v_mov_b32_e32 v0, s9
	v_add_co_u32_e32 v10, vcc, s8, v10
	v_addc_co_u32_e32 v11, vcc, v0, v11, vcc
	ds_read_b64 v[8:9], v8
	s_waitcnt lgkmcnt(1)
	global_store_dword v[10:11], v12, off
	v_mad_u64_u32 v[10:11], s[0:1], v3, s15, v[2:3]
	v_mov_b32_e32 v11, v1
	v_lshlrev_b64 v[0:1], 3, v[10:11]
	v_mov_b32_e32 v3, s11
	v_add_co_u32_e32 v0, vcc, s10, v0
	v_addc_co_u32_e32 v1, vcc, v3, v1, vcc
	s_waitcnt lgkmcnt(0)
	global_store_dwordx2 v[0:1], v[8:9], off
.LBB50_84:
	s_or_b64 exec, exec, s[4:5]
	s_and_b64 exec, exec, s[2:3]
	s_cbranch_execz .LBB50_86
; %bb.85:
	ds_read_b32 v3, v7
	v_mad_u64_u32 v[0:1], s[0:1], v5, s14, v[4:5]
	v_mov_b32_e32 v1, 0
	v_lshlrev_b64 v[8:9], 2, v[0:1]
	v_mov_b32_e32 v0, s9
	v_add_co_u32_e32 v8, vcc, s8, v8
	v_addc_co_u32_e32 v9, vcc, v0, v9, vcc
	ds_read_b64 v[6:7], v6
	s_waitcnt lgkmcnt(1)
	global_store_dword v[8:9], v3, off
	v_mad_u64_u32 v[2:3], s[0:1], v5, s15, v[2:3]
	v_mov_b32_e32 v3, v1
	v_lshlrev_b64 v[0:1], 3, v[2:3]
	v_mov_b32_e32 v2, s11
	v_add_co_u32_e32 v0, vcc, s10, v0
	v_addc_co_u32_e32 v1, vcc, v2, v1, vcc
	s_waitcnt lgkmcnt(0)
	global_store_dwordx2 v[0:1], v[6:7], off
.LBB50_86:
	s_endpgm
.LBB50_87:
	ds_read_u8 v21, v10
	s_andn2_b64 s[6:7], s[6:7], exec
	s_mov_b32 s16, 1
	s_waitcnt lgkmcnt(0)
	v_and_b32_e32 v21, 1, v21
	v_cmp_eq_u32_e64 s[4:5], 1, v21
	s_xor_b64 s[4:5], s[4:5], -1
	s_and_b64 s[4:5], s[4:5], exec
	s_or_b64 s[6:7], s[6:7], s[4:5]
	s_or_b64 exec, exec, s[12:13]
	v_mov_b32_e32 v21, s16
	s_and_saveexec_b64 s[4:5], s[6:7]
	s_cbranch_execz .LBB50_22
.LBB50_88:
	ds_read_u8 v21, v10 offset:1
	s_waitcnt lgkmcnt(0)
	v_xor_b32_e32 v21, 1, v21
	s_or_b64 exec, exec, s[4:5]
	v_cmp_eq_u32_e64 s[4:5], v21, v20
	s_and_saveexec_b64 s[6:7], s[4:5]
	s_cbranch_execnz .LBB50_23
	s_branch .LBB50_24
.LBB50_89:
	ds_read_u8 v24, v14
	s_andn2_b64 s[6:7], s[6:7], exec
	s_mov_b32 s16, 1
	s_waitcnt lgkmcnt(0)
	v_and_b32_e32 v24, 1, v24
	v_cmp_eq_u32_e64 s[4:5], 1, v24
	s_xor_b64 s[4:5], s[4:5], -1
	s_and_b64 s[4:5], s[4:5], exec
	s_or_b64 s[6:7], s[6:7], s[4:5]
	s_or_b64 exec, exec, s[12:13]
	v_mov_b32_e32 v24, s16
	s_and_saveexec_b64 s[4:5], s[6:7]
	s_cbranch_execz .LBB50_32
.LBB50_90:
	ds_read_u8 v24, v14 offset:2
	s_waitcnt lgkmcnt(0)
	v_xor_b32_e32 v24, 1, v24
	s_or_b64 exec, exec, s[4:5]
	v_cmp_eq_u32_e64 s[4:5], v24, v23
	s_and_saveexec_b64 s[6:7], s[4:5]
	s_cbranch_execnz .LBB50_33
	s_branch .LBB50_34
.LBB50_91:
	ds_read_u8 v24, v10
	s_andn2_b64 s[6:7], s[6:7], exec
	s_mov_b32 s16, 1
	s_waitcnt lgkmcnt(0)
	v_and_b32_e32 v24, 1, v24
	v_cmp_eq_u32_e64 s[4:5], 1, v24
	s_xor_b64 s[4:5], s[4:5], -1
	s_and_b64 s[4:5], s[4:5], exec
	s_or_b64 s[6:7], s[6:7], s[4:5]
	s_or_b64 exec, exec, s[12:13]
	v_mov_b32_e32 v24, s16
	s_and_saveexec_b64 s[4:5], s[6:7]
	s_cbranch_execz .LBB50_36
.LBB50_92:
	ds_read_u8 v24, v10 offset:1
	s_waitcnt lgkmcnt(0)
	v_xor_b32_e32 v24, 1, v24
	s_or_b64 exec, exec, s[4:5]
	v_cmp_eq_u32_e64 s[4:5], v24, v23
	s_and_saveexec_b64 s[6:7], s[4:5]
	s_cbranch_execnz .LBB50_37
	s_branch .LBB50_38
.LBB50_93:
	ds_read_u8 v27, v21
	s_andn2_b64 s[6:7], s[6:7], exec
	s_mov_b32 s16, 1
	s_waitcnt lgkmcnt(0)
	v_and_b32_e32 v27, 1, v27
	v_cmp_eq_u32_e64 s[4:5], 1, v27
	s_xor_b64 s[4:5], s[4:5], -1
	s_and_b64 s[4:5], s[4:5], exec
	s_or_b64 s[6:7], s[6:7], s[4:5]
	s_or_b64 exec, exec, s[12:13]
	v_mov_b32_e32 v27, s16
	s_and_saveexec_b64 s[4:5], s[6:7]
	s_cbranch_execz .LBB50_46
.LBB50_94:
	ds_read_u8 v27, v21 offset:4
	s_waitcnt lgkmcnt(0)
	v_xor_b32_e32 v27, 1, v27
	s_or_b64 exec, exec, s[4:5]
	v_cmp_eq_u32_e64 s[4:5], v27, v26
	s_and_saveexec_b64 s[6:7], s[4:5]
	s_cbranch_execnz .LBB50_47
	s_branch .LBB50_48
.LBB50_95:
	ds_read_u8 v27, v14
	s_andn2_b64 s[6:7], s[6:7], exec
	s_mov_b32 s16, 1
	s_waitcnt lgkmcnt(0)
	v_and_b32_e32 v27, 1, v27
	v_cmp_eq_u32_e64 s[4:5], 1, v27
	s_xor_b64 s[4:5], s[4:5], -1
	s_and_b64 s[4:5], s[4:5], exec
	s_or_b64 s[6:7], s[6:7], s[4:5]
	s_or_b64 exec, exec, s[12:13]
	v_mov_b32_e32 v27, s16
	s_and_saveexec_b64 s[4:5], s[6:7]
	s_cbranch_execz .LBB50_50
.LBB50_96:
	ds_read_u8 v27, v14 offset:2
	s_waitcnt lgkmcnt(0)
	v_xor_b32_e32 v27, 1, v27
	s_or_b64 exec, exec, s[4:5]
	v_cmp_eq_u32_e64 s[4:5], v27, v26
	s_and_saveexec_b64 s[6:7], s[4:5]
	s_cbranch_execnz .LBB50_51
	s_branch .LBB50_52
.LBB50_97:
	ds_read_u8 v27, v10
	s_andn2_b64 s[6:7], s[6:7], exec
	s_mov_b32 s16, 1
	s_waitcnt lgkmcnt(0)
	v_and_b32_e32 v27, 1, v27
	v_cmp_eq_u32_e64 s[4:5], 1, v27
	s_xor_b64 s[4:5], s[4:5], -1
	s_and_b64 s[4:5], s[4:5], exec
	s_or_b64 s[6:7], s[6:7], s[4:5]
	s_or_b64 exec, exec, s[12:13]
	v_mov_b32_e32 v27, s16
	s_and_saveexec_b64 s[4:5], s[6:7]
	s_cbranch_execz .LBB50_54
.LBB50_98:
	ds_read_u8 v27, v10 offset:1
	s_waitcnt lgkmcnt(0)
	v_xor_b32_e32 v27, 1, v27
	s_or_b64 exec, exec, s[4:5]
	v_cmp_eq_u32_e64 s[4:5], v27, v26
	s_and_saveexec_b64 s[6:7], s[4:5]
	s_cbranch_execnz .LBB50_55
	s_branch .LBB50_56
	.section	.rodata,"a",@progbits
	.p2align	6, 0x0
	.amdhsa_kernel _ZN2at6native20bitonicSortKVInPlaceILi2ELin1ELi16ELi16EflNS0_4LTOpIfLb1EEEjEEvNS_4cuda6detail10TensorInfoIT3_T6_EES8_S8_S8_NS6_IT4_S8_EES8_T5_
		.amdhsa_group_segment_fixed_size 6656
		.amdhsa_private_segment_fixed_size 0
		.amdhsa_kernarg_size 712
		.amdhsa_user_sgpr_count 6
		.amdhsa_user_sgpr_private_segment_buffer 1
		.amdhsa_user_sgpr_dispatch_ptr 0
		.amdhsa_user_sgpr_queue_ptr 0
		.amdhsa_user_sgpr_kernarg_segment_ptr 1
		.amdhsa_user_sgpr_dispatch_id 0
		.amdhsa_user_sgpr_flat_scratch_init 0
		.amdhsa_user_sgpr_kernarg_preload_length 0
		.amdhsa_user_sgpr_kernarg_preload_offset 0
		.amdhsa_user_sgpr_private_segment_size 0
		.amdhsa_uses_dynamic_stack 0
		.amdhsa_system_sgpr_private_segment_wavefront_offset 0
		.amdhsa_system_sgpr_workgroup_id_x 1
		.amdhsa_system_sgpr_workgroup_id_y 1
		.amdhsa_system_sgpr_workgroup_id_z 1
		.amdhsa_system_sgpr_workgroup_info 0
		.amdhsa_system_vgpr_workitem_id 1
		.amdhsa_next_free_vgpr 33
		.amdhsa_next_free_sgpr 20
		.amdhsa_accum_offset 36
		.amdhsa_reserve_vcc 1
		.amdhsa_reserve_flat_scratch 0
		.amdhsa_float_round_mode_32 0
		.amdhsa_float_round_mode_16_64 0
		.amdhsa_float_denorm_mode_32 3
		.amdhsa_float_denorm_mode_16_64 3
		.amdhsa_dx10_clamp 1
		.amdhsa_ieee_mode 1
		.amdhsa_fp16_overflow 0
		.amdhsa_tg_split 0
		.amdhsa_exception_fp_ieee_invalid_op 0
		.amdhsa_exception_fp_denorm_src 0
		.amdhsa_exception_fp_ieee_div_zero 0
		.amdhsa_exception_fp_ieee_overflow 0
		.amdhsa_exception_fp_ieee_underflow 0
		.amdhsa_exception_fp_ieee_inexact 0
		.amdhsa_exception_int_div_zero 0
	.end_amdhsa_kernel
	.section	.text._ZN2at6native20bitonicSortKVInPlaceILi2ELin1ELi16ELi16EflNS0_4LTOpIfLb1EEEjEEvNS_4cuda6detail10TensorInfoIT3_T6_EES8_S8_S8_NS6_IT4_S8_EES8_T5_,"axG",@progbits,_ZN2at6native20bitonicSortKVInPlaceILi2ELin1ELi16ELi16EflNS0_4LTOpIfLb1EEEjEEvNS_4cuda6detail10TensorInfoIT3_T6_EES8_S8_S8_NS6_IT4_S8_EES8_T5_,comdat
.Lfunc_end50:
	.size	_ZN2at6native20bitonicSortKVInPlaceILi2ELin1ELi16ELi16EflNS0_4LTOpIfLb1EEEjEEvNS_4cuda6detail10TensorInfoIT3_T6_EES8_S8_S8_NS6_IT4_S8_EES8_T5_, .Lfunc_end50-_ZN2at6native20bitonicSortKVInPlaceILi2ELin1ELi16ELi16EflNS0_4LTOpIfLb1EEEjEEvNS_4cuda6detail10TensorInfoIT3_T6_EES8_S8_S8_NS6_IT4_S8_EES8_T5_
                                        ; -- End function
	.section	.AMDGPU.csdata,"",@progbits
; Kernel info:
; codeLenInByte = 5044
; NumSgprs: 24
; NumVgprs: 33
; NumAgprs: 0
; TotalNumVgprs: 33
; ScratchSize: 0
; MemoryBound: 0
; FloatMode: 240
; IeeeMode: 1
; LDSByteSize: 6656 bytes/workgroup (compile time only)
; SGPRBlocks: 2
; VGPRBlocks: 4
; NumSGPRsForWavesPerEU: 24
; NumVGPRsForWavesPerEU: 33
; AccumOffset: 36
; Occupancy: 8
; WaveLimiterHint : 1
; COMPUTE_PGM_RSRC2:SCRATCH_EN: 0
; COMPUTE_PGM_RSRC2:USER_SGPR: 6
; COMPUTE_PGM_RSRC2:TRAP_HANDLER: 0
; COMPUTE_PGM_RSRC2:TGID_X_EN: 1
; COMPUTE_PGM_RSRC2:TGID_Y_EN: 1
; COMPUTE_PGM_RSRC2:TGID_Z_EN: 1
; COMPUTE_PGM_RSRC2:TIDIG_COMP_CNT: 1
; COMPUTE_PGM_RSRC3_GFX90A:ACCUM_OFFSET: 8
; COMPUTE_PGM_RSRC3_GFX90A:TG_SPLIT: 0
	.section	.text._ZN2at6native20bitonicSortKVInPlaceILi2ELin1ELi16ELi16EflNS0_4GTOpIfLb1EEEjEEvNS_4cuda6detail10TensorInfoIT3_T6_EES8_S8_S8_NS6_IT4_S8_EES8_T5_,"axG",@progbits,_ZN2at6native20bitonicSortKVInPlaceILi2ELin1ELi16ELi16EflNS0_4GTOpIfLb1EEEjEEvNS_4cuda6detail10TensorInfoIT3_T6_EES8_S8_S8_NS6_IT4_S8_EES8_T5_,comdat
	.protected	_ZN2at6native20bitonicSortKVInPlaceILi2ELin1ELi16ELi16EflNS0_4GTOpIfLb1EEEjEEvNS_4cuda6detail10TensorInfoIT3_T6_EES8_S8_S8_NS6_IT4_S8_EES8_T5_ ; -- Begin function _ZN2at6native20bitonicSortKVInPlaceILi2ELin1ELi16ELi16EflNS0_4GTOpIfLb1EEEjEEvNS_4cuda6detail10TensorInfoIT3_T6_EES8_S8_S8_NS6_IT4_S8_EES8_T5_
	.globl	_ZN2at6native20bitonicSortKVInPlaceILi2ELin1ELi16ELi16EflNS0_4GTOpIfLb1EEEjEEvNS_4cuda6detail10TensorInfoIT3_T6_EES8_S8_S8_NS6_IT4_S8_EES8_T5_
	.p2align	8
	.type	_ZN2at6native20bitonicSortKVInPlaceILi2ELin1ELi16ELi16EflNS0_4GTOpIfLb1EEEjEEvNS_4cuda6detail10TensorInfoIT3_T6_EES8_S8_S8_NS6_IT4_S8_EES8_T5_,@function
_ZN2at6native20bitonicSortKVInPlaceILi2ELin1ELi16ELi16EflNS0_4GTOpIfLb1EEEjEEvNS_4cuda6detail10TensorInfoIT3_T6_EES8_S8_S8_NS6_IT4_S8_EES8_T5_: ; @_ZN2at6native20bitonicSortKVInPlaceILi2ELin1ELi16ELi16EflNS0_4GTOpIfLb1EEEjEEvNS_4cuda6detail10TensorInfoIT3_T6_EES8_S8_S8_NS6_IT4_S8_EES8_T5_
; %bb.0:
	s_load_dwordx2 s[0:1], s[4:5], 0x1c8
	s_load_dwordx4 s[12:15], s[4:5], 0xd8
	s_load_dword s9, s[4:5], 0x1d4
	s_add_u32 s2, s4, 0x1c8
	s_addc_u32 s3, s5, 0
	s_waitcnt lgkmcnt(0)
	s_mul_i32 s1, s1, s8
	s_add_i32 s1, s1, s7
	s_mul_i32 s0, s1, s0
	s_add_i32 s0, s0, s6
	s_lshr_b32 s1, s9, 16
	s_mul_i32 s0, s0, s1
	s_cmp_ge_u32 s0, s12
	s_cbranch_scc1 .LBB51_86
; %bb.1:
	s_load_dword s15, s[4:5], 0xc
	s_load_dwordx2 s[6:7], s[4:5], 0x6c
	s_load_dword s17, s[4:5], 0x1b8
	s_add_u32 s10, s4, 0xe8
	v_bfe_u32 v8, v0, 10, 10
	s_waitcnt lgkmcnt(0)
	v_cvt_f32_u32_e32 v1, s15
	s_load_dwordx2 s[8:9], s[4:5], 0x0
	s_addc_u32 s11, s5, 0
	s_mov_b32 s1, 0
	v_rcp_iflag_f32_e32 v1, v1
	v_mov_b32_e32 v2, 0
	v_mul_f32_e32 v1, 0x4f7ffffe, v1
	v_cvt_u32_f32_e32 v3, v1
	v_add_u32_e32 v1, s0, v8
	s_sub_i32 s0, 0, s15
	s_cmp_lt_i32 s17, 2
	v_mul_lo_u32 v4, s0, v3
	v_mul_hi_u32 v4, v3, v4
	v_add_u32_e32 v3, v3, v4
	v_mad_u64_u32 v[4:5], s[18:19], v1, v3, 0
	v_mov_b32_e32 v6, v1
	s_cbranch_scc1 .LBB51_4
; %bb.2:
	s_add_i32 s0, s17, -1
	s_add_i32 s16, s17, 1
	s_lshl_b64 s[0:1], s[0:1], 2
	s_add_u32 s0, s0, s10
	s_addc_u32 s1, s1, s11
	s_add_u32 s0, s0, 8
	s_addc_u32 s1, s1, 0
	v_mov_b32_e32 v2, 0
	v_mov_b32_e32 v6, v1
.LBB51_3:                               ; =>This Inner Loop Header: Depth=1
	s_load_dword s17, s[0:1], 0x0
	s_load_dword s18, s[0:1], 0x64
	v_mov_b32_e32 v3, v6
	s_add_i32 s16, s16, -1
	s_waitcnt lgkmcnt(0)
	v_cvt_f32_u32_e32 v4, s17
	s_sub_i32 s19, 0, s17
	s_add_u32 s0, s0, -4
	s_addc_u32 s1, s1, -1
	v_rcp_iflag_f32_e32 v4, v4
	s_cmp_gt_u32 s16, 2
	v_mul_f32_e32 v4, 0x4f7ffffe, v4
	v_cvt_u32_f32_e32 v4, v4
	v_mul_lo_u32 v6, s19, v4
	v_mul_hi_u32 v6, v4, v6
	v_add_u32_e32 v4, v4, v6
	v_mul_hi_u32 v4, v3, v4
	v_mul_lo_u32 v6, v4, s17
	v_sub_u32_e32 v6, v3, v6
	v_add_u32_e32 v7, 1, v4
	v_cmp_le_u32_e32 vcc, s17, v6
	v_cndmask_b32_e32 v4, v4, v7, vcc
	v_subrev_u32_e32 v7, s17, v6
	v_cndmask_b32_e32 v6, v6, v7, vcc
	v_add_u32_e32 v7, 1, v4
	v_cmp_le_u32_e32 vcc, s17, v6
	v_cndmask_b32_e32 v6, v4, v7, vcc
	v_mul_lo_u32 v4, v6, s17
	v_sub_u32_e32 v3, v3, v4
	v_mad_u64_u32 v[2:3], s[18:19], s18, v3, v[2:3]
	s_cbranch_scc1 .LBB51_3
.LBB51_4:
	v_mul_lo_u32 v3, v5, s15
	v_sub_u32_e32 v3, v1, v3
	v_add_u32_e32 v4, 1, v5
	v_cmp_le_u32_e64 s[0:1], s15, v3
	v_cndmask_b32_e64 v4, v5, v4, s[0:1]
	v_subrev_u32_e32 v5, s15, v3
	v_cndmask_b32_e64 v3, v3, v5, s[0:1]
	v_add_u32_e32 v5, 1, v4
	v_cmp_le_u32_e64 s[0:1], s15, v3
	v_cndmask_b32_e64 v3, v4, v5, s[0:1]
	v_mul_lo_u32 v4, v3, s15
	v_cmp_gt_u32_e32 vcc, s12, v1
	v_sub_u32_e32 v1, v1, v4
	v_mul_lo_u32 v4, v1, s7
	s_load_dword s15, s[4:5], 0x1c0
	s_load_dword s7, s[10:11], 0x6c
	;; [unrolled: 1-line block ×3, first 2 shown]
	v_mad_u64_u32 v[4:5], s[0:1], v3, s6, v[4:5]
	s_load_dwordx2 s[10:11], s[10:11], 0x0
	s_waitcnt lgkmcnt(0)
	v_mad_u64_u32 v[2:3], s[0:1], s7, v6, v[2:3]
	v_and_b32_e32 v3, 0x3ff, v0
	v_cmp_gt_u32_e64 s[0:1], s13, v3
	v_pk_mov_b32 v[0:1], 0, 0
	s_and_b64 s[4:5], vcc, s[0:1]
	v_mov_b32_e32 v10, 0
	v_mov_b32_e32 v5, 0
	v_pk_mov_b32 v[6:7], v[0:1], v[0:1] op_sel:[0,1]
	s_and_saveexec_b64 s[6:7], s[4:5]
	s_cbranch_execz .LBB51_6
; %bb.5:
	v_mad_u64_u32 v[6:7], s[2:3], v3, s14, v[4:5]
	v_mov_b32_e32 v7, 0
	v_lshlrev_b64 v[12:13], 2, v[6:7]
	v_mov_b32_e32 v5, s9
	v_add_co_u32_e64 v12, s[2:3], s8, v12
	v_addc_co_u32_e64 v13, s[2:3], v5, v13, s[2:3]
	global_load_dword v5, v[12:13], off
	v_mad_u64_u32 v[12:13], s[2:3], v3, s15, v[2:3]
	v_mov_b32_e32 v13, v7
	v_lshlrev_b64 v[6:7], 3, v[12:13]
	v_mov_b32_e32 v9, s11
	v_add_co_u32_e64 v6, s[2:3], s10, v6
	v_addc_co_u32_e64 v7, s[2:3], v9, v7, s[2:3]
	global_load_dwordx2 v[6:7], v[6:7], off
.LBB51_6:
	s_or_b64 exec, exec, s[6:7]
	v_mov_b32_e32 v9, 0x1000
	v_lshl_add_u32 v18, v8, 7, v9
	v_mov_b32_e32 v9, 0x1800
	v_lshl_add_u32 v17, v8, 5, v9
	v_lshl_add_u32 v9, v3, 2, v18
	s_and_b32 s16, 0xffff, s12
	v_cndmask_b32_e64 v11, 0, 1, s[4:5]
	s_waitcnt vmcnt(1)
	ds_write_b32 v9, v5
	v_add_u32_e32 v5, v17, v3
	ds_write_b8 v5, v11
	v_add_u32_e32 v5, s16, v3
	v_lshlrev_b32_e32 v15, 8, v8
	v_cmp_gt_u32_e64 s[2:3], s13, v5
	v_lshl_add_u32 v8, v3, 3, v15
	s_and_b64 s[6:7], vcc, s[2:3]
	s_waitcnt vmcnt(0)
	ds_write_b64 v8, v[6:7]
	s_and_saveexec_b64 s[12:13], s[6:7]
	s_cbranch_execz .LBB51_8
; %bb.7:
	v_mad_u64_u32 v[0:1], s[4:5], v5, s14, v[4:5]
	v_mov_b32_e32 v1, 0
	v_lshlrev_b64 v[6:7], 2, v[0:1]
	v_mov_b32_e32 v0, s9
	v_add_co_u32_e64 v6, s[4:5], s8, v6
	v_addc_co_u32_e64 v7, s[4:5], v0, v7, s[4:5]
	global_load_dword v10, v[6:7], off
	v_mad_u64_u32 v[6:7], s[4:5], v5, s15, v[2:3]
	v_mov_b32_e32 v7, v1
	v_lshlrev_b64 v[0:1], 3, v[6:7]
	v_mov_b32_e32 v6, s11
	v_add_co_u32_e64 v0, s[4:5], s10, v0
	v_addc_co_u32_e64 v1, s[4:5], v6, v1, s[4:5]
	global_load_dwordx2 v[0:1], v[0:1], off
.LBB51_8:
	s_or_b64 exec, exec, s[12:13]
	v_lshl_add_u32 v6, s16, 3, v8
	v_cndmask_b32_e64 v11, 0, 1, s[6:7]
	s_waitcnt vmcnt(0)
	ds_write_b64 v6, v[0:1]
	v_add_u32_e32 v0, v17, v5
	ds_write_b8 v0, v11
	v_lshlrev_b32_e32 v0, 2, v3
	v_lshl_add_u32 v7, s16, 2, v9
	v_add_u32_e32 v11, v9, v0
	ds_write_b32 v7, v10
	s_waitcnt lgkmcnt(0)
	s_barrier
	ds_read_b64 v[0:1], v11
	v_lshlrev_b32_e32 v19, 1, v3
	s_mov_b32 s16, 1
	v_add_u32_e32 v10, v17, v19
	s_waitcnt lgkmcnt(0)
	v_cmp_u_f32_e64 s[4:5], v0, v0
	v_cmp_o_f32_e64 s[6:7], v1, v1
	s_and_b64 s[6:7], s[4:5], s[6:7]
	v_cmp_gt_f32_e64 s[4:5], v0, v1
	s_or_b64 s[4:5], s[6:7], s[4:5]
	s_xor_b64 s[6:7], s[4:5], -1
	s_and_saveexec_b64 s[12:13], s[4:5]
	s_xor_b64 s[12:13], exec, s[12:13]
	s_cbranch_execz .LBB51_10
; %bb.9:
	ds_read_u8 v12, v10
	s_andn2_b64 s[6:7], s[6:7], exec
	s_waitcnt lgkmcnt(0)
	v_and_b32_e32 v12, 1, v12
	v_cmp_eq_u32_e64 s[4:5], 1, v12
	s_xor_b64 s[4:5], s[4:5], -1
	s_and_b64 s[4:5], s[4:5], exec
	s_or_b64 s[6:7], s[6:7], s[4:5]
.LBB51_10:
	s_or_b64 exec, exec, s[12:13]
	v_mov_b32_e32 v14, s16
	s_and_saveexec_b64 s[4:5], s[6:7]
	s_cbranch_execz .LBB51_12
; %bb.11:
	ds_read_u8 v12, v10 offset:1
	s_waitcnt lgkmcnt(0)
	v_xor_b32_e32 v14, 1, v12
.LBB51_12:
	s_or_b64 exec, exec, s[4:5]
	v_and_b32_e32 v13, 1, v3
	v_lshlrev_b32_e32 v12, 3, v3
	v_cmp_eq_u32_e64 s[4:5], v14, v13
	s_and_saveexec_b64 s[6:7], s[4:5]
	s_cbranch_execz .LBB51_14
; %bb.13:
	v_add_u32_e32 v14, v8, v12
	ds_read_b128 v[20:23], v14
	v_mov_b32_e32 v25, v0
	ds_read_u16 v0, v10
	v_mov_b32_e32 v24, v1
	s_mov_b32 s4, 0xc0c0001
	ds_write_b64 v11, v[24:25]
	s_waitcnt lgkmcnt(2)
	v_mov_b32_e32 v24, v20
	v_mov_b32_e32 v25, v21
	s_waitcnt lgkmcnt(1)
	v_perm_b32 v0, 0, v0, s4
	ds_write_b128 v14, v[22:25]
	ds_write_b16 v10, v0
.LBB51_14:
	s_or_b64 exec, exec, s[6:7]
	v_sub_u32_e32 v16, v19, v13
	v_lshl_add_u32 v13, v16, 2, v18
	s_waitcnt lgkmcnt(0)
	s_barrier
	ds_read2_b32 v[0:1], v13 offset1:2
	v_add_u32_e32 v14, v17, v16
                                        ; implicit-def: $sgpr12
	s_waitcnt lgkmcnt(0)
	v_cmp_u_f32_e64 s[4:5], v0, v0
	v_cmp_o_f32_e64 s[6:7], v1, v1
	s_and_b64 s[6:7], s[4:5], s[6:7]
	v_cmp_gt_f32_e64 s[4:5], v0, v1
	s_or_b64 s[6:7], s[6:7], s[4:5]
	s_mov_b64 s[4:5], -1
	s_and_saveexec_b64 s[16:17], s[6:7]
	s_xor_b64 s[6:7], exec, s[16:17]
	s_cbranch_execz .LBB51_16
; %bb.15:
	ds_read_u8 v20, v14
	s_mov_b32 s12, 1
	s_waitcnt lgkmcnt(0)
	v_and_b32_e32 v20, 1, v20
	v_cmp_eq_u32_e64 s[4:5], 1, v20
	s_xor_b64 s[4:5], s[4:5], -1
	s_orn2_b64 s[4:5], s[4:5], exec
.LBB51_16:
	s_or_b64 exec, exec, s[6:7]
	v_mov_b32_e32 v21, s12
	s_and_saveexec_b64 s[6:7], s[4:5]
	s_cbranch_execz .LBB51_18
; %bb.17:
	ds_read_u8 v20, v14 offset:2
	s_waitcnt lgkmcnt(0)
	v_xor_b32_e32 v21, 1, v20
.LBB51_18:
	s_or_b64 exec, exec, s[6:7]
	v_bfe_u32 v20, v3, 1, 1
	v_lshl_add_u32 v16, v16, 3, v15
	v_cmp_eq_u32_e64 s[4:5], v21, v20
	s_and_saveexec_b64 s[6:7], s[4:5]
	s_cbranch_execz .LBB51_20
; %bb.19:
	ds_read2_b64 v[22:25], v16 offset1:2
	ds_read_u8 v21, v14 offset:2
	ds_read_u8 v26, v14
	ds_write2_b32 v13, v1, v0 offset1:2
	s_waitcnt lgkmcnt(3)
	ds_write2_b64 v16, v[24:25], v[22:23] offset1:2
	s_waitcnt lgkmcnt(3)
	ds_write_b8 v14, v21
	s_waitcnt lgkmcnt(3)
	ds_write_b8 v14, v26 offset:2
.LBB51_20:
	s_or_b64 exec, exec, s[6:7]
	s_waitcnt lgkmcnt(0)
	s_barrier
	ds_read_b64 v[0:1], v11
                                        ; implicit-def: $sgpr16
	s_waitcnt lgkmcnt(0)
	v_cmp_u_f32_e64 s[4:5], v0, v0
	v_cmp_o_f32_e64 s[6:7], v1, v1
	s_and_b64 s[6:7], s[4:5], s[6:7]
	v_cmp_gt_f32_e64 s[4:5], v0, v1
	s_or_b64 s[4:5], s[6:7], s[4:5]
	s_xor_b64 s[6:7], s[4:5], -1
	s_and_saveexec_b64 s[12:13], s[4:5]
	s_cbranch_execnz .LBB51_87
; %bb.21:
	s_or_b64 exec, exec, s[12:13]
	v_mov_b32_e32 v21, s16
	s_and_saveexec_b64 s[4:5], s[6:7]
	s_cbranch_execnz .LBB51_88
.LBB51_22:
	s_or_b64 exec, exec, s[4:5]
	v_cmp_eq_u32_e64 s[4:5], v21, v20
	s_and_saveexec_b64 s[6:7], s[4:5]
	s_cbranch_execz .LBB51_24
.LBB51_23:
	v_add_u32_e32 v26, v8, v12
	ds_read_b128 v[20:23], v26
	v_mov_b32_e32 v25, v0
	ds_read_u16 v0, v10
	v_mov_b32_e32 v24, v1
	s_mov_b32 s4, 0xc0c0001
	ds_write_b64 v11, v[24:25]
	s_waitcnt lgkmcnt(2)
	v_mov_b32_e32 v24, v20
	v_mov_b32_e32 v25, v21
	s_waitcnt lgkmcnt(1)
	v_perm_b32 v0, 0, v0, s4
	ds_write_b128 v26, v[22:25]
	ds_write_b16 v10, v0
.LBB51_24:
	s_or_b64 exec, exec, s[6:7]
	v_and_b32_e32 v0, 3, v3
	v_sub_u32_e32 v22, v19, v0
	v_lshl_add_u32 v20, v22, 2, v18
	s_waitcnt lgkmcnt(0)
	s_barrier
	ds_read2_b32 v[0:1], v20 offset1:4
	v_add_u32_e32 v21, v17, v22
                                        ; implicit-def: $sgpr16
	s_waitcnt lgkmcnt(0)
	v_cmp_u_f32_e64 s[4:5], v0, v0
	v_cmp_o_f32_e64 s[6:7], v1, v1
	s_and_b64 s[6:7], s[4:5], s[6:7]
	v_cmp_gt_f32_e64 s[4:5], v0, v1
	s_or_b64 s[4:5], s[6:7], s[4:5]
	s_xor_b64 s[6:7], s[4:5], -1
	s_and_saveexec_b64 s[12:13], s[4:5]
	s_cbranch_execz .LBB51_26
; %bb.25:
	ds_read_u8 v23, v21
	s_andn2_b64 s[6:7], s[6:7], exec
	s_mov_b32 s16, 1
	s_waitcnt lgkmcnt(0)
	v_and_b32_e32 v23, 1, v23
	v_cmp_eq_u32_e64 s[4:5], 1, v23
	s_xor_b64 s[4:5], s[4:5], -1
	s_and_b64 s[4:5], s[4:5], exec
	s_or_b64 s[6:7], s[6:7], s[4:5]
.LBB51_26:
	s_or_b64 exec, exec, s[12:13]
	v_mov_b32_e32 v24, s16
	s_and_saveexec_b64 s[4:5], s[6:7]
	s_cbranch_execz .LBB51_28
; %bb.27:
	ds_read_u8 v23, v21 offset:4
	s_waitcnt lgkmcnt(0)
	v_xor_b32_e32 v24, 1, v23
.LBB51_28:
	s_or_b64 exec, exec, s[4:5]
	v_bfe_u32 v23, v3, 2, 1
	v_lshl_add_u32 v22, v22, 3, v15
	v_cmp_eq_u32_e64 s[4:5], v24, v23
	s_and_saveexec_b64 s[6:7], s[4:5]
	s_cbranch_execz .LBB51_30
; %bb.29:
	ds_read2_b64 v[24:27], v22 offset1:4
	ds_read_u8 v28, v21 offset:4
	ds_read_u8 v29, v21
	ds_write2_b32 v20, v1, v0 offset1:4
	s_waitcnt lgkmcnt(3)
	ds_write2_b64 v22, v[26:27], v[24:25] offset1:4
	s_waitcnt lgkmcnt(3)
	ds_write_b8 v21, v28
	s_waitcnt lgkmcnt(3)
	ds_write_b8 v21, v29 offset:4
.LBB51_30:
	s_or_b64 exec, exec, s[6:7]
	s_waitcnt lgkmcnt(0)
	s_barrier
	ds_read2_b32 v[0:1], v13 offset1:2
                                        ; implicit-def: $sgpr16
	s_waitcnt lgkmcnt(0)
	v_cmp_u_f32_e64 s[4:5], v0, v0
	v_cmp_o_f32_e64 s[6:7], v1, v1
	s_and_b64 s[6:7], s[4:5], s[6:7]
	v_cmp_gt_f32_e64 s[4:5], v0, v1
	s_or_b64 s[4:5], s[6:7], s[4:5]
	s_xor_b64 s[6:7], s[4:5], -1
	s_and_saveexec_b64 s[12:13], s[4:5]
	s_cbranch_execnz .LBB51_89
; %bb.31:
	s_or_b64 exec, exec, s[12:13]
	v_mov_b32_e32 v24, s16
	s_and_saveexec_b64 s[4:5], s[6:7]
	s_cbranch_execnz .LBB51_90
.LBB51_32:
	s_or_b64 exec, exec, s[4:5]
	v_cmp_eq_u32_e64 s[4:5], v24, v23
	s_and_saveexec_b64 s[6:7], s[4:5]
	s_cbranch_execz .LBB51_34
.LBB51_33:
	ds_read2_b64 v[24:27], v16 offset1:2
	ds_read_u8 v28, v14 offset:2
	ds_read_u8 v29, v14
	ds_write2_b32 v13, v1, v0 offset1:2
	s_waitcnt lgkmcnt(3)
	ds_write2_b64 v16, v[26:27], v[24:25] offset1:2
	s_waitcnt lgkmcnt(3)
	ds_write_b8 v14, v28
	s_waitcnt lgkmcnt(3)
	ds_write_b8 v14, v29 offset:2
.LBB51_34:
	s_or_b64 exec, exec, s[6:7]
	s_waitcnt lgkmcnt(0)
	s_barrier
	ds_read_b64 v[0:1], v11
                                        ; implicit-def: $sgpr16
	s_waitcnt lgkmcnt(0)
	v_cmp_u_f32_e64 s[4:5], v0, v0
	v_cmp_o_f32_e64 s[6:7], v1, v1
	s_and_b64 s[6:7], s[4:5], s[6:7]
	v_cmp_gt_f32_e64 s[4:5], v0, v1
	s_or_b64 s[4:5], s[6:7], s[4:5]
	s_xor_b64 s[6:7], s[4:5], -1
	s_and_saveexec_b64 s[12:13], s[4:5]
	s_cbranch_execnz .LBB51_91
; %bb.35:
	s_or_b64 exec, exec, s[12:13]
	v_mov_b32_e32 v24, s16
	s_and_saveexec_b64 s[4:5], s[6:7]
	s_cbranch_execnz .LBB51_92
.LBB51_36:
	s_or_b64 exec, exec, s[4:5]
	v_cmp_eq_u32_e64 s[4:5], v24, v23
	s_and_saveexec_b64 s[6:7], s[4:5]
	s_cbranch_execz .LBB51_38
.LBB51_37:
	v_add_u32_e32 v23, v8, v12
	ds_read_b128 v[24:27], v23
	v_mov_b32_e32 v29, v0
	ds_read_u16 v0, v10
	v_mov_b32_e32 v28, v1
	s_mov_b32 s4, 0xc0c0001
	ds_write_b64 v11, v[28:29]
	s_waitcnt lgkmcnt(2)
	v_mov_b32_e32 v28, v24
	v_mov_b32_e32 v29, v25
	s_waitcnt lgkmcnt(1)
	v_perm_b32 v0, 0, v0, s4
	ds_write_b128 v23, v[26:29]
	ds_write_b16 v10, v0
.LBB51_38:
	s_or_b64 exec, exec, s[6:7]
	v_and_b32_e32 v0, 7, v3
	v_sub_u32_e32 v25, v19, v0
	v_lshl_add_u32 v23, v25, 2, v18
	s_waitcnt lgkmcnt(0)
	s_barrier
	ds_read2_b32 v[0:1], v23 offset1:8
	v_add_u32_e32 v24, v17, v25
                                        ; implicit-def: $sgpr16
	s_waitcnt lgkmcnt(0)
	v_cmp_u_f32_e64 s[4:5], v0, v0
	v_cmp_o_f32_e64 s[6:7], v1, v1
	s_and_b64 s[6:7], s[4:5], s[6:7]
	v_cmp_gt_f32_e64 s[4:5], v0, v1
	s_or_b64 s[4:5], s[6:7], s[4:5]
	s_xor_b64 s[6:7], s[4:5], -1
	s_and_saveexec_b64 s[12:13], s[4:5]
	s_cbranch_execz .LBB51_40
; %bb.39:
	ds_read_u8 v26, v24
	s_andn2_b64 s[6:7], s[6:7], exec
	s_mov_b32 s16, 1
	s_waitcnt lgkmcnt(0)
	v_and_b32_e32 v26, 1, v26
	v_cmp_eq_u32_e64 s[4:5], 1, v26
	s_xor_b64 s[4:5], s[4:5], -1
	s_and_b64 s[4:5], s[4:5], exec
	s_or_b64 s[6:7], s[6:7], s[4:5]
.LBB51_40:
	s_or_b64 exec, exec, s[12:13]
	v_mov_b32_e32 v27, s16
	s_and_saveexec_b64 s[4:5], s[6:7]
	s_cbranch_execz .LBB51_42
; %bb.41:
	ds_read_u8 v26, v24 offset:8
	s_waitcnt lgkmcnt(0)
	v_xor_b32_e32 v27, 1, v26
.LBB51_42:
	s_or_b64 exec, exec, s[4:5]
	v_bfe_u32 v26, v3, 3, 1
	v_lshl_add_u32 v25, v25, 3, v15
	v_cmp_eq_u32_e64 s[4:5], v27, v26
	s_and_saveexec_b64 s[6:7], s[4:5]
	s_cbranch_execz .LBB51_44
; %bb.43:
	ds_read2_b64 v[28:31], v25 offset1:8
	ds_read_u8 v27, v24 offset:8
	ds_read_u8 v32, v24
	ds_write2_b32 v23, v1, v0 offset1:8
	s_waitcnt lgkmcnt(3)
	ds_write2_b64 v25, v[30:31], v[28:29] offset1:8
	s_waitcnt lgkmcnt(3)
	ds_write_b8 v24, v27
	s_waitcnt lgkmcnt(3)
	ds_write_b8 v24, v32 offset:8
.LBB51_44:
	s_or_b64 exec, exec, s[6:7]
	s_waitcnt lgkmcnt(0)
	s_barrier
	ds_read2_b32 v[0:1], v20 offset1:4
                                        ; implicit-def: $sgpr16
	s_waitcnt lgkmcnt(0)
	v_cmp_u_f32_e64 s[4:5], v0, v0
	v_cmp_o_f32_e64 s[6:7], v1, v1
	s_and_b64 s[6:7], s[4:5], s[6:7]
	v_cmp_gt_f32_e64 s[4:5], v0, v1
	s_or_b64 s[4:5], s[6:7], s[4:5]
	s_xor_b64 s[6:7], s[4:5], -1
	s_and_saveexec_b64 s[12:13], s[4:5]
	s_cbranch_execnz .LBB51_93
; %bb.45:
	s_or_b64 exec, exec, s[12:13]
	v_mov_b32_e32 v27, s16
	s_and_saveexec_b64 s[4:5], s[6:7]
	s_cbranch_execnz .LBB51_94
.LBB51_46:
	s_or_b64 exec, exec, s[4:5]
	v_cmp_eq_u32_e64 s[4:5], v27, v26
	s_and_saveexec_b64 s[6:7], s[4:5]
	s_cbranch_execz .LBB51_48
.LBB51_47:
	ds_read2_b64 v[28:31], v22 offset1:4
	ds_read_u8 v27, v21 offset:4
	ds_read_u8 v32, v21
	ds_write2_b32 v20, v1, v0 offset1:4
	s_waitcnt lgkmcnt(3)
	ds_write2_b64 v22, v[30:31], v[28:29] offset1:4
	s_waitcnt lgkmcnt(3)
	ds_write_b8 v21, v27
	s_waitcnt lgkmcnt(3)
	ds_write_b8 v21, v32 offset:4
.LBB51_48:
	s_or_b64 exec, exec, s[6:7]
	s_waitcnt lgkmcnt(0)
	s_barrier
	ds_read2_b32 v[0:1], v13 offset1:2
                                        ; implicit-def: $sgpr16
	s_waitcnt lgkmcnt(0)
	v_cmp_u_f32_e64 s[4:5], v0, v0
	v_cmp_o_f32_e64 s[6:7], v1, v1
	s_and_b64 s[6:7], s[4:5], s[6:7]
	v_cmp_gt_f32_e64 s[4:5], v0, v1
	s_or_b64 s[4:5], s[6:7], s[4:5]
	s_xor_b64 s[6:7], s[4:5], -1
	s_and_saveexec_b64 s[12:13], s[4:5]
	s_cbranch_execnz .LBB51_95
; %bb.49:
	s_or_b64 exec, exec, s[12:13]
	v_mov_b32_e32 v27, s16
	s_and_saveexec_b64 s[4:5], s[6:7]
	s_cbranch_execnz .LBB51_96
.LBB51_50:
	s_or_b64 exec, exec, s[4:5]
	v_cmp_eq_u32_e64 s[4:5], v27, v26
	s_and_saveexec_b64 s[6:7], s[4:5]
	s_cbranch_execz .LBB51_52
.LBB51_51:
	ds_read2_b64 v[28:31], v16 offset1:2
	ds_read_u8 v27, v14 offset:2
	ds_read_u8 v32, v14
	ds_write2_b32 v13, v1, v0 offset1:2
	s_waitcnt lgkmcnt(3)
	ds_write2_b64 v16, v[30:31], v[28:29] offset1:2
	s_waitcnt lgkmcnt(3)
	ds_write_b8 v14, v27
	s_waitcnt lgkmcnt(3)
	ds_write_b8 v14, v32 offset:2
.LBB51_52:
	s_or_b64 exec, exec, s[6:7]
	s_waitcnt lgkmcnt(0)
	s_barrier
	ds_read_b64 v[0:1], v11
                                        ; implicit-def: $sgpr16
	s_waitcnt lgkmcnt(0)
	v_cmp_u_f32_e64 s[4:5], v0, v0
	v_cmp_o_f32_e64 s[6:7], v1, v1
	s_and_b64 s[6:7], s[4:5], s[6:7]
	v_cmp_gt_f32_e64 s[4:5], v0, v1
	s_or_b64 s[4:5], s[6:7], s[4:5]
	s_xor_b64 s[6:7], s[4:5], -1
	s_and_saveexec_b64 s[12:13], s[4:5]
	s_cbranch_execnz .LBB51_97
; %bb.53:
	s_or_b64 exec, exec, s[12:13]
	v_mov_b32_e32 v27, s16
	s_and_saveexec_b64 s[4:5], s[6:7]
	s_cbranch_execnz .LBB51_98
.LBB51_54:
	s_or_b64 exec, exec, s[4:5]
	v_cmp_eq_u32_e64 s[4:5], v27, v26
	s_and_saveexec_b64 s[6:7], s[4:5]
	s_cbranch_execz .LBB51_56
.LBB51_55:
	v_add_u32_e32 v32, v8, v12
	ds_read_b128 v[26:29], v32
	v_mov_b32_e32 v31, v0
	ds_read_u16 v0, v10
	v_mov_b32_e32 v30, v1
	s_mov_b32 s4, 0xc0c0001
	ds_write_b64 v11, v[30:31]
	s_waitcnt lgkmcnt(2)
	v_mov_b32_e32 v30, v26
	v_mov_b32_e32 v31, v27
	s_waitcnt lgkmcnt(1)
	v_perm_b32 v0, 0, v0, s4
	ds_write_b128 v32, v[28:31]
	ds_write_b16 v10, v0
.LBB51_56:
	s_or_b64 exec, exec, s[6:7]
	v_and_b32_e32 v0, 15, v3
	v_sub_u32_e32 v19, v19, v0
	v_lshl_add_u32 v18, v19, 2, v18
	s_waitcnt lgkmcnt(0)
	s_barrier
	ds_read2_b32 v[0:1], v18 offset1:16
	v_add_u32_e32 v17, v17, v19
	s_waitcnt lgkmcnt(0)
	v_cmp_u_f32_e64 s[4:5], v0, v0
	v_cmp_o_f32_e64 s[6:7], v1, v1
	s_and_b64 s[6:7], s[4:5], s[6:7]
	v_cmp_gt_f32_e64 s[4:5], v0, v1
	s_or_b64 s[4:5], s[6:7], s[4:5]
	s_xor_b64 s[12:13], s[4:5], -1
	s_and_saveexec_b64 s[6:7], s[4:5]
	s_cbranch_execz .LBB51_58
; %bb.57:
	ds_read_u8 v26, v17
	s_andn2_b64 s[12:13], s[12:13], exec
	s_waitcnt lgkmcnt(0)
	v_and_b32_e32 v26, 1, v26
	v_cmp_eq_u32_e64 s[4:5], 1, v26
	s_xor_b64 s[4:5], s[4:5], -1
	s_and_b64 s[4:5], s[4:5], exec
	s_or_b64 s[12:13], s[12:13], s[4:5]
.LBB51_58:
	s_or_b64 exec, exec, s[6:7]
	s_and_saveexec_b64 s[6:7], s[12:13]
	s_cbranch_execz .LBB51_61
; %bb.59:
	ds_read_u8 v26, v17 offset:16
	s_waitcnt lgkmcnt(0)
	v_cmp_ne_u16_e64 s[4:5], 0, v26
	s_and_b64 exec, exec, s[4:5]
	s_cbranch_execz .LBB51_61
; %bb.60:
	v_lshl_add_u32 v15, v19, 3, v15
	ds_read2_b64 v[28:31], v15 offset1:16
	ds_read_u8 v19, v17
	ds_write2_b32 v18, v1, v0 offset1:16
	ds_write_b8 v17, v26
	s_waitcnt lgkmcnt(3)
	ds_write2_b64 v15, v[30:31], v[28:29] offset1:16
	s_waitcnt lgkmcnt(3)
	ds_write_b8 v17, v19 offset:16
.LBB51_61:
	s_or_b64 exec, exec, s[6:7]
	s_waitcnt lgkmcnt(0)
	s_barrier
	ds_read2_b32 v[0:1], v23 offset1:8
	s_waitcnt lgkmcnt(0)
	v_cmp_u_f32_e64 s[4:5], v0, v0
	v_cmp_o_f32_e64 s[6:7], v1, v1
	s_and_b64 s[6:7], s[4:5], s[6:7]
	v_cmp_gt_f32_e64 s[4:5], v0, v1
	s_or_b64 s[4:5], s[6:7], s[4:5]
	s_xor_b64 s[12:13], s[4:5], -1
	s_and_saveexec_b64 s[6:7], s[4:5]
	s_cbranch_execz .LBB51_63
; %bb.62:
	ds_read_u8 v15, v24
	s_andn2_b64 s[12:13], s[12:13], exec
	s_waitcnt lgkmcnt(0)
	v_and_b32_e32 v15, 1, v15
	v_cmp_eq_u32_e64 s[4:5], 1, v15
	s_xor_b64 s[4:5], s[4:5], -1
	s_and_b64 s[4:5], s[4:5], exec
	s_or_b64 s[12:13], s[12:13], s[4:5]
.LBB51_63:
	s_or_b64 exec, exec, s[6:7]
	s_and_saveexec_b64 s[6:7], s[12:13]
	s_cbranch_execz .LBB51_66
; %bb.64:
	ds_read_u8 v15, v24 offset:8
	s_waitcnt lgkmcnt(0)
	v_cmp_ne_u16_e64 s[4:5], 0, v15
	s_and_b64 exec, exec, s[4:5]
	s_cbranch_execz .LBB51_66
; %bb.65:
	ds_read2_b64 v[26:29], v25 offset1:8
	ds_read_u8 v17, v24
	ds_write2_b32 v23, v1, v0 offset1:8
	ds_write_b8 v24, v15
	s_waitcnt lgkmcnt(3)
	ds_write2_b64 v25, v[28:29], v[26:27] offset1:8
	s_waitcnt lgkmcnt(3)
	ds_write_b8 v24, v17 offset:8
.LBB51_66:
	s_or_b64 exec, exec, s[6:7]
	s_waitcnt lgkmcnt(0)
	s_barrier
	ds_read2_b32 v[0:1], v20 offset1:4
	s_waitcnt lgkmcnt(0)
	v_cmp_u_f32_e64 s[4:5], v0, v0
	v_cmp_o_f32_e64 s[6:7], v1, v1
	s_and_b64 s[6:7], s[4:5], s[6:7]
	v_cmp_gt_f32_e64 s[4:5], v0, v1
	s_or_b64 s[4:5], s[6:7], s[4:5]
	s_xor_b64 s[12:13], s[4:5], -1
	s_and_saveexec_b64 s[6:7], s[4:5]
	s_cbranch_execz .LBB51_68
; %bb.67:
	ds_read_u8 v15, v21
	s_andn2_b64 s[12:13], s[12:13], exec
	s_waitcnt lgkmcnt(0)
	v_and_b32_e32 v15, 1, v15
	v_cmp_eq_u32_e64 s[4:5], 1, v15
	s_xor_b64 s[4:5], s[4:5], -1
	s_and_b64 s[4:5], s[4:5], exec
	s_or_b64 s[12:13], s[12:13], s[4:5]
.LBB51_68:
	s_or_b64 exec, exec, s[6:7]
	s_and_saveexec_b64 s[6:7], s[12:13]
	s_cbranch_execz .LBB51_71
; %bb.69:
	ds_read_u8 v15, v21 offset:4
	s_waitcnt lgkmcnt(0)
	v_cmp_ne_u16_e64 s[4:5], 0, v15
	s_and_b64 exec, exec, s[4:5]
	s_cbranch_execz .LBB51_71
; %bb.70:
	ds_read2_b64 v[24:27], v22 offset1:4
	ds_read_u8 v17, v21
	ds_write2_b32 v20, v1, v0 offset1:4
	ds_write_b8 v21, v15
	s_waitcnt lgkmcnt(3)
	ds_write2_b64 v22, v[26:27], v[24:25] offset1:4
	s_waitcnt lgkmcnt(3)
	ds_write_b8 v21, v17 offset:4
.LBB51_71:
	;; [unrolled: 42-line block ×3, first 2 shown]
	s_or_b64 exec, exec, s[6:7]
	s_waitcnt lgkmcnt(0)
	s_barrier
	ds_read_b64 v[0:1], v11
	s_waitcnt lgkmcnt(0)
	v_cmp_u_f32_e64 s[4:5], v0, v0
	v_cmp_o_f32_e64 s[6:7], v1, v1
	s_and_b64 s[6:7], s[4:5], s[6:7]
	v_cmp_gt_f32_e64 s[4:5], v0, v1
	s_or_b64 s[4:5], s[6:7], s[4:5]
	s_xor_b64 s[12:13], s[4:5], -1
	s_and_saveexec_b64 s[6:7], s[4:5]
	s_cbranch_execz .LBB51_78
; %bb.77:
	ds_read_u8 v13, v10
	s_andn2_b64 s[12:13], s[12:13], exec
	s_waitcnt lgkmcnt(0)
	v_and_b32_e32 v13, 1, v13
	v_cmp_eq_u32_e64 s[4:5], 1, v13
	s_xor_b64 s[4:5], s[4:5], -1
	s_and_b64 s[4:5], s[4:5], exec
	s_or_b64 s[12:13], s[12:13], s[4:5]
.LBB51_78:
	s_or_b64 exec, exec, s[6:7]
	s_and_saveexec_b64 s[6:7], s[12:13]
	s_cbranch_execz .LBB51_81
; %bb.79:
	ds_read_u8 v13, v10 offset:1
	s_waitcnt lgkmcnt(0)
	v_cmp_ne_u16_e64 s[4:5], 0, v13
	s_and_b64 exec, exec, s[4:5]
	s_cbranch_execz .LBB51_81
; %bb.80:
	v_add_u32_e32 v12, v8, v12
	ds_read_b128 v[14:17], v12
	v_mov_b32_e32 v19, v0
	ds_read_u8 v0, v10
	v_mov_b32_e32 v18, v1
	ds_write_b64 v11, v[18:19]
	s_waitcnt lgkmcnt(2)
	v_mov_b32_e32 v18, v14
	v_mov_b32_e32 v19, v15
	s_waitcnt lgkmcnt(1)
	v_lshlrev_b16_e32 v0, 8, v0
	v_or_b32_e32 v0, v13, v0
	ds_write_b128 v12, v[16:19]
	ds_write_b16 v10, v0
.LBB51_81:
	s_or_b64 exec, exec, s[6:7]
	s_waitcnt lgkmcnt(0)
	s_barrier
	s_and_saveexec_b64 s[4:5], vcc
	s_cbranch_execz .LBB51_86
; %bb.82:
	s_and_saveexec_b64 s[4:5], s[0:1]
	s_cbranch_execz .LBB51_84
; %bb.83:
	ds_read_b32 v12, v9
	v_mad_u64_u32 v[0:1], s[0:1], v3, s14, v[4:5]
	v_mov_b32_e32 v1, 0
	v_lshlrev_b64 v[10:11], 2, v[0:1]
	v_mov_b32_e32 v0, s9
	v_add_co_u32_e32 v10, vcc, s8, v10
	v_addc_co_u32_e32 v11, vcc, v0, v11, vcc
	ds_read_b64 v[8:9], v8
	s_waitcnt lgkmcnt(1)
	global_store_dword v[10:11], v12, off
	v_mad_u64_u32 v[10:11], s[0:1], v3, s15, v[2:3]
	v_mov_b32_e32 v11, v1
	v_lshlrev_b64 v[0:1], 3, v[10:11]
	v_mov_b32_e32 v3, s11
	v_add_co_u32_e32 v0, vcc, s10, v0
	v_addc_co_u32_e32 v1, vcc, v3, v1, vcc
	s_waitcnt lgkmcnt(0)
	global_store_dwordx2 v[0:1], v[8:9], off
.LBB51_84:
	s_or_b64 exec, exec, s[4:5]
	s_and_b64 exec, exec, s[2:3]
	s_cbranch_execz .LBB51_86
; %bb.85:
	ds_read_b32 v3, v7
	v_mad_u64_u32 v[0:1], s[0:1], v5, s14, v[4:5]
	v_mov_b32_e32 v1, 0
	v_lshlrev_b64 v[8:9], 2, v[0:1]
	v_mov_b32_e32 v0, s9
	v_add_co_u32_e32 v8, vcc, s8, v8
	v_addc_co_u32_e32 v9, vcc, v0, v9, vcc
	ds_read_b64 v[6:7], v6
	s_waitcnt lgkmcnt(1)
	global_store_dword v[8:9], v3, off
	v_mad_u64_u32 v[2:3], s[0:1], v5, s15, v[2:3]
	v_mov_b32_e32 v3, v1
	v_lshlrev_b64 v[0:1], 3, v[2:3]
	v_mov_b32_e32 v2, s11
	v_add_co_u32_e32 v0, vcc, s10, v0
	v_addc_co_u32_e32 v1, vcc, v2, v1, vcc
	s_waitcnt lgkmcnt(0)
	global_store_dwordx2 v[0:1], v[6:7], off
.LBB51_86:
	s_endpgm
.LBB51_87:
	ds_read_u8 v21, v10
	s_andn2_b64 s[6:7], s[6:7], exec
	s_mov_b32 s16, 1
	s_waitcnt lgkmcnt(0)
	v_and_b32_e32 v21, 1, v21
	v_cmp_eq_u32_e64 s[4:5], 1, v21
	s_xor_b64 s[4:5], s[4:5], -1
	s_and_b64 s[4:5], s[4:5], exec
	s_or_b64 s[6:7], s[6:7], s[4:5]
	s_or_b64 exec, exec, s[12:13]
	v_mov_b32_e32 v21, s16
	s_and_saveexec_b64 s[4:5], s[6:7]
	s_cbranch_execz .LBB51_22
.LBB51_88:
	ds_read_u8 v21, v10 offset:1
	s_waitcnt lgkmcnt(0)
	v_xor_b32_e32 v21, 1, v21
	s_or_b64 exec, exec, s[4:5]
	v_cmp_eq_u32_e64 s[4:5], v21, v20
	s_and_saveexec_b64 s[6:7], s[4:5]
	s_cbranch_execnz .LBB51_23
	s_branch .LBB51_24
.LBB51_89:
	ds_read_u8 v24, v14
	s_andn2_b64 s[6:7], s[6:7], exec
	s_mov_b32 s16, 1
	s_waitcnt lgkmcnt(0)
	v_and_b32_e32 v24, 1, v24
	v_cmp_eq_u32_e64 s[4:5], 1, v24
	s_xor_b64 s[4:5], s[4:5], -1
	s_and_b64 s[4:5], s[4:5], exec
	s_or_b64 s[6:7], s[6:7], s[4:5]
	s_or_b64 exec, exec, s[12:13]
	v_mov_b32_e32 v24, s16
	s_and_saveexec_b64 s[4:5], s[6:7]
	s_cbranch_execz .LBB51_32
.LBB51_90:
	ds_read_u8 v24, v14 offset:2
	s_waitcnt lgkmcnt(0)
	v_xor_b32_e32 v24, 1, v24
	s_or_b64 exec, exec, s[4:5]
	v_cmp_eq_u32_e64 s[4:5], v24, v23
	s_and_saveexec_b64 s[6:7], s[4:5]
	s_cbranch_execnz .LBB51_33
	s_branch .LBB51_34
.LBB51_91:
	ds_read_u8 v24, v10
	s_andn2_b64 s[6:7], s[6:7], exec
	s_mov_b32 s16, 1
	s_waitcnt lgkmcnt(0)
	v_and_b32_e32 v24, 1, v24
	v_cmp_eq_u32_e64 s[4:5], 1, v24
	s_xor_b64 s[4:5], s[4:5], -1
	s_and_b64 s[4:5], s[4:5], exec
	s_or_b64 s[6:7], s[6:7], s[4:5]
	s_or_b64 exec, exec, s[12:13]
	v_mov_b32_e32 v24, s16
	s_and_saveexec_b64 s[4:5], s[6:7]
	s_cbranch_execz .LBB51_36
.LBB51_92:
	ds_read_u8 v24, v10 offset:1
	s_waitcnt lgkmcnt(0)
	v_xor_b32_e32 v24, 1, v24
	s_or_b64 exec, exec, s[4:5]
	v_cmp_eq_u32_e64 s[4:5], v24, v23
	s_and_saveexec_b64 s[6:7], s[4:5]
	s_cbranch_execnz .LBB51_37
	s_branch .LBB51_38
.LBB51_93:
	ds_read_u8 v27, v21
	s_andn2_b64 s[6:7], s[6:7], exec
	s_mov_b32 s16, 1
	s_waitcnt lgkmcnt(0)
	v_and_b32_e32 v27, 1, v27
	v_cmp_eq_u32_e64 s[4:5], 1, v27
	s_xor_b64 s[4:5], s[4:5], -1
	s_and_b64 s[4:5], s[4:5], exec
	s_or_b64 s[6:7], s[6:7], s[4:5]
	s_or_b64 exec, exec, s[12:13]
	v_mov_b32_e32 v27, s16
	s_and_saveexec_b64 s[4:5], s[6:7]
	s_cbranch_execz .LBB51_46
.LBB51_94:
	ds_read_u8 v27, v21 offset:4
	s_waitcnt lgkmcnt(0)
	v_xor_b32_e32 v27, 1, v27
	s_or_b64 exec, exec, s[4:5]
	v_cmp_eq_u32_e64 s[4:5], v27, v26
	s_and_saveexec_b64 s[6:7], s[4:5]
	s_cbranch_execnz .LBB51_47
	s_branch .LBB51_48
.LBB51_95:
	ds_read_u8 v27, v14
	s_andn2_b64 s[6:7], s[6:7], exec
	s_mov_b32 s16, 1
	s_waitcnt lgkmcnt(0)
	v_and_b32_e32 v27, 1, v27
	v_cmp_eq_u32_e64 s[4:5], 1, v27
	s_xor_b64 s[4:5], s[4:5], -1
	s_and_b64 s[4:5], s[4:5], exec
	s_or_b64 s[6:7], s[6:7], s[4:5]
	s_or_b64 exec, exec, s[12:13]
	v_mov_b32_e32 v27, s16
	s_and_saveexec_b64 s[4:5], s[6:7]
	s_cbranch_execz .LBB51_50
.LBB51_96:
	ds_read_u8 v27, v14 offset:2
	s_waitcnt lgkmcnt(0)
	v_xor_b32_e32 v27, 1, v27
	s_or_b64 exec, exec, s[4:5]
	v_cmp_eq_u32_e64 s[4:5], v27, v26
	s_and_saveexec_b64 s[6:7], s[4:5]
	s_cbranch_execnz .LBB51_51
	s_branch .LBB51_52
.LBB51_97:
	ds_read_u8 v27, v10
	s_andn2_b64 s[6:7], s[6:7], exec
	s_mov_b32 s16, 1
	s_waitcnt lgkmcnt(0)
	v_and_b32_e32 v27, 1, v27
	v_cmp_eq_u32_e64 s[4:5], 1, v27
	s_xor_b64 s[4:5], s[4:5], -1
	s_and_b64 s[4:5], s[4:5], exec
	s_or_b64 s[6:7], s[6:7], s[4:5]
	s_or_b64 exec, exec, s[12:13]
	v_mov_b32_e32 v27, s16
	s_and_saveexec_b64 s[4:5], s[6:7]
	s_cbranch_execz .LBB51_54
.LBB51_98:
	ds_read_u8 v27, v10 offset:1
	s_waitcnt lgkmcnt(0)
	v_xor_b32_e32 v27, 1, v27
	s_or_b64 exec, exec, s[4:5]
	v_cmp_eq_u32_e64 s[4:5], v27, v26
	s_and_saveexec_b64 s[6:7], s[4:5]
	s_cbranch_execnz .LBB51_55
	s_branch .LBB51_56
	.section	.rodata,"a",@progbits
	.p2align	6, 0x0
	.amdhsa_kernel _ZN2at6native20bitonicSortKVInPlaceILi2ELin1ELi16ELi16EflNS0_4GTOpIfLb1EEEjEEvNS_4cuda6detail10TensorInfoIT3_T6_EES8_S8_S8_NS6_IT4_S8_EES8_T5_
		.amdhsa_group_segment_fixed_size 6656
		.amdhsa_private_segment_fixed_size 0
		.amdhsa_kernarg_size 712
		.amdhsa_user_sgpr_count 6
		.amdhsa_user_sgpr_private_segment_buffer 1
		.amdhsa_user_sgpr_dispatch_ptr 0
		.amdhsa_user_sgpr_queue_ptr 0
		.amdhsa_user_sgpr_kernarg_segment_ptr 1
		.amdhsa_user_sgpr_dispatch_id 0
		.amdhsa_user_sgpr_flat_scratch_init 0
		.amdhsa_user_sgpr_kernarg_preload_length 0
		.amdhsa_user_sgpr_kernarg_preload_offset 0
		.amdhsa_user_sgpr_private_segment_size 0
		.amdhsa_uses_dynamic_stack 0
		.amdhsa_system_sgpr_private_segment_wavefront_offset 0
		.amdhsa_system_sgpr_workgroup_id_x 1
		.amdhsa_system_sgpr_workgroup_id_y 1
		.amdhsa_system_sgpr_workgroup_id_z 1
		.amdhsa_system_sgpr_workgroup_info 0
		.amdhsa_system_vgpr_workitem_id 1
		.amdhsa_next_free_vgpr 33
		.amdhsa_next_free_sgpr 20
		.amdhsa_accum_offset 36
		.amdhsa_reserve_vcc 1
		.amdhsa_reserve_flat_scratch 0
		.amdhsa_float_round_mode_32 0
		.amdhsa_float_round_mode_16_64 0
		.amdhsa_float_denorm_mode_32 3
		.amdhsa_float_denorm_mode_16_64 3
		.amdhsa_dx10_clamp 1
		.amdhsa_ieee_mode 1
		.amdhsa_fp16_overflow 0
		.amdhsa_tg_split 0
		.amdhsa_exception_fp_ieee_invalid_op 0
		.amdhsa_exception_fp_denorm_src 0
		.amdhsa_exception_fp_ieee_div_zero 0
		.amdhsa_exception_fp_ieee_overflow 0
		.amdhsa_exception_fp_ieee_underflow 0
		.amdhsa_exception_fp_ieee_inexact 0
		.amdhsa_exception_int_div_zero 0
	.end_amdhsa_kernel
	.section	.text._ZN2at6native20bitonicSortKVInPlaceILi2ELin1ELi16ELi16EflNS0_4GTOpIfLb1EEEjEEvNS_4cuda6detail10TensorInfoIT3_T6_EES8_S8_S8_NS6_IT4_S8_EES8_T5_,"axG",@progbits,_ZN2at6native20bitonicSortKVInPlaceILi2ELin1ELi16ELi16EflNS0_4GTOpIfLb1EEEjEEvNS_4cuda6detail10TensorInfoIT3_T6_EES8_S8_S8_NS6_IT4_S8_EES8_T5_,comdat
.Lfunc_end51:
	.size	_ZN2at6native20bitonicSortKVInPlaceILi2ELin1ELi16ELi16EflNS0_4GTOpIfLb1EEEjEEvNS_4cuda6detail10TensorInfoIT3_T6_EES8_S8_S8_NS6_IT4_S8_EES8_T5_, .Lfunc_end51-_ZN2at6native20bitonicSortKVInPlaceILi2ELin1ELi16ELi16EflNS0_4GTOpIfLb1EEEjEEvNS_4cuda6detail10TensorInfoIT3_T6_EES8_S8_S8_NS6_IT4_S8_EES8_T5_
                                        ; -- End function
	.section	.AMDGPU.csdata,"",@progbits
; Kernel info:
; codeLenInByte = 5044
; NumSgprs: 24
; NumVgprs: 33
; NumAgprs: 0
; TotalNumVgprs: 33
; ScratchSize: 0
; MemoryBound: 0
; FloatMode: 240
; IeeeMode: 1
; LDSByteSize: 6656 bytes/workgroup (compile time only)
; SGPRBlocks: 2
; VGPRBlocks: 4
; NumSGPRsForWavesPerEU: 24
; NumVGPRsForWavesPerEU: 33
; AccumOffset: 36
; Occupancy: 8
; WaveLimiterHint : 1
; COMPUTE_PGM_RSRC2:SCRATCH_EN: 0
; COMPUTE_PGM_RSRC2:USER_SGPR: 6
; COMPUTE_PGM_RSRC2:TRAP_HANDLER: 0
; COMPUTE_PGM_RSRC2:TGID_X_EN: 1
; COMPUTE_PGM_RSRC2:TGID_Y_EN: 1
; COMPUTE_PGM_RSRC2:TGID_Z_EN: 1
; COMPUTE_PGM_RSRC2:TIDIG_COMP_CNT: 1
; COMPUTE_PGM_RSRC3_GFX90A:ACCUM_OFFSET: 8
; COMPUTE_PGM_RSRC3_GFX90A:TG_SPLIT: 0
	.section	.text._ZN2at6native20bitonicSortKVInPlaceILin1ELin1ELi16ELi16EflNS0_4LTOpIfLb1EEEjEEvNS_4cuda6detail10TensorInfoIT3_T6_EES8_S8_S8_NS6_IT4_S8_EES8_T5_,"axG",@progbits,_ZN2at6native20bitonicSortKVInPlaceILin1ELin1ELi16ELi16EflNS0_4LTOpIfLb1EEEjEEvNS_4cuda6detail10TensorInfoIT3_T6_EES8_S8_S8_NS6_IT4_S8_EES8_T5_,comdat
	.protected	_ZN2at6native20bitonicSortKVInPlaceILin1ELin1ELi16ELi16EflNS0_4LTOpIfLb1EEEjEEvNS_4cuda6detail10TensorInfoIT3_T6_EES8_S8_S8_NS6_IT4_S8_EES8_T5_ ; -- Begin function _ZN2at6native20bitonicSortKVInPlaceILin1ELin1ELi16ELi16EflNS0_4LTOpIfLb1EEEjEEvNS_4cuda6detail10TensorInfoIT3_T6_EES8_S8_S8_NS6_IT4_S8_EES8_T5_
	.globl	_ZN2at6native20bitonicSortKVInPlaceILin1ELin1ELi16ELi16EflNS0_4LTOpIfLb1EEEjEEvNS_4cuda6detail10TensorInfoIT3_T6_EES8_S8_S8_NS6_IT4_S8_EES8_T5_
	.p2align	8
	.type	_ZN2at6native20bitonicSortKVInPlaceILin1ELin1ELi16ELi16EflNS0_4LTOpIfLb1EEEjEEvNS_4cuda6detail10TensorInfoIT3_T6_EES8_S8_S8_NS6_IT4_S8_EES8_T5_,@function
_ZN2at6native20bitonicSortKVInPlaceILin1ELin1ELi16ELi16EflNS0_4LTOpIfLb1EEEjEEvNS_4cuda6detail10TensorInfoIT3_T6_EES8_S8_S8_NS6_IT4_S8_EES8_T5_: ; @_ZN2at6native20bitonicSortKVInPlaceILin1ELin1ELi16ELi16EflNS0_4LTOpIfLb1EEEjEEvNS_4cuda6detail10TensorInfoIT3_T6_EES8_S8_S8_NS6_IT4_S8_EES8_T5_
; %bb.0:
	s_load_dwordx2 s[2:3], s[4:5], 0x1c8
	s_load_dwordx4 s[12:15], s[4:5], 0xd8
	s_load_dword s9, s[4:5], 0x1d4
	s_add_u32 s0, s4, 0x1c8
	s_addc_u32 s1, s5, 0
	s_waitcnt lgkmcnt(0)
	s_mul_i32 s3, s3, s8
	s_add_i32 s3, s3, s7
	s_mul_i32 s2, s3, s2
	s_add_i32 s3, s2, s6
	s_lshr_b32 s2, s9, 16
	s_mul_i32 s3, s3, s2
	s_cmp_ge_u32 s3, s12
	s_cbranch_scc1 .LBB52_89
; %bb.1:
	s_load_dword s2, s[4:5], 0xd0
	v_bfe_u32 v8, v0, 10, 10
	v_add_u32_e32 v1, s3, v8
	v_mov_b32_e32 v2, 0
	v_mov_b32_e32 v4, v1
	s_waitcnt lgkmcnt(0)
	s_cmp_lt_i32 s2, 2
	s_cbranch_scc1 .LBB52_4
; %bb.2:
	s_add_i32 s6, s2, 1
	s_add_i32 s2, s2, -1
	s_mov_b32 s3, 0
	s_lshl_b64 s[2:3], s[2:3], 2
	s_add_u32 s2, s2, s4
	s_addc_u32 s3, s3, s5
	s_add_u32 s2, s2, 8
	s_addc_u32 s3, s3, 0
	v_mov_b32_e32 v2, 0
	v_mov_b32_e32 v4, v1
.LBB52_3:                               ; =>This Inner Loop Header: Depth=1
	s_load_dword s7, s[2:3], 0x0
	s_load_dword s8, s[2:3], 0x64
	v_mov_b32_e32 v3, v4
	s_add_i32 s6, s6, -1
	s_waitcnt lgkmcnt(0)
	v_cvt_f32_u32_e32 v4, s7
	s_sub_i32 s9, 0, s7
	s_add_u32 s2, s2, -4
	s_addc_u32 s3, s3, -1
	v_rcp_iflag_f32_e32 v4, v4
	s_cmp_gt_u32 s6, 2
	v_mul_f32_e32 v4, 0x4f7ffffe, v4
	v_cvt_u32_f32_e32 v4, v4
	v_mul_lo_u32 v5, s9, v4
	v_mul_hi_u32 v5, v4, v5
	v_add_u32_e32 v4, v4, v5
	v_mul_hi_u32 v4, v3, v4
	v_mul_lo_u32 v5, v4, s7
	v_sub_u32_e32 v5, v3, v5
	v_add_u32_e32 v6, 1, v4
	v_cmp_le_u32_e32 vcc, s7, v5
	v_cndmask_b32_e32 v4, v4, v6, vcc
	v_subrev_u32_e32 v6, s7, v5
	v_cndmask_b32_e32 v5, v5, v6, vcc
	v_add_u32_e32 v6, 1, v4
	v_cmp_le_u32_e32 vcc, s7, v5
	v_cndmask_b32_e32 v4, v4, v6, vcc
	v_mul_lo_u32 v5, v4, s7
	v_sub_u32_e32 v3, v3, v5
	v_mad_u64_u32 v[2:3], s[8:9], s8, v3, v[2:3]
	s_cbranch_scc1 .LBB52_3
.LBB52_4:
	s_load_dword s2, s[4:5], 0x1b8
	v_mov_b32_e32 v6, 0
	v_mov_b32_e32 v3, v1
	s_waitcnt lgkmcnt(0)
	s_cmp_lt_i32 s2, 2
	s_cbranch_scc1 .LBB52_7
; %bb.5:
	s_add_i32 s6, s2, 1
	s_add_i32 s2, s2, -1
	s_mov_b32 s3, 0
	s_lshl_b64 s[2:3], s[2:3], 2
	s_add_u32 s2, s2, s4
	s_addc_u32 s3, s3, s5
	s_add_u32 s2, s2, 0xf0
	s_addc_u32 s3, s3, 0
	v_mov_b32_e32 v6, 0
	v_mov_b32_e32 v3, v1
.LBB52_6:                               ; =>This Inner Loop Header: Depth=1
	s_load_dword s7, s[2:3], 0x0
	s_load_dword s8, s[2:3], 0x64
	v_mov_b32_e32 v5, v3
	s_add_i32 s6, s6, -1
	s_waitcnt lgkmcnt(0)
	v_cvt_f32_u32_e32 v3, s7
	s_sub_i32 s9, 0, s7
	s_add_u32 s2, s2, -4
	s_addc_u32 s3, s3, -1
	v_rcp_iflag_f32_e32 v3, v3
	s_cmp_gt_u32 s6, 2
	v_mul_f32_e32 v3, 0x4f7ffffe, v3
	v_cvt_u32_f32_e32 v3, v3
	v_mul_lo_u32 v7, s9, v3
	v_mul_hi_u32 v7, v3, v7
	v_add_u32_e32 v3, v3, v7
	v_mul_hi_u32 v3, v5, v3
	v_mul_lo_u32 v7, v3, s7
	v_sub_u32_e32 v7, v5, v7
	v_add_u32_e32 v9, 1, v3
	v_cmp_le_u32_e32 vcc, s7, v7
	v_cndmask_b32_e32 v3, v3, v9, vcc
	v_subrev_u32_e32 v9, s7, v7
	v_cndmask_b32_e32 v7, v7, v9, vcc
	v_add_u32_e32 v9, 1, v3
	v_cmp_le_u32_e32 vcc, s7, v7
	v_cndmask_b32_e32 v3, v3, v9, vcc
	v_mul_lo_u32 v7, v3, s7
	v_sub_u32_e32 v5, v5, v7
	v_mad_u64_u32 v[6:7], s[8:9], s8, v5, v[6:7]
	s_cbranch_scc1 .LBB52_6
.LBB52_7:
	s_load_dword s2, s[4:5], 0x6c
	v_cmp_gt_u32_e32 vcc, s12, v1
	v_mov_b32_e32 v10, 0
	s_waitcnt lgkmcnt(0)
	v_mad_u64_u32 v[4:5], s[2:3], s2, v4, v[2:3]
	s_load_dword s15, s[4:5], 0x1c0
	s_load_dword s2, s[4:5], 0x154
	s_load_dwordx2 s[10:11], s[4:5], 0x0
	s_load_dwordx2 s[8:9], s[4:5], 0xe8
	s_load_dword s12, s[0:1], 0xc
	v_mov_b32_e32 v5, 0
	s_waitcnt lgkmcnt(0)
	v_mad_u64_u32 v[2:3], s[2:3], s2, v3, v[6:7]
	v_and_b32_e32 v3, 0x3ff, v0
	v_cmp_gt_u32_e64 s[0:1], s13, v3
	v_pk_mov_b32 v[0:1], 0, 0
	s_and_b64 s[4:5], vcc, s[0:1]
	v_pk_mov_b32 v[6:7], v[0:1], v[0:1] op_sel:[0,1]
	s_and_saveexec_b64 s[6:7], s[4:5]
	s_cbranch_execz .LBB52_9
; %bb.8:
	v_mad_u64_u32 v[6:7], s[2:3], v3, s14, v[4:5]
	v_mov_b32_e32 v7, 0
	v_lshlrev_b64 v[12:13], 2, v[6:7]
	v_mov_b32_e32 v5, s11
	v_add_co_u32_e64 v12, s[2:3], s10, v12
	v_addc_co_u32_e64 v13, s[2:3], v5, v13, s[2:3]
	global_load_dword v5, v[12:13], off
	v_mad_u64_u32 v[12:13], s[2:3], v3, s15, v[2:3]
	v_mov_b32_e32 v13, v7
	v_lshlrev_b64 v[6:7], 3, v[12:13]
	v_mov_b32_e32 v9, s9
	v_add_co_u32_e64 v6, s[2:3], s8, v6
	v_addc_co_u32_e64 v7, s[2:3], v9, v7, s[2:3]
	global_load_dwordx2 v[6:7], v[6:7], off
.LBB52_9:
	s_or_b64 exec, exec, s[6:7]
	v_mov_b32_e32 v9, 0x1000
	v_lshl_add_u32 v18, v8, 7, v9
	v_mov_b32_e32 v9, 0x1800
	v_lshl_add_u32 v17, v8, 5, v9
	v_lshl_add_u32 v9, v3, 2, v18
	s_and_b32 s16, 0xffff, s12
	v_cndmask_b32_e64 v11, 0, 1, s[4:5]
	s_waitcnt vmcnt(1)
	ds_write_b32 v9, v5
	v_add_u32_e32 v5, v17, v3
	ds_write_b8 v5, v11
	v_add_u32_e32 v5, s16, v3
	v_lshlrev_b32_e32 v15, 8, v8
	v_cmp_gt_u32_e64 s[2:3], s13, v5
	v_lshl_add_u32 v8, v3, 3, v15
	s_and_b64 s[6:7], vcc, s[2:3]
	s_waitcnt vmcnt(0)
	ds_write_b64 v8, v[6:7]
	s_and_saveexec_b64 s[12:13], s[6:7]
	s_cbranch_execz .LBB52_11
; %bb.10:
	v_mad_u64_u32 v[0:1], s[4:5], v5, s14, v[4:5]
	v_mov_b32_e32 v1, 0
	v_lshlrev_b64 v[6:7], 2, v[0:1]
	v_mov_b32_e32 v0, s11
	v_add_co_u32_e64 v6, s[4:5], s10, v6
	v_addc_co_u32_e64 v7, s[4:5], v0, v7, s[4:5]
	global_load_dword v10, v[6:7], off
	v_mad_u64_u32 v[6:7], s[4:5], v5, s15, v[2:3]
	v_mov_b32_e32 v7, v1
	v_lshlrev_b64 v[0:1], 3, v[6:7]
	v_mov_b32_e32 v6, s9
	v_add_co_u32_e64 v0, s[4:5], s8, v0
	v_addc_co_u32_e64 v1, s[4:5], v6, v1, s[4:5]
	global_load_dwordx2 v[0:1], v[0:1], off
.LBB52_11:
	s_or_b64 exec, exec, s[12:13]
	v_lshl_add_u32 v6, s16, 3, v8
	v_cndmask_b32_e64 v11, 0, 1, s[6:7]
	s_waitcnt vmcnt(0)
	ds_write_b64 v6, v[0:1]
	v_add_u32_e32 v0, v17, v5
	ds_write_b8 v0, v11
	v_lshlrev_b32_e32 v0, 2, v3
	v_lshl_add_u32 v7, s16, 2, v9
	v_add_u32_e32 v11, v9, v0
	ds_write_b32 v7, v10
	s_waitcnt lgkmcnt(0)
	s_barrier
	ds_read_b64 v[0:1], v11
	v_lshlrev_b32_e32 v19, 1, v3
	s_mov_b32 s16, 1
	v_add_u32_e32 v10, v17, v19
	s_waitcnt lgkmcnt(0)
	v_cmp_u_f32_e64 s[4:5], v1, v1
	v_cmp_o_f32_e64 s[6:7], v0, v0
	s_and_b64 s[6:7], s[4:5], s[6:7]
	v_cmp_lt_f32_e64 s[4:5], v0, v1
	s_or_b64 s[4:5], s[6:7], s[4:5]
	s_xor_b64 s[6:7], s[4:5], -1
	s_and_saveexec_b64 s[12:13], s[4:5]
	s_xor_b64 s[12:13], exec, s[12:13]
	s_cbranch_execz .LBB52_13
; %bb.12:
	ds_read_u8 v12, v10
	s_andn2_b64 s[6:7], s[6:7], exec
	s_waitcnt lgkmcnt(0)
	v_and_b32_e32 v12, 1, v12
	v_cmp_eq_u32_e64 s[4:5], 1, v12
	s_xor_b64 s[4:5], s[4:5], -1
	s_and_b64 s[4:5], s[4:5], exec
	s_or_b64 s[6:7], s[6:7], s[4:5]
.LBB52_13:
	s_or_b64 exec, exec, s[12:13]
	v_mov_b32_e32 v14, s16
	s_and_saveexec_b64 s[4:5], s[6:7]
	s_cbranch_execz .LBB52_15
; %bb.14:
	ds_read_u8 v12, v10 offset:1
	s_waitcnt lgkmcnt(0)
	v_xor_b32_e32 v14, 1, v12
.LBB52_15:
	s_or_b64 exec, exec, s[4:5]
	v_and_b32_e32 v13, 1, v3
	v_lshlrev_b32_e32 v12, 3, v3
	v_cmp_eq_u32_e64 s[4:5], v14, v13
	s_and_saveexec_b64 s[6:7], s[4:5]
	s_cbranch_execz .LBB52_17
; %bb.16:
	v_add_u32_e32 v14, v8, v12
	ds_read_b128 v[20:23], v14
	v_mov_b32_e32 v25, v0
	ds_read_u16 v0, v10
	v_mov_b32_e32 v24, v1
	s_mov_b32 s4, 0xc0c0001
	ds_write_b64 v11, v[24:25]
	s_waitcnt lgkmcnt(2)
	v_mov_b32_e32 v24, v20
	v_mov_b32_e32 v25, v21
	s_waitcnt lgkmcnt(1)
	v_perm_b32 v0, 0, v0, s4
	ds_write_b128 v14, v[22:25]
	ds_write_b16 v10, v0
.LBB52_17:
	s_or_b64 exec, exec, s[6:7]
	v_sub_u32_e32 v16, v19, v13
	v_lshl_add_u32 v13, v16, 2, v18
	s_waitcnt lgkmcnt(0)
	s_barrier
	ds_read2_b32 v[0:1], v13 offset1:2
	v_add_u32_e32 v14, v17, v16
                                        ; implicit-def: $sgpr12
	s_waitcnt lgkmcnt(0)
	v_cmp_u_f32_e64 s[4:5], v1, v1
	v_cmp_o_f32_e64 s[6:7], v0, v0
	s_and_b64 s[6:7], s[4:5], s[6:7]
	v_cmp_lt_f32_e64 s[4:5], v0, v1
	s_or_b64 s[6:7], s[6:7], s[4:5]
	s_mov_b64 s[4:5], -1
	s_and_saveexec_b64 s[16:17], s[6:7]
	s_xor_b64 s[6:7], exec, s[16:17]
	s_cbranch_execz .LBB52_19
; %bb.18:
	ds_read_u8 v20, v14
	s_mov_b32 s12, 1
	s_waitcnt lgkmcnt(0)
	v_and_b32_e32 v20, 1, v20
	v_cmp_eq_u32_e64 s[4:5], 1, v20
	s_xor_b64 s[4:5], s[4:5], -1
	s_orn2_b64 s[4:5], s[4:5], exec
.LBB52_19:
	s_or_b64 exec, exec, s[6:7]
	v_mov_b32_e32 v21, s12
	s_and_saveexec_b64 s[6:7], s[4:5]
	s_cbranch_execz .LBB52_21
; %bb.20:
	ds_read_u8 v20, v14 offset:2
	s_waitcnt lgkmcnt(0)
	v_xor_b32_e32 v21, 1, v20
.LBB52_21:
	s_or_b64 exec, exec, s[6:7]
	v_bfe_u32 v20, v3, 1, 1
	v_lshl_add_u32 v16, v16, 3, v15
	v_cmp_eq_u32_e64 s[4:5], v21, v20
	s_and_saveexec_b64 s[6:7], s[4:5]
	s_cbranch_execz .LBB52_23
; %bb.22:
	ds_read2_b64 v[22:25], v16 offset1:2
	ds_read_u8 v21, v14 offset:2
	ds_read_u8 v26, v14
	ds_write2_b32 v13, v1, v0 offset1:2
	s_waitcnt lgkmcnt(3)
	ds_write2_b64 v16, v[24:25], v[22:23] offset1:2
	s_waitcnt lgkmcnt(3)
	ds_write_b8 v14, v21
	s_waitcnt lgkmcnt(3)
	ds_write_b8 v14, v26 offset:2
.LBB52_23:
	s_or_b64 exec, exec, s[6:7]
	s_waitcnt lgkmcnt(0)
	s_barrier
	ds_read_b64 v[0:1], v11
                                        ; implicit-def: $sgpr16
	s_waitcnt lgkmcnt(0)
	v_cmp_u_f32_e64 s[4:5], v1, v1
	v_cmp_o_f32_e64 s[6:7], v0, v0
	s_and_b64 s[6:7], s[4:5], s[6:7]
	v_cmp_lt_f32_e64 s[4:5], v0, v1
	s_or_b64 s[4:5], s[6:7], s[4:5]
	s_xor_b64 s[6:7], s[4:5], -1
	s_and_saveexec_b64 s[12:13], s[4:5]
	s_cbranch_execnz .LBB52_90
; %bb.24:
	s_or_b64 exec, exec, s[12:13]
	v_mov_b32_e32 v21, s16
	s_and_saveexec_b64 s[4:5], s[6:7]
	s_cbranch_execnz .LBB52_91
.LBB52_25:
	s_or_b64 exec, exec, s[4:5]
	v_cmp_eq_u32_e64 s[4:5], v21, v20
	s_and_saveexec_b64 s[6:7], s[4:5]
	s_cbranch_execz .LBB52_27
.LBB52_26:
	v_add_u32_e32 v26, v8, v12
	ds_read_b128 v[20:23], v26
	v_mov_b32_e32 v25, v0
	ds_read_u16 v0, v10
	v_mov_b32_e32 v24, v1
	s_mov_b32 s4, 0xc0c0001
	ds_write_b64 v11, v[24:25]
	s_waitcnt lgkmcnt(2)
	v_mov_b32_e32 v24, v20
	v_mov_b32_e32 v25, v21
	s_waitcnt lgkmcnt(1)
	v_perm_b32 v0, 0, v0, s4
	ds_write_b128 v26, v[22:25]
	ds_write_b16 v10, v0
.LBB52_27:
	s_or_b64 exec, exec, s[6:7]
	v_and_b32_e32 v0, 3, v3
	v_sub_u32_e32 v22, v19, v0
	v_lshl_add_u32 v20, v22, 2, v18
	s_waitcnt lgkmcnt(0)
	s_barrier
	ds_read2_b32 v[0:1], v20 offset1:4
	v_add_u32_e32 v21, v17, v22
                                        ; implicit-def: $sgpr16
	s_waitcnt lgkmcnt(0)
	v_cmp_u_f32_e64 s[4:5], v1, v1
	v_cmp_o_f32_e64 s[6:7], v0, v0
	s_and_b64 s[6:7], s[4:5], s[6:7]
	v_cmp_lt_f32_e64 s[4:5], v0, v1
	s_or_b64 s[4:5], s[6:7], s[4:5]
	s_xor_b64 s[6:7], s[4:5], -1
	s_and_saveexec_b64 s[12:13], s[4:5]
	s_cbranch_execz .LBB52_29
; %bb.28:
	ds_read_u8 v23, v21
	s_andn2_b64 s[6:7], s[6:7], exec
	s_mov_b32 s16, 1
	s_waitcnt lgkmcnt(0)
	v_and_b32_e32 v23, 1, v23
	v_cmp_eq_u32_e64 s[4:5], 1, v23
	s_xor_b64 s[4:5], s[4:5], -1
	s_and_b64 s[4:5], s[4:5], exec
	s_or_b64 s[6:7], s[6:7], s[4:5]
.LBB52_29:
	s_or_b64 exec, exec, s[12:13]
	v_mov_b32_e32 v24, s16
	s_and_saveexec_b64 s[4:5], s[6:7]
	s_cbranch_execz .LBB52_31
; %bb.30:
	ds_read_u8 v23, v21 offset:4
	s_waitcnt lgkmcnt(0)
	v_xor_b32_e32 v24, 1, v23
.LBB52_31:
	s_or_b64 exec, exec, s[4:5]
	v_bfe_u32 v23, v3, 2, 1
	v_lshl_add_u32 v22, v22, 3, v15
	v_cmp_eq_u32_e64 s[4:5], v24, v23
	s_and_saveexec_b64 s[6:7], s[4:5]
	s_cbranch_execz .LBB52_33
; %bb.32:
	ds_read2_b64 v[24:27], v22 offset1:4
	ds_read_u8 v28, v21 offset:4
	ds_read_u8 v29, v21
	ds_write2_b32 v20, v1, v0 offset1:4
	s_waitcnt lgkmcnt(3)
	ds_write2_b64 v22, v[26:27], v[24:25] offset1:4
	s_waitcnt lgkmcnt(3)
	ds_write_b8 v21, v28
	s_waitcnt lgkmcnt(3)
	ds_write_b8 v21, v29 offset:4
.LBB52_33:
	s_or_b64 exec, exec, s[6:7]
	s_waitcnt lgkmcnt(0)
	s_barrier
	ds_read2_b32 v[0:1], v13 offset1:2
                                        ; implicit-def: $sgpr16
	s_waitcnt lgkmcnt(0)
	v_cmp_u_f32_e64 s[4:5], v1, v1
	v_cmp_o_f32_e64 s[6:7], v0, v0
	s_and_b64 s[6:7], s[4:5], s[6:7]
	v_cmp_lt_f32_e64 s[4:5], v0, v1
	s_or_b64 s[4:5], s[6:7], s[4:5]
	s_xor_b64 s[6:7], s[4:5], -1
	s_and_saveexec_b64 s[12:13], s[4:5]
	s_cbranch_execnz .LBB52_92
; %bb.34:
	s_or_b64 exec, exec, s[12:13]
	v_mov_b32_e32 v24, s16
	s_and_saveexec_b64 s[4:5], s[6:7]
	s_cbranch_execnz .LBB52_93
.LBB52_35:
	s_or_b64 exec, exec, s[4:5]
	v_cmp_eq_u32_e64 s[4:5], v24, v23
	s_and_saveexec_b64 s[6:7], s[4:5]
	s_cbranch_execz .LBB52_37
.LBB52_36:
	ds_read2_b64 v[24:27], v16 offset1:2
	ds_read_u8 v28, v14 offset:2
	ds_read_u8 v29, v14
	ds_write2_b32 v13, v1, v0 offset1:2
	s_waitcnt lgkmcnt(3)
	ds_write2_b64 v16, v[26:27], v[24:25] offset1:2
	s_waitcnt lgkmcnt(3)
	ds_write_b8 v14, v28
	s_waitcnt lgkmcnt(3)
	ds_write_b8 v14, v29 offset:2
.LBB52_37:
	s_or_b64 exec, exec, s[6:7]
	s_waitcnt lgkmcnt(0)
	s_barrier
	ds_read_b64 v[0:1], v11
                                        ; implicit-def: $sgpr16
	s_waitcnt lgkmcnt(0)
	v_cmp_u_f32_e64 s[4:5], v1, v1
	v_cmp_o_f32_e64 s[6:7], v0, v0
	s_and_b64 s[6:7], s[4:5], s[6:7]
	v_cmp_lt_f32_e64 s[4:5], v0, v1
	s_or_b64 s[4:5], s[6:7], s[4:5]
	s_xor_b64 s[6:7], s[4:5], -1
	s_and_saveexec_b64 s[12:13], s[4:5]
	s_cbranch_execnz .LBB52_94
; %bb.38:
	s_or_b64 exec, exec, s[12:13]
	v_mov_b32_e32 v24, s16
	s_and_saveexec_b64 s[4:5], s[6:7]
	s_cbranch_execnz .LBB52_95
.LBB52_39:
	s_or_b64 exec, exec, s[4:5]
	v_cmp_eq_u32_e64 s[4:5], v24, v23
	s_and_saveexec_b64 s[6:7], s[4:5]
	s_cbranch_execz .LBB52_41
.LBB52_40:
	v_add_u32_e32 v23, v8, v12
	ds_read_b128 v[24:27], v23
	v_mov_b32_e32 v29, v0
	ds_read_u16 v0, v10
	v_mov_b32_e32 v28, v1
	s_mov_b32 s4, 0xc0c0001
	ds_write_b64 v11, v[28:29]
	s_waitcnt lgkmcnt(2)
	v_mov_b32_e32 v28, v24
	v_mov_b32_e32 v29, v25
	s_waitcnt lgkmcnt(1)
	v_perm_b32 v0, 0, v0, s4
	ds_write_b128 v23, v[26:29]
	ds_write_b16 v10, v0
.LBB52_41:
	s_or_b64 exec, exec, s[6:7]
	v_and_b32_e32 v0, 7, v3
	v_sub_u32_e32 v25, v19, v0
	v_lshl_add_u32 v23, v25, 2, v18
	s_waitcnt lgkmcnt(0)
	s_barrier
	ds_read2_b32 v[0:1], v23 offset1:8
	v_add_u32_e32 v24, v17, v25
                                        ; implicit-def: $sgpr16
	s_waitcnt lgkmcnt(0)
	v_cmp_u_f32_e64 s[4:5], v1, v1
	v_cmp_o_f32_e64 s[6:7], v0, v0
	s_and_b64 s[6:7], s[4:5], s[6:7]
	v_cmp_lt_f32_e64 s[4:5], v0, v1
	s_or_b64 s[4:5], s[6:7], s[4:5]
	s_xor_b64 s[6:7], s[4:5], -1
	s_and_saveexec_b64 s[12:13], s[4:5]
	s_cbranch_execz .LBB52_43
; %bb.42:
	ds_read_u8 v26, v24
	s_andn2_b64 s[6:7], s[6:7], exec
	s_mov_b32 s16, 1
	s_waitcnt lgkmcnt(0)
	v_and_b32_e32 v26, 1, v26
	v_cmp_eq_u32_e64 s[4:5], 1, v26
	s_xor_b64 s[4:5], s[4:5], -1
	s_and_b64 s[4:5], s[4:5], exec
	s_or_b64 s[6:7], s[6:7], s[4:5]
.LBB52_43:
	s_or_b64 exec, exec, s[12:13]
	v_mov_b32_e32 v27, s16
	s_and_saveexec_b64 s[4:5], s[6:7]
	s_cbranch_execz .LBB52_45
; %bb.44:
	ds_read_u8 v26, v24 offset:8
	s_waitcnt lgkmcnt(0)
	v_xor_b32_e32 v27, 1, v26
.LBB52_45:
	s_or_b64 exec, exec, s[4:5]
	v_bfe_u32 v26, v3, 3, 1
	v_lshl_add_u32 v25, v25, 3, v15
	v_cmp_eq_u32_e64 s[4:5], v27, v26
	s_and_saveexec_b64 s[6:7], s[4:5]
	s_cbranch_execz .LBB52_47
; %bb.46:
	ds_read2_b64 v[28:31], v25 offset1:8
	ds_read_u8 v27, v24 offset:8
	ds_read_u8 v32, v24
	ds_write2_b32 v23, v1, v0 offset1:8
	s_waitcnt lgkmcnt(3)
	ds_write2_b64 v25, v[30:31], v[28:29] offset1:8
	s_waitcnt lgkmcnt(3)
	ds_write_b8 v24, v27
	s_waitcnt lgkmcnt(3)
	ds_write_b8 v24, v32 offset:8
.LBB52_47:
	s_or_b64 exec, exec, s[6:7]
	s_waitcnt lgkmcnt(0)
	s_barrier
	ds_read2_b32 v[0:1], v20 offset1:4
                                        ; implicit-def: $sgpr16
	s_waitcnt lgkmcnt(0)
	v_cmp_u_f32_e64 s[4:5], v1, v1
	v_cmp_o_f32_e64 s[6:7], v0, v0
	s_and_b64 s[6:7], s[4:5], s[6:7]
	v_cmp_lt_f32_e64 s[4:5], v0, v1
	s_or_b64 s[4:5], s[6:7], s[4:5]
	s_xor_b64 s[6:7], s[4:5], -1
	s_and_saveexec_b64 s[12:13], s[4:5]
	s_cbranch_execnz .LBB52_96
; %bb.48:
	s_or_b64 exec, exec, s[12:13]
	v_mov_b32_e32 v27, s16
	s_and_saveexec_b64 s[4:5], s[6:7]
	s_cbranch_execnz .LBB52_97
.LBB52_49:
	s_or_b64 exec, exec, s[4:5]
	v_cmp_eq_u32_e64 s[4:5], v27, v26
	s_and_saveexec_b64 s[6:7], s[4:5]
	s_cbranch_execz .LBB52_51
.LBB52_50:
	ds_read2_b64 v[28:31], v22 offset1:4
	ds_read_u8 v27, v21 offset:4
	ds_read_u8 v32, v21
	ds_write2_b32 v20, v1, v0 offset1:4
	s_waitcnt lgkmcnt(3)
	ds_write2_b64 v22, v[30:31], v[28:29] offset1:4
	s_waitcnt lgkmcnt(3)
	ds_write_b8 v21, v27
	s_waitcnt lgkmcnt(3)
	ds_write_b8 v21, v32 offset:4
.LBB52_51:
	s_or_b64 exec, exec, s[6:7]
	s_waitcnt lgkmcnt(0)
	s_barrier
	ds_read2_b32 v[0:1], v13 offset1:2
                                        ; implicit-def: $sgpr16
	s_waitcnt lgkmcnt(0)
	v_cmp_u_f32_e64 s[4:5], v1, v1
	v_cmp_o_f32_e64 s[6:7], v0, v0
	s_and_b64 s[6:7], s[4:5], s[6:7]
	v_cmp_lt_f32_e64 s[4:5], v0, v1
	s_or_b64 s[4:5], s[6:7], s[4:5]
	s_xor_b64 s[6:7], s[4:5], -1
	s_and_saveexec_b64 s[12:13], s[4:5]
	s_cbranch_execnz .LBB52_98
; %bb.52:
	s_or_b64 exec, exec, s[12:13]
	v_mov_b32_e32 v27, s16
	s_and_saveexec_b64 s[4:5], s[6:7]
	s_cbranch_execnz .LBB52_99
.LBB52_53:
	s_or_b64 exec, exec, s[4:5]
	v_cmp_eq_u32_e64 s[4:5], v27, v26
	s_and_saveexec_b64 s[6:7], s[4:5]
	s_cbranch_execz .LBB52_55
.LBB52_54:
	ds_read2_b64 v[28:31], v16 offset1:2
	ds_read_u8 v27, v14 offset:2
	ds_read_u8 v32, v14
	ds_write2_b32 v13, v1, v0 offset1:2
	s_waitcnt lgkmcnt(3)
	ds_write2_b64 v16, v[30:31], v[28:29] offset1:2
	s_waitcnt lgkmcnt(3)
	ds_write_b8 v14, v27
	s_waitcnt lgkmcnt(3)
	ds_write_b8 v14, v32 offset:2
.LBB52_55:
	s_or_b64 exec, exec, s[6:7]
	s_waitcnt lgkmcnt(0)
	s_barrier
	ds_read_b64 v[0:1], v11
                                        ; implicit-def: $sgpr16
	s_waitcnt lgkmcnt(0)
	v_cmp_u_f32_e64 s[4:5], v1, v1
	v_cmp_o_f32_e64 s[6:7], v0, v0
	s_and_b64 s[6:7], s[4:5], s[6:7]
	v_cmp_lt_f32_e64 s[4:5], v0, v1
	s_or_b64 s[4:5], s[6:7], s[4:5]
	s_xor_b64 s[6:7], s[4:5], -1
	s_and_saveexec_b64 s[12:13], s[4:5]
	s_cbranch_execnz .LBB52_100
; %bb.56:
	s_or_b64 exec, exec, s[12:13]
	v_mov_b32_e32 v27, s16
	s_and_saveexec_b64 s[4:5], s[6:7]
	s_cbranch_execnz .LBB52_101
.LBB52_57:
	s_or_b64 exec, exec, s[4:5]
	v_cmp_eq_u32_e64 s[4:5], v27, v26
	s_and_saveexec_b64 s[6:7], s[4:5]
	s_cbranch_execz .LBB52_59
.LBB52_58:
	v_add_u32_e32 v32, v8, v12
	ds_read_b128 v[26:29], v32
	v_mov_b32_e32 v31, v0
	ds_read_u16 v0, v10
	v_mov_b32_e32 v30, v1
	s_mov_b32 s4, 0xc0c0001
	ds_write_b64 v11, v[30:31]
	s_waitcnt lgkmcnt(2)
	v_mov_b32_e32 v30, v26
	v_mov_b32_e32 v31, v27
	s_waitcnt lgkmcnt(1)
	v_perm_b32 v0, 0, v0, s4
	ds_write_b128 v32, v[28:31]
	ds_write_b16 v10, v0
.LBB52_59:
	s_or_b64 exec, exec, s[6:7]
	v_and_b32_e32 v0, 15, v3
	v_sub_u32_e32 v19, v19, v0
	v_lshl_add_u32 v18, v19, 2, v18
	s_waitcnt lgkmcnt(0)
	s_barrier
	ds_read2_b32 v[0:1], v18 offset1:16
	v_add_u32_e32 v17, v17, v19
	s_waitcnt lgkmcnt(0)
	v_cmp_u_f32_e64 s[4:5], v1, v1
	v_cmp_o_f32_e64 s[6:7], v0, v0
	s_and_b64 s[6:7], s[4:5], s[6:7]
	v_cmp_lt_f32_e64 s[4:5], v0, v1
	s_or_b64 s[4:5], s[6:7], s[4:5]
	s_xor_b64 s[12:13], s[4:5], -1
	s_and_saveexec_b64 s[6:7], s[4:5]
	s_cbranch_execz .LBB52_61
; %bb.60:
	ds_read_u8 v26, v17
	s_andn2_b64 s[12:13], s[12:13], exec
	s_waitcnt lgkmcnt(0)
	v_and_b32_e32 v26, 1, v26
	v_cmp_eq_u32_e64 s[4:5], 1, v26
	s_xor_b64 s[4:5], s[4:5], -1
	s_and_b64 s[4:5], s[4:5], exec
	s_or_b64 s[12:13], s[12:13], s[4:5]
.LBB52_61:
	s_or_b64 exec, exec, s[6:7]
	s_and_saveexec_b64 s[6:7], s[12:13]
	s_cbranch_execz .LBB52_64
; %bb.62:
	ds_read_u8 v26, v17 offset:16
	s_waitcnt lgkmcnt(0)
	v_cmp_ne_u16_e64 s[4:5], 0, v26
	s_and_b64 exec, exec, s[4:5]
	s_cbranch_execz .LBB52_64
; %bb.63:
	v_lshl_add_u32 v15, v19, 3, v15
	ds_read2_b64 v[28:31], v15 offset1:16
	ds_read_u8 v19, v17
	ds_write2_b32 v18, v1, v0 offset1:16
	ds_write_b8 v17, v26
	s_waitcnt lgkmcnt(3)
	ds_write2_b64 v15, v[30:31], v[28:29] offset1:16
	s_waitcnt lgkmcnt(3)
	ds_write_b8 v17, v19 offset:16
.LBB52_64:
	s_or_b64 exec, exec, s[6:7]
	s_waitcnt lgkmcnt(0)
	s_barrier
	ds_read2_b32 v[0:1], v23 offset1:8
	s_waitcnt lgkmcnt(0)
	v_cmp_u_f32_e64 s[4:5], v1, v1
	v_cmp_o_f32_e64 s[6:7], v0, v0
	s_and_b64 s[6:7], s[4:5], s[6:7]
	v_cmp_lt_f32_e64 s[4:5], v0, v1
	s_or_b64 s[4:5], s[6:7], s[4:5]
	s_xor_b64 s[12:13], s[4:5], -1
	s_and_saveexec_b64 s[6:7], s[4:5]
	s_cbranch_execz .LBB52_66
; %bb.65:
	ds_read_u8 v15, v24
	s_andn2_b64 s[12:13], s[12:13], exec
	s_waitcnt lgkmcnt(0)
	v_and_b32_e32 v15, 1, v15
	v_cmp_eq_u32_e64 s[4:5], 1, v15
	s_xor_b64 s[4:5], s[4:5], -1
	s_and_b64 s[4:5], s[4:5], exec
	s_or_b64 s[12:13], s[12:13], s[4:5]
.LBB52_66:
	s_or_b64 exec, exec, s[6:7]
	s_and_saveexec_b64 s[6:7], s[12:13]
	s_cbranch_execz .LBB52_69
; %bb.67:
	ds_read_u8 v15, v24 offset:8
	s_waitcnt lgkmcnt(0)
	v_cmp_ne_u16_e64 s[4:5], 0, v15
	s_and_b64 exec, exec, s[4:5]
	s_cbranch_execz .LBB52_69
; %bb.68:
	ds_read2_b64 v[26:29], v25 offset1:8
	ds_read_u8 v17, v24
	ds_write2_b32 v23, v1, v0 offset1:8
	ds_write_b8 v24, v15
	s_waitcnt lgkmcnt(3)
	ds_write2_b64 v25, v[28:29], v[26:27] offset1:8
	s_waitcnt lgkmcnt(3)
	ds_write_b8 v24, v17 offset:8
.LBB52_69:
	s_or_b64 exec, exec, s[6:7]
	s_waitcnt lgkmcnt(0)
	s_barrier
	ds_read2_b32 v[0:1], v20 offset1:4
	s_waitcnt lgkmcnt(0)
	v_cmp_u_f32_e64 s[4:5], v1, v1
	v_cmp_o_f32_e64 s[6:7], v0, v0
	s_and_b64 s[6:7], s[4:5], s[6:7]
	v_cmp_lt_f32_e64 s[4:5], v0, v1
	s_or_b64 s[4:5], s[6:7], s[4:5]
	s_xor_b64 s[12:13], s[4:5], -1
	s_and_saveexec_b64 s[6:7], s[4:5]
	s_cbranch_execz .LBB52_71
; %bb.70:
	ds_read_u8 v15, v21
	s_andn2_b64 s[12:13], s[12:13], exec
	s_waitcnt lgkmcnt(0)
	v_and_b32_e32 v15, 1, v15
	v_cmp_eq_u32_e64 s[4:5], 1, v15
	s_xor_b64 s[4:5], s[4:5], -1
	s_and_b64 s[4:5], s[4:5], exec
	s_or_b64 s[12:13], s[12:13], s[4:5]
.LBB52_71:
	s_or_b64 exec, exec, s[6:7]
	s_and_saveexec_b64 s[6:7], s[12:13]
	s_cbranch_execz .LBB52_74
; %bb.72:
	ds_read_u8 v15, v21 offset:4
	s_waitcnt lgkmcnt(0)
	v_cmp_ne_u16_e64 s[4:5], 0, v15
	s_and_b64 exec, exec, s[4:5]
	s_cbranch_execz .LBB52_74
; %bb.73:
	ds_read2_b64 v[24:27], v22 offset1:4
	ds_read_u8 v17, v21
	ds_write2_b32 v20, v1, v0 offset1:4
	ds_write_b8 v21, v15
	s_waitcnt lgkmcnt(3)
	ds_write2_b64 v22, v[26:27], v[24:25] offset1:4
	s_waitcnt lgkmcnt(3)
	ds_write_b8 v21, v17 offset:4
.LBB52_74:
	;; [unrolled: 42-line block ×3, first 2 shown]
	s_or_b64 exec, exec, s[6:7]
	s_waitcnt lgkmcnt(0)
	s_barrier
	ds_read_b64 v[0:1], v11
	s_waitcnt lgkmcnt(0)
	v_cmp_u_f32_e64 s[4:5], v1, v1
	v_cmp_o_f32_e64 s[6:7], v0, v0
	s_and_b64 s[6:7], s[4:5], s[6:7]
	v_cmp_lt_f32_e64 s[4:5], v0, v1
	s_or_b64 s[4:5], s[6:7], s[4:5]
	s_xor_b64 s[12:13], s[4:5], -1
	s_and_saveexec_b64 s[6:7], s[4:5]
	s_cbranch_execz .LBB52_81
; %bb.80:
	ds_read_u8 v13, v10
	s_andn2_b64 s[12:13], s[12:13], exec
	s_waitcnt lgkmcnt(0)
	v_and_b32_e32 v13, 1, v13
	v_cmp_eq_u32_e64 s[4:5], 1, v13
	s_xor_b64 s[4:5], s[4:5], -1
	s_and_b64 s[4:5], s[4:5], exec
	s_or_b64 s[12:13], s[12:13], s[4:5]
.LBB52_81:
	s_or_b64 exec, exec, s[6:7]
	s_and_saveexec_b64 s[6:7], s[12:13]
	s_cbranch_execz .LBB52_84
; %bb.82:
	ds_read_u8 v13, v10 offset:1
	s_waitcnt lgkmcnt(0)
	v_cmp_ne_u16_e64 s[4:5], 0, v13
	s_and_b64 exec, exec, s[4:5]
	s_cbranch_execz .LBB52_84
; %bb.83:
	v_add_u32_e32 v12, v8, v12
	ds_read_b128 v[14:17], v12
	v_mov_b32_e32 v19, v0
	ds_read_u8 v0, v10
	v_mov_b32_e32 v18, v1
	ds_write_b64 v11, v[18:19]
	s_waitcnt lgkmcnt(2)
	v_mov_b32_e32 v18, v14
	v_mov_b32_e32 v19, v15
	s_waitcnt lgkmcnt(1)
	v_lshlrev_b16_e32 v0, 8, v0
	v_or_b32_e32 v0, v13, v0
	ds_write_b128 v12, v[16:19]
	ds_write_b16 v10, v0
.LBB52_84:
	s_or_b64 exec, exec, s[6:7]
	s_waitcnt lgkmcnt(0)
	s_barrier
	s_and_saveexec_b64 s[4:5], vcc
	s_cbranch_execz .LBB52_89
; %bb.85:
	s_and_saveexec_b64 s[4:5], s[0:1]
	s_cbranch_execz .LBB52_87
; %bb.86:
	ds_read_b32 v12, v9
	v_mad_u64_u32 v[0:1], s[0:1], v3, s14, v[4:5]
	v_mov_b32_e32 v1, 0
	v_lshlrev_b64 v[10:11], 2, v[0:1]
	v_mov_b32_e32 v0, s11
	v_add_co_u32_e32 v10, vcc, s10, v10
	v_addc_co_u32_e32 v11, vcc, v0, v11, vcc
	ds_read_b64 v[8:9], v8
	s_waitcnt lgkmcnt(1)
	global_store_dword v[10:11], v12, off
	v_mad_u64_u32 v[10:11], s[0:1], v3, s15, v[2:3]
	v_mov_b32_e32 v11, v1
	v_lshlrev_b64 v[0:1], 3, v[10:11]
	v_mov_b32_e32 v3, s9
	v_add_co_u32_e32 v0, vcc, s8, v0
	v_addc_co_u32_e32 v1, vcc, v3, v1, vcc
	s_waitcnt lgkmcnt(0)
	global_store_dwordx2 v[0:1], v[8:9], off
.LBB52_87:
	s_or_b64 exec, exec, s[4:5]
	s_and_b64 exec, exec, s[2:3]
	s_cbranch_execz .LBB52_89
; %bb.88:
	ds_read_b32 v3, v7
	v_mad_u64_u32 v[0:1], s[0:1], v5, s14, v[4:5]
	v_mov_b32_e32 v1, 0
	v_lshlrev_b64 v[8:9], 2, v[0:1]
	v_mov_b32_e32 v0, s11
	v_add_co_u32_e32 v8, vcc, s10, v8
	v_addc_co_u32_e32 v9, vcc, v0, v9, vcc
	ds_read_b64 v[6:7], v6
	s_waitcnt lgkmcnt(1)
	global_store_dword v[8:9], v3, off
	v_mad_u64_u32 v[2:3], s[0:1], v5, s15, v[2:3]
	v_mov_b32_e32 v3, v1
	v_lshlrev_b64 v[0:1], 3, v[2:3]
	v_mov_b32_e32 v2, s9
	v_add_co_u32_e32 v0, vcc, s8, v0
	v_addc_co_u32_e32 v1, vcc, v2, v1, vcc
	s_waitcnt lgkmcnt(0)
	global_store_dwordx2 v[0:1], v[6:7], off
.LBB52_89:
	s_endpgm
.LBB52_90:
	ds_read_u8 v21, v10
	s_andn2_b64 s[6:7], s[6:7], exec
	s_mov_b32 s16, 1
	s_waitcnt lgkmcnt(0)
	v_and_b32_e32 v21, 1, v21
	v_cmp_eq_u32_e64 s[4:5], 1, v21
	s_xor_b64 s[4:5], s[4:5], -1
	s_and_b64 s[4:5], s[4:5], exec
	s_or_b64 s[6:7], s[6:7], s[4:5]
	s_or_b64 exec, exec, s[12:13]
	v_mov_b32_e32 v21, s16
	s_and_saveexec_b64 s[4:5], s[6:7]
	s_cbranch_execz .LBB52_25
.LBB52_91:
	ds_read_u8 v21, v10 offset:1
	s_waitcnt lgkmcnt(0)
	v_xor_b32_e32 v21, 1, v21
	s_or_b64 exec, exec, s[4:5]
	v_cmp_eq_u32_e64 s[4:5], v21, v20
	s_and_saveexec_b64 s[6:7], s[4:5]
	s_cbranch_execnz .LBB52_26
	s_branch .LBB52_27
.LBB52_92:
	ds_read_u8 v24, v14
	s_andn2_b64 s[6:7], s[6:7], exec
	s_mov_b32 s16, 1
	s_waitcnt lgkmcnt(0)
	v_and_b32_e32 v24, 1, v24
	v_cmp_eq_u32_e64 s[4:5], 1, v24
	s_xor_b64 s[4:5], s[4:5], -1
	s_and_b64 s[4:5], s[4:5], exec
	s_or_b64 s[6:7], s[6:7], s[4:5]
	s_or_b64 exec, exec, s[12:13]
	v_mov_b32_e32 v24, s16
	s_and_saveexec_b64 s[4:5], s[6:7]
	s_cbranch_execz .LBB52_35
.LBB52_93:
	ds_read_u8 v24, v14 offset:2
	s_waitcnt lgkmcnt(0)
	v_xor_b32_e32 v24, 1, v24
	s_or_b64 exec, exec, s[4:5]
	v_cmp_eq_u32_e64 s[4:5], v24, v23
	s_and_saveexec_b64 s[6:7], s[4:5]
	s_cbranch_execnz .LBB52_36
	s_branch .LBB52_37
.LBB52_94:
	ds_read_u8 v24, v10
	s_andn2_b64 s[6:7], s[6:7], exec
	s_mov_b32 s16, 1
	s_waitcnt lgkmcnt(0)
	v_and_b32_e32 v24, 1, v24
	v_cmp_eq_u32_e64 s[4:5], 1, v24
	s_xor_b64 s[4:5], s[4:5], -1
	s_and_b64 s[4:5], s[4:5], exec
	s_or_b64 s[6:7], s[6:7], s[4:5]
	s_or_b64 exec, exec, s[12:13]
	v_mov_b32_e32 v24, s16
	s_and_saveexec_b64 s[4:5], s[6:7]
	s_cbranch_execz .LBB52_39
.LBB52_95:
	ds_read_u8 v24, v10 offset:1
	s_waitcnt lgkmcnt(0)
	v_xor_b32_e32 v24, 1, v24
	s_or_b64 exec, exec, s[4:5]
	v_cmp_eq_u32_e64 s[4:5], v24, v23
	s_and_saveexec_b64 s[6:7], s[4:5]
	s_cbranch_execnz .LBB52_40
	s_branch .LBB52_41
.LBB52_96:
	ds_read_u8 v27, v21
	s_andn2_b64 s[6:7], s[6:7], exec
	s_mov_b32 s16, 1
	s_waitcnt lgkmcnt(0)
	v_and_b32_e32 v27, 1, v27
	v_cmp_eq_u32_e64 s[4:5], 1, v27
	s_xor_b64 s[4:5], s[4:5], -1
	s_and_b64 s[4:5], s[4:5], exec
	s_or_b64 s[6:7], s[6:7], s[4:5]
	s_or_b64 exec, exec, s[12:13]
	v_mov_b32_e32 v27, s16
	s_and_saveexec_b64 s[4:5], s[6:7]
	s_cbranch_execz .LBB52_49
.LBB52_97:
	ds_read_u8 v27, v21 offset:4
	s_waitcnt lgkmcnt(0)
	v_xor_b32_e32 v27, 1, v27
	s_or_b64 exec, exec, s[4:5]
	v_cmp_eq_u32_e64 s[4:5], v27, v26
	s_and_saveexec_b64 s[6:7], s[4:5]
	s_cbranch_execnz .LBB52_50
	s_branch .LBB52_51
.LBB52_98:
	ds_read_u8 v27, v14
	s_andn2_b64 s[6:7], s[6:7], exec
	s_mov_b32 s16, 1
	s_waitcnt lgkmcnt(0)
	v_and_b32_e32 v27, 1, v27
	v_cmp_eq_u32_e64 s[4:5], 1, v27
	s_xor_b64 s[4:5], s[4:5], -1
	s_and_b64 s[4:5], s[4:5], exec
	s_or_b64 s[6:7], s[6:7], s[4:5]
	s_or_b64 exec, exec, s[12:13]
	v_mov_b32_e32 v27, s16
	s_and_saveexec_b64 s[4:5], s[6:7]
	s_cbranch_execz .LBB52_53
.LBB52_99:
	ds_read_u8 v27, v14 offset:2
	s_waitcnt lgkmcnt(0)
	v_xor_b32_e32 v27, 1, v27
	s_or_b64 exec, exec, s[4:5]
	v_cmp_eq_u32_e64 s[4:5], v27, v26
	s_and_saveexec_b64 s[6:7], s[4:5]
	s_cbranch_execnz .LBB52_54
	s_branch .LBB52_55
.LBB52_100:
	ds_read_u8 v27, v10
	s_andn2_b64 s[6:7], s[6:7], exec
	s_mov_b32 s16, 1
	s_waitcnt lgkmcnt(0)
	v_and_b32_e32 v27, 1, v27
	v_cmp_eq_u32_e64 s[4:5], 1, v27
	s_xor_b64 s[4:5], s[4:5], -1
	s_and_b64 s[4:5], s[4:5], exec
	s_or_b64 s[6:7], s[6:7], s[4:5]
	s_or_b64 exec, exec, s[12:13]
	v_mov_b32_e32 v27, s16
	s_and_saveexec_b64 s[4:5], s[6:7]
	s_cbranch_execz .LBB52_57
.LBB52_101:
	ds_read_u8 v27, v10 offset:1
	s_waitcnt lgkmcnt(0)
	v_xor_b32_e32 v27, 1, v27
	s_or_b64 exec, exec, s[4:5]
	v_cmp_eq_u32_e64 s[4:5], v27, v26
	s_and_saveexec_b64 s[6:7], s[4:5]
	s_cbranch_execnz .LBB52_58
	s_branch .LBB52_59
	.section	.rodata,"a",@progbits
	.p2align	6, 0x0
	.amdhsa_kernel _ZN2at6native20bitonicSortKVInPlaceILin1ELin1ELi16ELi16EflNS0_4LTOpIfLb1EEEjEEvNS_4cuda6detail10TensorInfoIT3_T6_EES8_S8_S8_NS6_IT4_S8_EES8_T5_
		.amdhsa_group_segment_fixed_size 6656
		.amdhsa_private_segment_fixed_size 0
		.amdhsa_kernarg_size 712
		.amdhsa_user_sgpr_count 6
		.amdhsa_user_sgpr_private_segment_buffer 1
		.amdhsa_user_sgpr_dispatch_ptr 0
		.amdhsa_user_sgpr_queue_ptr 0
		.amdhsa_user_sgpr_kernarg_segment_ptr 1
		.amdhsa_user_sgpr_dispatch_id 0
		.amdhsa_user_sgpr_flat_scratch_init 0
		.amdhsa_user_sgpr_kernarg_preload_length 0
		.amdhsa_user_sgpr_kernarg_preload_offset 0
		.amdhsa_user_sgpr_private_segment_size 0
		.amdhsa_uses_dynamic_stack 0
		.amdhsa_system_sgpr_private_segment_wavefront_offset 0
		.amdhsa_system_sgpr_workgroup_id_x 1
		.amdhsa_system_sgpr_workgroup_id_y 1
		.amdhsa_system_sgpr_workgroup_id_z 1
		.amdhsa_system_sgpr_workgroup_info 0
		.amdhsa_system_vgpr_workitem_id 1
		.amdhsa_next_free_vgpr 33
		.amdhsa_next_free_sgpr 18
		.amdhsa_accum_offset 36
		.amdhsa_reserve_vcc 1
		.amdhsa_reserve_flat_scratch 0
		.amdhsa_float_round_mode_32 0
		.amdhsa_float_round_mode_16_64 0
		.amdhsa_float_denorm_mode_32 3
		.amdhsa_float_denorm_mode_16_64 3
		.amdhsa_dx10_clamp 1
		.amdhsa_ieee_mode 1
		.amdhsa_fp16_overflow 0
		.amdhsa_tg_split 0
		.amdhsa_exception_fp_ieee_invalid_op 0
		.amdhsa_exception_fp_denorm_src 0
		.amdhsa_exception_fp_ieee_div_zero 0
		.amdhsa_exception_fp_ieee_overflow 0
		.amdhsa_exception_fp_ieee_underflow 0
		.amdhsa_exception_fp_ieee_inexact 0
		.amdhsa_exception_int_div_zero 0
	.end_amdhsa_kernel
	.section	.text._ZN2at6native20bitonicSortKVInPlaceILin1ELin1ELi16ELi16EflNS0_4LTOpIfLb1EEEjEEvNS_4cuda6detail10TensorInfoIT3_T6_EES8_S8_S8_NS6_IT4_S8_EES8_T5_,"axG",@progbits,_ZN2at6native20bitonicSortKVInPlaceILin1ELin1ELi16ELi16EflNS0_4LTOpIfLb1EEEjEEvNS_4cuda6detail10TensorInfoIT3_T6_EES8_S8_S8_NS6_IT4_S8_EES8_T5_,comdat
.Lfunc_end52:
	.size	_ZN2at6native20bitonicSortKVInPlaceILin1ELin1ELi16ELi16EflNS0_4LTOpIfLb1EEEjEEvNS_4cuda6detail10TensorInfoIT3_T6_EES8_S8_S8_NS6_IT4_S8_EES8_T5_, .Lfunc_end52-_ZN2at6native20bitonicSortKVInPlaceILin1ELin1ELi16ELi16EflNS0_4LTOpIfLb1EEEjEEvNS_4cuda6detail10TensorInfoIT3_T6_EES8_S8_S8_NS6_IT4_S8_EES8_T5_
                                        ; -- End function
	.section	.AMDGPU.csdata,"",@progbits
; Kernel info:
; codeLenInByte = 5124
; NumSgprs: 22
; NumVgprs: 33
; NumAgprs: 0
; TotalNumVgprs: 33
; ScratchSize: 0
; MemoryBound: 0
; FloatMode: 240
; IeeeMode: 1
; LDSByteSize: 6656 bytes/workgroup (compile time only)
; SGPRBlocks: 2
; VGPRBlocks: 4
; NumSGPRsForWavesPerEU: 22
; NumVGPRsForWavesPerEU: 33
; AccumOffset: 36
; Occupancy: 8
; WaveLimiterHint : 1
; COMPUTE_PGM_RSRC2:SCRATCH_EN: 0
; COMPUTE_PGM_RSRC2:USER_SGPR: 6
; COMPUTE_PGM_RSRC2:TRAP_HANDLER: 0
; COMPUTE_PGM_RSRC2:TGID_X_EN: 1
; COMPUTE_PGM_RSRC2:TGID_Y_EN: 1
; COMPUTE_PGM_RSRC2:TGID_Z_EN: 1
; COMPUTE_PGM_RSRC2:TIDIG_COMP_CNT: 1
; COMPUTE_PGM_RSRC3_GFX90A:ACCUM_OFFSET: 8
; COMPUTE_PGM_RSRC3_GFX90A:TG_SPLIT: 0
	.section	.text._ZN2at6native20bitonicSortKVInPlaceILin1ELin1ELi16ELi16EflNS0_4GTOpIfLb1EEEjEEvNS_4cuda6detail10TensorInfoIT3_T6_EES8_S8_S8_NS6_IT4_S8_EES8_T5_,"axG",@progbits,_ZN2at6native20bitonicSortKVInPlaceILin1ELin1ELi16ELi16EflNS0_4GTOpIfLb1EEEjEEvNS_4cuda6detail10TensorInfoIT3_T6_EES8_S8_S8_NS6_IT4_S8_EES8_T5_,comdat
	.protected	_ZN2at6native20bitonicSortKVInPlaceILin1ELin1ELi16ELi16EflNS0_4GTOpIfLb1EEEjEEvNS_4cuda6detail10TensorInfoIT3_T6_EES8_S8_S8_NS6_IT4_S8_EES8_T5_ ; -- Begin function _ZN2at6native20bitonicSortKVInPlaceILin1ELin1ELi16ELi16EflNS0_4GTOpIfLb1EEEjEEvNS_4cuda6detail10TensorInfoIT3_T6_EES8_S8_S8_NS6_IT4_S8_EES8_T5_
	.globl	_ZN2at6native20bitonicSortKVInPlaceILin1ELin1ELi16ELi16EflNS0_4GTOpIfLb1EEEjEEvNS_4cuda6detail10TensorInfoIT3_T6_EES8_S8_S8_NS6_IT4_S8_EES8_T5_
	.p2align	8
	.type	_ZN2at6native20bitonicSortKVInPlaceILin1ELin1ELi16ELi16EflNS0_4GTOpIfLb1EEEjEEvNS_4cuda6detail10TensorInfoIT3_T6_EES8_S8_S8_NS6_IT4_S8_EES8_T5_,@function
_ZN2at6native20bitonicSortKVInPlaceILin1ELin1ELi16ELi16EflNS0_4GTOpIfLb1EEEjEEvNS_4cuda6detail10TensorInfoIT3_T6_EES8_S8_S8_NS6_IT4_S8_EES8_T5_: ; @_ZN2at6native20bitonicSortKVInPlaceILin1ELin1ELi16ELi16EflNS0_4GTOpIfLb1EEEjEEvNS_4cuda6detail10TensorInfoIT3_T6_EES8_S8_S8_NS6_IT4_S8_EES8_T5_
; %bb.0:
	s_load_dwordx2 s[2:3], s[4:5], 0x1c8
	s_load_dwordx4 s[12:15], s[4:5], 0xd8
	s_load_dword s9, s[4:5], 0x1d4
	s_add_u32 s0, s4, 0x1c8
	s_addc_u32 s1, s5, 0
	s_waitcnt lgkmcnt(0)
	s_mul_i32 s3, s3, s8
	s_add_i32 s3, s3, s7
	s_mul_i32 s2, s3, s2
	s_add_i32 s3, s2, s6
	s_lshr_b32 s2, s9, 16
	s_mul_i32 s3, s3, s2
	s_cmp_ge_u32 s3, s12
	s_cbranch_scc1 .LBB53_89
; %bb.1:
	s_load_dword s2, s[4:5], 0xd0
	v_bfe_u32 v8, v0, 10, 10
	v_add_u32_e32 v1, s3, v8
	v_mov_b32_e32 v2, 0
	v_mov_b32_e32 v4, v1
	s_waitcnt lgkmcnt(0)
	s_cmp_lt_i32 s2, 2
	s_cbranch_scc1 .LBB53_4
; %bb.2:
	s_add_i32 s6, s2, 1
	s_add_i32 s2, s2, -1
	s_mov_b32 s3, 0
	s_lshl_b64 s[2:3], s[2:3], 2
	s_add_u32 s2, s2, s4
	s_addc_u32 s3, s3, s5
	s_add_u32 s2, s2, 8
	s_addc_u32 s3, s3, 0
	v_mov_b32_e32 v2, 0
	v_mov_b32_e32 v4, v1
.LBB53_3:                               ; =>This Inner Loop Header: Depth=1
	s_load_dword s7, s[2:3], 0x0
	s_load_dword s8, s[2:3], 0x64
	v_mov_b32_e32 v3, v4
	s_add_i32 s6, s6, -1
	s_waitcnt lgkmcnt(0)
	v_cvt_f32_u32_e32 v4, s7
	s_sub_i32 s9, 0, s7
	s_add_u32 s2, s2, -4
	s_addc_u32 s3, s3, -1
	v_rcp_iflag_f32_e32 v4, v4
	s_cmp_gt_u32 s6, 2
	v_mul_f32_e32 v4, 0x4f7ffffe, v4
	v_cvt_u32_f32_e32 v4, v4
	v_mul_lo_u32 v5, s9, v4
	v_mul_hi_u32 v5, v4, v5
	v_add_u32_e32 v4, v4, v5
	v_mul_hi_u32 v4, v3, v4
	v_mul_lo_u32 v5, v4, s7
	v_sub_u32_e32 v5, v3, v5
	v_add_u32_e32 v6, 1, v4
	v_cmp_le_u32_e32 vcc, s7, v5
	v_cndmask_b32_e32 v4, v4, v6, vcc
	v_subrev_u32_e32 v6, s7, v5
	v_cndmask_b32_e32 v5, v5, v6, vcc
	v_add_u32_e32 v6, 1, v4
	v_cmp_le_u32_e32 vcc, s7, v5
	v_cndmask_b32_e32 v4, v4, v6, vcc
	v_mul_lo_u32 v5, v4, s7
	v_sub_u32_e32 v3, v3, v5
	v_mad_u64_u32 v[2:3], s[8:9], s8, v3, v[2:3]
	s_cbranch_scc1 .LBB53_3
.LBB53_4:
	s_load_dword s2, s[4:5], 0x1b8
	v_mov_b32_e32 v6, 0
	v_mov_b32_e32 v3, v1
	s_waitcnt lgkmcnt(0)
	s_cmp_lt_i32 s2, 2
	s_cbranch_scc1 .LBB53_7
; %bb.5:
	s_add_i32 s6, s2, 1
	s_add_i32 s2, s2, -1
	s_mov_b32 s3, 0
	s_lshl_b64 s[2:3], s[2:3], 2
	s_add_u32 s2, s2, s4
	s_addc_u32 s3, s3, s5
	s_add_u32 s2, s2, 0xf0
	s_addc_u32 s3, s3, 0
	v_mov_b32_e32 v6, 0
	v_mov_b32_e32 v3, v1
.LBB53_6:                               ; =>This Inner Loop Header: Depth=1
	s_load_dword s7, s[2:3], 0x0
	s_load_dword s8, s[2:3], 0x64
	v_mov_b32_e32 v5, v3
	s_add_i32 s6, s6, -1
	s_waitcnt lgkmcnt(0)
	v_cvt_f32_u32_e32 v3, s7
	s_sub_i32 s9, 0, s7
	s_add_u32 s2, s2, -4
	s_addc_u32 s3, s3, -1
	v_rcp_iflag_f32_e32 v3, v3
	s_cmp_gt_u32 s6, 2
	v_mul_f32_e32 v3, 0x4f7ffffe, v3
	v_cvt_u32_f32_e32 v3, v3
	v_mul_lo_u32 v7, s9, v3
	v_mul_hi_u32 v7, v3, v7
	v_add_u32_e32 v3, v3, v7
	v_mul_hi_u32 v3, v5, v3
	v_mul_lo_u32 v7, v3, s7
	v_sub_u32_e32 v7, v5, v7
	v_add_u32_e32 v9, 1, v3
	v_cmp_le_u32_e32 vcc, s7, v7
	v_cndmask_b32_e32 v3, v3, v9, vcc
	v_subrev_u32_e32 v9, s7, v7
	v_cndmask_b32_e32 v7, v7, v9, vcc
	v_add_u32_e32 v9, 1, v3
	v_cmp_le_u32_e32 vcc, s7, v7
	v_cndmask_b32_e32 v3, v3, v9, vcc
	v_mul_lo_u32 v7, v3, s7
	v_sub_u32_e32 v5, v5, v7
	v_mad_u64_u32 v[6:7], s[8:9], s8, v5, v[6:7]
	s_cbranch_scc1 .LBB53_6
.LBB53_7:
	s_load_dword s2, s[4:5], 0x6c
	v_cmp_gt_u32_e32 vcc, s12, v1
	v_mov_b32_e32 v10, 0
	s_waitcnt lgkmcnt(0)
	v_mad_u64_u32 v[4:5], s[2:3], s2, v4, v[2:3]
	s_load_dword s15, s[4:5], 0x1c0
	s_load_dword s2, s[4:5], 0x154
	s_load_dwordx2 s[10:11], s[4:5], 0x0
	s_load_dwordx2 s[8:9], s[4:5], 0xe8
	s_load_dword s12, s[0:1], 0xc
	v_mov_b32_e32 v5, 0
	s_waitcnt lgkmcnt(0)
	v_mad_u64_u32 v[2:3], s[2:3], s2, v3, v[6:7]
	v_and_b32_e32 v3, 0x3ff, v0
	v_cmp_gt_u32_e64 s[0:1], s13, v3
	v_pk_mov_b32 v[0:1], 0, 0
	s_and_b64 s[4:5], vcc, s[0:1]
	v_pk_mov_b32 v[6:7], v[0:1], v[0:1] op_sel:[0,1]
	s_and_saveexec_b64 s[6:7], s[4:5]
	s_cbranch_execz .LBB53_9
; %bb.8:
	v_mad_u64_u32 v[6:7], s[2:3], v3, s14, v[4:5]
	v_mov_b32_e32 v7, 0
	v_lshlrev_b64 v[12:13], 2, v[6:7]
	v_mov_b32_e32 v5, s11
	v_add_co_u32_e64 v12, s[2:3], s10, v12
	v_addc_co_u32_e64 v13, s[2:3], v5, v13, s[2:3]
	global_load_dword v5, v[12:13], off
	v_mad_u64_u32 v[12:13], s[2:3], v3, s15, v[2:3]
	v_mov_b32_e32 v13, v7
	v_lshlrev_b64 v[6:7], 3, v[12:13]
	v_mov_b32_e32 v9, s9
	v_add_co_u32_e64 v6, s[2:3], s8, v6
	v_addc_co_u32_e64 v7, s[2:3], v9, v7, s[2:3]
	global_load_dwordx2 v[6:7], v[6:7], off
.LBB53_9:
	s_or_b64 exec, exec, s[6:7]
	v_mov_b32_e32 v9, 0x1000
	v_lshl_add_u32 v18, v8, 7, v9
	v_mov_b32_e32 v9, 0x1800
	v_lshl_add_u32 v17, v8, 5, v9
	v_lshl_add_u32 v9, v3, 2, v18
	s_and_b32 s16, 0xffff, s12
	v_cndmask_b32_e64 v11, 0, 1, s[4:5]
	s_waitcnt vmcnt(1)
	ds_write_b32 v9, v5
	v_add_u32_e32 v5, v17, v3
	ds_write_b8 v5, v11
	v_add_u32_e32 v5, s16, v3
	v_lshlrev_b32_e32 v15, 8, v8
	v_cmp_gt_u32_e64 s[2:3], s13, v5
	v_lshl_add_u32 v8, v3, 3, v15
	s_and_b64 s[6:7], vcc, s[2:3]
	s_waitcnt vmcnt(0)
	ds_write_b64 v8, v[6:7]
	s_and_saveexec_b64 s[12:13], s[6:7]
	s_cbranch_execz .LBB53_11
; %bb.10:
	v_mad_u64_u32 v[0:1], s[4:5], v5, s14, v[4:5]
	v_mov_b32_e32 v1, 0
	v_lshlrev_b64 v[6:7], 2, v[0:1]
	v_mov_b32_e32 v0, s11
	v_add_co_u32_e64 v6, s[4:5], s10, v6
	v_addc_co_u32_e64 v7, s[4:5], v0, v7, s[4:5]
	global_load_dword v10, v[6:7], off
	v_mad_u64_u32 v[6:7], s[4:5], v5, s15, v[2:3]
	v_mov_b32_e32 v7, v1
	v_lshlrev_b64 v[0:1], 3, v[6:7]
	v_mov_b32_e32 v6, s9
	v_add_co_u32_e64 v0, s[4:5], s8, v0
	v_addc_co_u32_e64 v1, s[4:5], v6, v1, s[4:5]
	global_load_dwordx2 v[0:1], v[0:1], off
.LBB53_11:
	s_or_b64 exec, exec, s[12:13]
	v_lshl_add_u32 v6, s16, 3, v8
	v_cndmask_b32_e64 v11, 0, 1, s[6:7]
	s_waitcnt vmcnt(0)
	ds_write_b64 v6, v[0:1]
	v_add_u32_e32 v0, v17, v5
	ds_write_b8 v0, v11
	v_lshlrev_b32_e32 v0, 2, v3
	v_lshl_add_u32 v7, s16, 2, v9
	v_add_u32_e32 v11, v9, v0
	ds_write_b32 v7, v10
	s_waitcnt lgkmcnt(0)
	s_barrier
	ds_read_b64 v[0:1], v11
	v_lshlrev_b32_e32 v19, 1, v3
	s_mov_b32 s16, 1
	v_add_u32_e32 v10, v17, v19
	s_waitcnt lgkmcnt(0)
	v_cmp_u_f32_e64 s[4:5], v0, v0
	v_cmp_o_f32_e64 s[6:7], v1, v1
	s_and_b64 s[6:7], s[4:5], s[6:7]
	v_cmp_gt_f32_e64 s[4:5], v0, v1
	s_or_b64 s[4:5], s[6:7], s[4:5]
	s_xor_b64 s[6:7], s[4:5], -1
	s_and_saveexec_b64 s[12:13], s[4:5]
	s_xor_b64 s[12:13], exec, s[12:13]
	s_cbranch_execz .LBB53_13
; %bb.12:
	ds_read_u8 v12, v10
	s_andn2_b64 s[6:7], s[6:7], exec
	s_waitcnt lgkmcnt(0)
	v_and_b32_e32 v12, 1, v12
	v_cmp_eq_u32_e64 s[4:5], 1, v12
	s_xor_b64 s[4:5], s[4:5], -1
	s_and_b64 s[4:5], s[4:5], exec
	s_or_b64 s[6:7], s[6:7], s[4:5]
.LBB53_13:
	s_or_b64 exec, exec, s[12:13]
	v_mov_b32_e32 v14, s16
	s_and_saveexec_b64 s[4:5], s[6:7]
	s_cbranch_execz .LBB53_15
; %bb.14:
	ds_read_u8 v12, v10 offset:1
	s_waitcnt lgkmcnt(0)
	v_xor_b32_e32 v14, 1, v12
.LBB53_15:
	s_or_b64 exec, exec, s[4:5]
	v_and_b32_e32 v13, 1, v3
	v_lshlrev_b32_e32 v12, 3, v3
	v_cmp_eq_u32_e64 s[4:5], v14, v13
	s_and_saveexec_b64 s[6:7], s[4:5]
	s_cbranch_execz .LBB53_17
; %bb.16:
	v_add_u32_e32 v14, v8, v12
	ds_read_b128 v[20:23], v14
	v_mov_b32_e32 v25, v0
	ds_read_u16 v0, v10
	v_mov_b32_e32 v24, v1
	s_mov_b32 s4, 0xc0c0001
	ds_write_b64 v11, v[24:25]
	s_waitcnt lgkmcnt(2)
	v_mov_b32_e32 v24, v20
	v_mov_b32_e32 v25, v21
	s_waitcnt lgkmcnt(1)
	v_perm_b32 v0, 0, v0, s4
	ds_write_b128 v14, v[22:25]
	ds_write_b16 v10, v0
.LBB53_17:
	s_or_b64 exec, exec, s[6:7]
	v_sub_u32_e32 v16, v19, v13
	v_lshl_add_u32 v13, v16, 2, v18
	s_waitcnt lgkmcnt(0)
	s_barrier
	ds_read2_b32 v[0:1], v13 offset1:2
	v_add_u32_e32 v14, v17, v16
                                        ; implicit-def: $sgpr12
	s_waitcnt lgkmcnt(0)
	v_cmp_u_f32_e64 s[4:5], v0, v0
	v_cmp_o_f32_e64 s[6:7], v1, v1
	s_and_b64 s[6:7], s[4:5], s[6:7]
	v_cmp_gt_f32_e64 s[4:5], v0, v1
	s_or_b64 s[6:7], s[6:7], s[4:5]
	s_mov_b64 s[4:5], -1
	s_and_saveexec_b64 s[16:17], s[6:7]
	s_xor_b64 s[6:7], exec, s[16:17]
	s_cbranch_execz .LBB53_19
; %bb.18:
	ds_read_u8 v20, v14
	s_mov_b32 s12, 1
	s_waitcnt lgkmcnt(0)
	v_and_b32_e32 v20, 1, v20
	v_cmp_eq_u32_e64 s[4:5], 1, v20
	s_xor_b64 s[4:5], s[4:5], -1
	s_orn2_b64 s[4:5], s[4:5], exec
.LBB53_19:
	s_or_b64 exec, exec, s[6:7]
	v_mov_b32_e32 v21, s12
	s_and_saveexec_b64 s[6:7], s[4:5]
	s_cbranch_execz .LBB53_21
; %bb.20:
	ds_read_u8 v20, v14 offset:2
	s_waitcnt lgkmcnt(0)
	v_xor_b32_e32 v21, 1, v20
.LBB53_21:
	s_or_b64 exec, exec, s[6:7]
	v_bfe_u32 v20, v3, 1, 1
	v_lshl_add_u32 v16, v16, 3, v15
	v_cmp_eq_u32_e64 s[4:5], v21, v20
	s_and_saveexec_b64 s[6:7], s[4:5]
	s_cbranch_execz .LBB53_23
; %bb.22:
	ds_read2_b64 v[22:25], v16 offset1:2
	ds_read_u8 v21, v14 offset:2
	ds_read_u8 v26, v14
	ds_write2_b32 v13, v1, v0 offset1:2
	s_waitcnt lgkmcnt(3)
	ds_write2_b64 v16, v[24:25], v[22:23] offset1:2
	s_waitcnt lgkmcnt(3)
	ds_write_b8 v14, v21
	s_waitcnt lgkmcnt(3)
	ds_write_b8 v14, v26 offset:2
.LBB53_23:
	s_or_b64 exec, exec, s[6:7]
	s_waitcnt lgkmcnt(0)
	s_barrier
	ds_read_b64 v[0:1], v11
                                        ; implicit-def: $sgpr16
	s_waitcnt lgkmcnt(0)
	v_cmp_u_f32_e64 s[4:5], v0, v0
	v_cmp_o_f32_e64 s[6:7], v1, v1
	s_and_b64 s[6:7], s[4:5], s[6:7]
	v_cmp_gt_f32_e64 s[4:5], v0, v1
	s_or_b64 s[4:5], s[6:7], s[4:5]
	s_xor_b64 s[6:7], s[4:5], -1
	s_and_saveexec_b64 s[12:13], s[4:5]
	s_cbranch_execnz .LBB53_90
; %bb.24:
	s_or_b64 exec, exec, s[12:13]
	v_mov_b32_e32 v21, s16
	s_and_saveexec_b64 s[4:5], s[6:7]
	s_cbranch_execnz .LBB53_91
.LBB53_25:
	s_or_b64 exec, exec, s[4:5]
	v_cmp_eq_u32_e64 s[4:5], v21, v20
	s_and_saveexec_b64 s[6:7], s[4:5]
	s_cbranch_execz .LBB53_27
.LBB53_26:
	v_add_u32_e32 v26, v8, v12
	ds_read_b128 v[20:23], v26
	v_mov_b32_e32 v25, v0
	ds_read_u16 v0, v10
	v_mov_b32_e32 v24, v1
	s_mov_b32 s4, 0xc0c0001
	ds_write_b64 v11, v[24:25]
	s_waitcnt lgkmcnt(2)
	v_mov_b32_e32 v24, v20
	v_mov_b32_e32 v25, v21
	s_waitcnt lgkmcnt(1)
	v_perm_b32 v0, 0, v0, s4
	ds_write_b128 v26, v[22:25]
	ds_write_b16 v10, v0
.LBB53_27:
	s_or_b64 exec, exec, s[6:7]
	v_and_b32_e32 v0, 3, v3
	v_sub_u32_e32 v22, v19, v0
	v_lshl_add_u32 v20, v22, 2, v18
	s_waitcnt lgkmcnt(0)
	s_barrier
	ds_read2_b32 v[0:1], v20 offset1:4
	v_add_u32_e32 v21, v17, v22
                                        ; implicit-def: $sgpr16
	s_waitcnt lgkmcnt(0)
	v_cmp_u_f32_e64 s[4:5], v0, v0
	v_cmp_o_f32_e64 s[6:7], v1, v1
	s_and_b64 s[6:7], s[4:5], s[6:7]
	v_cmp_gt_f32_e64 s[4:5], v0, v1
	s_or_b64 s[4:5], s[6:7], s[4:5]
	s_xor_b64 s[6:7], s[4:5], -1
	s_and_saveexec_b64 s[12:13], s[4:5]
	s_cbranch_execz .LBB53_29
; %bb.28:
	ds_read_u8 v23, v21
	s_andn2_b64 s[6:7], s[6:7], exec
	s_mov_b32 s16, 1
	s_waitcnt lgkmcnt(0)
	v_and_b32_e32 v23, 1, v23
	v_cmp_eq_u32_e64 s[4:5], 1, v23
	s_xor_b64 s[4:5], s[4:5], -1
	s_and_b64 s[4:5], s[4:5], exec
	s_or_b64 s[6:7], s[6:7], s[4:5]
.LBB53_29:
	s_or_b64 exec, exec, s[12:13]
	v_mov_b32_e32 v24, s16
	s_and_saveexec_b64 s[4:5], s[6:7]
	s_cbranch_execz .LBB53_31
; %bb.30:
	ds_read_u8 v23, v21 offset:4
	s_waitcnt lgkmcnt(0)
	v_xor_b32_e32 v24, 1, v23
.LBB53_31:
	s_or_b64 exec, exec, s[4:5]
	v_bfe_u32 v23, v3, 2, 1
	v_lshl_add_u32 v22, v22, 3, v15
	v_cmp_eq_u32_e64 s[4:5], v24, v23
	s_and_saveexec_b64 s[6:7], s[4:5]
	s_cbranch_execz .LBB53_33
; %bb.32:
	ds_read2_b64 v[24:27], v22 offset1:4
	ds_read_u8 v28, v21 offset:4
	ds_read_u8 v29, v21
	ds_write2_b32 v20, v1, v0 offset1:4
	s_waitcnt lgkmcnt(3)
	ds_write2_b64 v22, v[26:27], v[24:25] offset1:4
	s_waitcnt lgkmcnt(3)
	ds_write_b8 v21, v28
	s_waitcnt lgkmcnt(3)
	ds_write_b8 v21, v29 offset:4
.LBB53_33:
	s_or_b64 exec, exec, s[6:7]
	s_waitcnt lgkmcnt(0)
	s_barrier
	ds_read2_b32 v[0:1], v13 offset1:2
                                        ; implicit-def: $sgpr16
	s_waitcnt lgkmcnt(0)
	v_cmp_u_f32_e64 s[4:5], v0, v0
	v_cmp_o_f32_e64 s[6:7], v1, v1
	s_and_b64 s[6:7], s[4:5], s[6:7]
	v_cmp_gt_f32_e64 s[4:5], v0, v1
	s_or_b64 s[4:5], s[6:7], s[4:5]
	s_xor_b64 s[6:7], s[4:5], -1
	s_and_saveexec_b64 s[12:13], s[4:5]
	s_cbranch_execnz .LBB53_92
; %bb.34:
	s_or_b64 exec, exec, s[12:13]
	v_mov_b32_e32 v24, s16
	s_and_saveexec_b64 s[4:5], s[6:7]
	s_cbranch_execnz .LBB53_93
.LBB53_35:
	s_or_b64 exec, exec, s[4:5]
	v_cmp_eq_u32_e64 s[4:5], v24, v23
	s_and_saveexec_b64 s[6:7], s[4:5]
	s_cbranch_execz .LBB53_37
.LBB53_36:
	ds_read2_b64 v[24:27], v16 offset1:2
	ds_read_u8 v28, v14 offset:2
	ds_read_u8 v29, v14
	ds_write2_b32 v13, v1, v0 offset1:2
	s_waitcnt lgkmcnt(3)
	ds_write2_b64 v16, v[26:27], v[24:25] offset1:2
	s_waitcnt lgkmcnt(3)
	ds_write_b8 v14, v28
	s_waitcnt lgkmcnt(3)
	ds_write_b8 v14, v29 offset:2
.LBB53_37:
	s_or_b64 exec, exec, s[6:7]
	s_waitcnt lgkmcnt(0)
	s_barrier
	ds_read_b64 v[0:1], v11
                                        ; implicit-def: $sgpr16
	s_waitcnt lgkmcnt(0)
	v_cmp_u_f32_e64 s[4:5], v0, v0
	v_cmp_o_f32_e64 s[6:7], v1, v1
	s_and_b64 s[6:7], s[4:5], s[6:7]
	v_cmp_gt_f32_e64 s[4:5], v0, v1
	s_or_b64 s[4:5], s[6:7], s[4:5]
	s_xor_b64 s[6:7], s[4:5], -1
	s_and_saveexec_b64 s[12:13], s[4:5]
	s_cbranch_execnz .LBB53_94
; %bb.38:
	s_or_b64 exec, exec, s[12:13]
	v_mov_b32_e32 v24, s16
	s_and_saveexec_b64 s[4:5], s[6:7]
	s_cbranch_execnz .LBB53_95
.LBB53_39:
	s_or_b64 exec, exec, s[4:5]
	v_cmp_eq_u32_e64 s[4:5], v24, v23
	s_and_saveexec_b64 s[6:7], s[4:5]
	s_cbranch_execz .LBB53_41
.LBB53_40:
	v_add_u32_e32 v23, v8, v12
	ds_read_b128 v[24:27], v23
	v_mov_b32_e32 v29, v0
	ds_read_u16 v0, v10
	v_mov_b32_e32 v28, v1
	s_mov_b32 s4, 0xc0c0001
	ds_write_b64 v11, v[28:29]
	s_waitcnt lgkmcnt(2)
	v_mov_b32_e32 v28, v24
	v_mov_b32_e32 v29, v25
	s_waitcnt lgkmcnt(1)
	v_perm_b32 v0, 0, v0, s4
	ds_write_b128 v23, v[26:29]
	ds_write_b16 v10, v0
.LBB53_41:
	s_or_b64 exec, exec, s[6:7]
	v_and_b32_e32 v0, 7, v3
	v_sub_u32_e32 v25, v19, v0
	v_lshl_add_u32 v23, v25, 2, v18
	s_waitcnt lgkmcnt(0)
	s_barrier
	ds_read2_b32 v[0:1], v23 offset1:8
	v_add_u32_e32 v24, v17, v25
                                        ; implicit-def: $sgpr16
	s_waitcnt lgkmcnt(0)
	v_cmp_u_f32_e64 s[4:5], v0, v0
	v_cmp_o_f32_e64 s[6:7], v1, v1
	s_and_b64 s[6:7], s[4:5], s[6:7]
	v_cmp_gt_f32_e64 s[4:5], v0, v1
	s_or_b64 s[4:5], s[6:7], s[4:5]
	s_xor_b64 s[6:7], s[4:5], -1
	s_and_saveexec_b64 s[12:13], s[4:5]
	s_cbranch_execz .LBB53_43
; %bb.42:
	ds_read_u8 v26, v24
	s_andn2_b64 s[6:7], s[6:7], exec
	s_mov_b32 s16, 1
	s_waitcnt lgkmcnt(0)
	v_and_b32_e32 v26, 1, v26
	v_cmp_eq_u32_e64 s[4:5], 1, v26
	s_xor_b64 s[4:5], s[4:5], -1
	s_and_b64 s[4:5], s[4:5], exec
	s_or_b64 s[6:7], s[6:7], s[4:5]
.LBB53_43:
	s_or_b64 exec, exec, s[12:13]
	v_mov_b32_e32 v27, s16
	s_and_saveexec_b64 s[4:5], s[6:7]
	s_cbranch_execz .LBB53_45
; %bb.44:
	ds_read_u8 v26, v24 offset:8
	s_waitcnt lgkmcnt(0)
	v_xor_b32_e32 v27, 1, v26
.LBB53_45:
	s_or_b64 exec, exec, s[4:5]
	v_bfe_u32 v26, v3, 3, 1
	v_lshl_add_u32 v25, v25, 3, v15
	v_cmp_eq_u32_e64 s[4:5], v27, v26
	s_and_saveexec_b64 s[6:7], s[4:5]
	s_cbranch_execz .LBB53_47
; %bb.46:
	ds_read2_b64 v[28:31], v25 offset1:8
	ds_read_u8 v27, v24 offset:8
	ds_read_u8 v32, v24
	ds_write2_b32 v23, v1, v0 offset1:8
	s_waitcnt lgkmcnt(3)
	ds_write2_b64 v25, v[30:31], v[28:29] offset1:8
	s_waitcnt lgkmcnt(3)
	ds_write_b8 v24, v27
	s_waitcnt lgkmcnt(3)
	ds_write_b8 v24, v32 offset:8
.LBB53_47:
	s_or_b64 exec, exec, s[6:7]
	s_waitcnt lgkmcnt(0)
	s_barrier
	ds_read2_b32 v[0:1], v20 offset1:4
                                        ; implicit-def: $sgpr16
	s_waitcnt lgkmcnt(0)
	v_cmp_u_f32_e64 s[4:5], v0, v0
	v_cmp_o_f32_e64 s[6:7], v1, v1
	s_and_b64 s[6:7], s[4:5], s[6:7]
	v_cmp_gt_f32_e64 s[4:5], v0, v1
	s_or_b64 s[4:5], s[6:7], s[4:5]
	s_xor_b64 s[6:7], s[4:5], -1
	s_and_saveexec_b64 s[12:13], s[4:5]
	s_cbranch_execnz .LBB53_96
; %bb.48:
	s_or_b64 exec, exec, s[12:13]
	v_mov_b32_e32 v27, s16
	s_and_saveexec_b64 s[4:5], s[6:7]
	s_cbranch_execnz .LBB53_97
.LBB53_49:
	s_or_b64 exec, exec, s[4:5]
	v_cmp_eq_u32_e64 s[4:5], v27, v26
	s_and_saveexec_b64 s[6:7], s[4:5]
	s_cbranch_execz .LBB53_51
.LBB53_50:
	ds_read2_b64 v[28:31], v22 offset1:4
	ds_read_u8 v27, v21 offset:4
	ds_read_u8 v32, v21
	ds_write2_b32 v20, v1, v0 offset1:4
	s_waitcnt lgkmcnt(3)
	ds_write2_b64 v22, v[30:31], v[28:29] offset1:4
	s_waitcnt lgkmcnt(3)
	ds_write_b8 v21, v27
	s_waitcnt lgkmcnt(3)
	ds_write_b8 v21, v32 offset:4
.LBB53_51:
	s_or_b64 exec, exec, s[6:7]
	s_waitcnt lgkmcnt(0)
	s_barrier
	ds_read2_b32 v[0:1], v13 offset1:2
                                        ; implicit-def: $sgpr16
	s_waitcnt lgkmcnt(0)
	v_cmp_u_f32_e64 s[4:5], v0, v0
	v_cmp_o_f32_e64 s[6:7], v1, v1
	s_and_b64 s[6:7], s[4:5], s[6:7]
	v_cmp_gt_f32_e64 s[4:5], v0, v1
	s_or_b64 s[4:5], s[6:7], s[4:5]
	s_xor_b64 s[6:7], s[4:5], -1
	s_and_saveexec_b64 s[12:13], s[4:5]
	s_cbranch_execnz .LBB53_98
; %bb.52:
	s_or_b64 exec, exec, s[12:13]
	v_mov_b32_e32 v27, s16
	s_and_saveexec_b64 s[4:5], s[6:7]
	s_cbranch_execnz .LBB53_99
.LBB53_53:
	s_or_b64 exec, exec, s[4:5]
	v_cmp_eq_u32_e64 s[4:5], v27, v26
	s_and_saveexec_b64 s[6:7], s[4:5]
	s_cbranch_execz .LBB53_55
.LBB53_54:
	ds_read2_b64 v[28:31], v16 offset1:2
	ds_read_u8 v27, v14 offset:2
	ds_read_u8 v32, v14
	ds_write2_b32 v13, v1, v0 offset1:2
	s_waitcnt lgkmcnt(3)
	ds_write2_b64 v16, v[30:31], v[28:29] offset1:2
	s_waitcnt lgkmcnt(3)
	ds_write_b8 v14, v27
	s_waitcnt lgkmcnt(3)
	ds_write_b8 v14, v32 offset:2
.LBB53_55:
	s_or_b64 exec, exec, s[6:7]
	s_waitcnt lgkmcnt(0)
	s_barrier
	ds_read_b64 v[0:1], v11
                                        ; implicit-def: $sgpr16
	s_waitcnt lgkmcnt(0)
	v_cmp_u_f32_e64 s[4:5], v0, v0
	v_cmp_o_f32_e64 s[6:7], v1, v1
	s_and_b64 s[6:7], s[4:5], s[6:7]
	v_cmp_gt_f32_e64 s[4:5], v0, v1
	s_or_b64 s[4:5], s[6:7], s[4:5]
	s_xor_b64 s[6:7], s[4:5], -1
	s_and_saveexec_b64 s[12:13], s[4:5]
	s_cbranch_execnz .LBB53_100
; %bb.56:
	s_or_b64 exec, exec, s[12:13]
	v_mov_b32_e32 v27, s16
	s_and_saveexec_b64 s[4:5], s[6:7]
	s_cbranch_execnz .LBB53_101
.LBB53_57:
	s_or_b64 exec, exec, s[4:5]
	v_cmp_eq_u32_e64 s[4:5], v27, v26
	s_and_saveexec_b64 s[6:7], s[4:5]
	s_cbranch_execz .LBB53_59
.LBB53_58:
	v_add_u32_e32 v32, v8, v12
	ds_read_b128 v[26:29], v32
	v_mov_b32_e32 v31, v0
	ds_read_u16 v0, v10
	v_mov_b32_e32 v30, v1
	s_mov_b32 s4, 0xc0c0001
	ds_write_b64 v11, v[30:31]
	s_waitcnt lgkmcnt(2)
	v_mov_b32_e32 v30, v26
	v_mov_b32_e32 v31, v27
	s_waitcnt lgkmcnt(1)
	v_perm_b32 v0, 0, v0, s4
	ds_write_b128 v32, v[28:31]
	ds_write_b16 v10, v0
.LBB53_59:
	s_or_b64 exec, exec, s[6:7]
	v_and_b32_e32 v0, 15, v3
	v_sub_u32_e32 v19, v19, v0
	v_lshl_add_u32 v18, v19, 2, v18
	s_waitcnt lgkmcnt(0)
	s_barrier
	ds_read2_b32 v[0:1], v18 offset1:16
	v_add_u32_e32 v17, v17, v19
	s_waitcnt lgkmcnt(0)
	v_cmp_u_f32_e64 s[4:5], v0, v0
	v_cmp_o_f32_e64 s[6:7], v1, v1
	s_and_b64 s[6:7], s[4:5], s[6:7]
	v_cmp_gt_f32_e64 s[4:5], v0, v1
	s_or_b64 s[4:5], s[6:7], s[4:5]
	s_xor_b64 s[12:13], s[4:5], -1
	s_and_saveexec_b64 s[6:7], s[4:5]
	s_cbranch_execz .LBB53_61
; %bb.60:
	ds_read_u8 v26, v17
	s_andn2_b64 s[12:13], s[12:13], exec
	s_waitcnt lgkmcnt(0)
	v_and_b32_e32 v26, 1, v26
	v_cmp_eq_u32_e64 s[4:5], 1, v26
	s_xor_b64 s[4:5], s[4:5], -1
	s_and_b64 s[4:5], s[4:5], exec
	s_or_b64 s[12:13], s[12:13], s[4:5]
.LBB53_61:
	s_or_b64 exec, exec, s[6:7]
	s_and_saveexec_b64 s[6:7], s[12:13]
	s_cbranch_execz .LBB53_64
; %bb.62:
	ds_read_u8 v26, v17 offset:16
	s_waitcnt lgkmcnt(0)
	v_cmp_ne_u16_e64 s[4:5], 0, v26
	s_and_b64 exec, exec, s[4:5]
	s_cbranch_execz .LBB53_64
; %bb.63:
	v_lshl_add_u32 v15, v19, 3, v15
	ds_read2_b64 v[28:31], v15 offset1:16
	ds_read_u8 v19, v17
	ds_write2_b32 v18, v1, v0 offset1:16
	ds_write_b8 v17, v26
	s_waitcnt lgkmcnt(3)
	ds_write2_b64 v15, v[30:31], v[28:29] offset1:16
	s_waitcnt lgkmcnt(3)
	ds_write_b8 v17, v19 offset:16
.LBB53_64:
	s_or_b64 exec, exec, s[6:7]
	s_waitcnt lgkmcnt(0)
	s_barrier
	ds_read2_b32 v[0:1], v23 offset1:8
	s_waitcnt lgkmcnt(0)
	v_cmp_u_f32_e64 s[4:5], v0, v0
	v_cmp_o_f32_e64 s[6:7], v1, v1
	s_and_b64 s[6:7], s[4:5], s[6:7]
	v_cmp_gt_f32_e64 s[4:5], v0, v1
	s_or_b64 s[4:5], s[6:7], s[4:5]
	s_xor_b64 s[12:13], s[4:5], -1
	s_and_saveexec_b64 s[6:7], s[4:5]
	s_cbranch_execz .LBB53_66
; %bb.65:
	ds_read_u8 v15, v24
	s_andn2_b64 s[12:13], s[12:13], exec
	s_waitcnt lgkmcnt(0)
	v_and_b32_e32 v15, 1, v15
	v_cmp_eq_u32_e64 s[4:5], 1, v15
	s_xor_b64 s[4:5], s[4:5], -1
	s_and_b64 s[4:5], s[4:5], exec
	s_or_b64 s[12:13], s[12:13], s[4:5]
.LBB53_66:
	s_or_b64 exec, exec, s[6:7]
	s_and_saveexec_b64 s[6:7], s[12:13]
	s_cbranch_execz .LBB53_69
; %bb.67:
	ds_read_u8 v15, v24 offset:8
	s_waitcnt lgkmcnt(0)
	v_cmp_ne_u16_e64 s[4:5], 0, v15
	s_and_b64 exec, exec, s[4:5]
	s_cbranch_execz .LBB53_69
; %bb.68:
	ds_read2_b64 v[26:29], v25 offset1:8
	ds_read_u8 v17, v24
	ds_write2_b32 v23, v1, v0 offset1:8
	ds_write_b8 v24, v15
	s_waitcnt lgkmcnt(3)
	ds_write2_b64 v25, v[28:29], v[26:27] offset1:8
	s_waitcnt lgkmcnt(3)
	ds_write_b8 v24, v17 offset:8
.LBB53_69:
	s_or_b64 exec, exec, s[6:7]
	s_waitcnt lgkmcnt(0)
	s_barrier
	ds_read2_b32 v[0:1], v20 offset1:4
	s_waitcnt lgkmcnt(0)
	v_cmp_u_f32_e64 s[4:5], v0, v0
	v_cmp_o_f32_e64 s[6:7], v1, v1
	s_and_b64 s[6:7], s[4:5], s[6:7]
	v_cmp_gt_f32_e64 s[4:5], v0, v1
	s_or_b64 s[4:5], s[6:7], s[4:5]
	s_xor_b64 s[12:13], s[4:5], -1
	s_and_saveexec_b64 s[6:7], s[4:5]
	s_cbranch_execz .LBB53_71
; %bb.70:
	ds_read_u8 v15, v21
	s_andn2_b64 s[12:13], s[12:13], exec
	s_waitcnt lgkmcnt(0)
	v_and_b32_e32 v15, 1, v15
	v_cmp_eq_u32_e64 s[4:5], 1, v15
	s_xor_b64 s[4:5], s[4:5], -1
	s_and_b64 s[4:5], s[4:5], exec
	s_or_b64 s[12:13], s[12:13], s[4:5]
.LBB53_71:
	s_or_b64 exec, exec, s[6:7]
	s_and_saveexec_b64 s[6:7], s[12:13]
	s_cbranch_execz .LBB53_74
; %bb.72:
	ds_read_u8 v15, v21 offset:4
	s_waitcnt lgkmcnt(0)
	v_cmp_ne_u16_e64 s[4:5], 0, v15
	s_and_b64 exec, exec, s[4:5]
	s_cbranch_execz .LBB53_74
; %bb.73:
	ds_read2_b64 v[24:27], v22 offset1:4
	ds_read_u8 v17, v21
	ds_write2_b32 v20, v1, v0 offset1:4
	ds_write_b8 v21, v15
	s_waitcnt lgkmcnt(3)
	ds_write2_b64 v22, v[26:27], v[24:25] offset1:4
	s_waitcnt lgkmcnt(3)
	ds_write_b8 v21, v17 offset:4
.LBB53_74:
	;; [unrolled: 42-line block ×3, first 2 shown]
	s_or_b64 exec, exec, s[6:7]
	s_waitcnt lgkmcnt(0)
	s_barrier
	ds_read_b64 v[0:1], v11
	s_waitcnt lgkmcnt(0)
	v_cmp_u_f32_e64 s[4:5], v0, v0
	v_cmp_o_f32_e64 s[6:7], v1, v1
	s_and_b64 s[6:7], s[4:5], s[6:7]
	v_cmp_gt_f32_e64 s[4:5], v0, v1
	s_or_b64 s[4:5], s[6:7], s[4:5]
	s_xor_b64 s[12:13], s[4:5], -1
	s_and_saveexec_b64 s[6:7], s[4:5]
	s_cbranch_execz .LBB53_81
; %bb.80:
	ds_read_u8 v13, v10
	s_andn2_b64 s[12:13], s[12:13], exec
	s_waitcnt lgkmcnt(0)
	v_and_b32_e32 v13, 1, v13
	v_cmp_eq_u32_e64 s[4:5], 1, v13
	s_xor_b64 s[4:5], s[4:5], -1
	s_and_b64 s[4:5], s[4:5], exec
	s_or_b64 s[12:13], s[12:13], s[4:5]
.LBB53_81:
	s_or_b64 exec, exec, s[6:7]
	s_and_saveexec_b64 s[6:7], s[12:13]
	s_cbranch_execz .LBB53_84
; %bb.82:
	ds_read_u8 v13, v10 offset:1
	s_waitcnt lgkmcnt(0)
	v_cmp_ne_u16_e64 s[4:5], 0, v13
	s_and_b64 exec, exec, s[4:5]
	s_cbranch_execz .LBB53_84
; %bb.83:
	v_add_u32_e32 v12, v8, v12
	ds_read_b128 v[14:17], v12
	v_mov_b32_e32 v19, v0
	ds_read_u8 v0, v10
	v_mov_b32_e32 v18, v1
	ds_write_b64 v11, v[18:19]
	s_waitcnt lgkmcnt(2)
	v_mov_b32_e32 v18, v14
	v_mov_b32_e32 v19, v15
	s_waitcnt lgkmcnt(1)
	v_lshlrev_b16_e32 v0, 8, v0
	v_or_b32_e32 v0, v13, v0
	ds_write_b128 v12, v[16:19]
	ds_write_b16 v10, v0
.LBB53_84:
	s_or_b64 exec, exec, s[6:7]
	s_waitcnt lgkmcnt(0)
	s_barrier
	s_and_saveexec_b64 s[4:5], vcc
	s_cbranch_execz .LBB53_89
; %bb.85:
	s_and_saveexec_b64 s[4:5], s[0:1]
	s_cbranch_execz .LBB53_87
; %bb.86:
	ds_read_b32 v12, v9
	v_mad_u64_u32 v[0:1], s[0:1], v3, s14, v[4:5]
	v_mov_b32_e32 v1, 0
	v_lshlrev_b64 v[10:11], 2, v[0:1]
	v_mov_b32_e32 v0, s11
	v_add_co_u32_e32 v10, vcc, s10, v10
	v_addc_co_u32_e32 v11, vcc, v0, v11, vcc
	ds_read_b64 v[8:9], v8
	s_waitcnt lgkmcnt(1)
	global_store_dword v[10:11], v12, off
	v_mad_u64_u32 v[10:11], s[0:1], v3, s15, v[2:3]
	v_mov_b32_e32 v11, v1
	v_lshlrev_b64 v[0:1], 3, v[10:11]
	v_mov_b32_e32 v3, s9
	v_add_co_u32_e32 v0, vcc, s8, v0
	v_addc_co_u32_e32 v1, vcc, v3, v1, vcc
	s_waitcnt lgkmcnt(0)
	global_store_dwordx2 v[0:1], v[8:9], off
.LBB53_87:
	s_or_b64 exec, exec, s[4:5]
	s_and_b64 exec, exec, s[2:3]
	s_cbranch_execz .LBB53_89
; %bb.88:
	ds_read_b32 v3, v7
	v_mad_u64_u32 v[0:1], s[0:1], v5, s14, v[4:5]
	v_mov_b32_e32 v1, 0
	v_lshlrev_b64 v[8:9], 2, v[0:1]
	v_mov_b32_e32 v0, s11
	v_add_co_u32_e32 v8, vcc, s10, v8
	v_addc_co_u32_e32 v9, vcc, v0, v9, vcc
	ds_read_b64 v[6:7], v6
	s_waitcnt lgkmcnt(1)
	global_store_dword v[8:9], v3, off
	v_mad_u64_u32 v[2:3], s[0:1], v5, s15, v[2:3]
	v_mov_b32_e32 v3, v1
	v_lshlrev_b64 v[0:1], 3, v[2:3]
	v_mov_b32_e32 v2, s9
	v_add_co_u32_e32 v0, vcc, s8, v0
	v_addc_co_u32_e32 v1, vcc, v2, v1, vcc
	s_waitcnt lgkmcnt(0)
	global_store_dwordx2 v[0:1], v[6:7], off
.LBB53_89:
	s_endpgm
.LBB53_90:
	ds_read_u8 v21, v10
	s_andn2_b64 s[6:7], s[6:7], exec
	s_mov_b32 s16, 1
	s_waitcnt lgkmcnt(0)
	v_and_b32_e32 v21, 1, v21
	v_cmp_eq_u32_e64 s[4:5], 1, v21
	s_xor_b64 s[4:5], s[4:5], -1
	s_and_b64 s[4:5], s[4:5], exec
	s_or_b64 s[6:7], s[6:7], s[4:5]
	s_or_b64 exec, exec, s[12:13]
	v_mov_b32_e32 v21, s16
	s_and_saveexec_b64 s[4:5], s[6:7]
	s_cbranch_execz .LBB53_25
.LBB53_91:
	ds_read_u8 v21, v10 offset:1
	s_waitcnt lgkmcnt(0)
	v_xor_b32_e32 v21, 1, v21
	s_or_b64 exec, exec, s[4:5]
	v_cmp_eq_u32_e64 s[4:5], v21, v20
	s_and_saveexec_b64 s[6:7], s[4:5]
	s_cbranch_execnz .LBB53_26
	s_branch .LBB53_27
.LBB53_92:
	ds_read_u8 v24, v14
	s_andn2_b64 s[6:7], s[6:7], exec
	s_mov_b32 s16, 1
	s_waitcnt lgkmcnt(0)
	v_and_b32_e32 v24, 1, v24
	v_cmp_eq_u32_e64 s[4:5], 1, v24
	s_xor_b64 s[4:5], s[4:5], -1
	s_and_b64 s[4:5], s[4:5], exec
	s_or_b64 s[6:7], s[6:7], s[4:5]
	s_or_b64 exec, exec, s[12:13]
	v_mov_b32_e32 v24, s16
	s_and_saveexec_b64 s[4:5], s[6:7]
	s_cbranch_execz .LBB53_35
.LBB53_93:
	ds_read_u8 v24, v14 offset:2
	s_waitcnt lgkmcnt(0)
	v_xor_b32_e32 v24, 1, v24
	s_or_b64 exec, exec, s[4:5]
	v_cmp_eq_u32_e64 s[4:5], v24, v23
	s_and_saveexec_b64 s[6:7], s[4:5]
	s_cbranch_execnz .LBB53_36
	s_branch .LBB53_37
.LBB53_94:
	ds_read_u8 v24, v10
	s_andn2_b64 s[6:7], s[6:7], exec
	s_mov_b32 s16, 1
	s_waitcnt lgkmcnt(0)
	v_and_b32_e32 v24, 1, v24
	v_cmp_eq_u32_e64 s[4:5], 1, v24
	s_xor_b64 s[4:5], s[4:5], -1
	s_and_b64 s[4:5], s[4:5], exec
	s_or_b64 s[6:7], s[6:7], s[4:5]
	s_or_b64 exec, exec, s[12:13]
	v_mov_b32_e32 v24, s16
	s_and_saveexec_b64 s[4:5], s[6:7]
	s_cbranch_execz .LBB53_39
.LBB53_95:
	ds_read_u8 v24, v10 offset:1
	s_waitcnt lgkmcnt(0)
	v_xor_b32_e32 v24, 1, v24
	s_or_b64 exec, exec, s[4:5]
	v_cmp_eq_u32_e64 s[4:5], v24, v23
	s_and_saveexec_b64 s[6:7], s[4:5]
	s_cbranch_execnz .LBB53_40
	s_branch .LBB53_41
.LBB53_96:
	ds_read_u8 v27, v21
	s_andn2_b64 s[6:7], s[6:7], exec
	s_mov_b32 s16, 1
	s_waitcnt lgkmcnt(0)
	v_and_b32_e32 v27, 1, v27
	v_cmp_eq_u32_e64 s[4:5], 1, v27
	s_xor_b64 s[4:5], s[4:5], -1
	s_and_b64 s[4:5], s[4:5], exec
	s_or_b64 s[6:7], s[6:7], s[4:5]
	s_or_b64 exec, exec, s[12:13]
	v_mov_b32_e32 v27, s16
	s_and_saveexec_b64 s[4:5], s[6:7]
	s_cbranch_execz .LBB53_49
.LBB53_97:
	ds_read_u8 v27, v21 offset:4
	s_waitcnt lgkmcnt(0)
	v_xor_b32_e32 v27, 1, v27
	s_or_b64 exec, exec, s[4:5]
	v_cmp_eq_u32_e64 s[4:5], v27, v26
	s_and_saveexec_b64 s[6:7], s[4:5]
	s_cbranch_execnz .LBB53_50
	s_branch .LBB53_51
.LBB53_98:
	ds_read_u8 v27, v14
	s_andn2_b64 s[6:7], s[6:7], exec
	s_mov_b32 s16, 1
	s_waitcnt lgkmcnt(0)
	v_and_b32_e32 v27, 1, v27
	v_cmp_eq_u32_e64 s[4:5], 1, v27
	s_xor_b64 s[4:5], s[4:5], -1
	s_and_b64 s[4:5], s[4:5], exec
	s_or_b64 s[6:7], s[6:7], s[4:5]
	s_or_b64 exec, exec, s[12:13]
	v_mov_b32_e32 v27, s16
	s_and_saveexec_b64 s[4:5], s[6:7]
	s_cbranch_execz .LBB53_53
.LBB53_99:
	ds_read_u8 v27, v14 offset:2
	s_waitcnt lgkmcnt(0)
	v_xor_b32_e32 v27, 1, v27
	s_or_b64 exec, exec, s[4:5]
	v_cmp_eq_u32_e64 s[4:5], v27, v26
	s_and_saveexec_b64 s[6:7], s[4:5]
	s_cbranch_execnz .LBB53_54
	s_branch .LBB53_55
.LBB53_100:
	ds_read_u8 v27, v10
	s_andn2_b64 s[6:7], s[6:7], exec
	s_mov_b32 s16, 1
	s_waitcnt lgkmcnt(0)
	v_and_b32_e32 v27, 1, v27
	v_cmp_eq_u32_e64 s[4:5], 1, v27
	s_xor_b64 s[4:5], s[4:5], -1
	s_and_b64 s[4:5], s[4:5], exec
	s_or_b64 s[6:7], s[6:7], s[4:5]
	s_or_b64 exec, exec, s[12:13]
	v_mov_b32_e32 v27, s16
	s_and_saveexec_b64 s[4:5], s[6:7]
	s_cbranch_execz .LBB53_57
.LBB53_101:
	ds_read_u8 v27, v10 offset:1
	s_waitcnt lgkmcnt(0)
	v_xor_b32_e32 v27, 1, v27
	s_or_b64 exec, exec, s[4:5]
	v_cmp_eq_u32_e64 s[4:5], v27, v26
	s_and_saveexec_b64 s[6:7], s[4:5]
	s_cbranch_execnz .LBB53_58
	s_branch .LBB53_59
	.section	.rodata,"a",@progbits
	.p2align	6, 0x0
	.amdhsa_kernel _ZN2at6native20bitonicSortKVInPlaceILin1ELin1ELi16ELi16EflNS0_4GTOpIfLb1EEEjEEvNS_4cuda6detail10TensorInfoIT3_T6_EES8_S8_S8_NS6_IT4_S8_EES8_T5_
		.amdhsa_group_segment_fixed_size 6656
		.amdhsa_private_segment_fixed_size 0
		.amdhsa_kernarg_size 712
		.amdhsa_user_sgpr_count 6
		.amdhsa_user_sgpr_private_segment_buffer 1
		.amdhsa_user_sgpr_dispatch_ptr 0
		.amdhsa_user_sgpr_queue_ptr 0
		.amdhsa_user_sgpr_kernarg_segment_ptr 1
		.amdhsa_user_sgpr_dispatch_id 0
		.amdhsa_user_sgpr_flat_scratch_init 0
		.amdhsa_user_sgpr_kernarg_preload_length 0
		.amdhsa_user_sgpr_kernarg_preload_offset 0
		.amdhsa_user_sgpr_private_segment_size 0
		.amdhsa_uses_dynamic_stack 0
		.amdhsa_system_sgpr_private_segment_wavefront_offset 0
		.amdhsa_system_sgpr_workgroup_id_x 1
		.amdhsa_system_sgpr_workgroup_id_y 1
		.amdhsa_system_sgpr_workgroup_id_z 1
		.amdhsa_system_sgpr_workgroup_info 0
		.amdhsa_system_vgpr_workitem_id 1
		.amdhsa_next_free_vgpr 33
		.amdhsa_next_free_sgpr 18
		.amdhsa_accum_offset 36
		.amdhsa_reserve_vcc 1
		.amdhsa_reserve_flat_scratch 0
		.amdhsa_float_round_mode_32 0
		.amdhsa_float_round_mode_16_64 0
		.amdhsa_float_denorm_mode_32 3
		.amdhsa_float_denorm_mode_16_64 3
		.amdhsa_dx10_clamp 1
		.amdhsa_ieee_mode 1
		.amdhsa_fp16_overflow 0
		.amdhsa_tg_split 0
		.amdhsa_exception_fp_ieee_invalid_op 0
		.amdhsa_exception_fp_denorm_src 0
		.amdhsa_exception_fp_ieee_div_zero 0
		.amdhsa_exception_fp_ieee_overflow 0
		.amdhsa_exception_fp_ieee_underflow 0
		.amdhsa_exception_fp_ieee_inexact 0
		.amdhsa_exception_int_div_zero 0
	.end_amdhsa_kernel
	.section	.text._ZN2at6native20bitonicSortKVInPlaceILin1ELin1ELi16ELi16EflNS0_4GTOpIfLb1EEEjEEvNS_4cuda6detail10TensorInfoIT3_T6_EES8_S8_S8_NS6_IT4_S8_EES8_T5_,"axG",@progbits,_ZN2at6native20bitonicSortKVInPlaceILin1ELin1ELi16ELi16EflNS0_4GTOpIfLb1EEEjEEvNS_4cuda6detail10TensorInfoIT3_T6_EES8_S8_S8_NS6_IT4_S8_EES8_T5_,comdat
.Lfunc_end53:
	.size	_ZN2at6native20bitonicSortKVInPlaceILin1ELin1ELi16ELi16EflNS0_4GTOpIfLb1EEEjEEvNS_4cuda6detail10TensorInfoIT3_T6_EES8_S8_S8_NS6_IT4_S8_EES8_T5_, .Lfunc_end53-_ZN2at6native20bitonicSortKVInPlaceILin1ELin1ELi16ELi16EflNS0_4GTOpIfLb1EEEjEEvNS_4cuda6detail10TensorInfoIT3_T6_EES8_S8_S8_NS6_IT4_S8_EES8_T5_
                                        ; -- End function
	.section	.AMDGPU.csdata,"",@progbits
; Kernel info:
; codeLenInByte = 5124
; NumSgprs: 22
; NumVgprs: 33
; NumAgprs: 0
; TotalNumVgprs: 33
; ScratchSize: 0
; MemoryBound: 0
; FloatMode: 240
; IeeeMode: 1
; LDSByteSize: 6656 bytes/workgroup (compile time only)
; SGPRBlocks: 2
; VGPRBlocks: 4
; NumSGPRsForWavesPerEU: 22
; NumVGPRsForWavesPerEU: 33
; AccumOffset: 36
; Occupancy: 8
; WaveLimiterHint : 1
; COMPUTE_PGM_RSRC2:SCRATCH_EN: 0
; COMPUTE_PGM_RSRC2:USER_SGPR: 6
; COMPUTE_PGM_RSRC2:TRAP_HANDLER: 0
; COMPUTE_PGM_RSRC2:TGID_X_EN: 1
; COMPUTE_PGM_RSRC2:TGID_Y_EN: 1
; COMPUTE_PGM_RSRC2:TGID_Z_EN: 1
; COMPUTE_PGM_RSRC2:TIDIG_COMP_CNT: 1
; COMPUTE_PGM_RSRC3_GFX90A:ACCUM_OFFSET: 8
; COMPUTE_PGM_RSRC3_GFX90A:TG_SPLIT: 0
	.section	.text._ZN2at6native20bitonicSortKVInPlaceILin1ELin1ELi16ELi16EflNS0_4LTOpIfLb1EEEmEEvNS_4cuda6detail10TensorInfoIT3_T6_EES8_S8_S8_NS6_IT4_S8_EES8_T5_,"axG",@progbits,_ZN2at6native20bitonicSortKVInPlaceILin1ELin1ELi16ELi16EflNS0_4LTOpIfLb1EEEmEEvNS_4cuda6detail10TensorInfoIT3_T6_EES8_S8_S8_NS6_IT4_S8_EES8_T5_,comdat
	.protected	_ZN2at6native20bitonicSortKVInPlaceILin1ELin1ELi16ELi16EflNS0_4LTOpIfLb1EEEmEEvNS_4cuda6detail10TensorInfoIT3_T6_EES8_S8_S8_NS6_IT4_S8_EES8_T5_ ; -- Begin function _ZN2at6native20bitonicSortKVInPlaceILin1ELin1ELi16ELi16EflNS0_4LTOpIfLb1EEEmEEvNS_4cuda6detail10TensorInfoIT3_T6_EES8_S8_S8_NS6_IT4_S8_EES8_T5_
	.globl	_ZN2at6native20bitonicSortKVInPlaceILin1ELin1ELi16ELi16EflNS0_4LTOpIfLb1EEEmEEvNS_4cuda6detail10TensorInfoIT3_T6_EES8_S8_S8_NS6_IT4_S8_EES8_T5_
	.p2align	8
	.type	_ZN2at6native20bitonicSortKVInPlaceILin1ELin1ELi16ELi16EflNS0_4LTOpIfLb1EEEmEEvNS_4cuda6detail10TensorInfoIT3_T6_EES8_S8_S8_NS6_IT4_S8_EES8_T5_,@function
_ZN2at6native20bitonicSortKVInPlaceILin1ELin1ELi16ELi16EflNS0_4LTOpIfLb1EEEmEEvNS_4cuda6detail10TensorInfoIT3_T6_EES8_S8_S8_NS6_IT4_S8_EES8_T5_: ; @_ZN2at6native20bitonicSortKVInPlaceILin1ELin1ELi16ELi16EflNS0_4LTOpIfLb1EEEmEEvNS_4cuda6detail10TensorInfoIT3_T6_EES8_S8_S8_NS6_IT4_S8_EES8_T5_
; %bb.0:
	s_load_dwordx2 s[0:1], s[4:5], 0x368
	s_load_dwordx4 s[12:15], s[4:5], 0x1a0
	s_load_dword s9, s[4:5], 0x374
	s_add_u32 s2, s4, 0x368
	s_addc_u32 s3, s5, 0
	s_waitcnt lgkmcnt(0)
	s_mul_i32 s1, s1, s8
	s_add_i32 s1, s1, s7
	s_mul_i32 s0, s1, s0
	s_add_i32 s0, s0, s6
	s_lshr_b32 s6, s9, 16
	s_mul_hi_u32 s1, s0, s6
	s_mul_i32 s0, s0, s6
	v_pk_mov_b32 v[2:3], s[12:13], s[12:13] op_sel:[0,1]
	v_cmp_ge_u64_e32 vcc, s[0:1], v[2:3]
	s_cbranch_vccnz .LBB54_99
; %bb.1:
	v_mov_b32_e32 v1, s1
	s_load_dwordx2 s[8:9], s[4:5], 0x1b0
	s_load_dword s1, s[4:5], 0x198
	v_bfe_u32 v16, v0, 10, 10
	v_add_co_u32_e32 v4, vcc, s0, v16
	v_addc_co_u32_e32 v5, vcc, 0, v1, vcc
	v_mov_b32_e32 v8, 0
	s_waitcnt lgkmcnt(0)
	s_cmp_lt_i32 s1, 2
	v_pk_mov_b32 v[2:3], 0, 0
	v_pk_mov_b32 v[6:7], v[4:5], v[4:5] op_sel:[0,1]
	s_cbranch_scc1 .LBB54_9
; %bb.2:
	s_add_i32 s18, s1, 1
	s_add_i32 s0, s1, -1
	s_mov_b32 s1, 0
	s_lshl_b64 s[0:1], s[0:1], 3
	s_add_u32 s0, s0, s4
	s_addc_u32 s1, s1, s5
	s_add_u32 s6, s0, 8
	s_addc_u32 s7, s1, 0
	v_pk_mov_b32 v[2:3], 0, 0
	v_pk_mov_b32 v[10:11], v[4:5], v[4:5] op_sel:[0,1]
.LBB54_3:                               ; =>This Inner Loop Header: Depth=1
	s_load_dwordx2 s[10:11], s[6:7], 0x0
                                        ; implicit-def: $vgpr6_vgpr7
	s_waitcnt lgkmcnt(0)
	v_or_b32_e32 v9, s11, v11
	v_cmp_ne_u64_e32 vcc, 0, v[8:9]
	s_and_saveexec_b64 s[0:1], vcc
	s_xor_b64 s[16:17], exec, s[0:1]
	s_cbranch_execz .LBB54_5
; %bb.4:                                ;   in Loop: Header=BB54_3 Depth=1
	v_cvt_f32_u32_e32 v1, s10
	v_cvt_f32_u32_e32 v6, s11
	s_sub_u32 s0, 0, s10
	s_subb_u32 s1, 0, s11
	v_mac_f32_e32 v1, 0x4f800000, v6
	v_rcp_f32_e32 v1, v1
	v_mul_f32_e32 v1, 0x5f7ffffc, v1
	v_mul_f32_e32 v6, 0x2f800000, v1
	v_trunc_f32_e32 v6, v6
	v_mac_f32_e32 v1, 0xcf800000, v6
	v_cvt_u32_f32_e32 v6, v6
	v_cvt_u32_f32_e32 v1, v1
	v_mul_lo_u32 v7, s0, v6
	v_mul_hi_u32 v12, s0, v1
	v_mul_lo_u32 v9, s1, v1
	v_add_u32_e32 v7, v12, v7
	v_mul_lo_u32 v13, s0, v1
	v_add_u32_e32 v7, v7, v9
	v_mul_hi_u32 v12, v1, v13
	v_mul_lo_u32 v14, v1, v7
	v_mul_hi_u32 v9, v1, v7
	v_add_co_u32_e32 v12, vcc, v12, v14
	v_addc_co_u32_e32 v9, vcc, 0, v9, vcc
	v_mul_hi_u32 v15, v6, v13
	v_mul_lo_u32 v13, v6, v13
	v_add_co_u32_e32 v12, vcc, v12, v13
	v_mul_hi_u32 v14, v6, v7
	v_addc_co_u32_e32 v9, vcc, v9, v15, vcc
	v_addc_co_u32_e32 v12, vcc, 0, v14, vcc
	v_mul_lo_u32 v7, v6, v7
	v_add_co_u32_e32 v7, vcc, v9, v7
	v_addc_co_u32_e32 v9, vcc, 0, v12, vcc
	v_add_co_u32_e32 v1, vcc, v1, v7
	v_addc_co_u32_e32 v6, vcc, v6, v9, vcc
	v_mul_lo_u32 v7, s0, v6
	v_mul_hi_u32 v9, s0, v1
	v_add_u32_e32 v7, v9, v7
	v_mul_lo_u32 v9, s1, v1
	v_add_u32_e32 v7, v7, v9
	v_mul_lo_u32 v12, s0, v1
	v_mul_hi_u32 v13, v6, v12
	v_mul_lo_u32 v14, v6, v12
	v_mul_lo_u32 v17, v1, v7
	v_mul_hi_u32 v12, v1, v12
	v_mul_hi_u32 v15, v1, v7
	v_add_co_u32_e32 v12, vcc, v12, v17
	v_addc_co_u32_e32 v15, vcc, 0, v15, vcc
	v_add_co_u32_e32 v12, vcc, v12, v14
	v_mul_hi_u32 v9, v6, v7
	v_addc_co_u32_e32 v12, vcc, v15, v13, vcc
	v_addc_co_u32_e32 v9, vcc, 0, v9, vcc
	v_mul_lo_u32 v7, v6, v7
	v_add_co_u32_e32 v7, vcc, v12, v7
	v_addc_co_u32_e32 v9, vcc, 0, v9, vcc
	v_add_co_u32_e32 v1, vcc, v1, v7
	v_addc_co_u32_e32 v9, vcc, v6, v9, vcc
	v_mad_u64_u32 v[6:7], s[0:1], v10, v9, 0
	v_mul_hi_u32 v12, v10, v1
	v_add_co_u32_e32 v14, vcc, v12, v6
	v_addc_co_u32_e32 v15, vcc, 0, v7, vcc
	v_mad_u64_u32 v[12:13], s[0:1], v11, v1, 0
	v_add_co_u32_e32 v1, vcc, v14, v12
	v_mad_u64_u32 v[6:7], s[0:1], v11, v9, 0
	v_addc_co_u32_e32 v1, vcc, v15, v13, vcc
	v_addc_co_u32_e32 v7, vcc, 0, v7, vcc
	v_add_co_u32_e32 v1, vcc, v1, v6
	v_addc_co_u32_e32 v9, vcc, 0, v7, vcc
	v_mul_lo_u32 v12, s11, v1
	v_mul_lo_u32 v13, s10, v9
	v_mad_u64_u32 v[6:7], s[0:1], s10, v1, 0
	v_add3_u32 v7, v7, v13, v12
	v_sub_u32_e32 v12, v11, v7
	v_mov_b32_e32 v13, s11
	v_sub_co_u32_e32 v6, vcc, v10, v6
	v_subb_co_u32_e64 v12, s[0:1], v12, v13, vcc
	v_subrev_co_u32_e64 v13, s[0:1], s10, v6
	v_subbrev_co_u32_e64 v12, s[0:1], 0, v12, s[0:1]
	v_cmp_le_u32_e64 s[0:1], s11, v12
	v_cndmask_b32_e64 v14, 0, -1, s[0:1]
	v_cmp_le_u32_e64 s[0:1], s10, v13
	v_cndmask_b32_e64 v13, 0, -1, s[0:1]
	v_cmp_eq_u32_e64 s[0:1], s11, v12
	v_cndmask_b32_e64 v12, v14, v13, s[0:1]
	v_add_co_u32_e64 v13, s[0:1], 2, v1
	v_addc_co_u32_e64 v14, s[0:1], 0, v9, s[0:1]
	v_add_co_u32_e64 v15, s[0:1], 1, v1
	v_addc_co_u32_e64 v17, s[0:1], 0, v9, s[0:1]
	v_subb_co_u32_e32 v7, vcc, v11, v7, vcc
	v_cmp_ne_u32_e64 s[0:1], 0, v12
	v_cmp_le_u32_e32 vcc, s11, v7
	v_cndmask_b32_e64 v12, v17, v14, s[0:1]
	v_cndmask_b32_e64 v14, 0, -1, vcc
	v_cmp_le_u32_e32 vcc, s10, v6
	v_cndmask_b32_e64 v6, 0, -1, vcc
	v_cmp_eq_u32_e32 vcc, s11, v7
	v_cndmask_b32_e32 v6, v14, v6, vcc
	v_cmp_ne_u32_e32 vcc, 0, v6
	v_cndmask_b32_e64 v6, v15, v13, s[0:1]
	v_cndmask_b32_e32 v7, v9, v12, vcc
	v_cndmask_b32_e32 v6, v1, v6, vcc
.LBB54_5:                               ;   in Loop: Header=BB54_3 Depth=1
	s_andn2_saveexec_b64 s[0:1], s[16:17]
	s_cbranch_execz .LBB54_7
; %bb.6:                                ;   in Loop: Header=BB54_3 Depth=1
	v_cvt_f32_u32_e32 v1, s10
	s_sub_i32 s16, 0, s10
	v_rcp_iflag_f32_e32 v1, v1
	v_mul_f32_e32 v1, 0x4f7ffffe, v1
	v_cvt_u32_f32_e32 v1, v1
	v_mul_lo_u32 v6, s16, v1
	v_mul_hi_u32 v6, v1, v6
	v_add_u32_e32 v1, v1, v6
	v_mul_hi_u32 v1, v10, v1
	v_mul_lo_u32 v6, v1, s10
	v_sub_u32_e32 v6, v10, v6
	v_add_u32_e32 v7, 1, v1
	v_subrev_u32_e32 v9, s10, v6
	v_cmp_le_u32_e32 vcc, s10, v6
	v_cndmask_b32_e32 v6, v6, v9, vcc
	v_cndmask_b32_e32 v1, v1, v7, vcc
	v_add_u32_e32 v7, 1, v1
	v_cmp_le_u32_e32 vcc, s10, v6
	v_cndmask_b32_e32 v6, v1, v7, vcc
	v_mov_b32_e32 v7, v8
.LBB54_7:                               ;   in Loop: Header=BB54_3 Depth=1
	s_or_b64 exec, exec, s[0:1]
	v_mad_u64_u32 v[12:13], s[0:1], v6, s10, 0
	s_load_dwordx2 s[0:1], s[6:7], 0xc8
	v_mul_lo_u32 v1, v7, s10
	v_mul_lo_u32 v9, v6, s11
	v_add3_u32 v1, v13, v9, v1
	v_sub_co_u32_e32 v9, vcc, v10, v12
	s_add_i32 s18, s18, -1
	v_subb_co_u32_e32 v1, vcc, v11, v1, vcc
	s_add_u32 s6, s6, -8
	s_waitcnt lgkmcnt(0)
	v_mul_lo_u32 v1, s0, v1
	v_mul_lo_u32 v10, s1, v9
	v_mad_u64_u32 v[2:3], s[0:1], s0, v9, v[2:3]
	s_addc_u32 s7, s7, -1
	s_cmp_gt_u32 s18, 2
	v_add3_u32 v3, v10, v3, v1
	s_cbranch_scc0 .LBB54_9
; %bb.8:                                ;   in Loop: Header=BB54_3 Depth=1
	v_pk_mov_b32 v[10:11], v[6:7], v[6:7] op_sel:[0,1]
	s_branch .LBB54_3
.LBB54_9:
	s_load_dword s0, s[4:5], 0x350
	s_load_dwordx2 s[6:7], s[4:5], 0xd0
	v_pk_mov_b32 v[8:9], 0, 0
	v_pk_mov_b32 v[14:15], v[4:5], v[4:5] op_sel:[0,1]
	s_waitcnt lgkmcnt(0)
	s_cmp_lt_i32 s0, 2
	s_cbranch_scc1 .LBB54_17
; %bb.10:
	s_add_i32 s20, s0, 1
	s_add_i32 s0, s0, -1
	s_mov_b32 s1, 0
	s_lshl_b64 s[0:1], s[0:1], 3
	s_add_u32 s0, s0, s4
	s_addc_u32 s1, s1, s5
	s_add_u32 s10, s0, 0x1c0
	s_addc_u32 s11, s1, 0
	v_pk_mov_b32 v[8:9], 0, 0
	v_mov_b32_e32 v10, 0
	v_pk_mov_b32 v[12:13], v[4:5], v[4:5] op_sel:[0,1]
.LBB54_11:                              ; =>This Inner Loop Header: Depth=1
	s_load_dwordx2 s[16:17], s[10:11], 0x0
                                        ; implicit-def: $vgpr14_vgpr15
	s_waitcnt lgkmcnt(0)
	v_or_b32_e32 v11, s17, v13
	v_cmp_ne_u64_e32 vcc, 0, v[10:11]
	s_and_saveexec_b64 s[0:1], vcc
	s_xor_b64 s[18:19], exec, s[0:1]
	s_cbranch_execz .LBB54_13
; %bb.12:                               ;   in Loop: Header=BB54_11 Depth=1
	v_cvt_f32_u32_e32 v1, s16
	v_cvt_f32_u32_e32 v11, s17
	s_sub_u32 s0, 0, s16
	s_subb_u32 s1, 0, s17
	v_mac_f32_e32 v1, 0x4f800000, v11
	v_rcp_f32_e32 v1, v1
	v_mul_f32_e32 v1, 0x5f7ffffc, v1
	v_mul_f32_e32 v11, 0x2f800000, v1
	v_trunc_f32_e32 v11, v11
	v_mac_f32_e32 v1, 0xcf800000, v11
	v_cvt_u32_f32_e32 v11, v11
	v_cvt_u32_f32_e32 v1, v1
	v_mul_lo_u32 v14, s0, v11
	v_mul_hi_u32 v17, s0, v1
	v_mul_lo_u32 v15, s1, v1
	v_add_u32_e32 v14, v17, v14
	v_mul_lo_u32 v18, s0, v1
	v_add_u32_e32 v14, v14, v15
	v_mul_hi_u32 v17, v1, v18
	v_mul_lo_u32 v19, v1, v14
	v_mul_hi_u32 v15, v1, v14
	v_add_co_u32_e32 v17, vcc, v17, v19
	v_addc_co_u32_e32 v15, vcc, 0, v15, vcc
	v_mul_hi_u32 v20, v11, v18
	v_mul_lo_u32 v18, v11, v18
	v_add_co_u32_e32 v17, vcc, v17, v18
	v_mul_hi_u32 v19, v11, v14
	v_addc_co_u32_e32 v15, vcc, v15, v20, vcc
	v_addc_co_u32_e32 v17, vcc, 0, v19, vcc
	v_mul_lo_u32 v14, v11, v14
	v_add_co_u32_e32 v14, vcc, v15, v14
	v_addc_co_u32_e32 v15, vcc, 0, v17, vcc
	v_add_co_u32_e32 v1, vcc, v1, v14
	v_addc_co_u32_e32 v11, vcc, v11, v15, vcc
	v_mul_lo_u32 v14, s0, v11
	v_mul_hi_u32 v15, s0, v1
	v_add_u32_e32 v14, v15, v14
	v_mul_lo_u32 v15, s1, v1
	v_add_u32_e32 v14, v14, v15
	v_mul_lo_u32 v17, s0, v1
	v_mul_hi_u32 v18, v11, v17
	v_mul_lo_u32 v19, v11, v17
	v_mul_lo_u32 v21, v1, v14
	v_mul_hi_u32 v17, v1, v17
	v_mul_hi_u32 v20, v1, v14
	v_add_co_u32_e32 v17, vcc, v17, v21
	v_addc_co_u32_e32 v20, vcc, 0, v20, vcc
	v_add_co_u32_e32 v17, vcc, v17, v19
	v_mul_hi_u32 v15, v11, v14
	v_addc_co_u32_e32 v17, vcc, v20, v18, vcc
	v_addc_co_u32_e32 v15, vcc, 0, v15, vcc
	v_mul_lo_u32 v14, v11, v14
	v_add_co_u32_e32 v14, vcc, v17, v14
	v_addc_co_u32_e32 v15, vcc, 0, v15, vcc
	v_add_co_u32_e32 v1, vcc, v1, v14
	v_addc_co_u32_e32 v11, vcc, v11, v15, vcc
	v_mad_u64_u32 v[14:15], s[0:1], v12, v11, 0
	v_mul_hi_u32 v17, v12, v1
	v_add_co_u32_e32 v17, vcc, v17, v14
	v_addc_co_u32_e32 v20, vcc, 0, v15, vcc
	v_mad_u64_u32 v[18:19], s[0:1], v13, v1, 0
	v_add_co_u32_e32 v1, vcc, v17, v18
	v_mad_u64_u32 v[14:15], s[0:1], v13, v11, 0
	v_addc_co_u32_e32 v1, vcc, v20, v19, vcc
	v_addc_co_u32_e32 v11, vcc, 0, v15, vcc
	v_add_co_u32_e32 v1, vcc, v1, v14
	v_addc_co_u32_e32 v11, vcc, 0, v11, vcc
	v_mul_lo_u32 v17, s17, v1
	v_mul_lo_u32 v18, s16, v11
	v_mad_u64_u32 v[14:15], s[0:1], s16, v1, 0
	v_add3_u32 v15, v15, v18, v17
	v_sub_u32_e32 v17, v13, v15
	v_mov_b32_e32 v18, s17
	v_sub_co_u32_e32 v14, vcc, v12, v14
	v_subb_co_u32_e64 v17, s[0:1], v17, v18, vcc
	v_subrev_co_u32_e64 v18, s[0:1], s16, v14
	v_subbrev_co_u32_e64 v17, s[0:1], 0, v17, s[0:1]
	v_cmp_le_u32_e64 s[0:1], s17, v17
	v_cndmask_b32_e64 v19, 0, -1, s[0:1]
	v_cmp_le_u32_e64 s[0:1], s16, v18
	v_cndmask_b32_e64 v18, 0, -1, s[0:1]
	v_cmp_eq_u32_e64 s[0:1], s17, v17
	v_cndmask_b32_e64 v17, v19, v18, s[0:1]
	v_add_co_u32_e64 v18, s[0:1], 2, v1
	v_addc_co_u32_e64 v19, s[0:1], 0, v11, s[0:1]
	v_add_co_u32_e64 v20, s[0:1], 1, v1
	v_addc_co_u32_e64 v21, s[0:1], 0, v11, s[0:1]
	v_subb_co_u32_e32 v15, vcc, v13, v15, vcc
	v_cmp_ne_u32_e64 s[0:1], 0, v17
	v_cmp_le_u32_e32 vcc, s17, v15
	v_cndmask_b32_e64 v17, v21, v19, s[0:1]
	v_cndmask_b32_e64 v19, 0, -1, vcc
	v_cmp_le_u32_e32 vcc, s16, v14
	v_cndmask_b32_e64 v14, 0, -1, vcc
	v_cmp_eq_u32_e32 vcc, s17, v15
	v_cndmask_b32_e32 v14, v19, v14, vcc
	v_cmp_ne_u32_e32 vcc, 0, v14
	v_cndmask_b32_e32 v15, v11, v17, vcc
	v_cndmask_b32_e64 v11, v20, v18, s[0:1]
	v_cndmask_b32_e32 v14, v1, v11, vcc
.LBB54_13:                              ;   in Loop: Header=BB54_11 Depth=1
	s_andn2_saveexec_b64 s[0:1], s[18:19]
	s_cbranch_execz .LBB54_15
; %bb.14:                               ;   in Loop: Header=BB54_11 Depth=1
	v_cvt_f32_u32_e32 v1, s16
	s_sub_i32 s18, 0, s16
	v_rcp_iflag_f32_e32 v1, v1
	v_mul_f32_e32 v1, 0x4f7ffffe, v1
	v_cvt_u32_f32_e32 v1, v1
	v_mul_lo_u32 v11, s18, v1
	v_mul_hi_u32 v11, v1, v11
	v_add_u32_e32 v1, v1, v11
	v_mul_hi_u32 v1, v12, v1
	v_mul_lo_u32 v11, v1, s16
	v_sub_u32_e32 v11, v12, v11
	v_add_u32_e32 v14, 1, v1
	v_subrev_u32_e32 v15, s16, v11
	v_cmp_le_u32_e32 vcc, s16, v11
	v_cndmask_b32_e32 v11, v11, v15, vcc
	v_cndmask_b32_e32 v1, v1, v14, vcc
	v_add_u32_e32 v14, 1, v1
	v_cmp_le_u32_e32 vcc, s16, v11
	v_cndmask_b32_e32 v14, v1, v14, vcc
	v_mov_b32_e32 v15, v10
.LBB54_15:                              ;   in Loop: Header=BB54_11 Depth=1
	s_or_b64 exec, exec, s[0:1]
	v_mad_u64_u32 v[18:19], s[0:1], v14, s16, 0
	s_load_dwordx2 s[0:1], s[10:11], 0xc8
	v_mul_lo_u32 v1, v15, s16
	v_mul_lo_u32 v11, v14, s17
	v_add3_u32 v1, v19, v11, v1
	v_sub_co_u32_e32 v11, vcc, v12, v18
	s_add_i32 s20, s20, -1
	v_subb_co_u32_e32 v1, vcc, v13, v1, vcc
	s_add_u32 s10, s10, -8
	s_waitcnt lgkmcnt(0)
	v_mul_lo_u32 v1, s0, v1
	v_mul_lo_u32 v12, s1, v11
	v_mad_u64_u32 v[8:9], s[0:1], s0, v11, v[8:9]
	s_addc_u32 s11, s11, -1
	s_cmp_gt_u32 s20, 2
	v_add3_u32 v9, v12, v9, v1
	s_cbranch_scc0 .LBB54_17
; %bb.16:                               ;   in Loop: Header=BB54_11 Depth=1
	v_pk_mov_b32 v[12:13], v[14:15], v[14:15] op_sel:[0,1]
	s_branch .LBB54_11
.LBB54_17:
	v_mul_lo_u32 v1, s7, v6
	v_mul_lo_u32 v10, s6, v7
	v_mad_u64_u32 v[6:7], s[0:1], s6, v6, 0
	s_load_dwordx2 s[10:11], s[4:5], 0x358
	s_load_dwordx2 s[0:1], s[4:5], 0x288
	;; [unrolled: 1-line block ×4, first 2 shown]
	v_add3_u32 v7, v7, v10, v1
	v_cmp_gt_u64_e32 vcc, s[12:13], v[4:5]
	v_lshlrev_b64 v[6:7], 2, v[6:7]
	s_waitcnt lgkmcnt(0)
	v_mul_lo_u32 v1, s1, v14
	v_mul_lo_u32 v10, s0, v15
	v_mad_u64_u32 v[4:5], s[0:1], s0, v14, 0
	v_add3_u32 v5, v5, v10, v1
	v_mov_b32_e32 v1, s7
	v_add_co_u32_e64 v6, s[0:1], s6, v6
	v_addc_co_u32_e64 v1, s[0:1], v1, v7, s[0:1]
	v_lshlrev_b64 v[2:3], 2, v[2:3]
	v_add_co_u32_e64 v10, s[0:1], v6, v2
	v_addc_co_u32_e64 v11, s[0:1], v1, v3, s[0:1]
	v_lshlrev_b64 v[2:3], 3, v[4:5]
	v_mov_b32_e32 v1, s17
	v_add_co_u32_e64 v4, s[0:1], s16, v2
	v_addc_co_u32_e64 v1, s[0:1], v1, v3, s[0:1]
	v_lshlrev_b64 v[2:3], 3, v[8:9]
	s_load_dword s12, s[2:3], 0xc
	v_add_co_u32_e64 v8, s[0:1], v4, v2
	v_addc_co_u32_e64 v9, s[0:1], v1, v3, s[0:1]
	v_mov_b32_e32 v1, 0
	v_and_b32_e32 v2, 0x3ff, v0
	v_mov_b32_e32 v3, v1
	v_cmp_gt_u64_e64 s[0:1], s[14:15], v[2:3]
	v_pk_mov_b32 v[4:5], 0, 0
	s_and_b64 s[4:5], vcc, s[0:1]
	v_mov_b32_e32 v0, 0
	v_pk_mov_b32 v[6:7], v[4:5], v[4:5] op_sel:[0,1]
	s_and_saveexec_b64 s[6:7], s[4:5]
	s_cbranch_execz .LBB54_19
; %bb.18:
	v_mad_u64_u32 v[6:7], s[2:3], v2, s8, 0
	v_mov_b32_e32 v0, v7
	v_mad_u64_u32 v[12:13], s[2:3], v2, s9, v[0:1]
	v_mov_b32_e32 v7, v12
	v_lshlrev_b64 v[6:7], 2, v[6:7]
	v_add_co_u32_e64 v6, s[2:3], v10, v6
	v_addc_co_u32_e64 v7, s[2:3], v11, v7, s[2:3]
	global_load_dword v0, v[6:7], off
	v_mad_u64_u32 v[6:7], s[2:3], v2, s10, 0
	v_mov_b32_e32 v12, v7
	v_mad_u64_u32 v[12:13], s[2:3], v2, s11, v[12:13]
	v_mov_b32_e32 v7, v12
	v_lshlrev_b64 v[6:7], 3, v[6:7]
	v_add_co_u32_e64 v6, s[2:3], v8, v6
	v_addc_co_u32_e64 v7, s[2:3], v9, v7, s[2:3]
	global_load_dwordx2 v[6:7], v[6:7], off
.LBB54_19:
	s_or_b64 exec, exec, s[6:7]
	v_mov_b32_e32 v3, 0x1000
	v_lshl_add_u32 v20, v16, 7, v3
	v_mov_b32_e32 v3, 0x1800
	v_lshl_add_u32 v19, v16, 5, v3
	v_lshl_add_u32 v12, v2, 2, v20
	s_waitcnt lgkmcnt(0)
	s_and_b32 s16, 0xffff, s12
	v_cndmask_b32_e64 v13, 0, 1, s[4:5]
	s_waitcnt vmcnt(1)
	ds_write_b32 v12, v0
	v_add_u32_e32 v0, v19, v2
	ds_write_b8 v0, v13
	v_add_u32_e32 v0, s16, v2
	v_lshlrev_b32_e32 v17, 8, v16
	v_cmp_gt_u64_e64 s[2:3], s[14:15], v[0:1]
	v_lshl_add_u32 v3, v2, 3, v17
	s_and_b64 s[6:7], vcc, s[2:3]
	s_waitcnt vmcnt(0)
	ds_write_b64 v3, v[6:7]
	s_and_saveexec_b64 s[12:13], s[6:7]
	s_cbranch_execz .LBB54_21
; %bb.20:
	v_mad_u64_u32 v[4:5], s[4:5], v0, s8, 0
	v_mov_b32_e32 v6, v5
	v_mad_u64_u32 v[6:7], s[4:5], v0, s9, v[6:7]
	v_mov_b32_e32 v5, v6
	v_lshlrev_b64 v[4:5], 2, v[4:5]
	v_add_co_u32_e64 v4, s[4:5], v10, v4
	v_addc_co_u32_e64 v5, s[4:5], v11, v5, s[4:5]
	global_load_dword v1, v[4:5], off
	v_mad_u64_u32 v[4:5], s[4:5], v0, s10, 0
	v_mov_b32_e32 v6, v5
	v_mad_u64_u32 v[6:7], s[4:5], v0, s11, v[6:7]
	v_mov_b32_e32 v5, v6
	v_lshlrev_b64 v[4:5], 3, v[4:5]
	v_add_co_u32_e64 v4, s[4:5], v8, v4
	v_addc_co_u32_e64 v5, s[4:5], v9, v5, s[4:5]
	global_load_dwordx2 v[4:5], v[4:5], off
.LBB54_21:
	s_or_b64 exec, exec, s[12:13]
	v_lshl_add_u32 v6, s16, 2, v12
	s_waitcnt vmcnt(1)
	ds_write_b32 v6, v1
	v_lshl_add_u32 v1, s16, 3, v3
	v_cndmask_b32_e64 v7, 0, 1, s[6:7]
	s_waitcnt vmcnt(0)
	ds_write_b64 v1, v[4:5]
	v_add_u32_e32 v4, v19, v0
	ds_write_b8 v4, v7
	v_lshlrev_b32_e32 v4, 2, v2
	v_add_u32_e32 v13, v12, v4
	s_waitcnt lgkmcnt(0)
	s_barrier
	ds_read_b64 v[4:5], v13
	v_lshlrev_b32_e32 v21, 1, v2
	s_mov_b32 s14, 1
	v_add_u32_e32 v7, v19, v21
	s_waitcnt lgkmcnt(0)
	v_cmp_u_f32_e64 s[4:5], v5, v5
	v_cmp_o_f32_e64 s[6:7], v4, v4
	s_and_b64 s[6:7], s[4:5], s[6:7]
	v_cmp_lt_f32_e64 s[4:5], v4, v5
	s_or_b64 s[4:5], s[6:7], s[4:5]
	s_xor_b64 s[6:7], s[4:5], -1
	s_and_saveexec_b64 s[12:13], s[4:5]
	s_xor_b64 s[12:13], exec, s[12:13]
	s_cbranch_execz .LBB54_23
; %bb.22:
	ds_read_u8 v14, v7
	s_andn2_b64 s[6:7], s[6:7], exec
	s_waitcnt lgkmcnt(0)
	v_and_b32_e32 v14, 1, v14
	v_cmp_eq_u32_e64 s[4:5], 1, v14
	s_xor_b64 s[4:5], s[4:5], -1
	s_and_b64 s[4:5], s[4:5], exec
	s_or_b64 s[6:7], s[6:7], s[4:5]
.LBB54_23:
	s_or_b64 exec, exec, s[12:13]
	v_mov_b32_e32 v16, s14
	s_and_saveexec_b64 s[4:5], s[6:7]
	s_cbranch_execz .LBB54_25
; %bb.24:
	ds_read_u8 v14, v7 offset:1
	s_waitcnt lgkmcnt(0)
	v_xor_b32_e32 v16, 1, v14
.LBB54_25:
	s_or_b64 exec, exec, s[4:5]
	v_and_b32_e32 v15, 1, v2
	v_lshlrev_b32_e32 v14, 3, v2
	v_cmp_eq_u32_e64 s[4:5], v16, v15
	s_and_saveexec_b64 s[6:7], s[4:5]
	s_cbranch_execz .LBB54_27
; %bb.26:
	v_add_u32_e32 v16, v3, v14
	ds_read_b128 v[22:25], v16
	v_mov_b32_e32 v27, v4
	ds_read_u16 v4, v7
	v_mov_b32_e32 v26, v5
	s_mov_b32 s4, 0xc0c0001
	ds_write_b64 v13, v[26:27]
	s_waitcnt lgkmcnt(2)
	v_mov_b32_e32 v26, v22
	v_mov_b32_e32 v27, v23
	s_waitcnt lgkmcnt(1)
	v_perm_b32 v4, 0, v4, s4
	ds_write_b128 v16, v[24:27]
	ds_write_b16 v7, v4
.LBB54_27:
	s_or_b64 exec, exec, s[6:7]
	v_sub_u32_e32 v18, v21, v15
	v_lshl_add_u32 v15, v18, 2, v20
	s_waitcnt lgkmcnt(0)
	s_barrier
	ds_read2_b32 v[4:5], v15 offset1:2
	v_add_u32_e32 v16, v19, v18
                                        ; implicit-def: $sgpr12
	s_waitcnt lgkmcnt(0)
	v_cmp_u_f32_e64 s[4:5], v5, v5
	v_cmp_o_f32_e64 s[6:7], v4, v4
	s_and_b64 s[6:7], s[4:5], s[6:7]
	v_cmp_lt_f32_e64 s[4:5], v4, v5
	s_or_b64 s[6:7], s[6:7], s[4:5]
	s_mov_b64 s[4:5], -1
	s_and_saveexec_b64 s[14:15], s[6:7]
	s_xor_b64 s[6:7], exec, s[14:15]
	s_cbranch_execz .LBB54_29
; %bb.28:
	ds_read_u8 v22, v16
	s_mov_b32 s12, 1
	s_waitcnt lgkmcnt(0)
	v_and_b32_e32 v22, 1, v22
	v_cmp_eq_u32_e64 s[4:5], 1, v22
	s_xor_b64 s[4:5], s[4:5], -1
	s_orn2_b64 s[4:5], s[4:5], exec
.LBB54_29:
	s_or_b64 exec, exec, s[6:7]
	v_mov_b32_e32 v23, s12
	s_and_saveexec_b64 s[6:7], s[4:5]
	s_cbranch_execz .LBB54_31
; %bb.30:
	ds_read_u8 v22, v16 offset:2
	s_waitcnt lgkmcnt(0)
	v_xor_b32_e32 v23, 1, v22
.LBB54_31:
	s_or_b64 exec, exec, s[6:7]
	v_bfe_u32 v22, v2, 1, 1
	v_lshl_add_u32 v18, v18, 3, v17
	v_cmp_eq_u32_e64 s[4:5], v23, v22
	s_and_saveexec_b64 s[6:7], s[4:5]
	s_cbranch_execz .LBB54_33
; %bb.32:
	ds_read2_b64 v[24:27], v18 offset1:2
	ds_read_u8 v23, v16 offset:2
	ds_read_u8 v28, v16
	ds_write2_b32 v15, v5, v4 offset1:2
	s_waitcnt lgkmcnt(3)
	ds_write2_b64 v18, v[26:27], v[24:25] offset1:2
	s_waitcnt lgkmcnt(3)
	ds_write_b8 v16, v23
	s_waitcnt lgkmcnt(3)
	ds_write_b8 v16, v28 offset:2
.LBB54_33:
	s_or_b64 exec, exec, s[6:7]
	s_waitcnt lgkmcnt(0)
	s_barrier
	ds_read_b64 v[4:5], v13
                                        ; implicit-def: $sgpr14
	s_waitcnt lgkmcnt(0)
	v_cmp_u_f32_e64 s[4:5], v5, v5
	v_cmp_o_f32_e64 s[6:7], v4, v4
	s_and_b64 s[6:7], s[4:5], s[6:7]
	v_cmp_lt_f32_e64 s[4:5], v4, v5
	s_or_b64 s[4:5], s[6:7], s[4:5]
	s_xor_b64 s[6:7], s[4:5], -1
	s_and_saveexec_b64 s[12:13], s[4:5]
	s_cbranch_execnz .LBB54_100
; %bb.34:
	s_or_b64 exec, exec, s[12:13]
	v_mov_b32_e32 v23, s14
	s_and_saveexec_b64 s[4:5], s[6:7]
	s_cbranch_execnz .LBB54_101
.LBB54_35:
	s_or_b64 exec, exec, s[4:5]
	v_cmp_eq_u32_e64 s[4:5], v23, v22
	s_and_saveexec_b64 s[6:7], s[4:5]
	s_cbranch_execz .LBB54_37
.LBB54_36:
	v_add_u32_e32 v28, v3, v14
	ds_read_b128 v[22:25], v28
	v_mov_b32_e32 v27, v4
	ds_read_u16 v4, v7
	v_mov_b32_e32 v26, v5
	s_mov_b32 s4, 0xc0c0001
	ds_write_b64 v13, v[26:27]
	s_waitcnt lgkmcnt(2)
	v_mov_b32_e32 v26, v22
	v_mov_b32_e32 v27, v23
	s_waitcnt lgkmcnt(1)
	v_perm_b32 v4, 0, v4, s4
	ds_write_b128 v28, v[24:27]
	ds_write_b16 v7, v4
.LBB54_37:
	s_or_b64 exec, exec, s[6:7]
	v_and_b32_e32 v4, 3, v2
	v_sub_u32_e32 v24, v21, v4
	v_lshl_add_u32 v22, v24, 2, v20
	s_waitcnt lgkmcnt(0)
	s_barrier
	ds_read2_b32 v[4:5], v22 offset1:4
	v_add_u32_e32 v23, v19, v24
                                        ; implicit-def: $sgpr14
	s_waitcnt lgkmcnt(0)
	v_cmp_u_f32_e64 s[4:5], v5, v5
	v_cmp_o_f32_e64 s[6:7], v4, v4
	s_and_b64 s[6:7], s[4:5], s[6:7]
	v_cmp_lt_f32_e64 s[4:5], v4, v5
	s_or_b64 s[4:5], s[6:7], s[4:5]
	s_xor_b64 s[6:7], s[4:5], -1
	s_and_saveexec_b64 s[12:13], s[4:5]
	s_cbranch_execz .LBB54_39
; %bb.38:
	ds_read_u8 v25, v23
	s_andn2_b64 s[6:7], s[6:7], exec
	s_mov_b32 s14, 1
	s_waitcnt lgkmcnt(0)
	v_and_b32_e32 v25, 1, v25
	v_cmp_eq_u32_e64 s[4:5], 1, v25
	s_xor_b64 s[4:5], s[4:5], -1
	s_and_b64 s[4:5], s[4:5], exec
	s_or_b64 s[6:7], s[6:7], s[4:5]
.LBB54_39:
	s_or_b64 exec, exec, s[12:13]
	v_mov_b32_e32 v26, s14
	s_and_saveexec_b64 s[4:5], s[6:7]
	s_cbranch_execz .LBB54_41
; %bb.40:
	ds_read_u8 v25, v23 offset:4
	s_waitcnt lgkmcnt(0)
	v_xor_b32_e32 v26, 1, v25
.LBB54_41:
	s_or_b64 exec, exec, s[4:5]
	v_bfe_u32 v25, v2, 2, 1
	v_lshl_add_u32 v24, v24, 3, v17
	v_cmp_eq_u32_e64 s[4:5], v26, v25
	s_and_saveexec_b64 s[6:7], s[4:5]
	s_cbranch_execz .LBB54_43
; %bb.42:
	ds_read2_b64 v[26:29], v24 offset1:4
	ds_read_u8 v30, v23 offset:4
	ds_read_u8 v31, v23
	ds_write2_b32 v22, v5, v4 offset1:4
	s_waitcnt lgkmcnt(3)
	ds_write2_b64 v24, v[28:29], v[26:27] offset1:4
	s_waitcnt lgkmcnt(3)
	ds_write_b8 v23, v30
	s_waitcnt lgkmcnt(3)
	ds_write_b8 v23, v31 offset:4
.LBB54_43:
	s_or_b64 exec, exec, s[6:7]
	s_waitcnt lgkmcnt(0)
	s_barrier
	ds_read2_b32 v[4:5], v15 offset1:2
                                        ; implicit-def: $sgpr14
	s_waitcnt lgkmcnt(0)
	v_cmp_u_f32_e64 s[4:5], v5, v5
	v_cmp_o_f32_e64 s[6:7], v4, v4
	s_and_b64 s[6:7], s[4:5], s[6:7]
	v_cmp_lt_f32_e64 s[4:5], v4, v5
	s_or_b64 s[4:5], s[6:7], s[4:5]
	s_xor_b64 s[6:7], s[4:5], -1
	s_and_saveexec_b64 s[12:13], s[4:5]
	s_cbranch_execnz .LBB54_102
; %bb.44:
	s_or_b64 exec, exec, s[12:13]
	v_mov_b32_e32 v26, s14
	s_and_saveexec_b64 s[4:5], s[6:7]
	s_cbranch_execnz .LBB54_103
.LBB54_45:
	s_or_b64 exec, exec, s[4:5]
	v_cmp_eq_u32_e64 s[4:5], v26, v25
	s_and_saveexec_b64 s[6:7], s[4:5]
	s_cbranch_execz .LBB54_47
.LBB54_46:
	ds_read2_b64 v[26:29], v18 offset1:2
	ds_read_u8 v30, v16 offset:2
	ds_read_u8 v31, v16
	ds_write2_b32 v15, v5, v4 offset1:2
	s_waitcnt lgkmcnt(3)
	ds_write2_b64 v18, v[28:29], v[26:27] offset1:2
	s_waitcnt lgkmcnt(3)
	ds_write_b8 v16, v30
	s_waitcnt lgkmcnt(3)
	ds_write_b8 v16, v31 offset:2
.LBB54_47:
	s_or_b64 exec, exec, s[6:7]
	s_waitcnt lgkmcnt(0)
	s_barrier
	ds_read_b64 v[4:5], v13
                                        ; implicit-def: $sgpr14
	s_waitcnt lgkmcnt(0)
	v_cmp_u_f32_e64 s[4:5], v5, v5
	v_cmp_o_f32_e64 s[6:7], v4, v4
	s_and_b64 s[6:7], s[4:5], s[6:7]
	v_cmp_lt_f32_e64 s[4:5], v4, v5
	s_or_b64 s[4:5], s[6:7], s[4:5]
	s_xor_b64 s[6:7], s[4:5], -1
	s_and_saveexec_b64 s[12:13], s[4:5]
	s_cbranch_execnz .LBB54_104
; %bb.48:
	s_or_b64 exec, exec, s[12:13]
	v_mov_b32_e32 v26, s14
	s_and_saveexec_b64 s[4:5], s[6:7]
	s_cbranch_execnz .LBB54_105
.LBB54_49:
	s_or_b64 exec, exec, s[4:5]
	v_cmp_eq_u32_e64 s[4:5], v26, v25
	s_and_saveexec_b64 s[6:7], s[4:5]
	s_cbranch_execz .LBB54_51
.LBB54_50:
	v_add_u32_e32 v25, v3, v14
	ds_read_b128 v[26:29], v25
	v_mov_b32_e32 v31, v4
	ds_read_u16 v4, v7
	v_mov_b32_e32 v30, v5
	s_mov_b32 s4, 0xc0c0001
	ds_write_b64 v13, v[30:31]
	s_waitcnt lgkmcnt(2)
	v_mov_b32_e32 v30, v26
	v_mov_b32_e32 v31, v27
	s_waitcnt lgkmcnt(1)
	v_perm_b32 v4, 0, v4, s4
	ds_write_b128 v25, v[28:31]
	ds_write_b16 v7, v4
.LBB54_51:
	s_or_b64 exec, exec, s[6:7]
	v_and_b32_e32 v4, 7, v2
	v_sub_u32_e32 v27, v21, v4
	v_lshl_add_u32 v25, v27, 2, v20
	s_waitcnt lgkmcnt(0)
	s_barrier
	ds_read2_b32 v[4:5], v25 offset1:8
	v_add_u32_e32 v26, v19, v27
                                        ; implicit-def: $sgpr14
	s_waitcnt lgkmcnt(0)
	v_cmp_u_f32_e64 s[4:5], v5, v5
	v_cmp_o_f32_e64 s[6:7], v4, v4
	s_and_b64 s[6:7], s[4:5], s[6:7]
	v_cmp_lt_f32_e64 s[4:5], v4, v5
	s_or_b64 s[4:5], s[6:7], s[4:5]
	s_xor_b64 s[6:7], s[4:5], -1
	s_and_saveexec_b64 s[12:13], s[4:5]
	s_cbranch_execz .LBB54_53
; %bb.52:
	ds_read_u8 v28, v26
	s_andn2_b64 s[6:7], s[6:7], exec
	s_mov_b32 s14, 1
	s_waitcnt lgkmcnt(0)
	v_and_b32_e32 v28, 1, v28
	v_cmp_eq_u32_e64 s[4:5], 1, v28
	s_xor_b64 s[4:5], s[4:5], -1
	s_and_b64 s[4:5], s[4:5], exec
	s_or_b64 s[6:7], s[6:7], s[4:5]
.LBB54_53:
	s_or_b64 exec, exec, s[12:13]
	v_mov_b32_e32 v29, s14
	s_and_saveexec_b64 s[4:5], s[6:7]
	s_cbranch_execz .LBB54_55
; %bb.54:
	ds_read_u8 v28, v26 offset:8
	s_waitcnt lgkmcnt(0)
	v_xor_b32_e32 v29, 1, v28
.LBB54_55:
	s_or_b64 exec, exec, s[4:5]
	v_bfe_u32 v28, v2, 3, 1
	v_lshl_add_u32 v27, v27, 3, v17
	v_cmp_eq_u32_e64 s[4:5], v29, v28
	s_and_saveexec_b64 s[6:7], s[4:5]
	s_cbranch_execz .LBB54_57
; %bb.56:
	ds_read2_b64 v[30:33], v27 offset1:8
	ds_read_u8 v29, v26 offset:8
	ds_read_u8 v34, v26
	ds_write2_b32 v25, v5, v4 offset1:8
	s_waitcnt lgkmcnt(3)
	ds_write2_b64 v27, v[32:33], v[30:31] offset1:8
	s_waitcnt lgkmcnt(3)
	ds_write_b8 v26, v29
	s_waitcnt lgkmcnt(3)
	ds_write_b8 v26, v34 offset:8
.LBB54_57:
	s_or_b64 exec, exec, s[6:7]
	s_waitcnt lgkmcnt(0)
	s_barrier
	ds_read2_b32 v[4:5], v22 offset1:4
                                        ; implicit-def: $sgpr14
	s_waitcnt lgkmcnt(0)
	v_cmp_u_f32_e64 s[4:5], v5, v5
	v_cmp_o_f32_e64 s[6:7], v4, v4
	s_and_b64 s[6:7], s[4:5], s[6:7]
	v_cmp_lt_f32_e64 s[4:5], v4, v5
	s_or_b64 s[4:5], s[6:7], s[4:5]
	s_xor_b64 s[6:7], s[4:5], -1
	s_and_saveexec_b64 s[12:13], s[4:5]
	s_cbranch_execnz .LBB54_106
; %bb.58:
	s_or_b64 exec, exec, s[12:13]
	v_mov_b32_e32 v29, s14
	s_and_saveexec_b64 s[4:5], s[6:7]
	s_cbranch_execnz .LBB54_107
.LBB54_59:
	s_or_b64 exec, exec, s[4:5]
	v_cmp_eq_u32_e64 s[4:5], v29, v28
	s_and_saveexec_b64 s[6:7], s[4:5]
	s_cbranch_execz .LBB54_61
.LBB54_60:
	ds_read2_b64 v[30:33], v24 offset1:4
	ds_read_u8 v29, v23 offset:4
	ds_read_u8 v34, v23
	ds_write2_b32 v22, v5, v4 offset1:4
	s_waitcnt lgkmcnt(3)
	ds_write2_b64 v24, v[32:33], v[30:31] offset1:4
	s_waitcnt lgkmcnt(3)
	ds_write_b8 v23, v29
	s_waitcnt lgkmcnt(3)
	ds_write_b8 v23, v34 offset:4
.LBB54_61:
	s_or_b64 exec, exec, s[6:7]
	s_waitcnt lgkmcnt(0)
	s_barrier
	ds_read2_b32 v[4:5], v15 offset1:2
                                        ; implicit-def: $sgpr14
	s_waitcnt lgkmcnt(0)
	v_cmp_u_f32_e64 s[4:5], v5, v5
	v_cmp_o_f32_e64 s[6:7], v4, v4
	s_and_b64 s[6:7], s[4:5], s[6:7]
	v_cmp_lt_f32_e64 s[4:5], v4, v5
	s_or_b64 s[4:5], s[6:7], s[4:5]
	s_xor_b64 s[6:7], s[4:5], -1
	s_and_saveexec_b64 s[12:13], s[4:5]
	s_cbranch_execnz .LBB54_108
; %bb.62:
	s_or_b64 exec, exec, s[12:13]
	v_mov_b32_e32 v29, s14
	s_and_saveexec_b64 s[4:5], s[6:7]
	s_cbranch_execnz .LBB54_109
.LBB54_63:
	s_or_b64 exec, exec, s[4:5]
	v_cmp_eq_u32_e64 s[4:5], v29, v28
	s_and_saveexec_b64 s[6:7], s[4:5]
	s_cbranch_execz .LBB54_65
.LBB54_64:
	ds_read2_b64 v[30:33], v18 offset1:2
	ds_read_u8 v29, v16 offset:2
	ds_read_u8 v34, v16
	ds_write2_b32 v15, v5, v4 offset1:2
	s_waitcnt lgkmcnt(3)
	ds_write2_b64 v18, v[32:33], v[30:31] offset1:2
	s_waitcnt lgkmcnt(3)
	ds_write_b8 v16, v29
	s_waitcnt lgkmcnt(3)
	ds_write_b8 v16, v34 offset:2
.LBB54_65:
	s_or_b64 exec, exec, s[6:7]
	s_waitcnt lgkmcnt(0)
	s_barrier
	ds_read_b64 v[4:5], v13
                                        ; implicit-def: $sgpr14
	s_waitcnt lgkmcnt(0)
	v_cmp_u_f32_e64 s[4:5], v5, v5
	v_cmp_o_f32_e64 s[6:7], v4, v4
	s_and_b64 s[6:7], s[4:5], s[6:7]
	v_cmp_lt_f32_e64 s[4:5], v4, v5
	s_or_b64 s[4:5], s[6:7], s[4:5]
	s_xor_b64 s[6:7], s[4:5], -1
	s_and_saveexec_b64 s[12:13], s[4:5]
	s_cbranch_execnz .LBB54_110
; %bb.66:
	s_or_b64 exec, exec, s[12:13]
	v_mov_b32_e32 v29, s14
	s_and_saveexec_b64 s[4:5], s[6:7]
	s_cbranch_execnz .LBB54_111
.LBB54_67:
	s_or_b64 exec, exec, s[4:5]
	v_cmp_eq_u32_e64 s[4:5], v29, v28
	s_and_saveexec_b64 s[6:7], s[4:5]
	s_cbranch_execz .LBB54_69
.LBB54_68:
	v_add_u32_e32 v34, v3, v14
	ds_read_b128 v[28:31], v34
	v_mov_b32_e32 v33, v4
	ds_read_u16 v4, v7
	v_mov_b32_e32 v32, v5
	s_mov_b32 s4, 0xc0c0001
	ds_write_b64 v13, v[32:33]
	s_waitcnt lgkmcnt(2)
	v_mov_b32_e32 v32, v28
	v_mov_b32_e32 v33, v29
	s_waitcnt lgkmcnt(1)
	v_perm_b32 v4, 0, v4, s4
	ds_write_b128 v34, v[30:33]
	ds_write_b16 v7, v4
.LBB54_69:
	s_or_b64 exec, exec, s[6:7]
	v_and_b32_e32 v4, 15, v2
	v_sub_u32_e32 v21, v21, v4
	v_lshl_add_u32 v20, v21, 2, v20
	s_waitcnt lgkmcnt(0)
	s_barrier
	ds_read2_b32 v[4:5], v20 offset1:16
	v_add_u32_e32 v19, v19, v21
	s_waitcnt lgkmcnt(0)
	v_cmp_u_f32_e64 s[4:5], v5, v5
	v_cmp_o_f32_e64 s[6:7], v4, v4
	s_and_b64 s[6:7], s[4:5], s[6:7]
	v_cmp_lt_f32_e64 s[4:5], v4, v5
	s_or_b64 s[4:5], s[6:7], s[4:5]
	s_xor_b64 s[12:13], s[4:5], -1
	s_and_saveexec_b64 s[6:7], s[4:5]
	s_cbranch_execz .LBB54_71
; %bb.70:
	ds_read_u8 v28, v19
	s_andn2_b64 s[12:13], s[12:13], exec
	s_waitcnt lgkmcnt(0)
	v_and_b32_e32 v28, 1, v28
	v_cmp_eq_u32_e64 s[4:5], 1, v28
	s_xor_b64 s[4:5], s[4:5], -1
	s_and_b64 s[4:5], s[4:5], exec
	s_or_b64 s[12:13], s[12:13], s[4:5]
.LBB54_71:
	s_or_b64 exec, exec, s[6:7]
	s_and_saveexec_b64 s[6:7], s[12:13]
	s_cbranch_execz .LBB54_74
; %bb.72:
	ds_read_u8 v28, v19 offset:16
	s_waitcnt lgkmcnt(0)
	v_cmp_ne_u16_e64 s[4:5], 0, v28
	s_and_b64 exec, exec, s[4:5]
	s_cbranch_execz .LBB54_74
; %bb.73:
	v_lshl_add_u32 v17, v21, 3, v17
	ds_read2_b64 v[30:33], v17 offset1:16
	ds_read_u8 v21, v19
	ds_write2_b32 v20, v5, v4 offset1:16
	ds_write_b8 v19, v28
	s_waitcnt lgkmcnt(3)
	ds_write2_b64 v17, v[32:33], v[30:31] offset1:16
	s_waitcnt lgkmcnt(3)
	ds_write_b8 v19, v21 offset:16
.LBB54_74:
	s_or_b64 exec, exec, s[6:7]
	s_waitcnt lgkmcnt(0)
	s_barrier
	ds_read2_b32 v[4:5], v25 offset1:8
	s_waitcnt lgkmcnt(0)
	v_cmp_u_f32_e64 s[4:5], v5, v5
	v_cmp_o_f32_e64 s[6:7], v4, v4
	s_and_b64 s[6:7], s[4:5], s[6:7]
	v_cmp_lt_f32_e64 s[4:5], v4, v5
	s_or_b64 s[4:5], s[6:7], s[4:5]
	s_xor_b64 s[12:13], s[4:5], -1
	s_and_saveexec_b64 s[6:7], s[4:5]
	s_cbranch_execz .LBB54_76
; %bb.75:
	ds_read_u8 v17, v26
	s_andn2_b64 s[12:13], s[12:13], exec
	s_waitcnt lgkmcnt(0)
	v_and_b32_e32 v17, 1, v17
	v_cmp_eq_u32_e64 s[4:5], 1, v17
	s_xor_b64 s[4:5], s[4:5], -1
	s_and_b64 s[4:5], s[4:5], exec
	s_or_b64 s[12:13], s[12:13], s[4:5]
.LBB54_76:
	s_or_b64 exec, exec, s[6:7]
	s_and_saveexec_b64 s[6:7], s[12:13]
	s_cbranch_execz .LBB54_79
; %bb.77:
	ds_read_u8 v17, v26 offset:8
	s_waitcnt lgkmcnt(0)
	v_cmp_ne_u16_e64 s[4:5], 0, v17
	s_and_b64 exec, exec, s[4:5]
	s_cbranch_execz .LBB54_79
; %bb.78:
	ds_read2_b64 v[28:31], v27 offset1:8
	ds_read_u8 v19, v26
	ds_write2_b32 v25, v5, v4 offset1:8
	ds_write_b8 v26, v17
	s_waitcnt lgkmcnt(3)
	ds_write2_b64 v27, v[30:31], v[28:29] offset1:8
	s_waitcnt lgkmcnt(3)
	ds_write_b8 v26, v19 offset:8
.LBB54_79:
	s_or_b64 exec, exec, s[6:7]
	s_waitcnt lgkmcnt(0)
	s_barrier
	ds_read2_b32 v[4:5], v22 offset1:4
	s_waitcnt lgkmcnt(0)
	v_cmp_u_f32_e64 s[4:5], v5, v5
	v_cmp_o_f32_e64 s[6:7], v4, v4
	s_and_b64 s[6:7], s[4:5], s[6:7]
	v_cmp_lt_f32_e64 s[4:5], v4, v5
	s_or_b64 s[4:5], s[6:7], s[4:5]
	s_xor_b64 s[12:13], s[4:5], -1
	s_and_saveexec_b64 s[6:7], s[4:5]
	s_cbranch_execz .LBB54_81
; %bb.80:
	ds_read_u8 v17, v23
	s_andn2_b64 s[12:13], s[12:13], exec
	s_waitcnt lgkmcnt(0)
	v_and_b32_e32 v17, 1, v17
	v_cmp_eq_u32_e64 s[4:5], 1, v17
	s_xor_b64 s[4:5], s[4:5], -1
	s_and_b64 s[4:5], s[4:5], exec
	s_or_b64 s[12:13], s[12:13], s[4:5]
.LBB54_81:
	s_or_b64 exec, exec, s[6:7]
	s_and_saveexec_b64 s[6:7], s[12:13]
	s_cbranch_execz .LBB54_84
; %bb.82:
	ds_read_u8 v17, v23 offset:4
	s_waitcnt lgkmcnt(0)
	v_cmp_ne_u16_e64 s[4:5], 0, v17
	s_and_b64 exec, exec, s[4:5]
	s_cbranch_execz .LBB54_84
; %bb.83:
	ds_read2_b64 v[26:29], v24 offset1:4
	ds_read_u8 v19, v23
	ds_write2_b32 v22, v5, v4 offset1:4
	ds_write_b8 v23, v17
	s_waitcnt lgkmcnt(3)
	ds_write2_b64 v24, v[28:29], v[26:27] offset1:4
	s_waitcnt lgkmcnt(3)
	ds_write_b8 v23, v19 offset:4
.LBB54_84:
	;; [unrolled: 42-line block ×3, first 2 shown]
	s_or_b64 exec, exec, s[6:7]
	s_waitcnt lgkmcnt(0)
	s_barrier
	ds_read_b64 v[4:5], v13
	s_waitcnt lgkmcnt(0)
	v_cmp_u_f32_e64 s[4:5], v5, v5
	v_cmp_o_f32_e64 s[6:7], v4, v4
	s_and_b64 s[6:7], s[4:5], s[6:7]
	v_cmp_lt_f32_e64 s[4:5], v4, v5
	s_or_b64 s[4:5], s[6:7], s[4:5]
	s_xor_b64 s[12:13], s[4:5], -1
	s_and_saveexec_b64 s[6:7], s[4:5]
	s_cbranch_execz .LBB54_91
; %bb.90:
	ds_read_u8 v15, v7
	s_andn2_b64 s[12:13], s[12:13], exec
	s_waitcnt lgkmcnt(0)
	v_and_b32_e32 v15, 1, v15
	v_cmp_eq_u32_e64 s[4:5], 1, v15
	s_xor_b64 s[4:5], s[4:5], -1
	s_and_b64 s[4:5], s[4:5], exec
	s_or_b64 s[12:13], s[12:13], s[4:5]
.LBB54_91:
	s_or_b64 exec, exec, s[6:7]
	s_and_saveexec_b64 s[6:7], s[12:13]
	s_cbranch_execz .LBB54_94
; %bb.92:
	ds_read_u8 v15, v7 offset:1
	s_waitcnt lgkmcnt(0)
	v_cmp_ne_u16_e64 s[4:5], 0, v15
	s_and_b64 exec, exec, s[4:5]
	s_cbranch_execz .LBB54_94
; %bb.93:
	v_add_u32_e32 v14, v3, v14
	ds_read_b128 v[16:19], v14
	v_mov_b32_e32 v21, v4
	ds_read_u8 v4, v7
	v_mov_b32_e32 v20, v5
	ds_write_b64 v13, v[20:21]
	s_waitcnt lgkmcnt(2)
	v_mov_b32_e32 v20, v16
	v_mov_b32_e32 v21, v17
	s_waitcnt lgkmcnt(1)
	v_lshlrev_b16_e32 v4, 8, v4
	v_or_b32_e32 v4, v15, v4
	ds_write_b128 v14, v[18:21]
	ds_write_b16 v7, v4
.LBB54_94:
	s_or_b64 exec, exec, s[6:7]
	s_waitcnt lgkmcnt(0)
	s_barrier
	s_and_saveexec_b64 s[4:5], vcc
	s_cbranch_execz .LBB54_99
; %bb.95:
	s_and_saveexec_b64 s[4:5], s[0:1]
	s_cbranch_execz .LBB54_97
; %bb.96:
	v_mad_u64_u32 v[4:5], s[0:1], v2, s8, 0
	ds_read_b32 v7, v12
	v_mov_b32_e32 v12, v5
	v_mad_u64_u32 v[12:13], s[0:1], v2, s9, v[12:13]
	v_mov_b32_e32 v5, v12
	v_lshlrev_b64 v[4:5], 2, v[4:5]
	v_add_co_u32_e32 v4, vcc, v10, v4
	v_addc_co_u32_e32 v5, vcc, v11, v5, vcc
	s_waitcnt lgkmcnt(0)
	global_store_dword v[4:5], v7, off
	v_mad_u64_u32 v[4:5], s[0:1], v2, s10, 0
	v_mov_b32_e32 v14, v5
	ds_read_b64 v[12:13], v3
	v_mad_u64_u32 v[2:3], s[0:1], v2, s11, v[14:15]
	v_mov_b32_e32 v5, v2
	v_lshlrev_b64 v[2:3], 3, v[4:5]
	v_add_co_u32_e32 v2, vcc, v8, v2
	v_addc_co_u32_e32 v3, vcc, v9, v3, vcc
	s_waitcnt lgkmcnt(0)
	global_store_dwordx2 v[2:3], v[12:13], off
.LBB54_97:
	s_or_b64 exec, exec, s[4:5]
	s_and_b64 exec, exec, s[2:3]
	s_cbranch_execz .LBB54_99
; %bb.98:
	v_mad_u64_u32 v[2:3], s[0:1], v0, s8, 0
	v_mov_b32_e32 v4, v3
	ds_read_b32 v6, v6
	v_mad_u64_u32 v[4:5], s[0:1], v0, s9, v[4:5]
	v_mov_b32_e32 v3, v4
	ds_read_b64 v[4:5], v1
	v_lshlrev_b64 v[2:3], 2, v[2:3]
	v_add_co_u32_e32 v2, vcc, v10, v2
	v_addc_co_u32_e32 v3, vcc, v11, v3, vcc
	s_waitcnt lgkmcnt(1)
	global_store_dword v[2:3], v6, off
	v_mad_u64_u32 v[2:3], s[0:1], v0, s10, 0
	v_mov_b32_e32 v6, v3
	v_mad_u64_u32 v[0:1], s[0:1], v0, s11, v[6:7]
	v_mov_b32_e32 v3, v0
	v_lshlrev_b64 v[0:1], 3, v[2:3]
	v_add_co_u32_e32 v0, vcc, v8, v0
	v_addc_co_u32_e32 v1, vcc, v9, v1, vcc
	s_waitcnt lgkmcnt(0)
	global_store_dwordx2 v[0:1], v[4:5], off
.LBB54_99:
	s_endpgm
.LBB54_100:
	ds_read_u8 v23, v7
	s_andn2_b64 s[6:7], s[6:7], exec
	s_mov_b32 s14, 1
	s_waitcnt lgkmcnt(0)
	v_and_b32_e32 v23, 1, v23
	v_cmp_eq_u32_e64 s[4:5], 1, v23
	s_xor_b64 s[4:5], s[4:5], -1
	s_and_b64 s[4:5], s[4:5], exec
	s_or_b64 s[6:7], s[6:7], s[4:5]
	s_or_b64 exec, exec, s[12:13]
	v_mov_b32_e32 v23, s14
	s_and_saveexec_b64 s[4:5], s[6:7]
	s_cbranch_execz .LBB54_35
.LBB54_101:
	ds_read_u8 v23, v7 offset:1
	s_waitcnt lgkmcnt(0)
	v_xor_b32_e32 v23, 1, v23
	s_or_b64 exec, exec, s[4:5]
	v_cmp_eq_u32_e64 s[4:5], v23, v22
	s_and_saveexec_b64 s[6:7], s[4:5]
	s_cbranch_execnz .LBB54_36
	s_branch .LBB54_37
.LBB54_102:
	ds_read_u8 v26, v16
	s_andn2_b64 s[6:7], s[6:7], exec
	s_mov_b32 s14, 1
	s_waitcnt lgkmcnt(0)
	v_and_b32_e32 v26, 1, v26
	v_cmp_eq_u32_e64 s[4:5], 1, v26
	s_xor_b64 s[4:5], s[4:5], -1
	s_and_b64 s[4:5], s[4:5], exec
	s_or_b64 s[6:7], s[6:7], s[4:5]
	s_or_b64 exec, exec, s[12:13]
	v_mov_b32_e32 v26, s14
	s_and_saveexec_b64 s[4:5], s[6:7]
	s_cbranch_execz .LBB54_45
.LBB54_103:
	ds_read_u8 v26, v16 offset:2
	s_waitcnt lgkmcnt(0)
	v_xor_b32_e32 v26, 1, v26
	s_or_b64 exec, exec, s[4:5]
	v_cmp_eq_u32_e64 s[4:5], v26, v25
	s_and_saveexec_b64 s[6:7], s[4:5]
	s_cbranch_execnz .LBB54_46
	s_branch .LBB54_47
.LBB54_104:
	ds_read_u8 v26, v7
	s_andn2_b64 s[6:7], s[6:7], exec
	s_mov_b32 s14, 1
	s_waitcnt lgkmcnt(0)
	v_and_b32_e32 v26, 1, v26
	v_cmp_eq_u32_e64 s[4:5], 1, v26
	s_xor_b64 s[4:5], s[4:5], -1
	s_and_b64 s[4:5], s[4:5], exec
	s_or_b64 s[6:7], s[6:7], s[4:5]
	s_or_b64 exec, exec, s[12:13]
	v_mov_b32_e32 v26, s14
	s_and_saveexec_b64 s[4:5], s[6:7]
	s_cbranch_execz .LBB54_49
.LBB54_105:
	ds_read_u8 v26, v7 offset:1
	s_waitcnt lgkmcnt(0)
	v_xor_b32_e32 v26, 1, v26
	s_or_b64 exec, exec, s[4:5]
	v_cmp_eq_u32_e64 s[4:5], v26, v25
	s_and_saveexec_b64 s[6:7], s[4:5]
	s_cbranch_execnz .LBB54_50
	s_branch .LBB54_51
.LBB54_106:
	ds_read_u8 v29, v23
	s_andn2_b64 s[6:7], s[6:7], exec
	s_mov_b32 s14, 1
	s_waitcnt lgkmcnt(0)
	v_and_b32_e32 v29, 1, v29
	v_cmp_eq_u32_e64 s[4:5], 1, v29
	s_xor_b64 s[4:5], s[4:5], -1
	s_and_b64 s[4:5], s[4:5], exec
	s_or_b64 s[6:7], s[6:7], s[4:5]
	s_or_b64 exec, exec, s[12:13]
	v_mov_b32_e32 v29, s14
	s_and_saveexec_b64 s[4:5], s[6:7]
	s_cbranch_execz .LBB54_59
.LBB54_107:
	ds_read_u8 v29, v23 offset:4
	s_waitcnt lgkmcnt(0)
	v_xor_b32_e32 v29, 1, v29
	s_or_b64 exec, exec, s[4:5]
	v_cmp_eq_u32_e64 s[4:5], v29, v28
	s_and_saveexec_b64 s[6:7], s[4:5]
	s_cbranch_execnz .LBB54_60
	s_branch .LBB54_61
.LBB54_108:
	ds_read_u8 v29, v16
	s_andn2_b64 s[6:7], s[6:7], exec
	s_mov_b32 s14, 1
	s_waitcnt lgkmcnt(0)
	v_and_b32_e32 v29, 1, v29
	v_cmp_eq_u32_e64 s[4:5], 1, v29
	s_xor_b64 s[4:5], s[4:5], -1
	s_and_b64 s[4:5], s[4:5], exec
	s_or_b64 s[6:7], s[6:7], s[4:5]
	s_or_b64 exec, exec, s[12:13]
	v_mov_b32_e32 v29, s14
	s_and_saveexec_b64 s[4:5], s[6:7]
	s_cbranch_execz .LBB54_63
.LBB54_109:
	ds_read_u8 v29, v16 offset:2
	s_waitcnt lgkmcnt(0)
	v_xor_b32_e32 v29, 1, v29
	s_or_b64 exec, exec, s[4:5]
	v_cmp_eq_u32_e64 s[4:5], v29, v28
	s_and_saveexec_b64 s[6:7], s[4:5]
	s_cbranch_execnz .LBB54_64
	s_branch .LBB54_65
.LBB54_110:
	ds_read_u8 v29, v7
	s_andn2_b64 s[6:7], s[6:7], exec
	s_mov_b32 s14, 1
	s_waitcnt lgkmcnt(0)
	v_and_b32_e32 v29, 1, v29
	v_cmp_eq_u32_e64 s[4:5], 1, v29
	s_xor_b64 s[4:5], s[4:5], -1
	s_and_b64 s[4:5], s[4:5], exec
	s_or_b64 s[6:7], s[6:7], s[4:5]
	s_or_b64 exec, exec, s[12:13]
	v_mov_b32_e32 v29, s14
	s_and_saveexec_b64 s[4:5], s[6:7]
	s_cbranch_execz .LBB54_67
.LBB54_111:
	ds_read_u8 v29, v7 offset:1
	s_waitcnt lgkmcnt(0)
	v_xor_b32_e32 v29, 1, v29
	s_or_b64 exec, exec, s[4:5]
	v_cmp_eq_u32_e64 s[4:5], v29, v28
	s_and_saveexec_b64 s[6:7], s[4:5]
	s_cbranch_execnz .LBB54_68
	s_branch .LBB54_69
	.section	.rodata,"a",@progbits
	.p2align	6, 0x0
	.amdhsa_kernel _ZN2at6native20bitonicSortKVInPlaceILin1ELin1ELi16ELi16EflNS0_4LTOpIfLb1EEEmEEvNS_4cuda6detail10TensorInfoIT3_T6_EES8_S8_S8_NS6_IT4_S8_EES8_T5_
		.amdhsa_group_segment_fixed_size 6656
		.amdhsa_private_segment_fixed_size 0
		.amdhsa_kernarg_size 1128
		.amdhsa_user_sgpr_count 6
		.amdhsa_user_sgpr_private_segment_buffer 1
		.amdhsa_user_sgpr_dispatch_ptr 0
		.amdhsa_user_sgpr_queue_ptr 0
		.amdhsa_user_sgpr_kernarg_segment_ptr 1
		.amdhsa_user_sgpr_dispatch_id 0
		.amdhsa_user_sgpr_flat_scratch_init 0
		.amdhsa_user_sgpr_kernarg_preload_length 0
		.amdhsa_user_sgpr_kernarg_preload_offset 0
		.amdhsa_user_sgpr_private_segment_size 0
		.amdhsa_uses_dynamic_stack 0
		.amdhsa_system_sgpr_private_segment_wavefront_offset 0
		.amdhsa_system_sgpr_workgroup_id_x 1
		.amdhsa_system_sgpr_workgroup_id_y 1
		.amdhsa_system_sgpr_workgroup_id_z 1
		.amdhsa_system_sgpr_workgroup_info 0
		.amdhsa_system_vgpr_workitem_id 1
		.amdhsa_next_free_vgpr 35
		.amdhsa_next_free_sgpr 21
		.amdhsa_accum_offset 36
		.amdhsa_reserve_vcc 1
		.amdhsa_reserve_flat_scratch 0
		.amdhsa_float_round_mode_32 0
		.amdhsa_float_round_mode_16_64 0
		.amdhsa_float_denorm_mode_32 3
		.amdhsa_float_denorm_mode_16_64 3
		.amdhsa_dx10_clamp 1
		.amdhsa_ieee_mode 1
		.amdhsa_fp16_overflow 0
		.amdhsa_tg_split 0
		.amdhsa_exception_fp_ieee_invalid_op 0
		.amdhsa_exception_fp_denorm_src 0
		.amdhsa_exception_fp_ieee_div_zero 0
		.amdhsa_exception_fp_ieee_overflow 0
		.amdhsa_exception_fp_ieee_underflow 0
		.amdhsa_exception_fp_ieee_inexact 0
		.amdhsa_exception_int_div_zero 0
	.end_amdhsa_kernel
	.section	.text._ZN2at6native20bitonicSortKVInPlaceILin1ELin1ELi16ELi16EflNS0_4LTOpIfLb1EEEmEEvNS_4cuda6detail10TensorInfoIT3_T6_EES8_S8_S8_NS6_IT4_S8_EES8_T5_,"axG",@progbits,_ZN2at6native20bitonicSortKVInPlaceILin1ELin1ELi16ELi16EflNS0_4LTOpIfLb1EEEmEEvNS_4cuda6detail10TensorInfoIT3_T6_EES8_S8_S8_NS6_IT4_S8_EES8_T5_,comdat
.Lfunc_end54:
	.size	_ZN2at6native20bitonicSortKVInPlaceILin1ELin1ELi16ELi16EflNS0_4LTOpIfLb1EEEmEEvNS_4cuda6detail10TensorInfoIT3_T6_EES8_S8_S8_NS6_IT4_S8_EES8_T5_, .Lfunc_end54-_ZN2at6native20bitonicSortKVInPlaceILin1ELin1ELi16ELi16EflNS0_4LTOpIfLb1EEEmEEvNS_4cuda6detail10TensorInfoIT3_T6_EES8_S8_S8_NS6_IT4_S8_EES8_T5_
                                        ; -- End function
	.section	.AMDGPU.csdata,"",@progbits
; Kernel info:
; codeLenInByte = 6832
; NumSgprs: 25
; NumVgprs: 35
; NumAgprs: 0
; TotalNumVgprs: 35
; ScratchSize: 0
; MemoryBound: 0
; FloatMode: 240
; IeeeMode: 1
; LDSByteSize: 6656 bytes/workgroup (compile time only)
; SGPRBlocks: 3
; VGPRBlocks: 4
; NumSGPRsForWavesPerEU: 25
; NumVGPRsForWavesPerEU: 35
; AccumOffset: 36
; Occupancy: 8
; WaveLimiterHint : 1
; COMPUTE_PGM_RSRC2:SCRATCH_EN: 0
; COMPUTE_PGM_RSRC2:USER_SGPR: 6
; COMPUTE_PGM_RSRC2:TRAP_HANDLER: 0
; COMPUTE_PGM_RSRC2:TGID_X_EN: 1
; COMPUTE_PGM_RSRC2:TGID_Y_EN: 1
; COMPUTE_PGM_RSRC2:TGID_Z_EN: 1
; COMPUTE_PGM_RSRC2:TIDIG_COMP_CNT: 1
; COMPUTE_PGM_RSRC3_GFX90A:ACCUM_OFFSET: 8
; COMPUTE_PGM_RSRC3_GFX90A:TG_SPLIT: 0
	.section	.text._ZN2at6native20bitonicSortKVInPlaceILin1ELin1ELi16ELi16EflNS0_4GTOpIfLb1EEEmEEvNS_4cuda6detail10TensorInfoIT3_T6_EES8_S8_S8_NS6_IT4_S8_EES8_T5_,"axG",@progbits,_ZN2at6native20bitonicSortKVInPlaceILin1ELin1ELi16ELi16EflNS0_4GTOpIfLb1EEEmEEvNS_4cuda6detail10TensorInfoIT3_T6_EES8_S8_S8_NS6_IT4_S8_EES8_T5_,comdat
	.protected	_ZN2at6native20bitonicSortKVInPlaceILin1ELin1ELi16ELi16EflNS0_4GTOpIfLb1EEEmEEvNS_4cuda6detail10TensorInfoIT3_T6_EES8_S8_S8_NS6_IT4_S8_EES8_T5_ ; -- Begin function _ZN2at6native20bitonicSortKVInPlaceILin1ELin1ELi16ELi16EflNS0_4GTOpIfLb1EEEmEEvNS_4cuda6detail10TensorInfoIT3_T6_EES8_S8_S8_NS6_IT4_S8_EES8_T5_
	.globl	_ZN2at6native20bitonicSortKVInPlaceILin1ELin1ELi16ELi16EflNS0_4GTOpIfLb1EEEmEEvNS_4cuda6detail10TensorInfoIT3_T6_EES8_S8_S8_NS6_IT4_S8_EES8_T5_
	.p2align	8
	.type	_ZN2at6native20bitonicSortKVInPlaceILin1ELin1ELi16ELi16EflNS0_4GTOpIfLb1EEEmEEvNS_4cuda6detail10TensorInfoIT3_T6_EES8_S8_S8_NS6_IT4_S8_EES8_T5_,@function
_ZN2at6native20bitonicSortKVInPlaceILin1ELin1ELi16ELi16EflNS0_4GTOpIfLb1EEEmEEvNS_4cuda6detail10TensorInfoIT3_T6_EES8_S8_S8_NS6_IT4_S8_EES8_T5_: ; @_ZN2at6native20bitonicSortKVInPlaceILin1ELin1ELi16ELi16EflNS0_4GTOpIfLb1EEEmEEvNS_4cuda6detail10TensorInfoIT3_T6_EES8_S8_S8_NS6_IT4_S8_EES8_T5_
; %bb.0:
	s_load_dwordx2 s[0:1], s[4:5], 0x368
	s_load_dwordx4 s[12:15], s[4:5], 0x1a0
	s_load_dword s9, s[4:5], 0x374
	s_add_u32 s2, s4, 0x368
	s_addc_u32 s3, s5, 0
	s_waitcnt lgkmcnt(0)
	s_mul_i32 s1, s1, s8
	s_add_i32 s1, s1, s7
	s_mul_i32 s0, s1, s0
	s_add_i32 s0, s0, s6
	s_lshr_b32 s6, s9, 16
	s_mul_hi_u32 s1, s0, s6
	s_mul_i32 s0, s0, s6
	v_pk_mov_b32 v[2:3], s[12:13], s[12:13] op_sel:[0,1]
	v_cmp_ge_u64_e32 vcc, s[0:1], v[2:3]
	s_cbranch_vccnz .LBB55_99
; %bb.1:
	v_mov_b32_e32 v1, s1
	s_load_dwordx2 s[8:9], s[4:5], 0x1b0
	s_load_dword s1, s[4:5], 0x198
	v_bfe_u32 v16, v0, 10, 10
	v_add_co_u32_e32 v4, vcc, s0, v16
	v_addc_co_u32_e32 v5, vcc, 0, v1, vcc
	v_mov_b32_e32 v8, 0
	s_waitcnt lgkmcnt(0)
	s_cmp_lt_i32 s1, 2
	v_pk_mov_b32 v[2:3], 0, 0
	v_pk_mov_b32 v[6:7], v[4:5], v[4:5] op_sel:[0,1]
	s_cbranch_scc1 .LBB55_9
; %bb.2:
	s_add_i32 s18, s1, 1
	s_add_i32 s0, s1, -1
	s_mov_b32 s1, 0
	s_lshl_b64 s[0:1], s[0:1], 3
	s_add_u32 s0, s0, s4
	s_addc_u32 s1, s1, s5
	s_add_u32 s6, s0, 8
	s_addc_u32 s7, s1, 0
	v_pk_mov_b32 v[2:3], 0, 0
	v_pk_mov_b32 v[10:11], v[4:5], v[4:5] op_sel:[0,1]
.LBB55_3:                               ; =>This Inner Loop Header: Depth=1
	s_load_dwordx2 s[10:11], s[6:7], 0x0
                                        ; implicit-def: $vgpr6_vgpr7
	s_waitcnt lgkmcnt(0)
	v_or_b32_e32 v9, s11, v11
	v_cmp_ne_u64_e32 vcc, 0, v[8:9]
	s_and_saveexec_b64 s[0:1], vcc
	s_xor_b64 s[16:17], exec, s[0:1]
	s_cbranch_execz .LBB55_5
; %bb.4:                                ;   in Loop: Header=BB55_3 Depth=1
	v_cvt_f32_u32_e32 v1, s10
	v_cvt_f32_u32_e32 v6, s11
	s_sub_u32 s0, 0, s10
	s_subb_u32 s1, 0, s11
	v_mac_f32_e32 v1, 0x4f800000, v6
	v_rcp_f32_e32 v1, v1
	v_mul_f32_e32 v1, 0x5f7ffffc, v1
	v_mul_f32_e32 v6, 0x2f800000, v1
	v_trunc_f32_e32 v6, v6
	v_mac_f32_e32 v1, 0xcf800000, v6
	v_cvt_u32_f32_e32 v6, v6
	v_cvt_u32_f32_e32 v1, v1
	v_mul_lo_u32 v7, s0, v6
	v_mul_hi_u32 v12, s0, v1
	v_mul_lo_u32 v9, s1, v1
	v_add_u32_e32 v7, v12, v7
	v_mul_lo_u32 v13, s0, v1
	v_add_u32_e32 v7, v7, v9
	v_mul_hi_u32 v12, v1, v13
	v_mul_lo_u32 v14, v1, v7
	v_mul_hi_u32 v9, v1, v7
	v_add_co_u32_e32 v12, vcc, v12, v14
	v_addc_co_u32_e32 v9, vcc, 0, v9, vcc
	v_mul_hi_u32 v15, v6, v13
	v_mul_lo_u32 v13, v6, v13
	v_add_co_u32_e32 v12, vcc, v12, v13
	v_mul_hi_u32 v14, v6, v7
	v_addc_co_u32_e32 v9, vcc, v9, v15, vcc
	v_addc_co_u32_e32 v12, vcc, 0, v14, vcc
	v_mul_lo_u32 v7, v6, v7
	v_add_co_u32_e32 v7, vcc, v9, v7
	v_addc_co_u32_e32 v9, vcc, 0, v12, vcc
	v_add_co_u32_e32 v1, vcc, v1, v7
	v_addc_co_u32_e32 v6, vcc, v6, v9, vcc
	v_mul_lo_u32 v7, s0, v6
	v_mul_hi_u32 v9, s0, v1
	v_add_u32_e32 v7, v9, v7
	v_mul_lo_u32 v9, s1, v1
	v_add_u32_e32 v7, v7, v9
	v_mul_lo_u32 v12, s0, v1
	v_mul_hi_u32 v13, v6, v12
	v_mul_lo_u32 v14, v6, v12
	v_mul_lo_u32 v17, v1, v7
	v_mul_hi_u32 v12, v1, v12
	v_mul_hi_u32 v15, v1, v7
	v_add_co_u32_e32 v12, vcc, v12, v17
	v_addc_co_u32_e32 v15, vcc, 0, v15, vcc
	v_add_co_u32_e32 v12, vcc, v12, v14
	v_mul_hi_u32 v9, v6, v7
	v_addc_co_u32_e32 v12, vcc, v15, v13, vcc
	v_addc_co_u32_e32 v9, vcc, 0, v9, vcc
	v_mul_lo_u32 v7, v6, v7
	v_add_co_u32_e32 v7, vcc, v12, v7
	v_addc_co_u32_e32 v9, vcc, 0, v9, vcc
	v_add_co_u32_e32 v1, vcc, v1, v7
	v_addc_co_u32_e32 v9, vcc, v6, v9, vcc
	v_mad_u64_u32 v[6:7], s[0:1], v10, v9, 0
	v_mul_hi_u32 v12, v10, v1
	v_add_co_u32_e32 v14, vcc, v12, v6
	v_addc_co_u32_e32 v15, vcc, 0, v7, vcc
	v_mad_u64_u32 v[12:13], s[0:1], v11, v1, 0
	v_add_co_u32_e32 v1, vcc, v14, v12
	v_mad_u64_u32 v[6:7], s[0:1], v11, v9, 0
	v_addc_co_u32_e32 v1, vcc, v15, v13, vcc
	v_addc_co_u32_e32 v7, vcc, 0, v7, vcc
	v_add_co_u32_e32 v1, vcc, v1, v6
	v_addc_co_u32_e32 v9, vcc, 0, v7, vcc
	v_mul_lo_u32 v12, s11, v1
	v_mul_lo_u32 v13, s10, v9
	v_mad_u64_u32 v[6:7], s[0:1], s10, v1, 0
	v_add3_u32 v7, v7, v13, v12
	v_sub_u32_e32 v12, v11, v7
	v_mov_b32_e32 v13, s11
	v_sub_co_u32_e32 v6, vcc, v10, v6
	v_subb_co_u32_e64 v12, s[0:1], v12, v13, vcc
	v_subrev_co_u32_e64 v13, s[0:1], s10, v6
	v_subbrev_co_u32_e64 v12, s[0:1], 0, v12, s[0:1]
	v_cmp_le_u32_e64 s[0:1], s11, v12
	v_cndmask_b32_e64 v14, 0, -1, s[0:1]
	v_cmp_le_u32_e64 s[0:1], s10, v13
	v_cndmask_b32_e64 v13, 0, -1, s[0:1]
	v_cmp_eq_u32_e64 s[0:1], s11, v12
	v_cndmask_b32_e64 v12, v14, v13, s[0:1]
	v_add_co_u32_e64 v13, s[0:1], 2, v1
	v_addc_co_u32_e64 v14, s[0:1], 0, v9, s[0:1]
	v_add_co_u32_e64 v15, s[0:1], 1, v1
	v_addc_co_u32_e64 v17, s[0:1], 0, v9, s[0:1]
	v_subb_co_u32_e32 v7, vcc, v11, v7, vcc
	v_cmp_ne_u32_e64 s[0:1], 0, v12
	v_cmp_le_u32_e32 vcc, s11, v7
	v_cndmask_b32_e64 v12, v17, v14, s[0:1]
	v_cndmask_b32_e64 v14, 0, -1, vcc
	v_cmp_le_u32_e32 vcc, s10, v6
	v_cndmask_b32_e64 v6, 0, -1, vcc
	v_cmp_eq_u32_e32 vcc, s11, v7
	v_cndmask_b32_e32 v6, v14, v6, vcc
	v_cmp_ne_u32_e32 vcc, 0, v6
	v_cndmask_b32_e64 v6, v15, v13, s[0:1]
	v_cndmask_b32_e32 v7, v9, v12, vcc
	v_cndmask_b32_e32 v6, v1, v6, vcc
.LBB55_5:                               ;   in Loop: Header=BB55_3 Depth=1
	s_andn2_saveexec_b64 s[0:1], s[16:17]
	s_cbranch_execz .LBB55_7
; %bb.6:                                ;   in Loop: Header=BB55_3 Depth=1
	v_cvt_f32_u32_e32 v1, s10
	s_sub_i32 s16, 0, s10
	v_rcp_iflag_f32_e32 v1, v1
	v_mul_f32_e32 v1, 0x4f7ffffe, v1
	v_cvt_u32_f32_e32 v1, v1
	v_mul_lo_u32 v6, s16, v1
	v_mul_hi_u32 v6, v1, v6
	v_add_u32_e32 v1, v1, v6
	v_mul_hi_u32 v1, v10, v1
	v_mul_lo_u32 v6, v1, s10
	v_sub_u32_e32 v6, v10, v6
	v_add_u32_e32 v7, 1, v1
	v_subrev_u32_e32 v9, s10, v6
	v_cmp_le_u32_e32 vcc, s10, v6
	v_cndmask_b32_e32 v6, v6, v9, vcc
	v_cndmask_b32_e32 v1, v1, v7, vcc
	v_add_u32_e32 v7, 1, v1
	v_cmp_le_u32_e32 vcc, s10, v6
	v_cndmask_b32_e32 v6, v1, v7, vcc
	v_mov_b32_e32 v7, v8
.LBB55_7:                               ;   in Loop: Header=BB55_3 Depth=1
	s_or_b64 exec, exec, s[0:1]
	v_mad_u64_u32 v[12:13], s[0:1], v6, s10, 0
	s_load_dwordx2 s[0:1], s[6:7], 0xc8
	v_mul_lo_u32 v1, v7, s10
	v_mul_lo_u32 v9, v6, s11
	v_add3_u32 v1, v13, v9, v1
	v_sub_co_u32_e32 v9, vcc, v10, v12
	s_add_i32 s18, s18, -1
	v_subb_co_u32_e32 v1, vcc, v11, v1, vcc
	s_add_u32 s6, s6, -8
	s_waitcnt lgkmcnt(0)
	v_mul_lo_u32 v1, s0, v1
	v_mul_lo_u32 v10, s1, v9
	v_mad_u64_u32 v[2:3], s[0:1], s0, v9, v[2:3]
	s_addc_u32 s7, s7, -1
	s_cmp_gt_u32 s18, 2
	v_add3_u32 v3, v10, v3, v1
	s_cbranch_scc0 .LBB55_9
; %bb.8:                                ;   in Loop: Header=BB55_3 Depth=1
	v_pk_mov_b32 v[10:11], v[6:7], v[6:7] op_sel:[0,1]
	s_branch .LBB55_3
.LBB55_9:
	s_load_dword s0, s[4:5], 0x350
	s_load_dwordx2 s[6:7], s[4:5], 0xd0
	v_pk_mov_b32 v[8:9], 0, 0
	v_pk_mov_b32 v[14:15], v[4:5], v[4:5] op_sel:[0,1]
	s_waitcnt lgkmcnt(0)
	s_cmp_lt_i32 s0, 2
	s_cbranch_scc1 .LBB55_17
; %bb.10:
	s_add_i32 s20, s0, 1
	s_add_i32 s0, s0, -1
	s_mov_b32 s1, 0
	s_lshl_b64 s[0:1], s[0:1], 3
	s_add_u32 s0, s0, s4
	s_addc_u32 s1, s1, s5
	s_add_u32 s10, s0, 0x1c0
	s_addc_u32 s11, s1, 0
	v_pk_mov_b32 v[8:9], 0, 0
	v_mov_b32_e32 v10, 0
	v_pk_mov_b32 v[12:13], v[4:5], v[4:5] op_sel:[0,1]
.LBB55_11:                              ; =>This Inner Loop Header: Depth=1
	s_load_dwordx2 s[16:17], s[10:11], 0x0
                                        ; implicit-def: $vgpr14_vgpr15
	s_waitcnt lgkmcnt(0)
	v_or_b32_e32 v11, s17, v13
	v_cmp_ne_u64_e32 vcc, 0, v[10:11]
	s_and_saveexec_b64 s[0:1], vcc
	s_xor_b64 s[18:19], exec, s[0:1]
	s_cbranch_execz .LBB55_13
; %bb.12:                               ;   in Loop: Header=BB55_11 Depth=1
	v_cvt_f32_u32_e32 v1, s16
	v_cvt_f32_u32_e32 v11, s17
	s_sub_u32 s0, 0, s16
	s_subb_u32 s1, 0, s17
	v_mac_f32_e32 v1, 0x4f800000, v11
	v_rcp_f32_e32 v1, v1
	v_mul_f32_e32 v1, 0x5f7ffffc, v1
	v_mul_f32_e32 v11, 0x2f800000, v1
	v_trunc_f32_e32 v11, v11
	v_mac_f32_e32 v1, 0xcf800000, v11
	v_cvt_u32_f32_e32 v11, v11
	v_cvt_u32_f32_e32 v1, v1
	v_mul_lo_u32 v14, s0, v11
	v_mul_hi_u32 v17, s0, v1
	v_mul_lo_u32 v15, s1, v1
	v_add_u32_e32 v14, v17, v14
	v_mul_lo_u32 v18, s0, v1
	v_add_u32_e32 v14, v14, v15
	v_mul_hi_u32 v17, v1, v18
	v_mul_lo_u32 v19, v1, v14
	v_mul_hi_u32 v15, v1, v14
	v_add_co_u32_e32 v17, vcc, v17, v19
	v_addc_co_u32_e32 v15, vcc, 0, v15, vcc
	v_mul_hi_u32 v20, v11, v18
	v_mul_lo_u32 v18, v11, v18
	v_add_co_u32_e32 v17, vcc, v17, v18
	v_mul_hi_u32 v19, v11, v14
	v_addc_co_u32_e32 v15, vcc, v15, v20, vcc
	v_addc_co_u32_e32 v17, vcc, 0, v19, vcc
	v_mul_lo_u32 v14, v11, v14
	v_add_co_u32_e32 v14, vcc, v15, v14
	v_addc_co_u32_e32 v15, vcc, 0, v17, vcc
	v_add_co_u32_e32 v1, vcc, v1, v14
	v_addc_co_u32_e32 v11, vcc, v11, v15, vcc
	v_mul_lo_u32 v14, s0, v11
	v_mul_hi_u32 v15, s0, v1
	v_add_u32_e32 v14, v15, v14
	v_mul_lo_u32 v15, s1, v1
	v_add_u32_e32 v14, v14, v15
	v_mul_lo_u32 v17, s0, v1
	v_mul_hi_u32 v18, v11, v17
	v_mul_lo_u32 v19, v11, v17
	v_mul_lo_u32 v21, v1, v14
	v_mul_hi_u32 v17, v1, v17
	v_mul_hi_u32 v20, v1, v14
	v_add_co_u32_e32 v17, vcc, v17, v21
	v_addc_co_u32_e32 v20, vcc, 0, v20, vcc
	v_add_co_u32_e32 v17, vcc, v17, v19
	v_mul_hi_u32 v15, v11, v14
	v_addc_co_u32_e32 v17, vcc, v20, v18, vcc
	v_addc_co_u32_e32 v15, vcc, 0, v15, vcc
	v_mul_lo_u32 v14, v11, v14
	v_add_co_u32_e32 v14, vcc, v17, v14
	v_addc_co_u32_e32 v15, vcc, 0, v15, vcc
	v_add_co_u32_e32 v1, vcc, v1, v14
	v_addc_co_u32_e32 v11, vcc, v11, v15, vcc
	v_mad_u64_u32 v[14:15], s[0:1], v12, v11, 0
	v_mul_hi_u32 v17, v12, v1
	v_add_co_u32_e32 v17, vcc, v17, v14
	v_addc_co_u32_e32 v20, vcc, 0, v15, vcc
	v_mad_u64_u32 v[18:19], s[0:1], v13, v1, 0
	v_add_co_u32_e32 v1, vcc, v17, v18
	v_mad_u64_u32 v[14:15], s[0:1], v13, v11, 0
	v_addc_co_u32_e32 v1, vcc, v20, v19, vcc
	v_addc_co_u32_e32 v11, vcc, 0, v15, vcc
	v_add_co_u32_e32 v1, vcc, v1, v14
	v_addc_co_u32_e32 v11, vcc, 0, v11, vcc
	v_mul_lo_u32 v17, s17, v1
	v_mul_lo_u32 v18, s16, v11
	v_mad_u64_u32 v[14:15], s[0:1], s16, v1, 0
	v_add3_u32 v15, v15, v18, v17
	v_sub_u32_e32 v17, v13, v15
	v_mov_b32_e32 v18, s17
	v_sub_co_u32_e32 v14, vcc, v12, v14
	v_subb_co_u32_e64 v17, s[0:1], v17, v18, vcc
	v_subrev_co_u32_e64 v18, s[0:1], s16, v14
	v_subbrev_co_u32_e64 v17, s[0:1], 0, v17, s[0:1]
	v_cmp_le_u32_e64 s[0:1], s17, v17
	v_cndmask_b32_e64 v19, 0, -1, s[0:1]
	v_cmp_le_u32_e64 s[0:1], s16, v18
	v_cndmask_b32_e64 v18, 0, -1, s[0:1]
	v_cmp_eq_u32_e64 s[0:1], s17, v17
	v_cndmask_b32_e64 v17, v19, v18, s[0:1]
	v_add_co_u32_e64 v18, s[0:1], 2, v1
	v_addc_co_u32_e64 v19, s[0:1], 0, v11, s[0:1]
	v_add_co_u32_e64 v20, s[0:1], 1, v1
	v_addc_co_u32_e64 v21, s[0:1], 0, v11, s[0:1]
	v_subb_co_u32_e32 v15, vcc, v13, v15, vcc
	v_cmp_ne_u32_e64 s[0:1], 0, v17
	v_cmp_le_u32_e32 vcc, s17, v15
	v_cndmask_b32_e64 v17, v21, v19, s[0:1]
	v_cndmask_b32_e64 v19, 0, -1, vcc
	v_cmp_le_u32_e32 vcc, s16, v14
	v_cndmask_b32_e64 v14, 0, -1, vcc
	v_cmp_eq_u32_e32 vcc, s17, v15
	v_cndmask_b32_e32 v14, v19, v14, vcc
	v_cmp_ne_u32_e32 vcc, 0, v14
	v_cndmask_b32_e32 v15, v11, v17, vcc
	v_cndmask_b32_e64 v11, v20, v18, s[0:1]
	v_cndmask_b32_e32 v14, v1, v11, vcc
.LBB55_13:                              ;   in Loop: Header=BB55_11 Depth=1
	s_andn2_saveexec_b64 s[0:1], s[18:19]
	s_cbranch_execz .LBB55_15
; %bb.14:                               ;   in Loop: Header=BB55_11 Depth=1
	v_cvt_f32_u32_e32 v1, s16
	s_sub_i32 s18, 0, s16
	v_rcp_iflag_f32_e32 v1, v1
	v_mul_f32_e32 v1, 0x4f7ffffe, v1
	v_cvt_u32_f32_e32 v1, v1
	v_mul_lo_u32 v11, s18, v1
	v_mul_hi_u32 v11, v1, v11
	v_add_u32_e32 v1, v1, v11
	v_mul_hi_u32 v1, v12, v1
	v_mul_lo_u32 v11, v1, s16
	v_sub_u32_e32 v11, v12, v11
	v_add_u32_e32 v14, 1, v1
	v_subrev_u32_e32 v15, s16, v11
	v_cmp_le_u32_e32 vcc, s16, v11
	v_cndmask_b32_e32 v11, v11, v15, vcc
	v_cndmask_b32_e32 v1, v1, v14, vcc
	v_add_u32_e32 v14, 1, v1
	v_cmp_le_u32_e32 vcc, s16, v11
	v_cndmask_b32_e32 v14, v1, v14, vcc
	v_mov_b32_e32 v15, v10
.LBB55_15:                              ;   in Loop: Header=BB55_11 Depth=1
	s_or_b64 exec, exec, s[0:1]
	v_mad_u64_u32 v[18:19], s[0:1], v14, s16, 0
	s_load_dwordx2 s[0:1], s[10:11], 0xc8
	v_mul_lo_u32 v1, v15, s16
	v_mul_lo_u32 v11, v14, s17
	v_add3_u32 v1, v19, v11, v1
	v_sub_co_u32_e32 v11, vcc, v12, v18
	s_add_i32 s20, s20, -1
	v_subb_co_u32_e32 v1, vcc, v13, v1, vcc
	s_add_u32 s10, s10, -8
	s_waitcnt lgkmcnt(0)
	v_mul_lo_u32 v1, s0, v1
	v_mul_lo_u32 v12, s1, v11
	v_mad_u64_u32 v[8:9], s[0:1], s0, v11, v[8:9]
	s_addc_u32 s11, s11, -1
	s_cmp_gt_u32 s20, 2
	v_add3_u32 v9, v12, v9, v1
	s_cbranch_scc0 .LBB55_17
; %bb.16:                               ;   in Loop: Header=BB55_11 Depth=1
	v_pk_mov_b32 v[12:13], v[14:15], v[14:15] op_sel:[0,1]
	s_branch .LBB55_11
.LBB55_17:
	v_mul_lo_u32 v1, s7, v6
	v_mul_lo_u32 v10, s6, v7
	v_mad_u64_u32 v[6:7], s[0:1], s6, v6, 0
	s_load_dwordx2 s[10:11], s[4:5], 0x358
	s_load_dwordx2 s[0:1], s[4:5], 0x288
	;; [unrolled: 1-line block ×4, first 2 shown]
	v_add3_u32 v7, v7, v10, v1
	v_cmp_gt_u64_e32 vcc, s[12:13], v[4:5]
	v_lshlrev_b64 v[6:7], 2, v[6:7]
	s_waitcnt lgkmcnt(0)
	v_mul_lo_u32 v1, s1, v14
	v_mul_lo_u32 v10, s0, v15
	v_mad_u64_u32 v[4:5], s[0:1], s0, v14, 0
	v_add3_u32 v5, v5, v10, v1
	v_mov_b32_e32 v1, s7
	v_add_co_u32_e64 v6, s[0:1], s6, v6
	v_addc_co_u32_e64 v1, s[0:1], v1, v7, s[0:1]
	v_lshlrev_b64 v[2:3], 2, v[2:3]
	v_add_co_u32_e64 v10, s[0:1], v6, v2
	v_addc_co_u32_e64 v11, s[0:1], v1, v3, s[0:1]
	v_lshlrev_b64 v[2:3], 3, v[4:5]
	v_mov_b32_e32 v1, s17
	v_add_co_u32_e64 v4, s[0:1], s16, v2
	v_addc_co_u32_e64 v1, s[0:1], v1, v3, s[0:1]
	v_lshlrev_b64 v[2:3], 3, v[8:9]
	s_load_dword s12, s[2:3], 0xc
	v_add_co_u32_e64 v8, s[0:1], v4, v2
	v_addc_co_u32_e64 v9, s[0:1], v1, v3, s[0:1]
	v_mov_b32_e32 v1, 0
	v_and_b32_e32 v2, 0x3ff, v0
	v_mov_b32_e32 v3, v1
	v_cmp_gt_u64_e64 s[0:1], s[14:15], v[2:3]
	v_pk_mov_b32 v[4:5], 0, 0
	s_and_b64 s[4:5], vcc, s[0:1]
	v_mov_b32_e32 v0, 0
	v_pk_mov_b32 v[6:7], v[4:5], v[4:5] op_sel:[0,1]
	s_and_saveexec_b64 s[6:7], s[4:5]
	s_cbranch_execz .LBB55_19
; %bb.18:
	v_mad_u64_u32 v[6:7], s[2:3], v2, s8, 0
	v_mov_b32_e32 v0, v7
	v_mad_u64_u32 v[12:13], s[2:3], v2, s9, v[0:1]
	v_mov_b32_e32 v7, v12
	v_lshlrev_b64 v[6:7], 2, v[6:7]
	v_add_co_u32_e64 v6, s[2:3], v10, v6
	v_addc_co_u32_e64 v7, s[2:3], v11, v7, s[2:3]
	global_load_dword v0, v[6:7], off
	v_mad_u64_u32 v[6:7], s[2:3], v2, s10, 0
	v_mov_b32_e32 v12, v7
	v_mad_u64_u32 v[12:13], s[2:3], v2, s11, v[12:13]
	v_mov_b32_e32 v7, v12
	v_lshlrev_b64 v[6:7], 3, v[6:7]
	v_add_co_u32_e64 v6, s[2:3], v8, v6
	v_addc_co_u32_e64 v7, s[2:3], v9, v7, s[2:3]
	global_load_dwordx2 v[6:7], v[6:7], off
.LBB55_19:
	s_or_b64 exec, exec, s[6:7]
	v_mov_b32_e32 v3, 0x1000
	v_lshl_add_u32 v20, v16, 7, v3
	v_mov_b32_e32 v3, 0x1800
	v_lshl_add_u32 v19, v16, 5, v3
	v_lshl_add_u32 v12, v2, 2, v20
	s_waitcnt lgkmcnt(0)
	s_and_b32 s16, 0xffff, s12
	v_cndmask_b32_e64 v13, 0, 1, s[4:5]
	s_waitcnt vmcnt(1)
	ds_write_b32 v12, v0
	v_add_u32_e32 v0, v19, v2
	ds_write_b8 v0, v13
	v_add_u32_e32 v0, s16, v2
	v_lshlrev_b32_e32 v17, 8, v16
	v_cmp_gt_u64_e64 s[2:3], s[14:15], v[0:1]
	v_lshl_add_u32 v3, v2, 3, v17
	s_and_b64 s[6:7], vcc, s[2:3]
	s_waitcnt vmcnt(0)
	ds_write_b64 v3, v[6:7]
	s_and_saveexec_b64 s[12:13], s[6:7]
	s_cbranch_execz .LBB55_21
; %bb.20:
	v_mad_u64_u32 v[4:5], s[4:5], v0, s8, 0
	v_mov_b32_e32 v6, v5
	v_mad_u64_u32 v[6:7], s[4:5], v0, s9, v[6:7]
	v_mov_b32_e32 v5, v6
	v_lshlrev_b64 v[4:5], 2, v[4:5]
	v_add_co_u32_e64 v4, s[4:5], v10, v4
	v_addc_co_u32_e64 v5, s[4:5], v11, v5, s[4:5]
	global_load_dword v1, v[4:5], off
	v_mad_u64_u32 v[4:5], s[4:5], v0, s10, 0
	v_mov_b32_e32 v6, v5
	v_mad_u64_u32 v[6:7], s[4:5], v0, s11, v[6:7]
	v_mov_b32_e32 v5, v6
	v_lshlrev_b64 v[4:5], 3, v[4:5]
	v_add_co_u32_e64 v4, s[4:5], v8, v4
	v_addc_co_u32_e64 v5, s[4:5], v9, v5, s[4:5]
	global_load_dwordx2 v[4:5], v[4:5], off
.LBB55_21:
	s_or_b64 exec, exec, s[12:13]
	v_lshl_add_u32 v6, s16, 2, v12
	s_waitcnt vmcnt(1)
	ds_write_b32 v6, v1
	v_lshl_add_u32 v1, s16, 3, v3
	v_cndmask_b32_e64 v7, 0, 1, s[6:7]
	s_waitcnt vmcnt(0)
	ds_write_b64 v1, v[4:5]
	v_add_u32_e32 v4, v19, v0
	ds_write_b8 v4, v7
	v_lshlrev_b32_e32 v4, 2, v2
	v_add_u32_e32 v13, v12, v4
	s_waitcnt lgkmcnt(0)
	s_barrier
	ds_read_b64 v[4:5], v13
	v_lshlrev_b32_e32 v21, 1, v2
	s_mov_b32 s14, 1
	v_add_u32_e32 v7, v19, v21
	s_waitcnt lgkmcnt(0)
	v_cmp_u_f32_e64 s[4:5], v4, v4
	v_cmp_o_f32_e64 s[6:7], v5, v5
	s_and_b64 s[6:7], s[4:5], s[6:7]
	v_cmp_gt_f32_e64 s[4:5], v4, v5
	s_or_b64 s[4:5], s[6:7], s[4:5]
	s_xor_b64 s[6:7], s[4:5], -1
	s_and_saveexec_b64 s[12:13], s[4:5]
	s_xor_b64 s[12:13], exec, s[12:13]
	s_cbranch_execz .LBB55_23
; %bb.22:
	ds_read_u8 v14, v7
	s_andn2_b64 s[6:7], s[6:7], exec
	s_waitcnt lgkmcnt(0)
	v_and_b32_e32 v14, 1, v14
	v_cmp_eq_u32_e64 s[4:5], 1, v14
	s_xor_b64 s[4:5], s[4:5], -1
	s_and_b64 s[4:5], s[4:5], exec
	s_or_b64 s[6:7], s[6:7], s[4:5]
.LBB55_23:
	s_or_b64 exec, exec, s[12:13]
	v_mov_b32_e32 v16, s14
	s_and_saveexec_b64 s[4:5], s[6:7]
	s_cbranch_execz .LBB55_25
; %bb.24:
	ds_read_u8 v14, v7 offset:1
	s_waitcnt lgkmcnt(0)
	v_xor_b32_e32 v16, 1, v14
.LBB55_25:
	s_or_b64 exec, exec, s[4:5]
	v_and_b32_e32 v15, 1, v2
	v_lshlrev_b32_e32 v14, 3, v2
	v_cmp_eq_u32_e64 s[4:5], v16, v15
	s_and_saveexec_b64 s[6:7], s[4:5]
	s_cbranch_execz .LBB55_27
; %bb.26:
	v_add_u32_e32 v16, v3, v14
	ds_read_b128 v[22:25], v16
	v_mov_b32_e32 v27, v4
	ds_read_u16 v4, v7
	v_mov_b32_e32 v26, v5
	s_mov_b32 s4, 0xc0c0001
	ds_write_b64 v13, v[26:27]
	s_waitcnt lgkmcnt(2)
	v_mov_b32_e32 v26, v22
	v_mov_b32_e32 v27, v23
	s_waitcnt lgkmcnt(1)
	v_perm_b32 v4, 0, v4, s4
	ds_write_b128 v16, v[24:27]
	ds_write_b16 v7, v4
.LBB55_27:
	s_or_b64 exec, exec, s[6:7]
	v_sub_u32_e32 v18, v21, v15
	v_lshl_add_u32 v15, v18, 2, v20
	s_waitcnt lgkmcnt(0)
	s_barrier
	ds_read2_b32 v[4:5], v15 offset1:2
	v_add_u32_e32 v16, v19, v18
                                        ; implicit-def: $sgpr12
	s_waitcnt lgkmcnt(0)
	v_cmp_u_f32_e64 s[4:5], v4, v4
	v_cmp_o_f32_e64 s[6:7], v5, v5
	s_and_b64 s[6:7], s[4:5], s[6:7]
	v_cmp_gt_f32_e64 s[4:5], v4, v5
	s_or_b64 s[6:7], s[6:7], s[4:5]
	s_mov_b64 s[4:5], -1
	s_and_saveexec_b64 s[14:15], s[6:7]
	s_xor_b64 s[6:7], exec, s[14:15]
	s_cbranch_execz .LBB55_29
; %bb.28:
	ds_read_u8 v22, v16
	s_mov_b32 s12, 1
	s_waitcnt lgkmcnt(0)
	v_and_b32_e32 v22, 1, v22
	v_cmp_eq_u32_e64 s[4:5], 1, v22
	s_xor_b64 s[4:5], s[4:5], -1
	s_orn2_b64 s[4:5], s[4:5], exec
.LBB55_29:
	s_or_b64 exec, exec, s[6:7]
	v_mov_b32_e32 v23, s12
	s_and_saveexec_b64 s[6:7], s[4:5]
	s_cbranch_execz .LBB55_31
; %bb.30:
	ds_read_u8 v22, v16 offset:2
	s_waitcnt lgkmcnt(0)
	v_xor_b32_e32 v23, 1, v22
.LBB55_31:
	s_or_b64 exec, exec, s[6:7]
	v_bfe_u32 v22, v2, 1, 1
	v_lshl_add_u32 v18, v18, 3, v17
	v_cmp_eq_u32_e64 s[4:5], v23, v22
	s_and_saveexec_b64 s[6:7], s[4:5]
	s_cbranch_execz .LBB55_33
; %bb.32:
	ds_read2_b64 v[24:27], v18 offset1:2
	ds_read_u8 v23, v16 offset:2
	ds_read_u8 v28, v16
	ds_write2_b32 v15, v5, v4 offset1:2
	s_waitcnt lgkmcnt(3)
	ds_write2_b64 v18, v[26:27], v[24:25] offset1:2
	s_waitcnt lgkmcnt(3)
	ds_write_b8 v16, v23
	s_waitcnt lgkmcnt(3)
	ds_write_b8 v16, v28 offset:2
.LBB55_33:
	s_or_b64 exec, exec, s[6:7]
	s_waitcnt lgkmcnt(0)
	s_barrier
	ds_read_b64 v[4:5], v13
                                        ; implicit-def: $sgpr14
	s_waitcnt lgkmcnt(0)
	v_cmp_u_f32_e64 s[4:5], v4, v4
	v_cmp_o_f32_e64 s[6:7], v5, v5
	s_and_b64 s[6:7], s[4:5], s[6:7]
	v_cmp_gt_f32_e64 s[4:5], v4, v5
	s_or_b64 s[4:5], s[6:7], s[4:5]
	s_xor_b64 s[6:7], s[4:5], -1
	s_and_saveexec_b64 s[12:13], s[4:5]
	s_cbranch_execnz .LBB55_100
; %bb.34:
	s_or_b64 exec, exec, s[12:13]
	v_mov_b32_e32 v23, s14
	s_and_saveexec_b64 s[4:5], s[6:7]
	s_cbranch_execnz .LBB55_101
.LBB55_35:
	s_or_b64 exec, exec, s[4:5]
	v_cmp_eq_u32_e64 s[4:5], v23, v22
	s_and_saveexec_b64 s[6:7], s[4:5]
	s_cbranch_execz .LBB55_37
.LBB55_36:
	v_add_u32_e32 v28, v3, v14
	ds_read_b128 v[22:25], v28
	v_mov_b32_e32 v27, v4
	ds_read_u16 v4, v7
	v_mov_b32_e32 v26, v5
	s_mov_b32 s4, 0xc0c0001
	ds_write_b64 v13, v[26:27]
	s_waitcnt lgkmcnt(2)
	v_mov_b32_e32 v26, v22
	v_mov_b32_e32 v27, v23
	s_waitcnt lgkmcnt(1)
	v_perm_b32 v4, 0, v4, s4
	ds_write_b128 v28, v[24:27]
	ds_write_b16 v7, v4
.LBB55_37:
	s_or_b64 exec, exec, s[6:7]
	v_and_b32_e32 v4, 3, v2
	v_sub_u32_e32 v24, v21, v4
	v_lshl_add_u32 v22, v24, 2, v20
	s_waitcnt lgkmcnt(0)
	s_barrier
	ds_read2_b32 v[4:5], v22 offset1:4
	v_add_u32_e32 v23, v19, v24
                                        ; implicit-def: $sgpr14
	s_waitcnt lgkmcnt(0)
	v_cmp_u_f32_e64 s[4:5], v4, v4
	v_cmp_o_f32_e64 s[6:7], v5, v5
	s_and_b64 s[6:7], s[4:5], s[6:7]
	v_cmp_gt_f32_e64 s[4:5], v4, v5
	s_or_b64 s[4:5], s[6:7], s[4:5]
	s_xor_b64 s[6:7], s[4:5], -1
	s_and_saveexec_b64 s[12:13], s[4:5]
	s_cbranch_execz .LBB55_39
; %bb.38:
	ds_read_u8 v25, v23
	s_andn2_b64 s[6:7], s[6:7], exec
	s_mov_b32 s14, 1
	s_waitcnt lgkmcnt(0)
	v_and_b32_e32 v25, 1, v25
	v_cmp_eq_u32_e64 s[4:5], 1, v25
	s_xor_b64 s[4:5], s[4:5], -1
	s_and_b64 s[4:5], s[4:5], exec
	s_or_b64 s[6:7], s[6:7], s[4:5]
.LBB55_39:
	s_or_b64 exec, exec, s[12:13]
	v_mov_b32_e32 v26, s14
	s_and_saveexec_b64 s[4:5], s[6:7]
	s_cbranch_execz .LBB55_41
; %bb.40:
	ds_read_u8 v25, v23 offset:4
	s_waitcnt lgkmcnt(0)
	v_xor_b32_e32 v26, 1, v25
.LBB55_41:
	s_or_b64 exec, exec, s[4:5]
	v_bfe_u32 v25, v2, 2, 1
	v_lshl_add_u32 v24, v24, 3, v17
	v_cmp_eq_u32_e64 s[4:5], v26, v25
	s_and_saveexec_b64 s[6:7], s[4:5]
	s_cbranch_execz .LBB55_43
; %bb.42:
	ds_read2_b64 v[26:29], v24 offset1:4
	ds_read_u8 v30, v23 offset:4
	ds_read_u8 v31, v23
	ds_write2_b32 v22, v5, v4 offset1:4
	s_waitcnt lgkmcnt(3)
	ds_write2_b64 v24, v[28:29], v[26:27] offset1:4
	s_waitcnt lgkmcnt(3)
	ds_write_b8 v23, v30
	s_waitcnt lgkmcnt(3)
	ds_write_b8 v23, v31 offset:4
.LBB55_43:
	s_or_b64 exec, exec, s[6:7]
	s_waitcnt lgkmcnt(0)
	s_barrier
	ds_read2_b32 v[4:5], v15 offset1:2
                                        ; implicit-def: $sgpr14
	s_waitcnt lgkmcnt(0)
	v_cmp_u_f32_e64 s[4:5], v4, v4
	v_cmp_o_f32_e64 s[6:7], v5, v5
	s_and_b64 s[6:7], s[4:5], s[6:7]
	v_cmp_gt_f32_e64 s[4:5], v4, v5
	s_or_b64 s[4:5], s[6:7], s[4:5]
	s_xor_b64 s[6:7], s[4:5], -1
	s_and_saveexec_b64 s[12:13], s[4:5]
	s_cbranch_execnz .LBB55_102
; %bb.44:
	s_or_b64 exec, exec, s[12:13]
	v_mov_b32_e32 v26, s14
	s_and_saveexec_b64 s[4:5], s[6:7]
	s_cbranch_execnz .LBB55_103
.LBB55_45:
	s_or_b64 exec, exec, s[4:5]
	v_cmp_eq_u32_e64 s[4:5], v26, v25
	s_and_saveexec_b64 s[6:7], s[4:5]
	s_cbranch_execz .LBB55_47
.LBB55_46:
	ds_read2_b64 v[26:29], v18 offset1:2
	ds_read_u8 v30, v16 offset:2
	ds_read_u8 v31, v16
	ds_write2_b32 v15, v5, v4 offset1:2
	s_waitcnt lgkmcnt(3)
	ds_write2_b64 v18, v[28:29], v[26:27] offset1:2
	s_waitcnt lgkmcnt(3)
	ds_write_b8 v16, v30
	s_waitcnt lgkmcnt(3)
	ds_write_b8 v16, v31 offset:2
.LBB55_47:
	s_or_b64 exec, exec, s[6:7]
	s_waitcnt lgkmcnt(0)
	s_barrier
	ds_read_b64 v[4:5], v13
                                        ; implicit-def: $sgpr14
	s_waitcnt lgkmcnt(0)
	v_cmp_u_f32_e64 s[4:5], v4, v4
	v_cmp_o_f32_e64 s[6:7], v5, v5
	s_and_b64 s[6:7], s[4:5], s[6:7]
	v_cmp_gt_f32_e64 s[4:5], v4, v5
	s_or_b64 s[4:5], s[6:7], s[4:5]
	s_xor_b64 s[6:7], s[4:5], -1
	s_and_saveexec_b64 s[12:13], s[4:5]
	s_cbranch_execnz .LBB55_104
; %bb.48:
	s_or_b64 exec, exec, s[12:13]
	v_mov_b32_e32 v26, s14
	s_and_saveexec_b64 s[4:5], s[6:7]
	s_cbranch_execnz .LBB55_105
.LBB55_49:
	s_or_b64 exec, exec, s[4:5]
	v_cmp_eq_u32_e64 s[4:5], v26, v25
	s_and_saveexec_b64 s[6:7], s[4:5]
	s_cbranch_execz .LBB55_51
.LBB55_50:
	v_add_u32_e32 v25, v3, v14
	ds_read_b128 v[26:29], v25
	v_mov_b32_e32 v31, v4
	ds_read_u16 v4, v7
	v_mov_b32_e32 v30, v5
	s_mov_b32 s4, 0xc0c0001
	ds_write_b64 v13, v[30:31]
	s_waitcnt lgkmcnt(2)
	v_mov_b32_e32 v30, v26
	v_mov_b32_e32 v31, v27
	s_waitcnt lgkmcnt(1)
	v_perm_b32 v4, 0, v4, s4
	ds_write_b128 v25, v[28:31]
	ds_write_b16 v7, v4
.LBB55_51:
	s_or_b64 exec, exec, s[6:7]
	v_and_b32_e32 v4, 7, v2
	v_sub_u32_e32 v27, v21, v4
	v_lshl_add_u32 v25, v27, 2, v20
	s_waitcnt lgkmcnt(0)
	s_barrier
	ds_read2_b32 v[4:5], v25 offset1:8
	v_add_u32_e32 v26, v19, v27
                                        ; implicit-def: $sgpr14
	s_waitcnt lgkmcnt(0)
	v_cmp_u_f32_e64 s[4:5], v4, v4
	v_cmp_o_f32_e64 s[6:7], v5, v5
	s_and_b64 s[6:7], s[4:5], s[6:7]
	v_cmp_gt_f32_e64 s[4:5], v4, v5
	s_or_b64 s[4:5], s[6:7], s[4:5]
	s_xor_b64 s[6:7], s[4:5], -1
	s_and_saveexec_b64 s[12:13], s[4:5]
	s_cbranch_execz .LBB55_53
; %bb.52:
	ds_read_u8 v28, v26
	s_andn2_b64 s[6:7], s[6:7], exec
	s_mov_b32 s14, 1
	s_waitcnt lgkmcnt(0)
	v_and_b32_e32 v28, 1, v28
	v_cmp_eq_u32_e64 s[4:5], 1, v28
	s_xor_b64 s[4:5], s[4:5], -1
	s_and_b64 s[4:5], s[4:5], exec
	s_or_b64 s[6:7], s[6:7], s[4:5]
.LBB55_53:
	s_or_b64 exec, exec, s[12:13]
	v_mov_b32_e32 v29, s14
	s_and_saveexec_b64 s[4:5], s[6:7]
	s_cbranch_execz .LBB55_55
; %bb.54:
	ds_read_u8 v28, v26 offset:8
	s_waitcnt lgkmcnt(0)
	v_xor_b32_e32 v29, 1, v28
.LBB55_55:
	s_or_b64 exec, exec, s[4:5]
	v_bfe_u32 v28, v2, 3, 1
	v_lshl_add_u32 v27, v27, 3, v17
	v_cmp_eq_u32_e64 s[4:5], v29, v28
	s_and_saveexec_b64 s[6:7], s[4:5]
	s_cbranch_execz .LBB55_57
; %bb.56:
	ds_read2_b64 v[30:33], v27 offset1:8
	ds_read_u8 v29, v26 offset:8
	ds_read_u8 v34, v26
	ds_write2_b32 v25, v5, v4 offset1:8
	s_waitcnt lgkmcnt(3)
	ds_write2_b64 v27, v[32:33], v[30:31] offset1:8
	s_waitcnt lgkmcnt(3)
	ds_write_b8 v26, v29
	s_waitcnt lgkmcnt(3)
	ds_write_b8 v26, v34 offset:8
.LBB55_57:
	s_or_b64 exec, exec, s[6:7]
	s_waitcnt lgkmcnt(0)
	s_barrier
	ds_read2_b32 v[4:5], v22 offset1:4
                                        ; implicit-def: $sgpr14
	s_waitcnt lgkmcnt(0)
	v_cmp_u_f32_e64 s[4:5], v4, v4
	v_cmp_o_f32_e64 s[6:7], v5, v5
	s_and_b64 s[6:7], s[4:5], s[6:7]
	v_cmp_gt_f32_e64 s[4:5], v4, v5
	s_or_b64 s[4:5], s[6:7], s[4:5]
	s_xor_b64 s[6:7], s[4:5], -1
	s_and_saveexec_b64 s[12:13], s[4:5]
	s_cbranch_execnz .LBB55_106
; %bb.58:
	s_or_b64 exec, exec, s[12:13]
	v_mov_b32_e32 v29, s14
	s_and_saveexec_b64 s[4:5], s[6:7]
	s_cbranch_execnz .LBB55_107
.LBB55_59:
	s_or_b64 exec, exec, s[4:5]
	v_cmp_eq_u32_e64 s[4:5], v29, v28
	s_and_saveexec_b64 s[6:7], s[4:5]
	s_cbranch_execz .LBB55_61
.LBB55_60:
	ds_read2_b64 v[30:33], v24 offset1:4
	ds_read_u8 v29, v23 offset:4
	ds_read_u8 v34, v23
	ds_write2_b32 v22, v5, v4 offset1:4
	s_waitcnt lgkmcnt(3)
	ds_write2_b64 v24, v[32:33], v[30:31] offset1:4
	s_waitcnt lgkmcnt(3)
	ds_write_b8 v23, v29
	s_waitcnt lgkmcnt(3)
	ds_write_b8 v23, v34 offset:4
.LBB55_61:
	s_or_b64 exec, exec, s[6:7]
	s_waitcnt lgkmcnt(0)
	s_barrier
	ds_read2_b32 v[4:5], v15 offset1:2
                                        ; implicit-def: $sgpr14
	s_waitcnt lgkmcnt(0)
	v_cmp_u_f32_e64 s[4:5], v4, v4
	v_cmp_o_f32_e64 s[6:7], v5, v5
	s_and_b64 s[6:7], s[4:5], s[6:7]
	v_cmp_gt_f32_e64 s[4:5], v4, v5
	s_or_b64 s[4:5], s[6:7], s[4:5]
	s_xor_b64 s[6:7], s[4:5], -1
	s_and_saveexec_b64 s[12:13], s[4:5]
	s_cbranch_execnz .LBB55_108
; %bb.62:
	s_or_b64 exec, exec, s[12:13]
	v_mov_b32_e32 v29, s14
	s_and_saveexec_b64 s[4:5], s[6:7]
	s_cbranch_execnz .LBB55_109
.LBB55_63:
	s_or_b64 exec, exec, s[4:5]
	v_cmp_eq_u32_e64 s[4:5], v29, v28
	s_and_saveexec_b64 s[6:7], s[4:5]
	s_cbranch_execz .LBB55_65
.LBB55_64:
	ds_read2_b64 v[30:33], v18 offset1:2
	ds_read_u8 v29, v16 offset:2
	ds_read_u8 v34, v16
	ds_write2_b32 v15, v5, v4 offset1:2
	s_waitcnt lgkmcnt(3)
	ds_write2_b64 v18, v[32:33], v[30:31] offset1:2
	s_waitcnt lgkmcnt(3)
	ds_write_b8 v16, v29
	s_waitcnt lgkmcnt(3)
	ds_write_b8 v16, v34 offset:2
.LBB55_65:
	s_or_b64 exec, exec, s[6:7]
	s_waitcnt lgkmcnt(0)
	s_barrier
	ds_read_b64 v[4:5], v13
                                        ; implicit-def: $sgpr14
	s_waitcnt lgkmcnt(0)
	v_cmp_u_f32_e64 s[4:5], v4, v4
	v_cmp_o_f32_e64 s[6:7], v5, v5
	s_and_b64 s[6:7], s[4:5], s[6:7]
	v_cmp_gt_f32_e64 s[4:5], v4, v5
	s_or_b64 s[4:5], s[6:7], s[4:5]
	s_xor_b64 s[6:7], s[4:5], -1
	s_and_saveexec_b64 s[12:13], s[4:5]
	s_cbranch_execnz .LBB55_110
; %bb.66:
	s_or_b64 exec, exec, s[12:13]
	v_mov_b32_e32 v29, s14
	s_and_saveexec_b64 s[4:5], s[6:7]
	s_cbranch_execnz .LBB55_111
.LBB55_67:
	s_or_b64 exec, exec, s[4:5]
	v_cmp_eq_u32_e64 s[4:5], v29, v28
	s_and_saveexec_b64 s[6:7], s[4:5]
	s_cbranch_execz .LBB55_69
.LBB55_68:
	v_add_u32_e32 v34, v3, v14
	ds_read_b128 v[28:31], v34
	v_mov_b32_e32 v33, v4
	ds_read_u16 v4, v7
	v_mov_b32_e32 v32, v5
	s_mov_b32 s4, 0xc0c0001
	ds_write_b64 v13, v[32:33]
	s_waitcnt lgkmcnt(2)
	v_mov_b32_e32 v32, v28
	v_mov_b32_e32 v33, v29
	s_waitcnt lgkmcnt(1)
	v_perm_b32 v4, 0, v4, s4
	ds_write_b128 v34, v[30:33]
	ds_write_b16 v7, v4
.LBB55_69:
	s_or_b64 exec, exec, s[6:7]
	v_and_b32_e32 v4, 15, v2
	v_sub_u32_e32 v21, v21, v4
	v_lshl_add_u32 v20, v21, 2, v20
	s_waitcnt lgkmcnt(0)
	s_barrier
	ds_read2_b32 v[4:5], v20 offset1:16
	v_add_u32_e32 v19, v19, v21
	s_waitcnt lgkmcnt(0)
	v_cmp_u_f32_e64 s[4:5], v4, v4
	v_cmp_o_f32_e64 s[6:7], v5, v5
	s_and_b64 s[6:7], s[4:5], s[6:7]
	v_cmp_gt_f32_e64 s[4:5], v4, v5
	s_or_b64 s[4:5], s[6:7], s[4:5]
	s_xor_b64 s[12:13], s[4:5], -1
	s_and_saveexec_b64 s[6:7], s[4:5]
	s_cbranch_execz .LBB55_71
; %bb.70:
	ds_read_u8 v28, v19
	s_andn2_b64 s[12:13], s[12:13], exec
	s_waitcnt lgkmcnt(0)
	v_and_b32_e32 v28, 1, v28
	v_cmp_eq_u32_e64 s[4:5], 1, v28
	s_xor_b64 s[4:5], s[4:5], -1
	s_and_b64 s[4:5], s[4:5], exec
	s_or_b64 s[12:13], s[12:13], s[4:5]
.LBB55_71:
	s_or_b64 exec, exec, s[6:7]
	s_and_saveexec_b64 s[6:7], s[12:13]
	s_cbranch_execz .LBB55_74
; %bb.72:
	ds_read_u8 v28, v19 offset:16
	s_waitcnt lgkmcnt(0)
	v_cmp_ne_u16_e64 s[4:5], 0, v28
	s_and_b64 exec, exec, s[4:5]
	s_cbranch_execz .LBB55_74
; %bb.73:
	v_lshl_add_u32 v17, v21, 3, v17
	ds_read2_b64 v[30:33], v17 offset1:16
	ds_read_u8 v21, v19
	ds_write2_b32 v20, v5, v4 offset1:16
	ds_write_b8 v19, v28
	s_waitcnt lgkmcnt(3)
	ds_write2_b64 v17, v[32:33], v[30:31] offset1:16
	s_waitcnt lgkmcnt(3)
	ds_write_b8 v19, v21 offset:16
.LBB55_74:
	s_or_b64 exec, exec, s[6:7]
	s_waitcnt lgkmcnt(0)
	s_barrier
	ds_read2_b32 v[4:5], v25 offset1:8
	s_waitcnt lgkmcnt(0)
	v_cmp_u_f32_e64 s[4:5], v4, v4
	v_cmp_o_f32_e64 s[6:7], v5, v5
	s_and_b64 s[6:7], s[4:5], s[6:7]
	v_cmp_gt_f32_e64 s[4:5], v4, v5
	s_or_b64 s[4:5], s[6:7], s[4:5]
	s_xor_b64 s[12:13], s[4:5], -1
	s_and_saveexec_b64 s[6:7], s[4:5]
	s_cbranch_execz .LBB55_76
; %bb.75:
	ds_read_u8 v17, v26
	s_andn2_b64 s[12:13], s[12:13], exec
	s_waitcnt lgkmcnt(0)
	v_and_b32_e32 v17, 1, v17
	v_cmp_eq_u32_e64 s[4:5], 1, v17
	s_xor_b64 s[4:5], s[4:5], -1
	s_and_b64 s[4:5], s[4:5], exec
	s_or_b64 s[12:13], s[12:13], s[4:5]
.LBB55_76:
	s_or_b64 exec, exec, s[6:7]
	s_and_saveexec_b64 s[6:7], s[12:13]
	s_cbranch_execz .LBB55_79
; %bb.77:
	ds_read_u8 v17, v26 offset:8
	s_waitcnt lgkmcnt(0)
	v_cmp_ne_u16_e64 s[4:5], 0, v17
	s_and_b64 exec, exec, s[4:5]
	s_cbranch_execz .LBB55_79
; %bb.78:
	ds_read2_b64 v[28:31], v27 offset1:8
	ds_read_u8 v19, v26
	ds_write2_b32 v25, v5, v4 offset1:8
	ds_write_b8 v26, v17
	s_waitcnt lgkmcnt(3)
	ds_write2_b64 v27, v[30:31], v[28:29] offset1:8
	s_waitcnt lgkmcnt(3)
	ds_write_b8 v26, v19 offset:8
.LBB55_79:
	s_or_b64 exec, exec, s[6:7]
	s_waitcnt lgkmcnt(0)
	s_barrier
	ds_read2_b32 v[4:5], v22 offset1:4
	s_waitcnt lgkmcnt(0)
	v_cmp_u_f32_e64 s[4:5], v4, v4
	v_cmp_o_f32_e64 s[6:7], v5, v5
	s_and_b64 s[6:7], s[4:5], s[6:7]
	v_cmp_gt_f32_e64 s[4:5], v4, v5
	s_or_b64 s[4:5], s[6:7], s[4:5]
	s_xor_b64 s[12:13], s[4:5], -1
	s_and_saveexec_b64 s[6:7], s[4:5]
	s_cbranch_execz .LBB55_81
; %bb.80:
	ds_read_u8 v17, v23
	s_andn2_b64 s[12:13], s[12:13], exec
	s_waitcnt lgkmcnt(0)
	v_and_b32_e32 v17, 1, v17
	v_cmp_eq_u32_e64 s[4:5], 1, v17
	s_xor_b64 s[4:5], s[4:5], -1
	s_and_b64 s[4:5], s[4:5], exec
	s_or_b64 s[12:13], s[12:13], s[4:5]
.LBB55_81:
	s_or_b64 exec, exec, s[6:7]
	s_and_saveexec_b64 s[6:7], s[12:13]
	s_cbranch_execz .LBB55_84
; %bb.82:
	ds_read_u8 v17, v23 offset:4
	s_waitcnt lgkmcnt(0)
	v_cmp_ne_u16_e64 s[4:5], 0, v17
	s_and_b64 exec, exec, s[4:5]
	s_cbranch_execz .LBB55_84
; %bb.83:
	ds_read2_b64 v[26:29], v24 offset1:4
	ds_read_u8 v19, v23
	ds_write2_b32 v22, v5, v4 offset1:4
	ds_write_b8 v23, v17
	s_waitcnt lgkmcnt(3)
	ds_write2_b64 v24, v[28:29], v[26:27] offset1:4
	s_waitcnt lgkmcnt(3)
	ds_write_b8 v23, v19 offset:4
.LBB55_84:
	;; [unrolled: 42-line block ×3, first 2 shown]
	s_or_b64 exec, exec, s[6:7]
	s_waitcnt lgkmcnt(0)
	s_barrier
	ds_read_b64 v[4:5], v13
	s_waitcnt lgkmcnt(0)
	v_cmp_u_f32_e64 s[4:5], v4, v4
	v_cmp_o_f32_e64 s[6:7], v5, v5
	s_and_b64 s[6:7], s[4:5], s[6:7]
	v_cmp_gt_f32_e64 s[4:5], v4, v5
	s_or_b64 s[4:5], s[6:7], s[4:5]
	s_xor_b64 s[12:13], s[4:5], -1
	s_and_saveexec_b64 s[6:7], s[4:5]
	s_cbranch_execz .LBB55_91
; %bb.90:
	ds_read_u8 v15, v7
	s_andn2_b64 s[12:13], s[12:13], exec
	s_waitcnt lgkmcnt(0)
	v_and_b32_e32 v15, 1, v15
	v_cmp_eq_u32_e64 s[4:5], 1, v15
	s_xor_b64 s[4:5], s[4:5], -1
	s_and_b64 s[4:5], s[4:5], exec
	s_or_b64 s[12:13], s[12:13], s[4:5]
.LBB55_91:
	s_or_b64 exec, exec, s[6:7]
	s_and_saveexec_b64 s[6:7], s[12:13]
	s_cbranch_execz .LBB55_94
; %bb.92:
	ds_read_u8 v15, v7 offset:1
	s_waitcnt lgkmcnt(0)
	v_cmp_ne_u16_e64 s[4:5], 0, v15
	s_and_b64 exec, exec, s[4:5]
	s_cbranch_execz .LBB55_94
; %bb.93:
	v_add_u32_e32 v14, v3, v14
	ds_read_b128 v[16:19], v14
	v_mov_b32_e32 v21, v4
	ds_read_u8 v4, v7
	v_mov_b32_e32 v20, v5
	ds_write_b64 v13, v[20:21]
	s_waitcnt lgkmcnt(2)
	v_mov_b32_e32 v20, v16
	v_mov_b32_e32 v21, v17
	s_waitcnt lgkmcnt(1)
	v_lshlrev_b16_e32 v4, 8, v4
	v_or_b32_e32 v4, v15, v4
	ds_write_b128 v14, v[18:21]
	ds_write_b16 v7, v4
.LBB55_94:
	s_or_b64 exec, exec, s[6:7]
	s_waitcnt lgkmcnt(0)
	s_barrier
	s_and_saveexec_b64 s[4:5], vcc
	s_cbranch_execz .LBB55_99
; %bb.95:
	s_and_saveexec_b64 s[4:5], s[0:1]
	s_cbranch_execz .LBB55_97
; %bb.96:
	v_mad_u64_u32 v[4:5], s[0:1], v2, s8, 0
	ds_read_b32 v7, v12
	v_mov_b32_e32 v12, v5
	v_mad_u64_u32 v[12:13], s[0:1], v2, s9, v[12:13]
	v_mov_b32_e32 v5, v12
	v_lshlrev_b64 v[4:5], 2, v[4:5]
	v_add_co_u32_e32 v4, vcc, v10, v4
	v_addc_co_u32_e32 v5, vcc, v11, v5, vcc
	s_waitcnt lgkmcnt(0)
	global_store_dword v[4:5], v7, off
	v_mad_u64_u32 v[4:5], s[0:1], v2, s10, 0
	v_mov_b32_e32 v14, v5
	ds_read_b64 v[12:13], v3
	v_mad_u64_u32 v[2:3], s[0:1], v2, s11, v[14:15]
	v_mov_b32_e32 v5, v2
	v_lshlrev_b64 v[2:3], 3, v[4:5]
	v_add_co_u32_e32 v2, vcc, v8, v2
	v_addc_co_u32_e32 v3, vcc, v9, v3, vcc
	s_waitcnt lgkmcnt(0)
	global_store_dwordx2 v[2:3], v[12:13], off
.LBB55_97:
	s_or_b64 exec, exec, s[4:5]
	s_and_b64 exec, exec, s[2:3]
	s_cbranch_execz .LBB55_99
; %bb.98:
	v_mad_u64_u32 v[2:3], s[0:1], v0, s8, 0
	v_mov_b32_e32 v4, v3
	ds_read_b32 v6, v6
	v_mad_u64_u32 v[4:5], s[0:1], v0, s9, v[4:5]
	v_mov_b32_e32 v3, v4
	ds_read_b64 v[4:5], v1
	v_lshlrev_b64 v[2:3], 2, v[2:3]
	v_add_co_u32_e32 v2, vcc, v10, v2
	v_addc_co_u32_e32 v3, vcc, v11, v3, vcc
	s_waitcnt lgkmcnt(1)
	global_store_dword v[2:3], v6, off
	v_mad_u64_u32 v[2:3], s[0:1], v0, s10, 0
	v_mov_b32_e32 v6, v3
	v_mad_u64_u32 v[0:1], s[0:1], v0, s11, v[6:7]
	v_mov_b32_e32 v3, v0
	v_lshlrev_b64 v[0:1], 3, v[2:3]
	v_add_co_u32_e32 v0, vcc, v8, v0
	v_addc_co_u32_e32 v1, vcc, v9, v1, vcc
	s_waitcnt lgkmcnt(0)
	global_store_dwordx2 v[0:1], v[4:5], off
.LBB55_99:
	s_endpgm
.LBB55_100:
	ds_read_u8 v23, v7
	s_andn2_b64 s[6:7], s[6:7], exec
	s_mov_b32 s14, 1
	s_waitcnt lgkmcnt(0)
	v_and_b32_e32 v23, 1, v23
	v_cmp_eq_u32_e64 s[4:5], 1, v23
	s_xor_b64 s[4:5], s[4:5], -1
	s_and_b64 s[4:5], s[4:5], exec
	s_or_b64 s[6:7], s[6:7], s[4:5]
	s_or_b64 exec, exec, s[12:13]
	v_mov_b32_e32 v23, s14
	s_and_saveexec_b64 s[4:5], s[6:7]
	s_cbranch_execz .LBB55_35
.LBB55_101:
	ds_read_u8 v23, v7 offset:1
	s_waitcnt lgkmcnt(0)
	v_xor_b32_e32 v23, 1, v23
	s_or_b64 exec, exec, s[4:5]
	v_cmp_eq_u32_e64 s[4:5], v23, v22
	s_and_saveexec_b64 s[6:7], s[4:5]
	s_cbranch_execnz .LBB55_36
	s_branch .LBB55_37
.LBB55_102:
	ds_read_u8 v26, v16
	s_andn2_b64 s[6:7], s[6:7], exec
	s_mov_b32 s14, 1
	s_waitcnt lgkmcnt(0)
	v_and_b32_e32 v26, 1, v26
	v_cmp_eq_u32_e64 s[4:5], 1, v26
	s_xor_b64 s[4:5], s[4:5], -1
	s_and_b64 s[4:5], s[4:5], exec
	s_or_b64 s[6:7], s[6:7], s[4:5]
	s_or_b64 exec, exec, s[12:13]
	v_mov_b32_e32 v26, s14
	s_and_saveexec_b64 s[4:5], s[6:7]
	s_cbranch_execz .LBB55_45
.LBB55_103:
	ds_read_u8 v26, v16 offset:2
	s_waitcnt lgkmcnt(0)
	v_xor_b32_e32 v26, 1, v26
	s_or_b64 exec, exec, s[4:5]
	v_cmp_eq_u32_e64 s[4:5], v26, v25
	s_and_saveexec_b64 s[6:7], s[4:5]
	s_cbranch_execnz .LBB55_46
	s_branch .LBB55_47
.LBB55_104:
	ds_read_u8 v26, v7
	s_andn2_b64 s[6:7], s[6:7], exec
	s_mov_b32 s14, 1
	s_waitcnt lgkmcnt(0)
	v_and_b32_e32 v26, 1, v26
	v_cmp_eq_u32_e64 s[4:5], 1, v26
	s_xor_b64 s[4:5], s[4:5], -1
	s_and_b64 s[4:5], s[4:5], exec
	s_or_b64 s[6:7], s[6:7], s[4:5]
	s_or_b64 exec, exec, s[12:13]
	v_mov_b32_e32 v26, s14
	s_and_saveexec_b64 s[4:5], s[6:7]
	s_cbranch_execz .LBB55_49
.LBB55_105:
	ds_read_u8 v26, v7 offset:1
	s_waitcnt lgkmcnt(0)
	v_xor_b32_e32 v26, 1, v26
	s_or_b64 exec, exec, s[4:5]
	v_cmp_eq_u32_e64 s[4:5], v26, v25
	s_and_saveexec_b64 s[6:7], s[4:5]
	s_cbranch_execnz .LBB55_50
	s_branch .LBB55_51
.LBB55_106:
	ds_read_u8 v29, v23
	s_andn2_b64 s[6:7], s[6:7], exec
	s_mov_b32 s14, 1
	s_waitcnt lgkmcnt(0)
	v_and_b32_e32 v29, 1, v29
	v_cmp_eq_u32_e64 s[4:5], 1, v29
	s_xor_b64 s[4:5], s[4:5], -1
	s_and_b64 s[4:5], s[4:5], exec
	s_or_b64 s[6:7], s[6:7], s[4:5]
	s_or_b64 exec, exec, s[12:13]
	v_mov_b32_e32 v29, s14
	s_and_saveexec_b64 s[4:5], s[6:7]
	s_cbranch_execz .LBB55_59
.LBB55_107:
	ds_read_u8 v29, v23 offset:4
	s_waitcnt lgkmcnt(0)
	v_xor_b32_e32 v29, 1, v29
	s_or_b64 exec, exec, s[4:5]
	v_cmp_eq_u32_e64 s[4:5], v29, v28
	s_and_saveexec_b64 s[6:7], s[4:5]
	s_cbranch_execnz .LBB55_60
	s_branch .LBB55_61
.LBB55_108:
	ds_read_u8 v29, v16
	s_andn2_b64 s[6:7], s[6:7], exec
	s_mov_b32 s14, 1
	s_waitcnt lgkmcnt(0)
	v_and_b32_e32 v29, 1, v29
	v_cmp_eq_u32_e64 s[4:5], 1, v29
	s_xor_b64 s[4:5], s[4:5], -1
	s_and_b64 s[4:5], s[4:5], exec
	s_or_b64 s[6:7], s[6:7], s[4:5]
	s_or_b64 exec, exec, s[12:13]
	v_mov_b32_e32 v29, s14
	s_and_saveexec_b64 s[4:5], s[6:7]
	s_cbranch_execz .LBB55_63
.LBB55_109:
	ds_read_u8 v29, v16 offset:2
	s_waitcnt lgkmcnt(0)
	v_xor_b32_e32 v29, 1, v29
	s_or_b64 exec, exec, s[4:5]
	v_cmp_eq_u32_e64 s[4:5], v29, v28
	s_and_saveexec_b64 s[6:7], s[4:5]
	s_cbranch_execnz .LBB55_64
	s_branch .LBB55_65
.LBB55_110:
	ds_read_u8 v29, v7
	s_andn2_b64 s[6:7], s[6:7], exec
	s_mov_b32 s14, 1
	s_waitcnt lgkmcnt(0)
	v_and_b32_e32 v29, 1, v29
	v_cmp_eq_u32_e64 s[4:5], 1, v29
	s_xor_b64 s[4:5], s[4:5], -1
	s_and_b64 s[4:5], s[4:5], exec
	s_or_b64 s[6:7], s[6:7], s[4:5]
	s_or_b64 exec, exec, s[12:13]
	v_mov_b32_e32 v29, s14
	s_and_saveexec_b64 s[4:5], s[6:7]
	s_cbranch_execz .LBB55_67
.LBB55_111:
	ds_read_u8 v29, v7 offset:1
	s_waitcnt lgkmcnt(0)
	v_xor_b32_e32 v29, 1, v29
	s_or_b64 exec, exec, s[4:5]
	v_cmp_eq_u32_e64 s[4:5], v29, v28
	s_and_saveexec_b64 s[6:7], s[4:5]
	s_cbranch_execnz .LBB55_68
	s_branch .LBB55_69
	.section	.rodata,"a",@progbits
	.p2align	6, 0x0
	.amdhsa_kernel _ZN2at6native20bitonicSortKVInPlaceILin1ELin1ELi16ELi16EflNS0_4GTOpIfLb1EEEmEEvNS_4cuda6detail10TensorInfoIT3_T6_EES8_S8_S8_NS6_IT4_S8_EES8_T5_
		.amdhsa_group_segment_fixed_size 6656
		.amdhsa_private_segment_fixed_size 0
		.amdhsa_kernarg_size 1128
		.amdhsa_user_sgpr_count 6
		.amdhsa_user_sgpr_private_segment_buffer 1
		.amdhsa_user_sgpr_dispatch_ptr 0
		.amdhsa_user_sgpr_queue_ptr 0
		.amdhsa_user_sgpr_kernarg_segment_ptr 1
		.amdhsa_user_sgpr_dispatch_id 0
		.amdhsa_user_sgpr_flat_scratch_init 0
		.amdhsa_user_sgpr_kernarg_preload_length 0
		.amdhsa_user_sgpr_kernarg_preload_offset 0
		.amdhsa_user_sgpr_private_segment_size 0
		.amdhsa_uses_dynamic_stack 0
		.amdhsa_system_sgpr_private_segment_wavefront_offset 0
		.amdhsa_system_sgpr_workgroup_id_x 1
		.amdhsa_system_sgpr_workgroup_id_y 1
		.amdhsa_system_sgpr_workgroup_id_z 1
		.amdhsa_system_sgpr_workgroup_info 0
		.amdhsa_system_vgpr_workitem_id 1
		.amdhsa_next_free_vgpr 35
		.amdhsa_next_free_sgpr 21
		.amdhsa_accum_offset 36
		.amdhsa_reserve_vcc 1
		.amdhsa_reserve_flat_scratch 0
		.amdhsa_float_round_mode_32 0
		.amdhsa_float_round_mode_16_64 0
		.amdhsa_float_denorm_mode_32 3
		.amdhsa_float_denorm_mode_16_64 3
		.amdhsa_dx10_clamp 1
		.amdhsa_ieee_mode 1
		.amdhsa_fp16_overflow 0
		.amdhsa_tg_split 0
		.amdhsa_exception_fp_ieee_invalid_op 0
		.amdhsa_exception_fp_denorm_src 0
		.amdhsa_exception_fp_ieee_div_zero 0
		.amdhsa_exception_fp_ieee_overflow 0
		.amdhsa_exception_fp_ieee_underflow 0
		.amdhsa_exception_fp_ieee_inexact 0
		.amdhsa_exception_int_div_zero 0
	.end_amdhsa_kernel
	.section	.text._ZN2at6native20bitonicSortKVInPlaceILin1ELin1ELi16ELi16EflNS0_4GTOpIfLb1EEEmEEvNS_4cuda6detail10TensorInfoIT3_T6_EES8_S8_S8_NS6_IT4_S8_EES8_T5_,"axG",@progbits,_ZN2at6native20bitonicSortKVInPlaceILin1ELin1ELi16ELi16EflNS0_4GTOpIfLb1EEEmEEvNS_4cuda6detail10TensorInfoIT3_T6_EES8_S8_S8_NS6_IT4_S8_EES8_T5_,comdat
.Lfunc_end55:
	.size	_ZN2at6native20bitonicSortKVInPlaceILin1ELin1ELi16ELi16EflNS0_4GTOpIfLb1EEEmEEvNS_4cuda6detail10TensorInfoIT3_T6_EES8_S8_S8_NS6_IT4_S8_EES8_T5_, .Lfunc_end55-_ZN2at6native20bitonicSortKVInPlaceILin1ELin1ELi16ELi16EflNS0_4GTOpIfLb1EEEmEEvNS_4cuda6detail10TensorInfoIT3_T6_EES8_S8_S8_NS6_IT4_S8_EES8_T5_
                                        ; -- End function
	.section	.AMDGPU.csdata,"",@progbits
; Kernel info:
; codeLenInByte = 6832
; NumSgprs: 25
; NumVgprs: 35
; NumAgprs: 0
; TotalNumVgprs: 35
; ScratchSize: 0
; MemoryBound: 0
; FloatMode: 240
; IeeeMode: 1
; LDSByteSize: 6656 bytes/workgroup (compile time only)
; SGPRBlocks: 3
; VGPRBlocks: 4
; NumSGPRsForWavesPerEU: 25
; NumVGPRsForWavesPerEU: 35
; AccumOffset: 36
; Occupancy: 8
; WaveLimiterHint : 1
; COMPUTE_PGM_RSRC2:SCRATCH_EN: 0
; COMPUTE_PGM_RSRC2:USER_SGPR: 6
; COMPUTE_PGM_RSRC2:TRAP_HANDLER: 0
; COMPUTE_PGM_RSRC2:TGID_X_EN: 1
; COMPUTE_PGM_RSRC2:TGID_Y_EN: 1
; COMPUTE_PGM_RSRC2:TGID_Z_EN: 1
; COMPUTE_PGM_RSRC2:TIDIG_COMP_CNT: 1
; COMPUTE_PGM_RSRC3_GFX90A:ACCUM_OFFSET: 8
; COMPUTE_PGM_RSRC3_GFX90A:TG_SPLIT: 0
	.section	.text._ZN2at6native20bitonicSortKVInPlaceILin2ELin1ELi16ELi16EN3c104HalfElNS0_4LTOpIS3_Lb1EEEjEEvNS_4cuda6detail10TensorInfoIT3_T6_EESA_SA_SA_NS8_IT4_SA_EESA_T5_,"axG",@progbits,_ZN2at6native20bitonicSortKVInPlaceILin2ELin1ELi16ELi16EN3c104HalfElNS0_4LTOpIS3_Lb1EEEjEEvNS_4cuda6detail10TensorInfoIT3_T6_EESA_SA_SA_NS8_IT4_SA_EESA_T5_,comdat
	.protected	_ZN2at6native20bitonicSortKVInPlaceILin2ELin1ELi16ELi16EN3c104HalfElNS0_4LTOpIS3_Lb1EEEjEEvNS_4cuda6detail10TensorInfoIT3_T6_EESA_SA_SA_NS8_IT4_SA_EESA_T5_ ; -- Begin function _ZN2at6native20bitonicSortKVInPlaceILin2ELin1ELi16ELi16EN3c104HalfElNS0_4LTOpIS3_Lb1EEEjEEvNS_4cuda6detail10TensorInfoIT3_T6_EESA_SA_SA_NS8_IT4_SA_EESA_T5_
	.globl	_ZN2at6native20bitonicSortKVInPlaceILin2ELin1ELi16ELi16EN3c104HalfElNS0_4LTOpIS3_Lb1EEEjEEvNS_4cuda6detail10TensorInfoIT3_T6_EESA_SA_SA_NS8_IT4_SA_EESA_T5_
	.p2align	8
	.type	_ZN2at6native20bitonicSortKVInPlaceILin2ELin1ELi16ELi16EN3c104HalfElNS0_4LTOpIS3_Lb1EEEjEEvNS_4cuda6detail10TensorInfoIT3_T6_EESA_SA_SA_NS8_IT4_SA_EESA_T5_,@function
_ZN2at6native20bitonicSortKVInPlaceILin2ELin1ELi16ELi16EN3c104HalfElNS0_4LTOpIS3_Lb1EEEjEEvNS_4cuda6detail10TensorInfoIT3_T6_EESA_SA_SA_NS8_IT4_SA_EESA_T5_: ; @_ZN2at6native20bitonicSortKVInPlaceILin2ELin1ELi16ELi16EN3c104HalfElNS0_4LTOpIS3_Lb1EEEjEEvNS_4cuda6detail10TensorInfoIT3_T6_EESA_SA_SA_NS8_IT4_SA_EESA_T5_
; %bb.0:
	s_load_dwordx2 s[2:3], s[4:5], 0x1c8
	s_load_dwordx4 s[12:15], s[4:5], 0xd8
	s_load_dword s9, s[4:5], 0x1d4
	s_add_u32 s0, s4, 0x1c8
	s_addc_u32 s1, s5, 0
	s_waitcnt lgkmcnt(0)
	s_mul_i32 s3, s3, s8
	s_add_i32 s3, s3, s7
	s_mul_i32 s2, s3, s2
	s_add_i32 s6, s2, s6
	s_lshr_b32 s2, s9, 16
	s_mul_i32 s6, s6, s2
	s_cmp_ge_u32 s6, s12
	s_cbranch_scc1 .LBB56_86
; %bb.1:
	s_load_dwordx2 s[8:9], s[4:5], 0x0
	s_load_dword s7, s[4:5], 0x1b8
	s_add_u32 s2, s4, 0xe8
	v_bfe_u32 v5, v0, 10, 10
	s_addc_u32 s3, s5, 0
	v_add_u32_e32 v1, s6, v5
	s_waitcnt lgkmcnt(0)
	s_cmp_lt_i32 s7, 2
	v_mov_b32_e32 v2, 0
	v_mov_b32_e32 v6, v1
	s_cbranch_scc1 .LBB56_4
; %bb.2:
	s_add_i32 s10, s7, 1
	s_add_i32 s6, s7, -1
	s_mov_b32 s7, 0
	s_lshl_b64 s[6:7], s[6:7], 2
	s_add_u32 s6, s6, s2
	s_addc_u32 s7, s7, s3
	s_add_u32 s6, s6, 8
	s_addc_u32 s7, s7, 0
	v_mov_b32_e32 v2, 0
	v_mov_b32_e32 v6, v1
.LBB56_3:                               ; =>This Inner Loop Header: Depth=1
	s_load_dword s11, s[6:7], 0x0
	s_load_dword s15, s[6:7], 0x64
	v_mov_b32_e32 v3, v6
	s_add_i32 s10, s10, -1
	s_waitcnt lgkmcnt(0)
	v_cvt_f32_u32_e32 v4, s11
	s_sub_i32 s16, 0, s11
	s_add_u32 s6, s6, -4
	s_addc_u32 s7, s7, -1
	v_rcp_iflag_f32_e32 v4, v4
	s_cmp_gt_u32 s10, 2
	v_mul_f32_e32 v4, 0x4f7ffffe, v4
	v_cvt_u32_f32_e32 v4, v4
	v_mul_lo_u32 v6, s16, v4
	v_mul_hi_u32 v6, v4, v6
	v_add_u32_e32 v4, v4, v6
	v_mul_hi_u32 v4, v3, v4
	v_mul_lo_u32 v6, v4, s11
	v_sub_u32_e32 v6, v3, v6
	v_add_u32_e32 v7, 1, v4
	v_cmp_le_u32_e32 vcc, s11, v6
	v_cndmask_b32_e32 v4, v4, v7, vcc
	v_subrev_u32_e32 v7, s11, v6
	v_cndmask_b32_e32 v6, v6, v7, vcc
	v_add_u32_e32 v7, 1, v4
	v_cmp_le_u32_e32 vcc, s11, v6
	v_cndmask_b32_e32 v6, v4, v7, vcc
	v_mul_lo_u32 v4, v6, s11
	v_sub_u32_e32 v3, v3, v4
	v_mad_u64_u32 v[2:3], s[16:17], s15, v3, v[2:3]
	s_cbranch_scc1 .LBB56_3
.LBB56_4:
	s_load_dword s6, s[4:5], 0x6c
	s_load_dword s15, s[4:5], 0x1c0
	;; [unrolled: 1-line block ×3, first 2 shown]
	v_cmp_gt_u32_e32 vcc, s12, v1
	s_load_dwordx2 s[10:11], s[2:3], 0x0
	s_load_dword s12, s[0:1], 0xc
	s_waitcnt lgkmcnt(0)
	v_mul_lo_u32 v4, s6, v1
	v_mad_u64_u32 v[2:3], s[2:3], s7, v6, v[2:3]
	v_and_b32_e32 v3, 0x3ff, v0
	v_cmp_gt_u32_e64 s[0:1], s13, v3
	v_pk_mov_b32 v[0:1], 0, 0
	s_and_b64 s[4:5], vcc, s[0:1]
	v_mov_b32_e32 v10, 0
	v_mov_b32_e32 v8, 0
	v_pk_mov_b32 v[6:7], v[0:1], v[0:1] op_sel:[0,1]
	s_and_saveexec_b64 s[6:7], s[4:5]
	s_cbranch_execz .LBB56_6
; %bb.5:
	v_mad_u64_u32 v[6:7], s[2:3], v3, s14, v[4:5]
	v_mov_b32_e32 v7, 0
	v_lshlrev_b64 v[8:9], 1, v[6:7]
	v_mov_b32_e32 v6, s9
	v_add_co_u32_e64 v8, s[2:3], s8, v8
	v_addc_co_u32_e64 v9, s[2:3], v6, v9, s[2:3]
	v_mad_u64_u32 v[12:13], s[2:3], v3, s15, v[2:3]
	v_mov_b32_e32 v13, v7
	v_lshlrev_b64 v[6:7], 3, v[12:13]
	global_load_ushort v8, v[8:9], off
	v_mov_b32_e32 v9, s11
	v_add_co_u32_e64 v6, s[2:3], s10, v6
	v_addc_co_u32_e64 v7, s[2:3], v9, v7, s[2:3]
	global_load_dwordx2 v[6:7], v[6:7], off
.LBB56_6:
	s_or_b64 exec, exec, s[6:7]
	v_mov_b32_e32 v9, 0x1000
	v_lshl_add_u32 v16, v5, 6, v9
	v_mov_b32_e32 v9, 0x1400
	v_lshl_add_u32 v15, v5, 5, v9
	s_and_b32 s16, 0xffff, s12
	v_cndmask_b32_e64 v11, 0, 1, s[4:5]
	v_lshlrev_b32_e32 v13, 8, v5
	v_add_u32_e32 v5, v15, v3
	ds_write_b8 v5, v11
	v_add_u32_e32 v5, s16, v3
	v_lshl_add_u32 v9, v3, 1, v16
	v_cmp_gt_u32_e64 s[2:3], s13, v5
	s_waitcnt vmcnt(1)
	ds_write_b16 v9, v8
	v_lshl_add_u32 v8, v3, 3, v13
	s_and_b64 s[6:7], vcc, s[2:3]
	s_waitcnt vmcnt(0)
	ds_write_b64 v8, v[6:7]
	s_and_saveexec_b64 s[12:13], s[6:7]
	s_cbranch_execz .LBB56_8
; %bb.7:
	v_mad_u64_u32 v[0:1], s[4:5], v5, s14, v[4:5]
	v_mov_b32_e32 v1, 0
	v_lshlrev_b64 v[6:7], 1, v[0:1]
	v_mov_b32_e32 v0, s9
	v_add_co_u32_e64 v6, s[4:5], s8, v6
	v_addc_co_u32_e64 v7, s[4:5], v0, v7, s[4:5]
	global_load_ushort v10, v[6:7], off
	v_mad_u64_u32 v[6:7], s[4:5], v5, s15, v[2:3]
	v_mov_b32_e32 v7, v1
	v_lshlrev_b64 v[0:1], 3, v[6:7]
	v_mov_b32_e32 v6, s11
	v_add_co_u32_e64 v0, s[4:5], s10, v0
	v_addc_co_u32_e64 v1, s[4:5], v6, v1, s[4:5]
	global_load_dwordx2 v[0:1], v[0:1], off
.LBB56_8:
	s_or_b64 exec, exec, s[12:13]
	v_lshl_add_u32 v6, s16, 3, v8
	v_lshlrev_b32_e32 v17, 1, v3
	v_cndmask_b32_e64 v11, 0, 1, s[6:7]
	v_lshl_add_u32 v7, s16, 1, v9
	s_waitcnt vmcnt(0)
	ds_write_b64 v6, v[0:1]
	v_add_u32_e32 v0, v15, v5
	v_add_u32_e32 v1, v9, v17
	ds_write_b16 v7, v10
	ds_write_b8 v0, v11
	s_waitcnt lgkmcnt(0)
	s_barrier
	ds_read_b32 v11, v1
	v_add_u32_e32 v0, v15, v17
                                        ; implicit-def: $sgpr16
	s_waitcnt lgkmcnt(0)
	v_cmp_u_f16_sdwa s[6:7], v11, v11 src0_sel:WORD_1 src1_sel:WORD_1
	v_cmp_o_f16_e64 s[4:5], v11, v11
	s_and_b64 s[4:5], s[6:7], s[4:5]
	v_cmp_lt_f16_sdwa s[6:7], v11, v11 src0_sel:DWORD src1_sel:WORD_1
	s_or_b64 s[4:5], s[4:5], s[6:7]
	s_xor_b64 s[6:7], s[4:5], -1
	s_and_saveexec_b64 s[12:13], s[4:5]
	s_xor_b64 s[12:13], exec, s[12:13]
	s_cbranch_execz .LBB56_10
; %bb.9:
	ds_read_u8 v10, v0
	s_andn2_b64 s[6:7], s[6:7], exec
	s_mov_b32 s16, 1
	s_waitcnt lgkmcnt(0)
	v_and_b32_e32 v10, 1, v10
	v_cmp_eq_u32_e64 s[4:5], 1, v10
	s_xor_b64 s[4:5], s[4:5], -1
	s_and_b64 s[4:5], s[4:5], exec
	s_or_b64 s[6:7], s[6:7], s[4:5]
.LBB56_10:
	s_or_b64 exec, exec, s[12:13]
	v_mov_b32_e32 v14, s16
	s_and_saveexec_b64 s[4:5], s[6:7]
	s_cbranch_execz .LBB56_12
; %bb.11:
	ds_read_u8 v10, v0 offset:1
	s_waitcnt lgkmcnt(0)
	v_xor_b32_e32 v14, 1, v10
.LBB56_12:
	s_or_b64 exec, exec, s[4:5]
	v_and_b32_e32 v12, 1, v3
	v_lshlrev_b32_e32 v10, 3, v3
	v_cmp_eq_u32_e64 s[4:5], v14, v12
	s_and_saveexec_b64 s[6:7], s[4:5]
	s_cbranch_execz .LBB56_14
; %bb.13:
	v_add_u32_e32 v14, v8, v10
	v_alignbit_b32 v11, v11, v11, 16
	ds_read_b128 v[18:21], v14
	ds_write_b32 v1, v11
	ds_read_u16 v11, v0
	s_mov_b32 s4, 0xc0c0001
	s_waitcnt lgkmcnt(2)
	v_mov_b32_e32 v22, v18
	v_mov_b32_e32 v23, v19
	s_waitcnt lgkmcnt(0)
	v_perm_b32 v11, 0, v11, s4
	ds_write_b128 v14, v[20:23]
	ds_write_b16 v0, v11
.LBB56_14:
	s_or_b64 exec, exec, s[6:7]
	v_sub_u32_e32 v14, v17, v12
	v_lshl_add_u32 v11, v14, 1, v16
	s_waitcnt lgkmcnt(0)
	s_barrier
	ds_read_u16 v20, v11 offset:4
	ds_read_u16 v19, v11
	v_add_u32_e32 v12, v15, v14
                                        ; implicit-def: $sgpr12
	s_waitcnt lgkmcnt(1)
	v_cmp_u_f16_e64 s[4:5], v20, v20
	s_waitcnt lgkmcnt(0)
	v_cmp_o_f16_e64 s[6:7], v19, v19
	s_and_b64 s[6:7], s[4:5], s[6:7]
	v_cmp_lt_f16_e64 s[4:5], v19, v20
	s_or_b64 s[6:7], s[6:7], s[4:5]
	s_mov_b64 s[4:5], -1
	s_and_saveexec_b64 s[16:17], s[6:7]
	s_xor_b64 s[6:7], exec, s[16:17]
	s_cbranch_execz .LBB56_16
; %bb.15:
	ds_read_u8 v18, v12
	s_mov_b32 s12, 1
	s_waitcnt lgkmcnt(0)
	v_and_b32_e32 v18, 1, v18
	v_cmp_eq_u32_e64 s[4:5], 1, v18
	s_xor_b64 s[4:5], s[4:5], -1
	s_orn2_b64 s[4:5], s[4:5], exec
.LBB56_16:
	s_or_b64 exec, exec, s[6:7]
	v_mov_b32_e32 v21, s12
	s_and_saveexec_b64 s[6:7], s[4:5]
	s_cbranch_execz .LBB56_18
; %bb.17:
	ds_read_u8 v18, v12 offset:2
	s_waitcnt lgkmcnt(0)
	v_xor_b32_e32 v21, 1, v18
.LBB56_18:
	s_or_b64 exec, exec, s[6:7]
	v_bfe_u32 v18, v3, 1, 1
	v_lshl_add_u32 v14, v14, 3, v13
	v_cmp_eq_u32_e64 s[4:5], v21, v18
	s_and_saveexec_b64 s[6:7], s[4:5]
	s_cbranch_execz .LBB56_20
; %bb.19:
	ds_read2_b64 v[22:25], v14 offset1:2
	ds_read_u8 v21, v12 offset:2
	ds_read_u8 v26, v12
	ds_write_b16 v11, v20
	ds_write_b16 v11, v19 offset:4
	s_waitcnt lgkmcnt(4)
	ds_write2_b64 v14, v[24:25], v[22:23] offset1:2
	s_waitcnt lgkmcnt(4)
	ds_write_b8 v12, v21
	s_waitcnt lgkmcnt(4)
	ds_write_b8 v12, v26 offset:2
.LBB56_20:
	s_or_b64 exec, exec, s[6:7]
	s_waitcnt lgkmcnt(0)
	s_barrier
	ds_read_b32 v19, v1
                                        ; implicit-def: $sgpr16
	s_waitcnt lgkmcnt(0)
	v_cmp_u_f16_sdwa s[6:7], v19, v19 src0_sel:WORD_1 src1_sel:WORD_1
	v_cmp_o_f16_e64 s[4:5], v19, v19
	s_and_b64 s[4:5], s[6:7], s[4:5]
	v_cmp_lt_f16_sdwa s[6:7], v19, v19 src0_sel:DWORD src1_sel:WORD_1
	s_or_b64 s[4:5], s[4:5], s[6:7]
	s_xor_b64 s[6:7], s[4:5], -1
	s_and_saveexec_b64 s[12:13], s[4:5]
	s_cbranch_execnz .LBB56_87
; %bb.21:
	s_or_b64 exec, exec, s[12:13]
	v_mov_b32_e32 v20, s16
	s_and_saveexec_b64 s[4:5], s[6:7]
	s_cbranch_execnz .LBB56_88
.LBB56_22:
	s_or_b64 exec, exec, s[4:5]
	v_cmp_eq_u32_e64 s[4:5], v20, v18
	s_and_saveexec_b64 s[6:7], s[4:5]
	s_cbranch_execz .LBB56_24
.LBB56_23:
	v_add_u32_e32 v24, v8, v10
	ds_read_b128 v[20:23], v24
	ds_read_u16 v25, v0
	v_alignbit_b32 v18, v19, v19, 16
	ds_write_b32 v1, v18
	s_mov_b32 s4, 0xc0c0001
	s_waitcnt lgkmcnt(2)
	v_mov_b32_e32 v18, v22
	v_mov_b32_e32 v19, v23
	ds_write_b128 v24, v[18:21]
	s_waitcnt lgkmcnt(2)
	v_perm_b32 v18, 0, v25, s4
	ds_write_b16 v0, v18
.LBB56_24:
	s_or_b64 exec, exec, s[6:7]
	v_and_b32_e32 v18, 3, v3
	v_sub_u32_e32 v20, v17, v18
	v_lshl_add_u32 v18, v20, 1, v16
	s_waitcnt lgkmcnt(0)
	s_barrier
	ds_read_u16 v23, v18 offset:8
	ds_read_u16 v22, v18
	s_mov_b32 s16, 1
	v_add_u32_e32 v19, v15, v20
	s_waitcnt lgkmcnt(1)
	v_cmp_u_f16_e64 s[4:5], v23, v23
	s_waitcnt lgkmcnt(0)
	v_cmp_o_f16_e64 s[6:7], v22, v22
	s_and_b64 s[6:7], s[4:5], s[6:7]
	v_cmp_lt_f16_e64 s[4:5], v22, v23
	s_or_b64 s[4:5], s[6:7], s[4:5]
	s_xor_b64 s[6:7], s[4:5], -1
	s_and_saveexec_b64 s[12:13], s[4:5]
	s_cbranch_execz .LBB56_26
; %bb.25:
	ds_read_u8 v21, v19
	s_andn2_b64 s[6:7], s[6:7], exec
	s_waitcnt lgkmcnt(0)
	v_and_b32_e32 v21, 1, v21
	v_cmp_eq_u32_e64 s[4:5], 1, v21
	s_xor_b64 s[4:5], s[4:5], -1
	s_and_b64 s[4:5], s[4:5], exec
	s_or_b64 s[6:7], s[6:7], s[4:5]
.LBB56_26:
	s_or_b64 exec, exec, s[12:13]
	v_mov_b32_e32 v24, s16
	s_and_saveexec_b64 s[4:5], s[6:7]
	s_cbranch_execz .LBB56_28
; %bb.27:
	ds_read_u8 v21, v19 offset:4
	s_waitcnt lgkmcnt(0)
	v_xor_b32_e32 v24, 1, v21
.LBB56_28:
	s_or_b64 exec, exec, s[4:5]
	v_bfe_u32 v21, v3, 2, 1
	v_lshl_add_u32 v20, v20, 3, v13
	v_cmp_eq_u32_e64 s[4:5], v24, v21
	s_and_saveexec_b64 s[6:7], s[4:5]
	s_cbranch_execz .LBB56_30
; %bb.29:
	ds_read2_b64 v[24:27], v20 offset1:4
	ds_read_u8 v28, v19 offset:4
	ds_read_u8 v29, v19
	ds_write_b16 v18, v23
	ds_write_b16 v18, v22 offset:8
	s_waitcnt lgkmcnt(4)
	ds_write2_b64 v20, v[26:27], v[24:25] offset1:4
	s_waitcnt lgkmcnt(4)
	ds_write_b8 v19, v28
	s_waitcnt lgkmcnt(4)
	ds_write_b8 v19, v29 offset:4
.LBB56_30:
	s_or_b64 exec, exec, s[6:7]
	s_waitcnt lgkmcnt(0)
	s_barrier
	ds_read_u16 v23, v11 offset:4
	ds_read_u16 v22, v11
                                        ; implicit-def: $sgpr16
	s_waitcnt lgkmcnt(1)
	v_cmp_u_f16_e64 s[4:5], v23, v23
	s_waitcnt lgkmcnt(0)
	v_cmp_o_f16_e64 s[6:7], v22, v22
	s_and_b64 s[6:7], s[4:5], s[6:7]
	v_cmp_lt_f16_e64 s[4:5], v22, v23
	s_or_b64 s[4:5], s[6:7], s[4:5]
	s_xor_b64 s[6:7], s[4:5], -1
	s_and_saveexec_b64 s[12:13], s[4:5]
	s_cbranch_execnz .LBB56_89
; %bb.31:
	s_or_b64 exec, exec, s[12:13]
	v_mov_b32_e32 v24, s16
	s_and_saveexec_b64 s[4:5], s[6:7]
	s_cbranch_execnz .LBB56_90
.LBB56_32:
	s_or_b64 exec, exec, s[4:5]
	v_cmp_eq_u32_e64 s[4:5], v24, v21
	s_and_saveexec_b64 s[6:7], s[4:5]
	s_cbranch_execz .LBB56_34
.LBB56_33:
	ds_read2_b64 v[24:27], v14 offset1:2
	ds_read_u8 v28, v12 offset:2
	ds_read_u8 v29, v12
	ds_write_b16 v11, v23
	ds_write_b16 v11, v22 offset:4
	s_waitcnt lgkmcnt(4)
	ds_write2_b64 v14, v[26:27], v[24:25] offset1:2
	s_waitcnt lgkmcnt(4)
	ds_write_b8 v12, v28
	s_waitcnt lgkmcnt(4)
	ds_write_b8 v12, v29 offset:2
.LBB56_34:
	s_or_b64 exec, exec, s[6:7]
	s_waitcnt lgkmcnt(0)
	s_barrier
	ds_read_b32 v22, v1
                                        ; implicit-def: $sgpr16
	s_waitcnt lgkmcnt(0)
	v_cmp_u_f16_sdwa s[6:7], v22, v22 src0_sel:WORD_1 src1_sel:WORD_1
	v_cmp_o_f16_e64 s[4:5], v22, v22
	s_and_b64 s[4:5], s[6:7], s[4:5]
	v_cmp_lt_f16_sdwa s[6:7], v22, v22 src0_sel:DWORD src1_sel:WORD_1
	s_or_b64 s[4:5], s[4:5], s[6:7]
	s_xor_b64 s[6:7], s[4:5], -1
	s_and_saveexec_b64 s[12:13], s[4:5]
	s_cbranch_execnz .LBB56_91
; %bb.35:
	s_or_b64 exec, exec, s[12:13]
	v_mov_b32_e32 v23, s16
	s_and_saveexec_b64 s[4:5], s[6:7]
	s_cbranch_execnz .LBB56_92
.LBB56_36:
	s_or_b64 exec, exec, s[4:5]
	v_cmp_eq_u32_e64 s[4:5], v23, v21
	s_and_saveexec_b64 s[6:7], s[4:5]
	s_cbranch_execz .LBB56_38
.LBB56_37:
	v_add_u32_e32 v21, v8, v10
	ds_read_b128 v[24:27], v21
	ds_read_u16 v28, v0
	v_alignbit_b32 v22, v22, v22, 16
	ds_write_b32 v1, v22
	s_mov_b32 s4, 0xc0c0001
	s_waitcnt lgkmcnt(2)
	v_mov_b32_e32 v22, v26
	v_mov_b32_e32 v23, v27
	ds_write_b128 v21, v[22:25]
	s_waitcnt lgkmcnt(2)
	v_perm_b32 v21, 0, v28, s4
	ds_write_b16 v0, v21
.LBB56_38:
	s_or_b64 exec, exec, s[6:7]
	v_and_b32_e32 v21, 7, v3
	v_sub_u32_e32 v23, v17, v21
	v_lshl_add_u32 v21, v23, 1, v16
	s_waitcnt lgkmcnt(0)
	s_barrier
	ds_read_u16 v26, v21 offset:16
	ds_read_u16 v25, v21
	s_mov_b32 s16, 1
	v_add_u32_e32 v22, v15, v23
	s_waitcnt lgkmcnt(1)
	v_cmp_u_f16_e64 s[4:5], v26, v26
	s_waitcnt lgkmcnt(0)
	v_cmp_o_f16_e64 s[6:7], v25, v25
	s_and_b64 s[6:7], s[4:5], s[6:7]
	v_cmp_lt_f16_e64 s[4:5], v25, v26
	s_or_b64 s[4:5], s[6:7], s[4:5]
	s_xor_b64 s[6:7], s[4:5], -1
	s_and_saveexec_b64 s[12:13], s[4:5]
	s_cbranch_execz .LBB56_40
; %bb.39:
	ds_read_u8 v24, v22
	s_andn2_b64 s[6:7], s[6:7], exec
	s_waitcnt lgkmcnt(0)
	v_and_b32_e32 v24, 1, v24
	v_cmp_eq_u32_e64 s[4:5], 1, v24
	s_xor_b64 s[4:5], s[4:5], -1
	s_and_b64 s[4:5], s[4:5], exec
	s_or_b64 s[6:7], s[6:7], s[4:5]
.LBB56_40:
	s_or_b64 exec, exec, s[12:13]
	v_mov_b32_e32 v27, s16
	s_and_saveexec_b64 s[4:5], s[6:7]
	s_cbranch_execz .LBB56_42
; %bb.41:
	ds_read_u8 v24, v22 offset:8
	s_waitcnt lgkmcnt(0)
	v_xor_b32_e32 v27, 1, v24
.LBB56_42:
	s_or_b64 exec, exec, s[4:5]
	v_bfe_u32 v24, v3, 3, 1
	v_lshl_add_u32 v23, v23, 3, v13
	v_cmp_eq_u32_e64 s[4:5], v27, v24
	s_and_saveexec_b64 s[6:7], s[4:5]
	s_cbranch_execz .LBB56_44
; %bb.43:
	ds_read2_b64 v[28:31], v23 offset1:8
	ds_read_u8 v27, v22 offset:8
	ds_read_u8 v32, v22
	ds_write_b16 v21, v26
	ds_write_b16 v21, v25 offset:16
	s_waitcnt lgkmcnt(4)
	ds_write2_b64 v23, v[30:31], v[28:29] offset1:8
	s_waitcnt lgkmcnt(4)
	ds_write_b8 v22, v27
	s_waitcnt lgkmcnt(4)
	ds_write_b8 v22, v32 offset:8
.LBB56_44:
	s_or_b64 exec, exec, s[6:7]
	s_waitcnt lgkmcnt(0)
	s_barrier
	ds_read_u16 v26, v18 offset:8
	ds_read_u16 v25, v18
                                        ; implicit-def: $sgpr16
	s_waitcnt lgkmcnt(1)
	v_cmp_u_f16_e64 s[4:5], v26, v26
	s_waitcnt lgkmcnt(0)
	v_cmp_o_f16_e64 s[6:7], v25, v25
	s_and_b64 s[6:7], s[4:5], s[6:7]
	v_cmp_lt_f16_e64 s[4:5], v25, v26
	s_or_b64 s[4:5], s[6:7], s[4:5]
	s_xor_b64 s[6:7], s[4:5], -1
	s_and_saveexec_b64 s[12:13], s[4:5]
	s_cbranch_execnz .LBB56_93
; %bb.45:
	s_or_b64 exec, exec, s[12:13]
	v_mov_b32_e32 v27, s16
	s_and_saveexec_b64 s[4:5], s[6:7]
	s_cbranch_execnz .LBB56_94
.LBB56_46:
	s_or_b64 exec, exec, s[4:5]
	v_cmp_eq_u32_e64 s[4:5], v27, v24
	s_and_saveexec_b64 s[6:7], s[4:5]
	s_cbranch_execz .LBB56_48
.LBB56_47:
	ds_read2_b64 v[28:31], v20 offset1:4
	ds_read_u8 v27, v19 offset:4
	ds_read_u8 v32, v19
	ds_write_b16 v18, v26
	ds_write_b16 v18, v25 offset:8
	s_waitcnt lgkmcnt(4)
	ds_write2_b64 v20, v[30:31], v[28:29] offset1:4
	s_waitcnt lgkmcnt(4)
	ds_write_b8 v19, v27
	s_waitcnt lgkmcnt(4)
	ds_write_b8 v19, v32 offset:4
.LBB56_48:
	s_or_b64 exec, exec, s[6:7]
	s_waitcnt lgkmcnt(0)
	s_barrier
	ds_read_u16 v26, v11 offset:4
	ds_read_u16 v25, v11
                                        ; implicit-def: $sgpr16
	s_waitcnt lgkmcnt(1)
	v_cmp_u_f16_e64 s[4:5], v26, v26
	s_waitcnt lgkmcnt(0)
	v_cmp_o_f16_e64 s[6:7], v25, v25
	s_and_b64 s[6:7], s[4:5], s[6:7]
	v_cmp_lt_f16_e64 s[4:5], v25, v26
	s_or_b64 s[4:5], s[6:7], s[4:5]
	s_xor_b64 s[6:7], s[4:5], -1
	s_and_saveexec_b64 s[12:13], s[4:5]
	s_cbranch_execnz .LBB56_95
; %bb.49:
	s_or_b64 exec, exec, s[12:13]
	v_mov_b32_e32 v27, s16
	s_and_saveexec_b64 s[4:5], s[6:7]
	s_cbranch_execnz .LBB56_96
.LBB56_50:
	s_or_b64 exec, exec, s[4:5]
	v_cmp_eq_u32_e64 s[4:5], v27, v24
	s_and_saveexec_b64 s[6:7], s[4:5]
	s_cbranch_execz .LBB56_52
.LBB56_51:
	ds_read2_b64 v[28:31], v14 offset1:2
	ds_read_u8 v27, v12 offset:2
	ds_read_u8 v32, v12
	ds_write_b16 v11, v26
	ds_write_b16 v11, v25 offset:4
	s_waitcnt lgkmcnt(4)
	ds_write2_b64 v14, v[30:31], v[28:29] offset1:2
	s_waitcnt lgkmcnt(4)
	ds_write_b8 v12, v27
	s_waitcnt lgkmcnt(4)
	ds_write_b8 v12, v32 offset:2
.LBB56_52:
	s_or_b64 exec, exec, s[6:7]
	s_waitcnt lgkmcnt(0)
	s_barrier
	ds_read_b32 v25, v1
                                        ; implicit-def: $sgpr16
	s_waitcnt lgkmcnt(0)
	v_cmp_u_f16_sdwa s[6:7], v25, v25 src0_sel:WORD_1 src1_sel:WORD_1
	v_cmp_o_f16_e64 s[4:5], v25, v25
	s_and_b64 s[4:5], s[6:7], s[4:5]
	v_cmp_lt_f16_sdwa s[6:7], v25, v25 src0_sel:DWORD src1_sel:WORD_1
	s_or_b64 s[4:5], s[4:5], s[6:7]
	s_xor_b64 s[6:7], s[4:5], -1
	s_and_saveexec_b64 s[12:13], s[4:5]
	s_cbranch_execnz .LBB56_97
; %bb.53:
	s_or_b64 exec, exec, s[12:13]
	v_mov_b32_e32 v26, s16
	s_and_saveexec_b64 s[4:5], s[6:7]
	s_cbranch_execnz .LBB56_98
.LBB56_54:
	s_or_b64 exec, exec, s[4:5]
	v_cmp_eq_u32_e64 s[4:5], v26, v24
	s_and_saveexec_b64 s[6:7], s[4:5]
	s_cbranch_execz .LBB56_56
.LBB56_55:
	v_add_u32_e32 v30, v8, v10
	ds_read_b128 v[26:29], v30
	ds_read_u16 v31, v0
	v_alignbit_b32 v24, v25, v25, 16
	ds_write_b32 v1, v24
	s_mov_b32 s4, 0xc0c0001
	s_waitcnt lgkmcnt(2)
	v_mov_b32_e32 v24, v28
	v_mov_b32_e32 v25, v29
	ds_write_b128 v30, v[24:27]
	s_waitcnt lgkmcnt(2)
	v_perm_b32 v24, 0, v31, s4
	ds_write_b16 v0, v24
.LBB56_56:
	s_or_b64 exec, exec, s[6:7]
	v_and_b32_e32 v24, 15, v3
	v_sub_u32_e32 v25, v17, v24
	v_lshl_add_u32 v16, v25, 1, v16
	s_waitcnt lgkmcnt(0)
	s_barrier
	ds_read_u16 v24, v16 offset:32
	ds_read_u16 v17, v16
	v_add_u32_e32 v15, v15, v25
	s_waitcnt lgkmcnt(1)
	v_cmp_u_f16_e64 s[4:5], v24, v24
	s_waitcnt lgkmcnt(0)
	v_cmp_o_f16_e64 s[6:7], v17, v17
	s_and_b64 s[6:7], s[4:5], s[6:7]
	v_cmp_lt_f16_e64 s[4:5], v17, v24
	s_or_b64 s[4:5], s[6:7], s[4:5]
	s_xor_b64 s[12:13], s[4:5], -1
	s_and_saveexec_b64 s[6:7], s[4:5]
	s_cbranch_execz .LBB56_58
; %bb.57:
	ds_read_u8 v26, v15
	s_andn2_b64 s[12:13], s[12:13], exec
	s_waitcnt lgkmcnt(0)
	v_and_b32_e32 v26, 1, v26
	v_cmp_eq_u32_e64 s[4:5], 1, v26
	s_xor_b64 s[4:5], s[4:5], -1
	s_and_b64 s[4:5], s[4:5], exec
	s_or_b64 s[12:13], s[12:13], s[4:5]
.LBB56_58:
	s_or_b64 exec, exec, s[6:7]
	s_and_saveexec_b64 s[6:7], s[12:13]
	s_cbranch_execz .LBB56_61
; %bb.59:
	ds_read_u8 v26, v15 offset:16
	s_waitcnt lgkmcnt(0)
	v_cmp_ne_u16_e64 s[4:5], 0, v26
	s_and_b64 exec, exec, s[4:5]
	s_cbranch_execz .LBB56_61
; %bb.60:
	v_lshl_add_u32 v13, v25, 3, v13
	ds_read2_b64 v[28:31], v13 offset1:16
	ds_read_u8 v25, v15
	ds_write_b16 v16, v24
	ds_write_b16 v16, v17 offset:32
	ds_write_b8 v15, v26
	s_waitcnt lgkmcnt(4)
	ds_write2_b64 v13, v[30:31], v[28:29] offset1:16
	s_waitcnt lgkmcnt(4)
	ds_write_b8 v15, v25 offset:16
.LBB56_61:
	s_or_b64 exec, exec, s[6:7]
	s_waitcnt lgkmcnt(0)
	s_barrier
	ds_read_u16 v15, v21 offset:16
	ds_read_u16 v13, v21
	s_waitcnt lgkmcnt(1)
	v_cmp_u_f16_e64 s[4:5], v15, v15
	s_waitcnt lgkmcnt(0)
	v_cmp_o_f16_e64 s[6:7], v13, v13
	s_and_b64 s[6:7], s[4:5], s[6:7]
	v_cmp_lt_f16_e64 s[4:5], v13, v15
	s_or_b64 s[4:5], s[6:7], s[4:5]
	s_xor_b64 s[12:13], s[4:5], -1
	s_and_saveexec_b64 s[6:7], s[4:5]
	s_cbranch_execz .LBB56_63
; %bb.62:
	ds_read_u8 v16, v22
	s_andn2_b64 s[12:13], s[12:13], exec
	s_waitcnt lgkmcnt(0)
	v_and_b32_e32 v16, 1, v16
	v_cmp_eq_u32_e64 s[4:5], 1, v16
	s_xor_b64 s[4:5], s[4:5], -1
	s_and_b64 s[4:5], s[4:5], exec
	s_or_b64 s[12:13], s[12:13], s[4:5]
.LBB56_63:
	s_or_b64 exec, exec, s[6:7]
	s_and_saveexec_b64 s[6:7], s[12:13]
	s_cbranch_execz .LBB56_66
; %bb.64:
	ds_read_u8 v16, v22 offset:8
	s_waitcnt lgkmcnt(0)
	v_cmp_ne_u16_e64 s[4:5], 0, v16
	s_and_b64 exec, exec, s[4:5]
	s_cbranch_execz .LBB56_66
; %bb.65:
	ds_read2_b64 v[24:27], v23 offset1:8
	ds_read_u8 v17, v22
	ds_write_b16 v21, v15
	ds_write_b16 v21, v13 offset:16
	ds_write_b8 v22, v16
	s_waitcnt lgkmcnt(4)
	ds_write2_b64 v23, v[26:27], v[24:25] offset1:8
	s_waitcnt lgkmcnt(4)
	ds_write_b8 v22, v17 offset:8
.LBB56_66:
	s_or_b64 exec, exec, s[6:7]
	s_waitcnt lgkmcnt(0)
	s_barrier
	ds_read_u16 v15, v18 offset:8
	ds_read_u16 v13, v18
	s_waitcnt lgkmcnt(1)
	v_cmp_u_f16_e64 s[4:5], v15, v15
	s_waitcnt lgkmcnt(0)
	v_cmp_o_f16_e64 s[6:7], v13, v13
	s_and_b64 s[6:7], s[4:5], s[6:7]
	v_cmp_lt_f16_e64 s[4:5], v13, v15
	s_or_b64 s[4:5], s[6:7], s[4:5]
	s_xor_b64 s[12:13], s[4:5], -1
	s_and_saveexec_b64 s[6:7], s[4:5]
	s_cbranch_execz .LBB56_68
; %bb.67:
	ds_read_u8 v16, v19
	s_andn2_b64 s[12:13], s[12:13], exec
	s_waitcnt lgkmcnt(0)
	v_and_b32_e32 v16, 1, v16
	v_cmp_eq_u32_e64 s[4:5], 1, v16
	s_xor_b64 s[4:5], s[4:5], -1
	s_and_b64 s[4:5], s[4:5], exec
	s_or_b64 s[12:13], s[12:13], s[4:5]
.LBB56_68:
	s_or_b64 exec, exec, s[6:7]
	s_and_saveexec_b64 s[6:7], s[12:13]
	s_cbranch_execz .LBB56_71
; %bb.69:
	ds_read_u8 v16, v19 offset:4
	s_waitcnt lgkmcnt(0)
	v_cmp_ne_u16_e64 s[4:5], 0, v16
	s_and_b64 exec, exec, s[4:5]
	s_cbranch_execz .LBB56_71
; %bb.70:
	ds_read2_b64 v[22:25], v20 offset1:4
	ds_read_u8 v17, v19
	ds_write_b16 v18, v15
	ds_write_b16 v18, v13 offset:8
	ds_write_b8 v19, v16
	s_waitcnt lgkmcnt(4)
	ds_write2_b64 v20, v[24:25], v[22:23] offset1:4
	s_waitcnt lgkmcnt(4)
	ds_write_b8 v19, v17 offset:4
.LBB56_71:
	;; [unrolled: 45-line block ×3, first 2 shown]
	s_or_b64 exec, exec, s[6:7]
	s_waitcnt lgkmcnt(0)
	s_barrier
	ds_read_b32 v11, v1
	s_waitcnt lgkmcnt(0)
	v_cmp_u_f16_sdwa s[6:7], v11, v11 src0_sel:WORD_1 src1_sel:WORD_1
	v_cmp_o_f16_e64 s[4:5], v11, v11
	s_and_b64 s[4:5], s[6:7], s[4:5]
	v_cmp_lt_f16_sdwa s[6:7], v11, v11 src0_sel:DWORD src1_sel:WORD_1
	s_or_b64 s[4:5], s[4:5], s[6:7]
	s_xor_b64 s[12:13], s[4:5], -1
	s_and_saveexec_b64 s[6:7], s[4:5]
	s_cbranch_execz .LBB56_78
; %bb.77:
	ds_read_u8 v12, v0
	s_andn2_b64 s[12:13], s[12:13], exec
	s_waitcnt lgkmcnt(0)
	v_and_b32_e32 v12, 1, v12
	v_cmp_eq_u32_e64 s[4:5], 1, v12
	s_xor_b64 s[4:5], s[4:5], -1
	s_and_b64 s[4:5], s[4:5], exec
	s_or_b64 s[12:13], s[12:13], s[4:5]
.LBB56_78:
	s_or_b64 exec, exec, s[6:7]
	s_and_saveexec_b64 s[6:7], s[12:13]
	s_cbranch_execz .LBB56_81
; %bb.79:
	ds_read_u8 v12, v0 offset:1
	s_waitcnt lgkmcnt(0)
	v_cmp_ne_u16_e64 s[4:5], 0, v12
	s_and_b64 exec, exec, s[4:5]
	s_cbranch_execz .LBB56_81
; %bb.80:
	v_add_u32_e32 v10, v8, v10
	v_alignbit_b32 v11, v11, v11, 16
	ds_read_b128 v[14:17], v10
	ds_write_b32 v1, v11
	ds_read_u8 v1, v0
	s_waitcnt lgkmcnt(2)
	v_mov_b32_e32 v18, v14
	v_mov_b32_e32 v19, v15
	s_waitcnt lgkmcnt(0)
	v_lshlrev_b16_e32 v1, 8, v1
	v_or_b32_e32 v1, v12, v1
	ds_write_b128 v10, v[16:19]
	ds_write_b16 v0, v1
.LBB56_81:
	s_or_b64 exec, exec, s[6:7]
	s_waitcnt lgkmcnt(0)
	s_barrier
	s_and_saveexec_b64 s[4:5], vcc
	s_cbranch_execz .LBB56_86
; %bb.82:
	s_and_saveexec_b64 s[4:5], s[0:1]
	s_cbranch_execz .LBB56_84
; %bb.83:
	v_mad_u64_u32 v[0:1], s[0:1], v3, s14, v[4:5]
	ds_read_u16 v12, v9
	v_mov_b32_e32 v1, 0
	v_lshlrev_b64 v[10:11], 1, v[0:1]
	v_mov_b32_e32 v0, s9
	v_add_co_u32_e32 v10, vcc, s8, v10
	v_addc_co_u32_e32 v11, vcc, v0, v11, vcc
	ds_read_b64 v[8:9], v8
	s_waitcnt lgkmcnt(1)
	global_store_short v[10:11], v12, off
	v_mad_u64_u32 v[10:11], s[0:1], v3, s15, v[2:3]
	v_mov_b32_e32 v11, v1
	v_lshlrev_b64 v[0:1], 3, v[10:11]
	v_mov_b32_e32 v3, s11
	v_add_co_u32_e32 v0, vcc, s10, v0
	v_addc_co_u32_e32 v1, vcc, v3, v1, vcc
	s_waitcnt lgkmcnt(0)
	global_store_dwordx2 v[0:1], v[8:9], off
.LBB56_84:
	s_or_b64 exec, exec, s[4:5]
	s_and_b64 exec, exec, s[2:3]
	s_cbranch_execz .LBB56_86
; %bb.85:
	v_mad_u64_u32 v[0:1], s[0:1], v5, s14, v[4:5]
	ds_read_u16 v3, v7
	v_mov_b32_e32 v1, 0
	v_lshlrev_b64 v[8:9], 1, v[0:1]
	v_mov_b32_e32 v0, s9
	v_add_co_u32_e32 v8, vcc, s8, v8
	v_addc_co_u32_e32 v9, vcc, v0, v9, vcc
	ds_read_b64 v[6:7], v6
	s_waitcnt lgkmcnt(1)
	global_store_short v[8:9], v3, off
	v_mad_u64_u32 v[2:3], s[0:1], v5, s15, v[2:3]
	v_mov_b32_e32 v3, v1
	v_lshlrev_b64 v[0:1], 3, v[2:3]
	v_mov_b32_e32 v2, s11
	v_add_co_u32_e32 v0, vcc, s10, v0
	v_addc_co_u32_e32 v1, vcc, v2, v1, vcc
	s_waitcnt lgkmcnt(0)
	global_store_dwordx2 v[0:1], v[6:7], off
.LBB56_86:
	s_endpgm
.LBB56_87:
	ds_read_u8 v20, v0
	s_andn2_b64 s[6:7], s[6:7], exec
	s_mov_b32 s16, 1
	s_waitcnt lgkmcnt(0)
	v_and_b32_e32 v20, 1, v20
	v_cmp_eq_u32_e64 s[4:5], 1, v20
	s_xor_b64 s[4:5], s[4:5], -1
	s_and_b64 s[4:5], s[4:5], exec
	s_or_b64 s[6:7], s[6:7], s[4:5]
	s_or_b64 exec, exec, s[12:13]
	v_mov_b32_e32 v20, s16
	s_and_saveexec_b64 s[4:5], s[6:7]
	s_cbranch_execz .LBB56_22
.LBB56_88:
	ds_read_u8 v20, v0 offset:1
	s_waitcnt lgkmcnt(0)
	v_xor_b32_e32 v20, 1, v20
	s_or_b64 exec, exec, s[4:5]
	v_cmp_eq_u32_e64 s[4:5], v20, v18
	s_and_saveexec_b64 s[6:7], s[4:5]
	s_cbranch_execnz .LBB56_23
	s_branch .LBB56_24
.LBB56_89:
	ds_read_u8 v24, v12
	s_andn2_b64 s[6:7], s[6:7], exec
	s_mov_b32 s16, 1
	s_waitcnt lgkmcnt(0)
	v_and_b32_e32 v24, 1, v24
	v_cmp_eq_u32_e64 s[4:5], 1, v24
	s_xor_b64 s[4:5], s[4:5], -1
	s_and_b64 s[4:5], s[4:5], exec
	s_or_b64 s[6:7], s[6:7], s[4:5]
	s_or_b64 exec, exec, s[12:13]
	v_mov_b32_e32 v24, s16
	s_and_saveexec_b64 s[4:5], s[6:7]
	s_cbranch_execz .LBB56_32
.LBB56_90:
	ds_read_u8 v24, v12 offset:2
	s_waitcnt lgkmcnt(0)
	v_xor_b32_e32 v24, 1, v24
	s_or_b64 exec, exec, s[4:5]
	v_cmp_eq_u32_e64 s[4:5], v24, v21
	s_and_saveexec_b64 s[6:7], s[4:5]
	s_cbranch_execnz .LBB56_33
	s_branch .LBB56_34
.LBB56_91:
	ds_read_u8 v23, v0
	s_andn2_b64 s[6:7], s[6:7], exec
	s_mov_b32 s16, 1
	s_waitcnt lgkmcnt(0)
	v_and_b32_e32 v23, 1, v23
	v_cmp_eq_u32_e64 s[4:5], 1, v23
	s_xor_b64 s[4:5], s[4:5], -1
	s_and_b64 s[4:5], s[4:5], exec
	s_or_b64 s[6:7], s[6:7], s[4:5]
	s_or_b64 exec, exec, s[12:13]
	v_mov_b32_e32 v23, s16
	s_and_saveexec_b64 s[4:5], s[6:7]
	s_cbranch_execz .LBB56_36
.LBB56_92:
	ds_read_u8 v23, v0 offset:1
	s_waitcnt lgkmcnt(0)
	v_xor_b32_e32 v23, 1, v23
	s_or_b64 exec, exec, s[4:5]
	v_cmp_eq_u32_e64 s[4:5], v23, v21
	s_and_saveexec_b64 s[6:7], s[4:5]
	s_cbranch_execnz .LBB56_37
	s_branch .LBB56_38
.LBB56_93:
	ds_read_u8 v27, v19
	s_andn2_b64 s[6:7], s[6:7], exec
	s_mov_b32 s16, 1
	s_waitcnt lgkmcnt(0)
	v_and_b32_e32 v27, 1, v27
	v_cmp_eq_u32_e64 s[4:5], 1, v27
	s_xor_b64 s[4:5], s[4:5], -1
	s_and_b64 s[4:5], s[4:5], exec
	s_or_b64 s[6:7], s[6:7], s[4:5]
	s_or_b64 exec, exec, s[12:13]
	v_mov_b32_e32 v27, s16
	s_and_saveexec_b64 s[4:5], s[6:7]
	s_cbranch_execz .LBB56_46
.LBB56_94:
	ds_read_u8 v27, v19 offset:4
	s_waitcnt lgkmcnt(0)
	v_xor_b32_e32 v27, 1, v27
	s_or_b64 exec, exec, s[4:5]
	v_cmp_eq_u32_e64 s[4:5], v27, v24
	s_and_saveexec_b64 s[6:7], s[4:5]
	s_cbranch_execnz .LBB56_47
	s_branch .LBB56_48
.LBB56_95:
	ds_read_u8 v27, v12
	s_andn2_b64 s[6:7], s[6:7], exec
	s_mov_b32 s16, 1
	s_waitcnt lgkmcnt(0)
	v_and_b32_e32 v27, 1, v27
	v_cmp_eq_u32_e64 s[4:5], 1, v27
	s_xor_b64 s[4:5], s[4:5], -1
	s_and_b64 s[4:5], s[4:5], exec
	s_or_b64 s[6:7], s[6:7], s[4:5]
	s_or_b64 exec, exec, s[12:13]
	v_mov_b32_e32 v27, s16
	s_and_saveexec_b64 s[4:5], s[6:7]
	s_cbranch_execz .LBB56_50
.LBB56_96:
	ds_read_u8 v27, v12 offset:2
	s_waitcnt lgkmcnt(0)
	v_xor_b32_e32 v27, 1, v27
	s_or_b64 exec, exec, s[4:5]
	v_cmp_eq_u32_e64 s[4:5], v27, v24
	s_and_saveexec_b64 s[6:7], s[4:5]
	s_cbranch_execnz .LBB56_51
	s_branch .LBB56_52
.LBB56_97:
	ds_read_u8 v26, v0
	s_andn2_b64 s[6:7], s[6:7], exec
	s_mov_b32 s16, 1
	s_waitcnt lgkmcnt(0)
	v_and_b32_e32 v26, 1, v26
	v_cmp_eq_u32_e64 s[4:5], 1, v26
	s_xor_b64 s[4:5], s[4:5], -1
	s_and_b64 s[4:5], s[4:5], exec
	s_or_b64 s[6:7], s[6:7], s[4:5]
	s_or_b64 exec, exec, s[12:13]
	v_mov_b32_e32 v26, s16
	s_and_saveexec_b64 s[4:5], s[6:7]
	s_cbranch_execz .LBB56_54
.LBB56_98:
	ds_read_u8 v26, v0 offset:1
	s_waitcnt lgkmcnt(0)
	v_xor_b32_e32 v26, 1, v26
	s_or_b64 exec, exec, s[4:5]
	v_cmp_eq_u32_e64 s[4:5], v26, v24
	s_and_saveexec_b64 s[6:7], s[4:5]
	s_cbranch_execnz .LBB56_55
	s_branch .LBB56_56
	.section	.rodata,"a",@progbits
	.p2align	6, 0x0
	.amdhsa_kernel _ZN2at6native20bitonicSortKVInPlaceILin2ELin1ELi16ELi16EN3c104HalfElNS0_4LTOpIS3_Lb1EEEjEEvNS_4cuda6detail10TensorInfoIT3_T6_EESA_SA_SA_NS8_IT4_SA_EESA_T5_
		.amdhsa_group_segment_fixed_size 5632
		.amdhsa_private_segment_fixed_size 0
		.amdhsa_kernarg_size 712
		.amdhsa_user_sgpr_count 6
		.amdhsa_user_sgpr_private_segment_buffer 1
		.amdhsa_user_sgpr_dispatch_ptr 0
		.amdhsa_user_sgpr_queue_ptr 0
		.amdhsa_user_sgpr_kernarg_segment_ptr 1
		.amdhsa_user_sgpr_dispatch_id 0
		.amdhsa_user_sgpr_flat_scratch_init 0
		.amdhsa_user_sgpr_kernarg_preload_length 0
		.amdhsa_user_sgpr_kernarg_preload_offset 0
		.amdhsa_user_sgpr_private_segment_size 0
		.amdhsa_uses_dynamic_stack 0
		.amdhsa_system_sgpr_private_segment_wavefront_offset 0
		.amdhsa_system_sgpr_workgroup_id_x 1
		.amdhsa_system_sgpr_workgroup_id_y 1
		.amdhsa_system_sgpr_workgroup_id_z 1
		.amdhsa_system_sgpr_workgroup_info 0
		.amdhsa_system_vgpr_workitem_id 1
		.amdhsa_next_free_vgpr 33
		.amdhsa_next_free_sgpr 18
		.amdhsa_accum_offset 36
		.amdhsa_reserve_vcc 1
		.amdhsa_reserve_flat_scratch 0
		.amdhsa_float_round_mode_32 0
		.amdhsa_float_round_mode_16_64 0
		.amdhsa_float_denorm_mode_32 3
		.amdhsa_float_denorm_mode_16_64 3
		.amdhsa_dx10_clamp 1
		.amdhsa_ieee_mode 1
		.amdhsa_fp16_overflow 0
		.amdhsa_tg_split 0
		.amdhsa_exception_fp_ieee_invalid_op 0
		.amdhsa_exception_fp_denorm_src 0
		.amdhsa_exception_fp_ieee_div_zero 0
		.amdhsa_exception_fp_ieee_overflow 0
		.amdhsa_exception_fp_ieee_underflow 0
		.amdhsa_exception_fp_ieee_inexact 0
		.amdhsa_exception_int_div_zero 0
	.end_amdhsa_kernel
	.section	.text._ZN2at6native20bitonicSortKVInPlaceILin2ELin1ELi16ELi16EN3c104HalfElNS0_4LTOpIS3_Lb1EEEjEEvNS_4cuda6detail10TensorInfoIT3_T6_EESA_SA_SA_NS8_IT4_SA_EESA_T5_,"axG",@progbits,_ZN2at6native20bitonicSortKVInPlaceILin2ELin1ELi16ELi16EN3c104HalfElNS0_4LTOpIS3_Lb1EEEjEEvNS_4cuda6detail10TensorInfoIT3_T6_EESA_SA_SA_NS8_IT4_SA_EESA_T5_,comdat
.Lfunc_end56:
	.size	_ZN2at6native20bitonicSortKVInPlaceILin2ELin1ELi16ELi16EN3c104HalfElNS0_4LTOpIS3_Lb1EEEjEEvNS_4cuda6detail10TensorInfoIT3_T6_EESA_SA_SA_NS8_IT4_SA_EESA_T5_, .Lfunc_end56-_ZN2at6native20bitonicSortKVInPlaceILin2ELin1ELi16ELi16EN3c104HalfElNS0_4LTOpIS3_Lb1EEEjEEvNS_4cuda6detail10TensorInfoIT3_T6_EESA_SA_SA_NS8_IT4_SA_EESA_T5_
                                        ; -- End function
	.section	.AMDGPU.csdata,"",@progbits
; Kernel info:
; codeLenInByte = 5096
; NumSgprs: 22
; NumVgprs: 33
; NumAgprs: 0
; TotalNumVgprs: 33
; ScratchSize: 0
; MemoryBound: 0
; FloatMode: 240
; IeeeMode: 1
; LDSByteSize: 5632 bytes/workgroup (compile time only)
; SGPRBlocks: 2
; VGPRBlocks: 4
; NumSGPRsForWavesPerEU: 22
; NumVGPRsForWavesPerEU: 33
; AccumOffset: 36
; Occupancy: 8
; WaveLimiterHint : 1
; COMPUTE_PGM_RSRC2:SCRATCH_EN: 0
; COMPUTE_PGM_RSRC2:USER_SGPR: 6
; COMPUTE_PGM_RSRC2:TRAP_HANDLER: 0
; COMPUTE_PGM_RSRC2:TGID_X_EN: 1
; COMPUTE_PGM_RSRC2:TGID_Y_EN: 1
; COMPUTE_PGM_RSRC2:TGID_Z_EN: 1
; COMPUTE_PGM_RSRC2:TIDIG_COMP_CNT: 1
; COMPUTE_PGM_RSRC3_GFX90A:ACCUM_OFFSET: 8
; COMPUTE_PGM_RSRC3_GFX90A:TG_SPLIT: 0
	.section	.text._ZN2at6native20bitonicSortKVInPlaceILin2ELin1ELi16ELi16EN3c104HalfElNS0_4GTOpIS3_Lb1EEEjEEvNS_4cuda6detail10TensorInfoIT3_T6_EESA_SA_SA_NS8_IT4_SA_EESA_T5_,"axG",@progbits,_ZN2at6native20bitonicSortKVInPlaceILin2ELin1ELi16ELi16EN3c104HalfElNS0_4GTOpIS3_Lb1EEEjEEvNS_4cuda6detail10TensorInfoIT3_T6_EESA_SA_SA_NS8_IT4_SA_EESA_T5_,comdat
	.protected	_ZN2at6native20bitonicSortKVInPlaceILin2ELin1ELi16ELi16EN3c104HalfElNS0_4GTOpIS3_Lb1EEEjEEvNS_4cuda6detail10TensorInfoIT3_T6_EESA_SA_SA_NS8_IT4_SA_EESA_T5_ ; -- Begin function _ZN2at6native20bitonicSortKVInPlaceILin2ELin1ELi16ELi16EN3c104HalfElNS0_4GTOpIS3_Lb1EEEjEEvNS_4cuda6detail10TensorInfoIT3_T6_EESA_SA_SA_NS8_IT4_SA_EESA_T5_
	.globl	_ZN2at6native20bitonicSortKVInPlaceILin2ELin1ELi16ELi16EN3c104HalfElNS0_4GTOpIS3_Lb1EEEjEEvNS_4cuda6detail10TensorInfoIT3_T6_EESA_SA_SA_NS8_IT4_SA_EESA_T5_
	.p2align	8
	.type	_ZN2at6native20bitonicSortKVInPlaceILin2ELin1ELi16ELi16EN3c104HalfElNS0_4GTOpIS3_Lb1EEEjEEvNS_4cuda6detail10TensorInfoIT3_T6_EESA_SA_SA_NS8_IT4_SA_EESA_T5_,@function
_ZN2at6native20bitonicSortKVInPlaceILin2ELin1ELi16ELi16EN3c104HalfElNS0_4GTOpIS3_Lb1EEEjEEvNS_4cuda6detail10TensorInfoIT3_T6_EESA_SA_SA_NS8_IT4_SA_EESA_T5_: ; @_ZN2at6native20bitonicSortKVInPlaceILin2ELin1ELi16ELi16EN3c104HalfElNS0_4GTOpIS3_Lb1EEEjEEvNS_4cuda6detail10TensorInfoIT3_T6_EESA_SA_SA_NS8_IT4_SA_EESA_T5_
; %bb.0:
	s_load_dwordx2 s[2:3], s[4:5], 0x1c8
	s_load_dwordx4 s[12:15], s[4:5], 0xd8
	s_load_dword s9, s[4:5], 0x1d4
	s_add_u32 s0, s4, 0x1c8
	s_addc_u32 s1, s5, 0
	s_waitcnt lgkmcnt(0)
	s_mul_i32 s3, s3, s8
	s_add_i32 s3, s3, s7
	s_mul_i32 s2, s3, s2
	s_add_i32 s6, s2, s6
	s_lshr_b32 s2, s9, 16
	s_mul_i32 s6, s6, s2
	s_cmp_ge_u32 s6, s12
	s_cbranch_scc1 .LBB57_86
; %bb.1:
	s_load_dwordx2 s[8:9], s[4:5], 0x0
	s_load_dword s7, s[4:5], 0x1b8
	s_add_u32 s2, s4, 0xe8
	v_bfe_u32 v5, v0, 10, 10
	s_addc_u32 s3, s5, 0
	v_add_u32_e32 v1, s6, v5
	s_waitcnt lgkmcnt(0)
	s_cmp_lt_i32 s7, 2
	v_mov_b32_e32 v2, 0
	v_mov_b32_e32 v6, v1
	s_cbranch_scc1 .LBB57_4
; %bb.2:
	s_add_i32 s10, s7, 1
	s_add_i32 s6, s7, -1
	s_mov_b32 s7, 0
	s_lshl_b64 s[6:7], s[6:7], 2
	s_add_u32 s6, s6, s2
	s_addc_u32 s7, s7, s3
	s_add_u32 s6, s6, 8
	s_addc_u32 s7, s7, 0
	v_mov_b32_e32 v2, 0
	v_mov_b32_e32 v6, v1
.LBB57_3:                               ; =>This Inner Loop Header: Depth=1
	s_load_dword s11, s[6:7], 0x0
	s_load_dword s15, s[6:7], 0x64
	v_mov_b32_e32 v3, v6
	s_add_i32 s10, s10, -1
	s_waitcnt lgkmcnt(0)
	v_cvt_f32_u32_e32 v4, s11
	s_sub_i32 s16, 0, s11
	s_add_u32 s6, s6, -4
	s_addc_u32 s7, s7, -1
	v_rcp_iflag_f32_e32 v4, v4
	s_cmp_gt_u32 s10, 2
	v_mul_f32_e32 v4, 0x4f7ffffe, v4
	v_cvt_u32_f32_e32 v4, v4
	v_mul_lo_u32 v6, s16, v4
	v_mul_hi_u32 v6, v4, v6
	v_add_u32_e32 v4, v4, v6
	v_mul_hi_u32 v4, v3, v4
	v_mul_lo_u32 v6, v4, s11
	v_sub_u32_e32 v6, v3, v6
	v_add_u32_e32 v7, 1, v4
	v_cmp_le_u32_e32 vcc, s11, v6
	v_cndmask_b32_e32 v4, v4, v7, vcc
	v_subrev_u32_e32 v7, s11, v6
	v_cndmask_b32_e32 v6, v6, v7, vcc
	v_add_u32_e32 v7, 1, v4
	v_cmp_le_u32_e32 vcc, s11, v6
	v_cndmask_b32_e32 v6, v4, v7, vcc
	v_mul_lo_u32 v4, v6, s11
	v_sub_u32_e32 v3, v3, v4
	v_mad_u64_u32 v[2:3], s[16:17], s15, v3, v[2:3]
	s_cbranch_scc1 .LBB57_3
.LBB57_4:
	s_load_dword s6, s[4:5], 0x6c
	s_load_dword s15, s[4:5], 0x1c0
	;; [unrolled: 1-line block ×3, first 2 shown]
	v_cmp_gt_u32_e32 vcc, s12, v1
	s_load_dwordx2 s[10:11], s[2:3], 0x0
	s_load_dword s12, s[0:1], 0xc
	s_waitcnt lgkmcnt(0)
	v_mul_lo_u32 v4, s6, v1
	v_mad_u64_u32 v[2:3], s[2:3], s7, v6, v[2:3]
	v_and_b32_e32 v3, 0x3ff, v0
	v_cmp_gt_u32_e64 s[0:1], s13, v3
	v_pk_mov_b32 v[0:1], 0, 0
	s_and_b64 s[4:5], vcc, s[0:1]
	v_mov_b32_e32 v10, 0
	v_mov_b32_e32 v8, 0
	v_pk_mov_b32 v[6:7], v[0:1], v[0:1] op_sel:[0,1]
	s_and_saveexec_b64 s[6:7], s[4:5]
	s_cbranch_execz .LBB57_6
; %bb.5:
	v_mad_u64_u32 v[6:7], s[2:3], v3, s14, v[4:5]
	v_mov_b32_e32 v7, 0
	v_lshlrev_b64 v[8:9], 1, v[6:7]
	v_mov_b32_e32 v6, s9
	v_add_co_u32_e64 v8, s[2:3], s8, v8
	v_addc_co_u32_e64 v9, s[2:3], v6, v9, s[2:3]
	v_mad_u64_u32 v[12:13], s[2:3], v3, s15, v[2:3]
	v_mov_b32_e32 v13, v7
	v_lshlrev_b64 v[6:7], 3, v[12:13]
	global_load_ushort v8, v[8:9], off
	v_mov_b32_e32 v9, s11
	v_add_co_u32_e64 v6, s[2:3], s10, v6
	v_addc_co_u32_e64 v7, s[2:3], v9, v7, s[2:3]
	global_load_dwordx2 v[6:7], v[6:7], off
.LBB57_6:
	s_or_b64 exec, exec, s[6:7]
	v_mov_b32_e32 v9, 0x1000
	v_lshl_add_u32 v16, v5, 6, v9
	v_mov_b32_e32 v9, 0x1400
	v_lshl_add_u32 v15, v5, 5, v9
	s_and_b32 s16, 0xffff, s12
	v_cndmask_b32_e64 v11, 0, 1, s[4:5]
	v_lshlrev_b32_e32 v13, 8, v5
	v_add_u32_e32 v5, v15, v3
	ds_write_b8 v5, v11
	v_add_u32_e32 v5, s16, v3
	v_lshl_add_u32 v9, v3, 1, v16
	v_cmp_gt_u32_e64 s[2:3], s13, v5
	s_waitcnt vmcnt(1)
	ds_write_b16 v9, v8
	v_lshl_add_u32 v8, v3, 3, v13
	s_and_b64 s[6:7], vcc, s[2:3]
	s_waitcnt vmcnt(0)
	ds_write_b64 v8, v[6:7]
	s_and_saveexec_b64 s[12:13], s[6:7]
	s_cbranch_execz .LBB57_8
; %bb.7:
	v_mad_u64_u32 v[0:1], s[4:5], v5, s14, v[4:5]
	v_mov_b32_e32 v1, 0
	v_lshlrev_b64 v[6:7], 1, v[0:1]
	v_mov_b32_e32 v0, s9
	v_add_co_u32_e64 v6, s[4:5], s8, v6
	v_addc_co_u32_e64 v7, s[4:5], v0, v7, s[4:5]
	global_load_ushort v10, v[6:7], off
	v_mad_u64_u32 v[6:7], s[4:5], v5, s15, v[2:3]
	v_mov_b32_e32 v7, v1
	v_lshlrev_b64 v[0:1], 3, v[6:7]
	v_mov_b32_e32 v6, s11
	v_add_co_u32_e64 v0, s[4:5], s10, v0
	v_addc_co_u32_e64 v1, s[4:5], v6, v1, s[4:5]
	global_load_dwordx2 v[0:1], v[0:1], off
.LBB57_8:
	s_or_b64 exec, exec, s[12:13]
	v_lshl_add_u32 v6, s16, 3, v8
	v_lshlrev_b32_e32 v17, 1, v3
	v_cndmask_b32_e64 v11, 0, 1, s[6:7]
	v_lshl_add_u32 v7, s16, 1, v9
	s_waitcnt vmcnt(0)
	ds_write_b64 v6, v[0:1]
	v_add_u32_e32 v0, v15, v5
	v_add_u32_e32 v1, v9, v17
	ds_write_b16 v7, v10
	ds_write_b8 v0, v11
	s_waitcnt lgkmcnt(0)
	s_barrier
	ds_read_b32 v11, v1
	v_add_u32_e32 v0, v15, v17
                                        ; implicit-def: $sgpr16
	s_waitcnt lgkmcnt(0)
	v_cmp_u_f16_e64 s[4:5], v11, v11
	v_cmp_o_f16_sdwa s[6:7], v11, v11 src0_sel:WORD_1 src1_sel:WORD_1
	s_and_b64 s[4:5], s[4:5], s[6:7]
	v_cmp_gt_f16_sdwa s[6:7], v11, v11 src0_sel:DWORD src1_sel:WORD_1
	s_or_b64 s[4:5], s[4:5], s[6:7]
	s_xor_b64 s[6:7], s[4:5], -1
	s_and_saveexec_b64 s[12:13], s[4:5]
	s_xor_b64 s[12:13], exec, s[12:13]
	s_cbranch_execz .LBB57_10
; %bb.9:
	ds_read_u8 v10, v0
	s_andn2_b64 s[6:7], s[6:7], exec
	s_mov_b32 s16, 1
	s_waitcnt lgkmcnt(0)
	v_and_b32_e32 v10, 1, v10
	v_cmp_eq_u32_e64 s[4:5], 1, v10
	s_xor_b64 s[4:5], s[4:5], -1
	s_and_b64 s[4:5], s[4:5], exec
	s_or_b64 s[6:7], s[6:7], s[4:5]
.LBB57_10:
	s_or_b64 exec, exec, s[12:13]
	v_mov_b32_e32 v14, s16
	s_and_saveexec_b64 s[4:5], s[6:7]
	s_cbranch_execz .LBB57_12
; %bb.11:
	ds_read_u8 v10, v0 offset:1
	s_waitcnt lgkmcnt(0)
	v_xor_b32_e32 v14, 1, v10
.LBB57_12:
	s_or_b64 exec, exec, s[4:5]
	v_and_b32_e32 v12, 1, v3
	v_lshlrev_b32_e32 v10, 3, v3
	v_cmp_eq_u32_e64 s[4:5], v14, v12
	s_and_saveexec_b64 s[6:7], s[4:5]
	s_cbranch_execz .LBB57_14
; %bb.13:
	v_add_u32_e32 v14, v8, v10
	v_alignbit_b32 v11, v11, v11, 16
	ds_read_b128 v[18:21], v14
	ds_write_b32 v1, v11
	ds_read_u16 v11, v0
	s_mov_b32 s4, 0xc0c0001
	s_waitcnt lgkmcnt(2)
	v_mov_b32_e32 v22, v18
	v_mov_b32_e32 v23, v19
	s_waitcnt lgkmcnt(0)
	v_perm_b32 v11, 0, v11, s4
	ds_write_b128 v14, v[20:23]
	ds_write_b16 v0, v11
.LBB57_14:
	s_or_b64 exec, exec, s[6:7]
	v_sub_u32_e32 v14, v17, v12
	v_lshl_add_u32 v11, v14, 1, v16
	s_waitcnt lgkmcnt(0)
	s_barrier
	ds_read_u16 v19, v11
	ds_read_u16 v20, v11 offset:4
	v_add_u32_e32 v12, v15, v14
                                        ; implicit-def: $sgpr12
	s_waitcnt lgkmcnt(1)
	v_cmp_u_f16_e64 s[4:5], v19, v19
	s_waitcnt lgkmcnt(0)
	v_cmp_o_f16_e64 s[6:7], v20, v20
	s_and_b64 s[6:7], s[4:5], s[6:7]
	v_cmp_gt_f16_e64 s[4:5], v19, v20
	s_or_b64 s[6:7], s[6:7], s[4:5]
	s_mov_b64 s[4:5], -1
	s_and_saveexec_b64 s[16:17], s[6:7]
	s_xor_b64 s[6:7], exec, s[16:17]
	s_cbranch_execz .LBB57_16
; %bb.15:
	ds_read_u8 v18, v12
	s_mov_b32 s12, 1
	s_waitcnt lgkmcnt(0)
	v_and_b32_e32 v18, 1, v18
	v_cmp_eq_u32_e64 s[4:5], 1, v18
	s_xor_b64 s[4:5], s[4:5], -1
	s_orn2_b64 s[4:5], s[4:5], exec
.LBB57_16:
	s_or_b64 exec, exec, s[6:7]
	v_mov_b32_e32 v21, s12
	s_and_saveexec_b64 s[6:7], s[4:5]
	s_cbranch_execz .LBB57_18
; %bb.17:
	ds_read_u8 v18, v12 offset:2
	s_waitcnt lgkmcnt(0)
	v_xor_b32_e32 v21, 1, v18
.LBB57_18:
	s_or_b64 exec, exec, s[6:7]
	v_bfe_u32 v18, v3, 1, 1
	v_lshl_add_u32 v14, v14, 3, v13
	v_cmp_eq_u32_e64 s[4:5], v21, v18
	s_and_saveexec_b64 s[6:7], s[4:5]
	s_cbranch_execz .LBB57_20
; %bb.19:
	ds_read2_b64 v[22:25], v14 offset1:2
	ds_read_u8 v21, v12 offset:2
	ds_read_u8 v26, v12
	ds_write_b16 v11, v20
	ds_write_b16 v11, v19 offset:4
	s_waitcnt lgkmcnt(4)
	ds_write2_b64 v14, v[24:25], v[22:23] offset1:2
	s_waitcnt lgkmcnt(4)
	ds_write_b8 v12, v21
	s_waitcnt lgkmcnt(4)
	ds_write_b8 v12, v26 offset:2
.LBB57_20:
	s_or_b64 exec, exec, s[6:7]
	s_waitcnt lgkmcnt(0)
	s_barrier
	ds_read_b32 v19, v1
                                        ; implicit-def: $sgpr16
	s_waitcnt lgkmcnt(0)
	v_cmp_u_f16_e64 s[4:5], v19, v19
	v_cmp_o_f16_sdwa s[6:7], v19, v19 src0_sel:WORD_1 src1_sel:WORD_1
	s_and_b64 s[4:5], s[4:5], s[6:7]
	v_cmp_gt_f16_sdwa s[6:7], v19, v19 src0_sel:DWORD src1_sel:WORD_1
	s_or_b64 s[4:5], s[4:5], s[6:7]
	s_xor_b64 s[6:7], s[4:5], -1
	s_and_saveexec_b64 s[12:13], s[4:5]
	s_cbranch_execnz .LBB57_87
; %bb.21:
	s_or_b64 exec, exec, s[12:13]
	v_mov_b32_e32 v20, s16
	s_and_saveexec_b64 s[4:5], s[6:7]
	s_cbranch_execnz .LBB57_88
.LBB57_22:
	s_or_b64 exec, exec, s[4:5]
	v_cmp_eq_u32_e64 s[4:5], v20, v18
	s_and_saveexec_b64 s[6:7], s[4:5]
	s_cbranch_execz .LBB57_24
.LBB57_23:
	v_add_u32_e32 v24, v8, v10
	ds_read_b128 v[20:23], v24
	ds_read_u16 v25, v0
	v_alignbit_b32 v18, v19, v19, 16
	ds_write_b32 v1, v18
	s_mov_b32 s4, 0xc0c0001
	s_waitcnt lgkmcnt(2)
	v_mov_b32_e32 v18, v22
	v_mov_b32_e32 v19, v23
	ds_write_b128 v24, v[18:21]
	s_waitcnt lgkmcnt(2)
	v_perm_b32 v18, 0, v25, s4
	ds_write_b16 v0, v18
.LBB57_24:
	s_or_b64 exec, exec, s[6:7]
	v_and_b32_e32 v18, 3, v3
	v_sub_u32_e32 v20, v17, v18
	v_lshl_add_u32 v18, v20, 1, v16
	s_waitcnt lgkmcnt(0)
	s_barrier
	ds_read_u16 v22, v18
	ds_read_u16 v23, v18 offset:8
	s_mov_b32 s16, 1
	v_add_u32_e32 v19, v15, v20
	s_waitcnt lgkmcnt(1)
	v_cmp_u_f16_e64 s[4:5], v22, v22
	s_waitcnt lgkmcnt(0)
	v_cmp_o_f16_e64 s[6:7], v23, v23
	s_and_b64 s[6:7], s[4:5], s[6:7]
	v_cmp_gt_f16_e64 s[4:5], v22, v23
	s_or_b64 s[4:5], s[6:7], s[4:5]
	s_xor_b64 s[6:7], s[4:5], -1
	s_and_saveexec_b64 s[12:13], s[4:5]
	s_cbranch_execz .LBB57_26
; %bb.25:
	ds_read_u8 v21, v19
	s_andn2_b64 s[6:7], s[6:7], exec
	s_waitcnt lgkmcnt(0)
	v_and_b32_e32 v21, 1, v21
	v_cmp_eq_u32_e64 s[4:5], 1, v21
	s_xor_b64 s[4:5], s[4:5], -1
	s_and_b64 s[4:5], s[4:5], exec
	s_or_b64 s[6:7], s[6:7], s[4:5]
.LBB57_26:
	s_or_b64 exec, exec, s[12:13]
	v_mov_b32_e32 v24, s16
	s_and_saveexec_b64 s[4:5], s[6:7]
	s_cbranch_execz .LBB57_28
; %bb.27:
	ds_read_u8 v21, v19 offset:4
	s_waitcnt lgkmcnt(0)
	v_xor_b32_e32 v24, 1, v21
.LBB57_28:
	s_or_b64 exec, exec, s[4:5]
	v_bfe_u32 v21, v3, 2, 1
	v_lshl_add_u32 v20, v20, 3, v13
	v_cmp_eq_u32_e64 s[4:5], v24, v21
	s_and_saveexec_b64 s[6:7], s[4:5]
	s_cbranch_execz .LBB57_30
; %bb.29:
	ds_read2_b64 v[24:27], v20 offset1:4
	ds_read_u8 v28, v19 offset:4
	ds_read_u8 v29, v19
	ds_write_b16 v18, v23
	ds_write_b16 v18, v22 offset:8
	s_waitcnt lgkmcnt(4)
	ds_write2_b64 v20, v[26:27], v[24:25] offset1:4
	s_waitcnt lgkmcnt(4)
	ds_write_b8 v19, v28
	s_waitcnt lgkmcnt(4)
	ds_write_b8 v19, v29 offset:4
.LBB57_30:
	s_or_b64 exec, exec, s[6:7]
	s_waitcnt lgkmcnt(0)
	s_barrier
	ds_read_u16 v22, v11
	ds_read_u16 v23, v11 offset:4
                                        ; implicit-def: $sgpr16
	s_waitcnt lgkmcnt(1)
	v_cmp_u_f16_e64 s[4:5], v22, v22
	s_waitcnt lgkmcnt(0)
	v_cmp_o_f16_e64 s[6:7], v23, v23
	s_and_b64 s[6:7], s[4:5], s[6:7]
	v_cmp_gt_f16_e64 s[4:5], v22, v23
	s_or_b64 s[4:5], s[6:7], s[4:5]
	s_xor_b64 s[6:7], s[4:5], -1
	s_and_saveexec_b64 s[12:13], s[4:5]
	s_cbranch_execnz .LBB57_89
; %bb.31:
	s_or_b64 exec, exec, s[12:13]
	v_mov_b32_e32 v24, s16
	s_and_saveexec_b64 s[4:5], s[6:7]
	s_cbranch_execnz .LBB57_90
.LBB57_32:
	s_or_b64 exec, exec, s[4:5]
	v_cmp_eq_u32_e64 s[4:5], v24, v21
	s_and_saveexec_b64 s[6:7], s[4:5]
	s_cbranch_execz .LBB57_34
.LBB57_33:
	ds_read2_b64 v[24:27], v14 offset1:2
	ds_read_u8 v28, v12 offset:2
	ds_read_u8 v29, v12
	ds_write_b16 v11, v23
	ds_write_b16 v11, v22 offset:4
	s_waitcnt lgkmcnt(4)
	ds_write2_b64 v14, v[26:27], v[24:25] offset1:2
	s_waitcnt lgkmcnt(4)
	ds_write_b8 v12, v28
	s_waitcnt lgkmcnt(4)
	ds_write_b8 v12, v29 offset:2
.LBB57_34:
	s_or_b64 exec, exec, s[6:7]
	s_waitcnt lgkmcnt(0)
	s_barrier
	ds_read_b32 v22, v1
                                        ; implicit-def: $sgpr16
	s_waitcnt lgkmcnt(0)
	v_cmp_u_f16_e64 s[4:5], v22, v22
	v_cmp_o_f16_sdwa s[6:7], v22, v22 src0_sel:WORD_1 src1_sel:WORD_1
	s_and_b64 s[4:5], s[4:5], s[6:7]
	v_cmp_gt_f16_sdwa s[6:7], v22, v22 src0_sel:DWORD src1_sel:WORD_1
	s_or_b64 s[4:5], s[4:5], s[6:7]
	s_xor_b64 s[6:7], s[4:5], -1
	s_and_saveexec_b64 s[12:13], s[4:5]
	s_cbranch_execnz .LBB57_91
; %bb.35:
	s_or_b64 exec, exec, s[12:13]
	v_mov_b32_e32 v23, s16
	s_and_saveexec_b64 s[4:5], s[6:7]
	s_cbranch_execnz .LBB57_92
.LBB57_36:
	s_or_b64 exec, exec, s[4:5]
	v_cmp_eq_u32_e64 s[4:5], v23, v21
	s_and_saveexec_b64 s[6:7], s[4:5]
	s_cbranch_execz .LBB57_38
.LBB57_37:
	v_add_u32_e32 v21, v8, v10
	ds_read_b128 v[24:27], v21
	ds_read_u16 v28, v0
	v_alignbit_b32 v22, v22, v22, 16
	ds_write_b32 v1, v22
	s_mov_b32 s4, 0xc0c0001
	s_waitcnt lgkmcnt(2)
	v_mov_b32_e32 v22, v26
	v_mov_b32_e32 v23, v27
	ds_write_b128 v21, v[22:25]
	s_waitcnt lgkmcnt(2)
	v_perm_b32 v21, 0, v28, s4
	ds_write_b16 v0, v21
.LBB57_38:
	s_or_b64 exec, exec, s[6:7]
	v_and_b32_e32 v21, 7, v3
	v_sub_u32_e32 v23, v17, v21
	v_lshl_add_u32 v21, v23, 1, v16
	s_waitcnt lgkmcnt(0)
	s_barrier
	ds_read_u16 v25, v21
	ds_read_u16 v26, v21 offset:16
	s_mov_b32 s16, 1
	v_add_u32_e32 v22, v15, v23
	s_waitcnt lgkmcnt(1)
	v_cmp_u_f16_e64 s[4:5], v25, v25
	s_waitcnt lgkmcnt(0)
	v_cmp_o_f16_e64 s[6:7], v26, v26
	s_and_b64 s[6:7], s[4:5], s[6:7]
	v_cmp_gt_f16_e64 s[4:5], v25, v26
	s_or_b64 s[4:5], s[6:7], s[4:5]
	s_xor_b64 s[6:7], s[4:5], -1
	s_and_saveexec_b64 s[12:13], s[4:5]
	s_cbranch_execz .LBB57_40
; %bb.39:
	ds_read_u8 v24, v22
	s_andn2_b64 s[6:7], s[6:7], exec
	s_waitcnt lgkmcnt(0)
	v_and_b32_e32 v24, 1, v24
	v_cmp_eq_u32_e64 s[4:5], 1, v24
	s_xor_b64 s[4:5], s[4:5], -1
	s_and_b64 s[4:5], s[4:5], exec
	s_or_b64 s[6:7], s[6:7], s[4:5]
.LBB57_40:
	s_or_b64 exec, exec, s[12:13]
	v_mov_b32_e32 v27, s16
	s_and_saveexec_b64 s[4:5], s[6:7]
	s_cbranch_execz .LBB57_42
; %bb.41:
	ds_read_u8 v24, v22 offset:8
	s_waitcnt lgkmcnt(0)
	v_xor_b32_e32 v27, 1, v24
.LBB57_42:
	s_or_b64 exec, exec, s[4:5]
	v_bfe_u32 v24, v3, 3, 1
	v_lshl_add_u32 v23, v23, 3, v13
	v_cmp_eq_u32_e64 s[4:5], v27, v24
	s_and_saveexec_b64 s[6:7], s[4:5]
	s_cbranch_execz .LBB57_44
; %bb.43:
	ds_read2_b64 v[28:31], v23 offset1:8
	ds_read_u8 v27, v22 offset:8
	ds_read_u8 v32, v22
	ds_write_b16 v21, v26
	ds_write_b16 v21, v25 offset:16
	s_waitcnt lgkmcnt(4)
	ds_write2_b64 v23, v[30:31], v[28:29] offset1:8
	s_waitcnt lgkmcnt(4)
	ds_write_b8 v22, v27
	s_waitcnt lgkmcnt(4)
	ds_write_b8 v22, v32 offset:8
.LBB57_44:
	s_or_b64 exec, exec, s[6:7]
	s_waitcnt lgkmcnt(0)
	s_barrier
	ds_read_u16 v25, v18
	ds_read_u16 v26, v18 offset:8
                                        ; implicit-def: $sgpr16
	s_waitcnt lgkmcnt(1)
	v_cmp_u_f16_e64 s[4:5], v25, v25
	s_waitcnt lgkmcnt(0)
	v_cmp_o_f16_e64 s[6:7], v26, v26
	s_and_b64 s[6:7], s[4:5], s[6:7]
	v_cmp_gt_f16_e64 s[4:5], v25, v26
	s_or_b64 s[4:5], s[6:7], s[4:5]
	s_xor_b64 s[6:7], s[4:5], -1
	s_and_saveexec_b64 s[12:13], s[4:5]
	s_cbranch_execnz .LBB57_93
; %bb.45:
	s_or_b64 exec, exec, s[12:13]
	v_mov_b32_e32 v27, s16
	s_and_saveexec_b64 s[4:5], s[6:7]
	s_cbranch_execnz .LBB57_94
.LBB57_46:
	s_or_b64 exec, exec, s[4:5]
	v_cmp_eq_u32_e64 s[4:5], v27, v24
	s_and_saveexec_b64 s[6:7], s[4:5]
	s_cbranch_execz .LBB57_48
.LBB57_47:
	ds_read2_b64 v[28:31], v20 offset1:4
	ds_read_u8 v27, v19 offset:4
	ds_read_u8 v32, v19
	ds_write_b16 v18, v26
	ds_write_b16 v18, v25 offset:8
	s_waitcnt lgkmcnt(4)
	ds_write2_b64 v20, v[30:31], v[28:29] offset1:4
	s_waitcnt lgkmcnt(4)
	ds_write_b8 v19, v27
	s_waitcnt lgkmcnt(4)
	ds_write_b8 v19, v32 offset:4
.LBB57_48:
	s_or_b64 exec, exec, s[6:7]
	s_waitcnt lgkmcnt(0)
	s_barrier
	ds_read_u16 v25, v11
	ds_read_u16 v26, v11 offset:4
                                        ; implicit-def: $sgpr16
	s_waitcnt lgkmcnt(1)
	v_cmp_u_f16_e64 s[4:5], v25, v25
	s_waitcnt lgkmcnt(0)
	v_cmp_o_f16_e64 s[6:7], v26, v26
	s_and_b64 s[6:7], s[4:5], s[6:7]
	v_cmp_gt_f16_e64 s[4:5], v25, v26
	s_or_b64 s[4:5], s[6:7], s[4:5]
	s_xor_b64 s[6:7], s[4:5], -1
	s_and_saveexec_b64 s[12:13], s[4:5]
	s_cbranch_execnz .LBB57_95
; %bb.49:
	s_or_b64 exec, exec, s[12:13]
	v_mov_b32_e32 v27, s16
	s_and_saveexec_b64 s[4:5], s[6:7]
	s_cbranch_execnz .LBB57_96
.LBB57_50:
	s_or_b64 exec, exec, s[4:5]
	v_cmp_eq_u32_e64 s[4:5], v27, v24
	s_and_saveexec_b64 s[6:7], s[4:5]
	s_cbranch_execz .LBB57_52
.LBB57_51:
	ds_read2_b64 v[28:31], v14 offset1:2
	ds_read_u8 v27, v12 offset:2
	ds_read_u8 v32, v12
	ds_write_b16 v11, v26
	ds_write_b16 v11, v25 offset:4
	s_waitcnt lgkmcnt(4)
	ds_write2_b64 v14, v[30:31], v[28:29] offset1:2
	s_waitcnt lgkmcnt(4)
	ds_write_b8 v12, v27
	s_waitcnt lgkmcnt(4)
	ds_write_b8 v12, v32 offset:2
.LBB57_52:
	s_or_b64 exec, exec, s[6:7]
	s_waitcnt lgkmcnt(0)
	s_barrier
	ds_read_b32 v25, v1
                                        ; implicit-def: $sgpr16
	s_waitcnt lgkmcnt(0)
	v_cmp_u_f16_e64 s[4:5], v25, v25
	v_cmp_o_f16_sdwa s[6:7], v25, v25 src0_sel:WORD_1 src1_sel:WORD_1
	s_and_b64 s[4:5], s[4:5], s[6:7]
	v_cmp_gt_f16_sdwa s[6:7], v25, v25 src0_sel:DWORD src1_sel:WORD_1
	s_or_b64 s[4:5], s[4:5], s[6:7]
	s_xor_b64 s[6:7], s[4:5], -1
	s_and_saveexec_b64 s[12:13], s[4:5]
	s_cbranch_execnz .LBB57_97
; %bb.53:
	s_or_b64 exec, exec, s[12:13]
	v_mov_b32_e32 v26, s16
	s_and_saveexec_b64 s[4:5], s[6:7]
	s_cbranch_execnz .LBB57_98
.LBB57_54:
	s_or_b64 exec, exec, s[4:5]
	v_cmp_eq_u32_e64 s[4:5], v26, v24
	s_and_saveexec_b64 s[6:7], s[4:5]
	s_cbranch_execz .LBB57_56
.LBB57_55:
	v_add_u32_e32 v30, v8, v10
	ds_read_b128 v[26:29], v30
	ds_read_u16 v31, v0
	v_alignbit_b32 v24, v25, v25, 16
	ds_write_b32 v1, v24
	s_mov_b32 s4, 0xc0c0001
	s_waitcnt lgkmcnt(2)
	v_mov_b32_e32 v24, v28
	v_mov_b32_e32 v25, v29
	ds_write_b128 v30, v[24:27]
	s_waitcnt lgkmcnt(2)
	v_perm_b32 v24, 0, v31, s4
	ds_write_b16 v0, v24
.LBB57_56:
	s_or_b64 exec, exec, s[6:7]
	v_and_b32_e32 v24, 15, v3
	v_sub_u32_e32 v25, v17, v24
	v_lshl_add_u32 v16, v25, 1, v16
	s_waitcnt lgkmcnt(0)
	s_barrier
	ds_read_u16 v17, v16
	ds_read_u16 v24, v16 offset:32
	v_add_u32_e32 v15, v15, v25
	s_waitcnt lgkmcnt(1)
	v_cmp_u_f16_e64 s[4:5], v17, v17
	s_waitcnt lgkmcnt(0)
	v_cmp_o_f16_e64 s[6:7], v24, v24
	s_and_b64 s[6:7], s[4:5], s[6:7]
	v_cmp_gt_f16_e64 s[4:5], v17, v24
	s_or_b64 s[4:5], s[6:7], s[4:5]
	s_xor_b64 s[12:13], s[4:5], -1
	s_and_saveexec_b64 s[6:7], s[4:5]
	s_cbranch_execz .LBB57_58
; %bb.57:
	ds_read_u8 v26, v15
	s_andn2_b64 s[12:13], s[12:13], exec
	s_waitcnt lgkmcnt(0)
	v_and_b32_e32 v26, 1, v26
	v_cmp_eq_u32_e64 s[4:5], 1, v26
	s_xor_b64 s[4:5], s[4:5], -1
	s_and_b64 s[4:5], s[4:5], exec
	s_or_b64 s[12:13], s[12:13], s[4:5]
.LBB57_58:
	s_or_b64 exec, exec, s[6:7]
	s_and_saveexec_b64 s[6:7], s[12:13]
	s_cbranch_execz .LBB57_61
; %bb.59:
	ds_read_u8 v26, v15 offset:16
	s_waitcnt lgkmcnt(0)
	v_cmp_ne_u16_e64 s[4:5], 0, v26
	s_and_b64 exec, exec, s[4:5]
	s_cbranch_execz .LBB57_61
; %bb.60:
	v_lshl_add_u32 v13, v25, 3, v13
	ds_read2_b64 v[28:31], v13 offset1:16
	ds_read_u8 v25, v15
	ds_write_b16 v16, v24
	ds_write_b16 v16, v17 offset:32
	ds_write_b8 v15, v26
	s_waitcnt lgkmcnt(4)
	ds_write2_b64 v13, v[30:31], v[28:29] offset1:16
	s_waitcnt lgkmcnt(4)
	ds_write_b8 v15, v25 offset:16
.LBB57_61:
	s_or_b64 exec, exec, s[6:7]
	s_waitcnt lgkmcnt(0)
	s_barrier
	ds_read_u16 v13, v21
	ds_read_u16 v15, v21 offset:16
	s_waitcnt lgkmcnt(1)
	v_cmp_u_f16_e64 s[4:5], v13, v13
	s_waitcnt lgkmcnt(0)
	v_cmp_o_f16_e64 s[6:7], v15, v15
	s_and_b64 s[6:7], s[4:5], s[6:7]
	v_cmp_gt_f16_e64 s[4:5], v13, v15
	s_or_b64 s[4:5], s[6:7], s[4:5]
	s_xor_b64 s[12:13], s[4:5], -1
	s_and_saveexec_b64 s[6:7], s[4:5]
	s_cbranch_execz .LBB57_63
; %bb.62:
	ds_read_u8 v16, v22
	s_andn2_b64 s[12:13], s[12:13], exec
	s_waitcnt lgkmcnt(0)
	v_and_b32_e32 v16, 1, v16
	v_cmp_eq_u32_e64 s[4:5], 1, v16
	s_xor_b64 s[4:5], s[4:5], -1
	s_and_b64 s[4:5], s[4:5], exec
	s_or_b64 s[12:13], s[12:13], s[4:5]
.LBB57_63:
	s_or_b64 exec, exec, s[6:7]
	s_and_saveexec_b64 s[6:7], s[12:13]
	s_cbranch_execz .LBB57_66
; %bb.64:
	ds_read_u8 v16, v22 offset:8
	s_waitcnt lgkmcnt(0)
	v_cmp_ne_u16_e64 s[4:5], 0, v16
	s_and_b64 exec, exec, s[4:5]
	s_cbranch_execz .LBB57_66
; %bb.65:
	ds_read2_b64 v[24:27], v23 offset1:8
	ds_read_u8 v17, v22
	ds_write_b16 v21, v15
	ds_write_b16 v21, v13 offset:16
	ds_write_b8 v22, v16
	s_waitcnt lgkmcnt(4)
	ds_write2_b64 v23, v[26:27], v[24:25] offset1:8
	s_waitcnt lgkmcnt(4)
	ds_write_b8 v22, v17 offset:8
.LBB57_66:
	s_or_b64 exec, exec, s[6:7]
	s_waitcnt lgkmcnt(0)
	s_barrier
	ds_read_u16 v13, v18
	ds_read_u16 v15, v18 offset:8
	s_waitcnt lgkmcnt(1)
	v_cmp_u_f16_e64 s[4:5], v13, v13
	s_waitcnt lgkmcnt(0)
	v_cmp_o_f16_e64 s[6:7], v15, v15
	s_and_b64 s[6:7], s[4:5], s[6:7]
	v_cmp_gt_f16_e64 s[4:5], v13, v15
	s_or_b64 s[4:5], s[6:7], s[4:5]
	s_xor_b64 s[12:13], s[4:5], -1
	s_and_saveexec_b64 s[6:7], s[4:5]
	s_cbranch_execz .LBB57_68
; %bb.67:
	ds_read_u8 v16, v19
	s_andn2_b64 s[12:13], s[12:13], exec
	s_waitcnt lgkmcnt(0)
	v_and_b32_e32 v16, 1, v16
	v_cmp_eq_u32_e64 s[4:5], 1, v16
	s_xor_b64 s[4:5], s[4:5], -1
	s_and_b64 s[4:5], s[4:5], exec
	s_or_b64 s[12:13], s[12:13], s[4:5]
.LBB57_68:
	s_or_b64 exec, exec, s[6:7]
	s_and_saveexec_b64 s[6:7], s[12:13]
	s_cbranch_execz .LBB57_71
; %bb.69:
	ds_read_u8 v16, v19 offset:4
	s_waitcnt lgkmcnt(0)
	v_cmp_ne_u16_e64 s[4:5], 0, v16
	s_and_b64 exec, exec, s[4:5]
	s_cbranch_execz .LBB57_71
; %bb.70:
	ds_read2_b64 v[22:25], v20 offset1:4
	ds_read_u8 v17, v19
	ds_write_b16 v18, v15
	ds_write_b16 v18, v13 offset:8
	ds_write_b8 v19, v16
	s_waitcnt lgkmcnt(4)
	ds_write2_b64 v20, v[24:25], v[22:23] offset1:4
	s_waitcnt lgkmcnt(4)
	ds_write_b8 v19, v17 offset:4
.LBB57_71:
	;; [unrolled: 45-line block ×3, first 2 shown]
	s_or_b64 exec, exec, s[6:7]
	s_waitcnt lgkmcnt(0)
	s_barrier
	ds_read_b32 v11, v1
	s_waitcnt lgkmcnt(0)
	v_cmp_u_f16_e64 s[4:5], v11, v11
	v_cmp_o_f16_sdwa s[6:7], v11, v11 src0_sel:WORD_1 src1_sel:WORD_1
	s_and_b64 s[4:5], s[4:5], s[6:7]
	v_cmp_gt_f16_sdwa s[6:7], v11, v11 src0_sel:DWORD src1_sel:WORD_1
	s_or_b64 s[4:5], s[4:5], s[6:7]
	s_xor_b64 s[12:13], s[4:5], -1
	s_and_saveexec_b64 s[6:7], s[4:5]
	s_cbranch_execz .LBB57_78
; %bb.77:
	ds_read_u8 v12, v0
	s_andn2_b64 s[12:13], s[12:13], exec
	s_waitcnt lgkmcnt(0)
	v_and_b32_e32 v12, 1, v12
	v_cmp_eq_u32_e64 s[4:5], 1, v12
	s_xor_b64 s[4:5], s[4:5], -1
	s_and_b64 s[4:5], s[4:5], exec
	s_or_b64 s[12:13], s[12:13], s[4:5]
.LBB57_78:
	s_or_b64 exec, exec, s[6:7]
	s_and_saveexec_b64 s[6:7], s[12:13]
	s_cbranch_execz .LBB57_81
; %bb.79:
	ds_read_u8 v12, v0 offset:1
	s_waitcnt lgkmcnt(0)
	v_cmp_ne_u16_e64 s[4:5], 0, v12
	s_and_b64 exec, exec, s[4:5]
	s_cbranch_execz .LBB57_81
; %bb.80:
	v_add_u32_e32 v10, v8, v10
	v_alignbit_b32 v11, v11, v11, 16
	ds_read_b128 v[14:17], v10
	ds_write_b32 v1, v11
	ds_read_u8 v1, v0
	s_waitcnt lgkmcnt(2)
	v_mov_b32_e32 v18, v14
	v_mov_b32_e32 v19, v15
	s_waitcnt lgkmcnt(0)
	v_lshlrev_b16_e32 v1, 8, v1
	v_or_b32_e32 v1, v12, v1
	ds_write_b128 v10, v[16:19]
	ds_write_b16 v0, v1
.LBB57_81:
	s_or_b64 exec, exec, s[6:7]
	s_waitcnt lgkmcnt(0)
	s_barrier
	s_and_saveexec_b64 s[4:5], vcc
	s_cbranch_execz .LBB57_86
; %bb.82:
	s_and_saveexec_b64 s[4:5], s[0:1]
	s_cbranch_execz .LBB57_84
; %bb.83:
	v_mad_u64_u32 v[0:1], s[0:1], v3, s14, v[4:5]
	ds_read_u16 v12, v9
	v_mov_b32_e32 v1, 0
	v_lshlrev_b64 v[10:11], 1, v[0:1]
	v_mov_b32_e32 v0, s9
	v_add_co_u32_e32 v10, vcc, s8, v10
	v_addc_co_u32_e32 v11, vcc, v0, v11, vcc
	ds_read_b64 v[8:9], v8
	s_waitcnt lgkmcnt(1)
	global_store_short v[10:11], v12, off
	v_mad_u64_u32 v[10:11], s[0:1], v3, s15, v[2:3]
	v_mov_b32_e32 v11, v1
	v_lshlrev_b64 v[0:1], 3, v[10:11]
	v_mov_b32_e32 v3, s11
	v_add_co_u32_e32 v0, vcc, s10, v0
	v_addc_co_u32_e32 v1, vcc, v3, v1, vcc
	s_waitcnt lgkmcnt(0)
	global_store_dwordx2 v[0:1], v[8:9], off
.LBB57_84:
	s_or_b64 exec, exec, s[4:5]
	s_and_b64 exec, exec, s[2:3]
	s_cbranch_execz .LBB57_86
; %bb.85:
	v_mad_u64_u32 v[0:1], s[0:1], v5, s14, v[4:5]
	ds_read_u16 v3, v7
	v_mov_b32_e32 v1, 0
	v_lshlrev_b64 v[8:9], 1, v[0:1]
	v_mov_b32_e32 v0, s9
	v_add_co_u32_e32 v8, vcc, s8, v8
	v_addc_co_u32_e32 v9, vcc, v0, v9, vcc
	ds_read_b64 v[6:7], v6
	s_waitcnt lgkmcnt(1)
	global_store_short v[8:9], v3, off
	v_mad_u64_u32 v[2:3], s[0:1], v5, s15, v[2:3]
	v_mov_b32_e32 v3, v1
	v_lshlrev_b64 v[0:1], 3, v[2:3]
	v_mov_b32_e32 v2, s11
	v_add_co_u32_e32 v0, vcc, s10, v0
	v_addc_co_u32_e32 v1, vcc, v2, v1, vcc
	s_waitcnt lgkmcnt(0)
	global_store_dwordx2 v[0:1], v[6:7], off
.LBB57_86:
	s_endpgm
.LBB57_87:
	ds_read_u8 v20, v0
	s_andn2_b64 s[6:7], s[6:7], exec
	s_mov_b32 s16, 1
	s_waitcnt lgkmcnt(0)
	v_and_b32_e32 v20, 1, v20
	v_cmp_eq_u32_e64 s[4:5], 1, v20
	s_xor_b64 s[4:5], s[4:5], -1
	s_and_b64 s[4:5], s[4:5], exec
	s_or_b64 s[6:7], s[6:7], s[4:5]
	s_or_b64 exec, exec, s[12:13]
	v_mov_b32_e32 v20, s16
	s_and_saveexec_b64 s[4:5], s[6:7]
	s_cbranch_execz .LBB57_22
.LBB57_88:
	ds_read_u8 v20, v0 offset:1
	s_waitcnt lgkmcnt(0)
	v_xor_b32_e32 v20, 1, v20
	s_or_b64 exec, exec, s[4:5]
	v_cmp_eq_u32_e64 s[4:5], v20, v18
	s_and_saveexec_b64 s[6:7], s[4:5]
	s_cbranch_execnz .LBB57_23
	s_branch .LBB57_24
.LBB57_89:
	ds_read_u8 v24, v12
	s_andn2_b64 s[6:7], s[6:7], exec
	s_mov_b32 s16, 1
	s_waitcnt lgkmcnt(0)
	v_and_b32_e32 v24, 1, v24
	v_cmp_eq_u32_e64 s[4:5], 1, v24
	s_xor_b64 s[4:5], s[4:5], -1
	s_and_b64 s[4:5], s[4:5], exec
	s_or_b64 s[6:7], s[6:7], s[4:5]
	s_or_b64 exec, exec, s[12:13]
	v_mov_b32_e32 v24, s16
	s_and_saveexec_b64 s[4:5], s[6:7]
	s_cbranch_execz .LBB57_32
.LBB57_90:
	ds_read_u8 v24, v12 offset:2
	s_waitcnt lgkmcnt(0)
	v_xor_b32_e32 v24, 1, v24
	s_or_b64 exec, exec, s[4:5]
	v_cmp_eq_u32_e64 s[4:5], v24, v21
	s_and_saveexec_b64 s[6:7], s[4:5]
	s_cbranch_execnz .LBB57_33
	s_branch .LBB57_34
.LBB57_91:
	ds_read_u8 v23, v0
	s_andn2_b64 s[6:7], s[6:7], exec
	s_mov_b32 s16, 1
	s_waitcnt lgkmcnt(0)
	v_and_b32_e32 v23, 1, v23
	v_cmp_eq_u32_e64 s[4:5], 1, v23
	s_xor_b64 s[4:5], s[4:5], -1
	s_and_b64 s[4:5], s[4:5], exec
	s_or_b64 s[6:7], s[6:7], s[4:5]
	s_or_b64 exec, exec, s[12:13]
	v_mov_b32_e32 v23, s16
	s_and_saveexec_b64 s[4:5], s[6:7]
	s_cbranch_execz .LBB57_36
.LBB57_92:
	ds_read_u8 v23, v0 offset:1
	s_waitcnt lgkmcnt(0)
	v_xor_b32_e32 v23, 1, v23
	s_or_b64 exec, exec, s[4:5]
	v_cmp_eq_u32_e64 s[4:5], v23, v21
	s_and_saveexec_b64 s[6:7], s[4:5]
	s_cbranch_execnz .LBB57_37
	s_branch .LBB57_38
.LBB57_93:
	ds_read_u8 v27, v19
	s_andn2_b64 s[6:7], s[6:7], exec
	s_mov_b32 s16, 1
	s_waitcnt lgkmcnt(0)
	v_and_b32_e32 v27, 1, v27
	v_cmp_eq_u32_e64 s[4:5], 1, v27
	s_xor_b64 s[4:5], s[4:5], -1
	s_and_b64 s[4:5], s[4:5], exec
	s_or_b64 s[6:7], s[6:7], s[4:5]
	s_or_b64 exec, exec, s[12:13]
	v_mov_b32_e32 v27, s16
	s_and_saveexec_b64 s[4:5], s[6:7]
	s_cbranch_execz .LBB57_46
.LBB57_94:
	ds_read_u8 v27, v19 offset:4
	s_waitcnt lgkmcnt(0)
	v_xor_b32_e32 v27, 1, v27
	s_or_b64 exec, exec, s[4:5]
	v_cmp_eq_u32_e64 s[4:5], v27, v24
	s_and_saveexec_b64 s[6:7], s[4:5]
	s_cbranch_execnz .LBB57_47
	s_branch .LBB57_48
.LBB57_95:
	ds_read_u8 v27, v12
	s_andn2_b64 s[6:7], s[6:7], exec
	s_mov_b32 s16, 1
	s_waitcnt lgkmcnt(0)
	v_and_b32_e32 v27, 1, v27
	v_cmp_eq_u32_e64 s[4:5], 1, v27
	s_xor_b64 s[4:5], s[4:5], -1
	s_and_b64 s[4:5], s[4:5], exec
	s_or_b64 s[6:7], s[6:7], s[4:5]
	s_or_b64 exec, exec, s[12:13]
	v_mov_b32_e32 v27, s16
	s_and_saveexec_b64 s[4:5], s[6:7]
	s_cbranch_execz .LBB57_50
.LBB57_96:
	ds_read_u8 v27, v12 offset:2
	s_waitcnt lgkmcnt(0)
	v_xor_b32_e32 v27, 1, v27
	s_or_b64 exec, exec, s[4:5]
	v_cmp_eq_u32_e64 s[4:5], v27, v24
	s_and_saveexec_b64 s[6:7], s[4:5]
	s_cbranch_execnz .LBB57_51
	s_branch .LBB57_52
.LBB57_97:
	ds_read_u8 v26, v0
	s_andn2_b64 s[6:7], s[6:7], exec
	s_mov_b32 s16, 1
	s_waitcnt lgkmcnt(0)
	v_and_b32_e32 v26, 1, v26
	v_cmp_eq_u32_e64 s[4:5], 1, v26
	s_xor_b64 s[4:5], s[4:5], -1
	s_and_b64 s[4:5], s[4:5], exec
	s_or_b64 s[6:7], s[6:7], s[4:5]
	s_or_b64 exec, exec, s[12:13]
	v_mov_b32_e32 v26, s16
	s_and_saveexec_b64 s[4:5], s[6:7]
	s_cbranch_execz .LBB57_54
.LBB57_98:
	ds_read_u8 v26, v0 offset:1
	s_waitcnt lgkmcnt(0)
	v_xor_b32_e32 v26, 1, v26
	s_or_b64 exec, exec, s[4:5]
	v_cmp_eq_u32_e64 s[4:5], v26, v24
	s_and_saveexec_b64 s[6:7], s[4:5]
	s_cbranch_execnz .LBB57_55
	s_branch .LBB57_56
	.section	.rodata,"a",@progbits
	.p2align	6, 0x0
	.amdhsa_kernel _ZN2at6native20bitonicSortKVInPlaceILin2ELin1ELi16ELi16EN3c104HalfElNS0_4GTOpIS3_Lb1EEEjEEvNS_4cuda6detail10TensorInfoIT3_T6_EESA_SA_SA_NS8_IT4_SA_EESA_T5_
		.amdhsa_group_segment_fixed_size 5632
		.amdhsa_private_segment_fixed_size 0
		.amdhsa_kernarg_size 712
		.amdhsa_user_sgpr_count 6
		.amdhsa_user_sgpr_private_segment_buffer 1
		.amdhsa_user_sgpr_dispatch_ptr 0
		.amdhsa_user_sgpr_queue_ptr 0
		.amdhsa_user_sgpr_kernarg_segment_ptr 1
		.amdhsa_user_sgpr_dispatch_id 0
		.amdhsa_user_sgpr_flat_scratch_init 0
		.amdhsa_user_sgpr_kernarg_preload_length 0
		.amdhsa_user_sgpr_kernarg_preload_offset 0
		.amdhsa_user_sgpr_private_segment_size 0
		.amdhsa_uses_dynamic_stack 0
		.amdhsa_system_sgpr_private_segment_wavefront_offset 0
		.amdhsa_system_sgpr_workgroup_id_x 1
		.amdhsa_system_sgpr_workgroup_id_y 1
		.amdhsa_system_sgpr_workgroup_id_z 1
		.amdhsa_system_sgpr_workgroup_info 0
		.amdhsa_system_vgpr_workitem_id 1
		.amdhsa_next_free_vgpr 33
		.amdhsa_next_free_sgpr 18
		.amdhsa_accum_offset 36
		.amdhsa_reserve_vcc 1
		.amdhsa_reserve_flat_scratch 0
		.amdhsa_float_round_mode_32 0
		.amdhsa_float_round_mode_16_64 0
		.amdhsa_float_denorm_mode_32 3
		.amdhsa_float_denorm_mode_16_64 3
		.amdhsa_dx10_clamp 1
		.amdhsa_ieee_mode 1
		.amdhsa_fp16_overflow 0
		.amdhsa_tg_split 0
		.amdhsa_exception_fp_ieee_invalid_op 0
		.amdhsa_exception_fp_denorm_src 0
		.amdhsa_exception_fp_ieee_div_zero 0
		.amdhsa_exception_fp_ieee_overflow 0
		.amdhsa_exception_fp_ieee_underflow 0
		.amdhsa_exception_fp_ieee_inexact 0
		.amdhsa_exception_int_div_zero 0
	.end_amdhsa_kernel
	.section	.text._ZN2at6native20bitonicSortKVInPlaceILin2ELin1ELi16ELi16EN3c104HalfElNS0_4GTOpIS3_Lb1EEEjEEvNS_4cuda6detail10TensorInfoIT3_T6_EESA_SA_SA_NS8_IT4_SA_EESA_T5_,"axG",@progbits,_ZN2at6native20bitonicSortKVInPlaceILin2ELin1ELi16ELi16EN3c104HalfElNS0_4GTOpIS3_Lb1EEEjEEvNS_4cuda6detail10TensorInfoIT3_T6_EESA_SA_SA_NS8_IT4_SA_EESA_T5_,comdat
.Lfunc_end57:
	.size	_ZN2at6native20bitonicSortKVInPlaceILin2ELin1ELi16ELi16EN3c104HalfElNS0_4GTOpIS3_Lb1EEEjEEvNS_4cuda6detail10TensorInfoIT3_T6_EESA_SA_SA_NS8_IT4_SA_EESA_T5_, .Lfunc_end57-_ZN2at6native20bitonicSortKVInPlaceILin2ELin1ELi16ELi16EN3c104HalfElNS0_4GTOpIS3_Lb1EEEjEEvNS_4cuda6detail10TensorInfoIT3_T6_EESA_SA_SA_NS8_IT4_SA_EESA_T5_
                                        ; -- End function
	.section	.AMDGPU.csdata,"",@progbits
; Kernel info:
; codeLenInByte = 5096
; NumSgprs: 22
; NumVgprs: 33
; NumAgprs: 0
; TotalNumVgprs: 33
; ScratchSize: 0
; MemoryBound: 0
; FloatMode: 240
; IeeeMode: 1
; LDSByteSize: 5632 bytes/workgroup (compile time only)
; SGPRBlocks: 2
; VGPRBlocks: 4
; NumSGPRsForWavesPerEU: 22
; NumVGPRsForWavesPerEU: 33
; AccumOffset: 36
; Occupancy: 8
; WaveLimiterHint : 1
; COMPUTE_PGM_RSRC2:SCRATCH_EN: 0
; COMPUTE_PGM_RSRC2:USER_SGPR: 6
; COMPUTE_PGM_RSRC2:TRAP_HANDLER: 0
; COMPUTE_PGM_RSRC2:TGID_X_EN: 1
; COMPUTE_PGM_RSRC2:TGID_Y_EN: 1
; COMPUTE_PGM_RSRC2:TGID_Z_EN: 1
; COMPUTE_PGM_RSRC2:TIDIG_COMP_CNT: 1
; COMPUTE_PGM_RSRC3_GFX90A:ACCUM_OFFSET: 8
; COMPUTE_PGM_RSRC3_GFX90A:TG_SPLIT: 0
	.section	.text._ZN2at6native20bitonicSortKVInPlaceILi2ELin1ELi16ELi16EN3c104HalfElNS0_4LTOpIS3_Lb1EEEjEEvNS_4cuda6detail10TensorInfoIT3_T6_EESA_SA_SA_NS8_IT4_SA_EESA_T5_,"axG",@progbits,_ZN2at6native20bitonicSortKVInPlaceILi2ELin1ELi16ELi16EN3c104HalfElNS0_4LTOpIS3_Lb1EEEjEEvNS_4cuda6detail10TensorInfoIT3_T6_EESA_SA_SA_NS8_IT4_SA_EESA_T5_,comdat
	.protected	_ZN2at6native20bitonicSortKVInPlaceILi2ELin1ELi16ELi16EN3c104HalfElNS0_4LTOpIS3_Lb1EEEjEEvNS_4cuda6detail10TensorInfoIT3_T6_EESA_SA_SA_NS8_IT4_SA_EESA_T5_ ; -- Begin function _ZN2at6native20bitonicSortKVInPlaceILi2ELin1ELi16ELi16EN3c104HalfElNS0_4LTOpIS3_Lb1EEEjEEvNS_4cuda6detail10TensorInfoIT3_T6_EESA_SA_SA_NS8_IT4_SA_EESA_T5_
	.globl	_ZN2at6native20bitonicSortKVInPlaceILi2ELin1ELi16ELi16EN3c104HalfElNS0_4LTOpIS3_Lb1EEEjEEvNS_4cuda6detail10TensorInfoIT3_T6_EESA_SA_SA_NS8_IT4_SA_EESA_T5_
	.p2align	8
	.type	_ZN2at6native20bitonicSortKVInPlaceILi2ELin1ELi16ELi16EN3c104HalfElNS0_4LTOpIS3_Lb1EEEjEEvNS_4cuda6detail10TensorInfoIT3_T6_EESA_SA_SA_NS8_IT4_SA_EESA_T5_,@function
_ZN2at6native20bitonicSortKVInPlaceILi2ELin1ELi16ELi16EN3c104HalfElNS0_4LTOpIS3_Lb1EEEjEEvNS_4cuda6detail10TensorInfoIT3_T6_EESA_SA_SA_NS8_IT4_SA_EESA_T5_: ; @_ZN2at6native20bitonicSortKVInPlaceILi2ELin1ELi16ELi16EN3c104HalfElNS0_4LTOpIS3_Lb1EEEjEEvNS_4cuda6detail10TensorInfoIT3_T6_EESA_SA_SA_NS8_IT4_SA_EESA_T5_
; %bb.0:
	s_load_dwordx2 s[0:1], s[4:5], 0x1c8
	s_load_dwordx4 s[12:15], s[4:5], 0xd8
	s_load_dword s9, s[4:5], 0x1d4
	s_add_u32 s2, s4, 0x1c8
	s_addc_u32 s3, s5, 0
	s_waitcnt lgkmcnt(0)
	s_mul_i32 s1, s1, s8
	s_add_i32 s1, s1, s7
	s_mul_i32 s0, s1, s0
	s_add_i32 s0, s0, s6
	s_lshr_b32 s1, s9, 16
	s_mul_i32 s0, s0, s1
	s_cmp_ge_u32 s0, s12
	s_cbranch_scc1 .LBB58_86
; %bb.1:
	s_load_dword s15, s[4:5], 0xc
	s_load_dwordx2 s[6:7], s[4:5], 0x6c
	s_load_dword s17, s[4:5], 0x1b8
	s_add_u32 s10, s4, 0xe8
	v_bfe_u32 v8, v0, 10, 10
	s_waitcnt lgkmcnt(0)
	v_cvt_f32_u32_e32 v1, s15
	s_load_dwordx2 s[8:9], s[4:5], 0x0
	s_addc_u32 s11, s5, 0
	s_mov_b32 s1, 0
	v_rcp_iflag_f32_e32 v1, v1
	v_mov_b32_e32 v2, 0
	v_mul_f32_e32 v1, 0x4f7ffffe, v1
	v_cvt_u32_f32_e32 v3, v1
	v_add_u32_e32 v1, s0, v8
	s_sub_i32 s0, 0, s15
	s_cmp_lt_i32 s17, 2
	v_mul_lo_u32 v4, s0, v3
	v_mul_hi_u32 v4, v3, v4
	v_add_u32_e32 v3, v3, v4
	v_mad_u64_u32 v[4:5], s[18:19], v1, v3, 0
	v_mov_b32_e32 v6, v1
	s_cbranch_scc1 .LBB58_4
; %bb.2:
	s_add_i32 s0, s17, -1
	s_add_i32 s16, s17, 1
	s_lshl_b64 s[0:1], s[0:1], 2
	s_add_u32 s0, s0, s10
	s_addc_u32 s1, s1, s11
	s_add_u32 s0, s0, 8
	s_addc_u32 s1, s1, 0
	v_mov_b32_e32 v2, 0
	v_mov_b32_e32 v6, v1
.LBB58_3:                               ; =>This Inner Loop Header: Depth=1
	s_load_dword s17, s[0:1], 0x0
	s_load_dword s18, s[0:1], 0x64
	v_mov_b32_e32 v3, v6
	s_add_i32 s16, s16, -1
	s_waitcnt lgkmcnt(0)
	v_cvt_f32_u32_e32 v4, s17
	s_sub_i32 s19, 0, s17
	s_add_u32 s0, s0, -4
	s_addc_u32 s1, s1, -1
	v_rcp_iflag_f32_e32 v4, v4
	s_cmp_gt_u32 s16, 2
	v_mul_f32_e32 v4, 0x4f7ffffe, v4
	v_cvt_u32_f32_e32 v4, v4
	v_mul_lo_u32 v6, s19, v4
	v_mul_hi_u32 v6, v4, v6
	v_add_u32_e32 v4, v4, v6
	v_mul_hi_u32 v4, v3, v4
	v_mul_lo_u32 v6, v4, s17
	v_sub_u32_e32 v6, v3, v6
	v_add_u32_e32 v7, 1, v4
	v_cmp_le_u32_e32 vcc, s17, v6
	v_cndmask_b32_e32 v4, v4, v7, vcc
	v_subrev_u32_e32 v7, s17, v6
	v_cndmask_b32_e32 v6, v6, v7, vcc
	v_add_u32_e32 v7, 1, v4
	v_cmp_le_u32_e32 vcc, s17, v6
	v_cndmask_b32_e32 v6, v4, v7, vcc
	v_mul_lo_u32 v4, v6, s17
	v_sub_u32_e32 v3, v3, v4
	v_mad_u64_u32 v[2:3], s[18:19], s18, v3, v[2:3]
	s_cbranch_scc1 .LBB58_3
.LBB58_4:
	v_mul_lo_u32 v3, v5, s15
	v_sub_u32_e32 v3, v1, v3
	v_add_u32_e32 v4, 1, v5
	v_cmp_le_u32_e64 s[0:1], s15, v3
	v_cndmask_b32_e64 v4, v5, v4, s[0:1]
	v_subrev_u32_e32 v5, s15, v3
	v_cndmask_b32_e64 v3, v3, v5, s[0:1]
	v_add_u32_e32 v5, 1, v4
	v_cmp_le_u32_e64 s[0:1], s15, v3
	v_cndmask_b32_e64 v3, v4, v5, s[0:1]
	v_mul_lo_u32 v4, v3, s15
	v_cmp_gt_u32_e32 vcc, s12, v1
	v_sub_u32_e32 v1, v1, v4
	v_mul_lo_u32 v4, v1, s7
	s_load_dword s15, s[4:5], 0x1c0
	s_load_dword s7, s[10:11], 0x6c
	;; [unrolled: 1-line block ×3, first 2 shown]
	v_mad_u64_u32 v[4:5], s[0:1], v3, s6, v[4:5]
	s_load_dwordx2 s[10:11], s[10:11], 0x0
	s_waitcnt lgkmcnt(0)
	v_mad_u64_u32 v[2:3], s[0:1], s7, v6, v[2:3]
	v_and_b32_e32 v3, 0x3ff, v0
	v_cmp_gt_u32_e64 s[0:1], s13, v3
	v_pk_mov_b32 v[0:1], 0, 0
	s_and_b64 s[4:5], vcc, s[0:1]
	v_mov_b32_e32 v10, 0
	v_mov_b32_e32 v5, 0
	v_pk_mov_b32 v[6:7], v[0:1], v[0:1] op_sel:[0,1]
	s_and_saveexec_b64 s[6:7], s[4:5]
	s_cbranch_execz .LBB58_6
; %bb.5:
	v_mad_u64_u32 v[6:7], s[2:3], v3, s14, v[4:5]
	v_mov_b32_e32 v7, 0
	v_lshlrev_b64 v[12:13], 1, v[6:7]
	v_mov_b32_e32 v5, s9
	v_add_co_u32_e64 v12, s[2:3], s8, v12
	v_addc_co_u32_e64 v13, s[2:3], v5, v13, s[2:3]
	global_load_ushort v5, v[12:13], off
	v_mad_u64_u32 v[12:13], s[2:3], v3, s15, v[2:3]
	v_mov_b32_e32 v13, v7
	v_lshlrev_b64 v[6:7], 3, v[12:13]
	v_mov_b32_e32 v9, s11
	v_add_co_u32_e64 v6, s[2:3], s10, v6
	v_addc_co_u32_e64 v7, s[2:3], v9, v7, s[2:3]
	global_load_dwordx2 v[6:7], v[6:7], off
.LBB58_6:
	s_or_b64 exec, exec, s[6:7]
	v_mov_b32_e32 v9, 0x1000
	v_lshl_add_u32 v16, v8, 6, v9
	v_mov_b32_e32 v9, 0x1400
	v_lshl_add_u32 v15, v8, 5, v9
	v_lshl_add_u32 v9, v3, 1, v16
	s_and_b32 s16, 0xffff, s12
	v_cndmask_b32_e64 v11, 0, 1, s[4:5]
	s_waitcnt vmcnt(1)
	ds_write_b16 v9, v5
	v_add_u32_e32 v5, v15, v3
	ds_write_b8 v5, v11
	v_add_u32_e32 v5, s16, v3
	v_lshlrev_b32_e32 v13, 8, v8
	v_cmp_gt_u32_e64 s[2:3], s13, v5
	v_lshl_add_u32 v8, v3, 3, v13
	s_and_b64 s[6:7], vcc, s[2:3]
	s_waitcnt vmcnt(0)
	ds_write_b64 v8, v[6:7]
	s_and_saveexec_b64 s[12:13], s[6:7]
	s_cbranch_execz .LBB58_8
; %bb.7:
	v_mad_u64_u32 v[0:1], s[4:5], v5, s14, v[4:5]
	v_mov_b32_e32 v1, 0
	v_lshlrev_b64 v[6:7], 1, v[0:1]
	v_mov_b32_e32 v0, s9
	v_add_co_u32_e64 v6, s[4:5], s8, v6
	v_addc_co_u32_e64 v7, s[4:5], v0, v7, s[4:5]
	global_load_ushort v10, v[6:7], off
	v_mad_u64_u32 v[6:7], s[4:5], v5, s15, v[2:3]
	v_mov_b32_e32 v7, v1
	v_lshlrev_b64 v[0:1], 3, v[6:7]
	v_mov_b32_e32 v6, s11
	v_add_co_u32_e64 v0, s[4:5], s10, v0
	v_addc_co_u32_e64 v1, s[4:5], v6, v1, s[4:5]
	global_load_dwordx2 v[0:1], v[0:1], off
.LBB58_8:
	s_or_b64 exec, exec, s[12:13]
	v_lshl_add_u32 v6, s16, 3, v8
	v_lshlrev_b32_e32 v17, 1, v3
	v_cndmask_b32_e64 v11, 0, 1, s[6:7]
	v_lshl_add_u32 v7, s16, 1, v9
	s_waitcnt vmcnt(0)
	ds_write_b64 v6, v[0:1]
	v_add_u32_e32 v0, v15, v5
	v_add_u32_e32 v1, v9, v17
	ds_write_b16 v7, v10
	ds_write_b8 v0, v11
	s_waitcnt lgkmcnt(0)
	s_barrier
	ds_read_b32 v11, v1
	s_mov_b32 s16, 1
	v_add_u32_e32 v0, v15, v17
	s_waitcnt lgkmcnt(0)
	v_cmp_u_f16_sdwa s[6:7], v11, v11 src0_sel:WORD_1 src1_sel:WORD_1
	v_cmp_o_f16_e64 s[4:5], v11, v11
	s_and_b64 s[4:5], s[6:7], s[4:5]
	v_cmp_lt_f16_sdwa s[6:7], v11, v11 src0_sel:DWORD src1_sel:WORD_1
	s_or_b64 s[4:5], s[4:5], s[6:7]
	s_xor_b64 s[6:7], s[4:5], -1
	s_and_saveexec_b64 s[12:13], s[4:5]
	s_xor_b64 s[12:13], exec, s[12:13]
	s_cbranch_execz .LBB58_10
; %bb.9:
	ds_read_u8 v10, v0
	s_andn2_b64 s[6:7], s[6:7], exec
	s_waitcnt lgkmcnt(0)
	v_and_b32_e32 v10, 1, v10
	v_cmp_eq_u32_e64 s[4:5], 1, v10
	s_xor_b64 s[4:5], s[4:5], -1
	s_and_b64 s[4:5], s[4:5], exec
	s_or_b64 s[6:7], s[6:7], s[4:5]
.LBB58_10:
	s_or_b64 exec, exec, s[12:13]
	v_mov_b32_e32 v14, s16
	s_and_saveexec_b64 s[4:5], s[6:7]
	s_cbranch_execz .LBB58_12
; %bb.11:
	ds_read_u8 v10, v0 offset:1
	s_waitcnt lgkmcnt(0)
	v_xor_b32_e32 v14, 1, v10
.LBB58_12:
	s_or_b64 exec, exec, s[4:5]
	v_and_b32_e32 v12, 1, v3
	v_lshlrev_b32_e32 v10, 3, v3
	v_cmp_eq_u32_e64 s[4:5], v14, v12
	s_and_saveexec_b64 s[6:7], s[4:5]
	s_cbranch_execz .LBB58_14
; %bb.13:
	v_add_u32_e32 v14, v8, v10
	v_alignbit_b32 v11, v11, v11, 16
	ds_read_b128 v[18:21], v14
	ds_write_b32 v1, v11
	ds_read_u16 v11, v0
	s_mov_b32 s4, 0xc0c0001
	s_waitcnt lgkmcnt(2)
	v_mov_b32_e32 v22, v18
	v_mov_b32_e32 v23, v19
	s_waitcnt lgkmcnt(0)
	v_perm_b32 v11, 0, v11, s4
	ds_write_b128 v14, v[20:23]
	ds_write_b16 v0, v11
.LBB58_14:
	s_or_b64 exec, exec, s[6:7]
	v_sub_u32_e32 v14, v17, v12
	v_lshl_add_u32 v11, v14, 1, v16
	s_waitcnt lgkmcnt(0)
	s_barrier
	ds_read_u16 v20, v11 offset:4
	ds_read_u16 v19, v11
	v_add_u32_e32 v12, v15, v14
                                        ; implicit-def: $sgpr12
	s_waitcnt lgkmcnt(1)
	v_cmp_u_f16_e64 s[4:5], v20, v20
	s_waitcnt lgkmcnt(0)
	v_cmp_o_f16_e64 s[6:7], v19, v19
	s_and_b64 s[6:7], s[4:5], s[6:7]
	v_cmp_lt_f16_e64 s[4:5], v19, v20
	s_or_b64 s[6:7], s[6:7], s[4:5]
	s_mov_b64 s[4:5], -1
	s_and_saveexec_b64 s[16:17], s[6:7]
	s_xor_b64 s[6:7], exec, s[16:17]
	s_cbranch_execz .LBB58_16
; %bb.15:
	ds_read_u8 v18, v12
	s_mov_b32 s12, 1
	s_waitcnt lgkmcnt(0)
	v_and_b32_e32 v18, 1, v18
	v_cmp_eq_u32_e64 s[4:5], 1, v18
	s_xor_b64 s[4:5], s[4:5], -1
	s_orn2_b64 s[4:5], s[4:5], exec
.LBB58_16:
	s_or_b64 exec, exec, s[6:7]
	v_mov_b32_e32 v21, s12
	s_and_saveexec_b64 s[6:7], s[4:5]
	s_cbranch_execz .LBB58_18
; %bb.17:
	ds_read_u8 v18, v12 offset:2
	s_waitcnt lgkmcnt(0)
	v_xor_b32_e32 v21, 1, v18
.LBB58_18:
	s_or_b64 exec, exec, s[6:7]
	v_bfe_u32 v18, v3, 1, 1
	v_lshl_add_u32 v14, v14, 3, v13
	v_cmp_eq_u32_e64 s[4:5], v21, v18
	s_and_saveexec_b64 s[6:7], s[4:5]
	s_cbranch_execz .LBB58_20
; %bb.19:
	ds_read2_b64 v[22:25], v14 offset1:2
	ds_read_u8 v21, v12 offset:2
	ds_read_u8 v26, v12
	ds_write_b16 v11, v20
	ds_write_b16 v11, v19 offset:4
	s_waitcnt lgkmcnt(4)
	ds_write2_b64 v14, v[24:25], v[22:23] offset1:2
	s_waitcnt lgkmcnt(4)
	ds_write_b8 v12, v21
	s_waitcnt lgkmcnt(4)
	ds_write_b8 v12, v26 offset:2
.LBB58_20:
	s_or_b64 exec, exec, s[6:7]
	s_waitcnt lgkmcnt(0)
	s_barrier
	ds_read_b32 v19, v1
                                        ; implicit-def: $sgpr16
	s_waitcnt lgkmcnt(0)
	v_cmp_u_f16_sdwa s[6:7], v19, v19 src0_sel:WORD_1 src1_sel:WORD_1
	v_cmp_o_f16_e64 s[4:5], v19, v19
	s_and_b64 s[4:5], s[6:7], s[4:5]
	v_cmp_lt_f16_sdwa s[6:7], v19, v19 src0_sel:DWORD src1_sel:WORD_1
	s_or_b64 s[4:5], s[4:5], s[6:7]
	s_xor_b64 s[6:7], s[4:5], -1
	s_and_saveexec_b64 s[12:13], s[4:5]
	s_cbranch_execnz .LBB58_87
; %bb.21:
	s_or_b64 exec, exec, s[12:13]
	v_mov_b32_e32 v20, s16
	s_and_saveexec_b64 s[4:5], s[6:7]
	s_cbranch_execnz .LBB58_88
.LBB58_22:
	s_or_b64 exec, exec, s[4:5]
	v_cmp_eq_u32_e64 s[4:5], v20, v18
	s_and_saveexec_b64 s[6:7], s[4:5]
	s_cbranch_execz .LBB58_24
.LBB58_23:
	v_add_u32_e32 v24, v8, v10
	ds_read_b128 v[20:23], v24
	ds_read_u16 v25, v0
	v_alignbit_b32 v18, v19, v19, 16
	ds_write_b32 v1, v18
	s_mov_b32 s4, 0xc0c0001
	s_waitcnt lgkmcnt(2)
	v_mov_b32_e32 v18, v22
	v_mov_b32_e32 v19, v23
	ds_write_b128 v24, v[18:21]
	s_waitcnt lgkmcnt(2)
	v_perm_b32 v18, 0, v25, s4
	ds_write_b16 v0, v18
.LBB58_24:
	s_or_b64 exec, exec, s[6:7]
	v_and_b32_e32 v18, 3, v3
	v_sub_u32_e32 v20, v17, v18
	v_lshl_add_u32 v18, v20, 1, v16
	s_waitcnt lgkmcnt(0)
	s_barrier
	ds_read_u16 v23, v18 offset:8
	ds_read_u16 v22, v18
	s_mov_b32 s16, 1
	v_add_u32_e32 v19, v15, v20
	s_waitcnt lgkmcnt(1)
	v_cmp_u_f16_e64 s[4:5], v23, v23
	s_waitcnt lgkmcnt(0)
	v_cmp_o_f16_e64 s[6:7], v22, v22
	s_and_b64 s[6:7], s[4:5], s[6:7]
	v_cmp_lt_f16_e64 s[4:5], v22, v23
	s_or_b64 s[4:5], s[6:7], s[4:5]
	s_xor_b64 s[6:7], s[4:5], -1
	s_and_saveexec_b64 s[12:13], s[4:5]
	s_cbranch_execz .LBB58_26
; %bb.25:
	ds_read_u8 v21, v19
	s_andn2_b64 s[6:7], s[6:7], exec
	s_waitcnt lgkmcnt(0)
	v_and_b32_e32 v21, 1, v21
	v_cmp_eq_u32_e64 s[4:5], 1, v21
	s_xor_b64 s[4:5], s[4:5], -1
	s_and_b64 s[4:5], s[4:5], exec
	s_or_b64 s[6:7], s[6:7], s[4:5]
.LBB58_26:
	s_or_b64 exec, exec, s[12:13]
	v_mov_b32_e32 v24, s16
	s_and_saveexec_b64 s[4:5], s[6:7]
	s_cbranch_execz .LBB58_28
; %bb.27:
	ds_read_u8 v21, v19 offset:4
	s_waitcnt lgkmcnt(0)
	v_xor_b32_e32 v24, 1, v21
.LBB58_28:
	s_or_b64 exec, exec, s[4:5]
	v_bfe_u32 v21, v3, 2, 1
	v_lshl_add_u32 v20, v20, 3, v13
	v_cmp_eq_u32_e64 s[4:5], v24, v21
	s_and_saveexec_b64 s[6:7], s[4:5]
	s_cbranch_execz .LBB58_30
; %bb.29:
	ds_read2_b64 v[24:27], v20 offset1:4
	ds_read_u8 v28, v19 offset:4
	ds_read_u8 v29, v19
	ds_write_b16 v18, v23
	ds_write_b16 v18, v22 offset:8
	s_waitcnt lgkmcnt(4)
	ds_write2_b64 v20, v[26:27], v[24:25] offset1:4
	s_waitcnt lgkmcnt(4)
	ds_write_b8 v19, v28
	s_waitcnt lgkmcnt(4)
	ds_write_b8 v19, v29 offset:4
.LBB58_30:
	s_or_b64 exec, exec, s[6:7]
	s_waitcnt lgkmcnt(0)
	s_barrier
	ds_read_u16 v23, v11 offset:4
	ds_read_u16 v22, v11
                                        ; implicit-def: $sgpr16
	s_waitcnt lgkmcnt(1)
	v_cmp_u_f16_e64 s[4:5], v23, v23
	s_waitcnt lgkmcnt(0)
	v_cmp_o_f16_e64 s[6:7], v22, v22
	s_and_b64 s[6:7], s[4:5], s[6:7]
	v_cmp_lt_f16_e64 s[4:5], v22, v23
	s_or_b64 s[4:5], s[6:7], s[4:5]
	s_xor_b64 s[6:7], s[4:5], -1
	s_and_saveexec_b64 s[12:13], s[4:5]
	s_cbranch_execnz .LBB58_89
; %bb.31:
	s_or_b64 exec, exec, s[12:13]
	v_mov_b32_e32 v24, s16
	s_and_saveexec_b64 s[4:5], s[6:7]
	s_cbranch_execnz .LBB58_90
.LBB58_32:
	s_or_b64 exec, exec, s[4:5]
	v_cmp_eq_u32_e64 s[4:5], v24, v21
	s_and_saveexec_b64 s[6:7], s[4:5]
	s_cbranch_execz .LBB58_34
.LBB58_33:
	ds_read2_b64 v[24:27], v14 offset1:2
	ds_read_u8 v28, v12 offset:2
	ds_read_u8 v29, v12
	ds_write_b16 v11, v23
	ds_write_b16 v11, v22 offset:4
	s_waitcnt lgkmcnt(4)
	ds_write2_b64 v14, v[26:27], v[24:25] offset1:2
	s_waitcnt lgkmcnt(4)
	ds_write_b8 v12, v28
	s_waitcnt lgkmcnt(4)
	ds_write_b8 v12, v29 offset:2
.LBB58_34:
	s_or_b64 exec, exec, s[6:7]
	s_waitcnt lgkmcnt(0)
	s_barrier
	ds_read_b32 v22, v1
                                        ; implicit-def: $sgpr16
	s_waitcnt lgkmcnt(0)
	v_cmp_u_f16_sdwa s[6:7], v22, v22 src0_sel:WORD_1 src1_sel:WORD_1
	v_cmp_o_f16_e64 s[4:5], v22, v22
	s_and_b64 s[4:5], s[6:7], s[4:5]
	v_cmp_lt_f16_sdwa s[6:7], v22, v22 src0_sel:DWORD src1_sel:WORD_1
	s_or_b64 s[4:5], s[4:5], s[6:7]
	s_xor_b64 s[6:7], s[4:5], -1
	s_and_saveexec_b64 s[12:13], s[4:5]
	s_cbranch_execnz .LBB58_91
; %bb.35:
	s_or_b64 exec, exec, s[12:13]
	v_mov_b32_e32 v23, s16
	s_and_saveexec_b64 s[4:5], s[6:7]
	s_cbranch_execnz .LBB58_92
.LBB58_36:
	s_or_b64 exec, exec, s[4:5]
	v_cmp_eq_u32_e64 s[4:5], v23, v21
	s_and_saveexec_b64 s[6:7], s[4:5]
	s_cbranch_execz .LBB58_38
.LBB58_37:
	v_add_u32_e32 v21, v8, v10
	ds_read_b128 v[24:27], v21
	ds_read_u16 v28, v0
	v_alignbit_b32 v22, v22, v22, 16
	ds_write_b32 v1, v22
	s_mov_b32 s4, 0xc0c0001
	s_waitcnt lgkmcnt(2)
	v_mov_b32_e32 v22, v26
	v_mov_b32_e32 v23, v27
	ds_write_b128 v21, v[22:25]
	s_waitcnt lgkmcnt(2)
	v_perm_b32 v21, 0, v28, s4
	ds_write_b16 v0, v21
.LBB58_38:
	s_or_b64 exec, exec, s[6:7]
	v_and_b32_e32 v21, 7, v3
	v_sub_u32_e32 v23, v17, v21
	v_lshl_add_u32 v21, v23, 1, v16
	s_waitcnt lgkmcnt(0)
	s_barrier
	ds_read_u16 v26, v21 offset:16
	ds_read_u16 v25, v21
	s_mov_b32 s16, 1
	v_add_u32_e32 v22, v15, v23
	s_waitcnt lgkmcnt(1)
	v_cmp_u_f16_e64 s[4:5], v26, v26
	s_waitcnt lgkmcnt(0)
	v_cmp_o_f16_e64 s[6:7], v25, v25
	s_and_b64 s[6:7], s[4:5], s[6:7]
	v_cmp_lt_f16_e64 s[4:5], v25, v26
	s_or_b64 s[4:5], s[6:7], s[4:5]
	s_xor_b64 s[6:7], s[4:5], -1
	s_and_saveexec_b64 s[12:13], s[4:5]
	s_cbranch_execz .LBB58_40
; %bb.39:
	ds_read_u8 v24, v22
	s_andn2_b64 s[6:7], s[6:7], exec
	s_waitcnt lgkmcnt(0)
	v_and_b32_e32 v24, 1, v24
	v_cmp_eq_u32_e64 s[4:5], 1, v24
	s_xor_b64 s[4:5], s[4:5], -1
	s_and_b64 s[4:5], s[4:5], exec
	s_or_b64 s[6:7], s[6:7], s[4:5]
.LBB58_40:
	s_or_b64 exec, exec, s[12:13]
	v_mov_b32_e32 v27, s16
	s_and_saveexec_b64 s[4:5], s[6:7]
	s_cbranch_execz .LBB58_42
; %bb.41:
	ds_read_u8 v24, v22 offset:8
	s_waitcnt lgkmcnt(0)
	v_xor_b32_e32 v27, 1, v24
.LBB58_42:
	s_or_b64 exec, exec, s[4:5]
	v_bfe_u32 v24, v3, 3, 1
	v_lshl_add_u32 v23, v23, 3, v13
	v_cmp_eq_u32_e64 s[4:5], v27, v24
	s_and_saveexec_b64 s[6:7], s[4:5]
	s_cbranch_execz .LBB58_44
; %bb.43:
	ds_read2_b64 v[28:31], v23 offset1:8
	ds_read_u8 v27, v22 offset:8
	ds_read_u8 v32, v22
	ds_write_b16 v21, v26
	ds_write_b16 v21, v25 offset:16
	s_waitcnt lgkmcnt(4)
	ds_write2_b64 v23, v[30:31], v[28:29] offset1:8
	s_waitcnt lgkmcnt(4)
	ds_write_b8 v22, v27
	s_waitcnt lgkmcnt(4)
	ds_write_b8 v22, v32 offset:8
.LBB58_44:
	s_or_b64 exec, exec, s[6:7]
	s_waitcnt lgkmcnt(0)
	s_barrier
	ds_read_u16 v26, v18 offset:8
	ds_read_u16 v25, v18
                                        ; implicit-def: $sgpr16
	s_waitcnt lgkmcnt(1)
	v_cmp_u_f16_e64 s[4:5], v26, v26
	s_waitcnt lgkmcnt(0)
	v_cmp_o_f16_e64 s[6:7], v25, v25
	s_and_b64 s[6:7], s[4:5], s[6:7]
	v_cmp_lt_f16_e64 s[4:5], v25, v26
	s_or_b64 s[4:5], s[6:7], s[4:5]
	s_xor_b64 s[6:7], s[4:5], -1
	s_and_saveexec_b64 s[12:13], s[4:5]
	s_cbranch_execnz .LBB58_93
; %bb.45:
	s_or_b64 exec, exec, s[12:13]
	v_mov_b32_e32 v27, s16
	s_and_saveexec_b64 s[4:5], s[6:7]
	s_cbranch_execnz .LBB58_94
.LBB58_46:
	s_or_b64 exec, exec, s[4:5]
	v_cmp_eq_u32_e64 s[4:5], v27, v24
	s_and_saveexec_b64 s[6:7], s[4:5]
	s_cbranch_execz .LBB58_48
.LBB58_47:
	ds_read2_b64 v[28:31], v20 offset1:4
	ds_read_u8 v27, v19 offset:4
	ds_read_u8 v32, v19
	ds_write_b16 v18, v26
	ds_write_b16 v18, v25 offset:8
	s_waitcnt lgkmcnt(4)
	ds_write2_b64 v20, v[30:31], v[28:29] offset1:4
	s_waitcnt lgkmcnt(4)
	ds_write_b8 v19, v27
	s_waitcnt lgkmcnt(4)
	ds_write_b8 v19, v32 offset:4
.LBB58_48:
	s_or_b64 exec, exec, s[6:7]
	s_waitcnt lgkmcnt(0)
	s_barrier
	ds_read_u16 v26, v11 offset:4
	ds_read_u16 v25, v11
                                        ; implicit-def: $sgpr16
	s_waitcnt lgkmcnt(1)
	v_cmp_u_f16_e64 s[4:5], v26, v26
	s_waitcnt lgkmcnt(0)
	v_cmp_o_f16_e64 s[6:7], v25, v25
	s_and_b64 s[6:7], s[4:5], s[6:7]
	v_cmp_lt_f16_e64 s[4:5], v25, v26
	s_or_b64 s[4:5], s[6:7], s[4:5]
	s_xor_b64 s[6:7], s[4:5], -1
	s_and_saveexec_b64 s[12:13], s[4:5]
	s_cbranch_execnz .LBB58_95
; %bb.49:
	s_or_b64 exec, exec, s[12:13]
	v_mov_b32_e32 v27, s16
	s_and_saveexec_b64 s[4:5], s[6:7]
	s_cbranch_execnz .LBB58_96
.LBB58_50:
	s_or_b64 exec, exec, s[4:5]
	v_cmp_eq_u32_e64 s[4:5], v27, v24
	s_and_saveexec_b64 s[6:7], s[4:5]
	s_cbranch_execz .LBB58_52
.LBB58_51:
	ds_read2_b64 v[28:31], v14 offset1:2
	ds_read_u8 v27, v12 offset:2
	ds_read_u8 v32, v12
	ds_write_b16 v11, v26
	ds_write_b16 v11, v25 offset:4
	s_waitcnt lgkmcnt(4)
	ds_write2_b64 v14, v[30:31], v[28:29] offset1:2
	s_waitcnt lgkmcnt(4)
	ds_write_b8 v12, v27
	s_waitcnt lgkmcnt(4)
	ds_write_b8 v12, v32 offset:2
.LBB58_52:
	s_or_b64 exec, exec, s[6:7]
	s_waitcnt lgkmcnt(0)
	s_barrier
	ds_read_b32 v25, v1
                                        ; implicit-def: $sgpr16
	s_waitcnt lgkmcnt(0)
	v_cmp_u_f16_sdwa s[6:7], v25, v25 src0_sel:WORD_1 src1_sel:WORD_1
	v_cmp_o_f16_e64 s[4:5], v25, v25
	s_and_b64 s[4:5], s[6:7], s[4:5]
	v_cmp_lt_f16_sdwa s[6:7], v25, v25 src0_sel:DWORD src1_sel:WORD_1
	s_or_b64 s[4:5], s[4:5], s[6:7]
	s_xor_b64 s[6:7], s[4:5], -1
	s_and_saveexec_b64 s[12:13], s[4:5]
	s_cbranch_execnz .LBB58_97
; %bb.53:
	s_or_b64 exec, exec, s[12:13]
	v_mov_b32_e32 v26, s16
	s_and_saveexec_b64 s[4:5], s[6:7]
	s_cbranch_execnz .LBB58_98
.LBB58_54:
	s_or_b64 exec, exec, s[4:5]
	v_cmp_eq_u32_e64 s[4:5], v26, v24
	s_and_saveexec_b64 s[6:7], s[4:5]
	s_cbranch_execz .LBB58_56
.LBB58_55:
	v_add_u32_e32 v30, v8, v10
	ds_read_b128 v[26:29], v30
	ds_read_u16 v31, v0
	v_alignbit_b32 v24, v25, v25, 16
	ds_write_b32 v1, v24
	s_mov_b32 s4, 0xc0c0001
	s_waitcnt lgkmcnt(2)
	v_mov_b32_e32 v24, v28
	v_mov_b32_e32 v25, v29
	ds_write_b128 v30, v[24:27]
	s_waitcnt lgkmcnt(2)
	v_perm_b32 v24, 0, v31, s4
	ds_write_b16 v0, v24
.LBB58_56:
	s_or_b64 exec, exec, s[6:7]
	v_and_b32_e32 v24, 15, v3
	v_sub_u32_e32 v25, v17, v24
	v_lshl_add_u32 v16, v25, 1, v16
	s_waitcnt lgkmcnt(0)
	s_barrier
	ds_read_u16 v24, v16 offset:32
	ds_read_u16 v17, v16
	v_add_u32_e32 v15, v15, v25
	s_waitcnt lgkmcnt(1)
	v_cmp_u_f16_e64 s[4:5], v24, v24
	s_waitcnt lgkmcnt(0)
	v_cmp_o_f16_e64 s[6:7], v17, v17
	s_and_b64 s[6:7], s[4:5], s[6:7]
	v_cmp_lt_f16_e64 s[4:5], v17, v24
	s_or_b64 s[4:5], s[6:7], s[4:5]
	s_xor_b64 s[12:13], s[4:5], -1
	s_and_saveexec_b64 s[6:7], s[4:5]
	s_cbranch_execz .LBB58_58
; %bb.57:
	ds_read_u8 v26, v15
	s_andn2_b64 s[12:13], s[12:13], exec
	s_waitcnt lgkmcnt(0)
	v_and_b32_e32 v26, 1, v26
	v_cmp_eq_u32_e64 s[4:5], 1, v26
	s_xor_b64 s[4:5], s[4:5], -1
	s_and_b64 s[4:5], s[4:5], exec
	s_or_b64 s[12:13], s[12:13], s[4:5]
.LBB58_58:
	s_or_b64 exec, exec, s[6:7]
	s_and_saveexec_b64 s[6:7], s[12:13]
	s_cbranch_execz .LBB58_61
; %bb.59:
	ds_read_u8 v26, v15 offset:16
	s_waitcnt lgkmcnt(0)
	v_cmp_ne_u16_e64 s[4:5], 0, v26
	s_and_b64 exec, exec, s[4:5]
	s_cbranch_execz .LBB58_61
; %bb.60:
	v_lshl_add_u32 v13, v25, 3, v13
	ds_read2_b64 v[28:31], v13 offset1:16
	ds_read_u8 v25, v15
	ds_write_b16 v16, v24
	ds_write_b16 v16, v17 offset:32
	ds_write_b8 v15, v26
	s_waitcnt lgkmcnt(4)
	ds_write2_b64 v13, v[30:31], v[28:29] offset1:16
	s_waitcnt lgkmcnt(4)
	ds_write_b8 v15, v25 offset:16
.LBB58_61:
	s_or_b64 exec, exec, s[6:7]
	s_waitcnt lgkmcnt(0)
	s_barrier
	ds_read_u16 v15, v21 offset:16
	ds_read_u16 v13, v21
	s_waitcnt lgkmcnt(1)
	v_cmp_u_f16_e64 s[4:5], v15, v15
	s_waitcnt lgkmcnt(0)
	v_cmp_o_f16_e64 s[6:7], v13, v13
	s_and_b64 s[6:7], s[4:5], s[6:7]
	v_cmp_lt_f16_e64 s[4:5], v13, v15
	s_or_b64 s[4:5], s[6:7], s[4:5]
	s_xor_b64 s[12:13], s[4:5], -1
	s_and_saveexec_b64 s[6:7], s[4:5]
	s_cbranch_execz .LBB58_63
; %bb.62:
	ds_read_u8 v16, v22
	s_andn2_b64 s[12:13], s[12:13], exec
	s_waitcnt lgkmcnt(0)
	v_and_b32_e32 v16, 1, v16
	v_cmp_eq_u32_e64 s[4:5], 1, v16
	s_xor_b64 s[4:5], s[4:5], -1
	s_and_b64 s[4:5], s[4:5], exec
	s_or_b64 s[12:13], s[12:13], s[4:5]
.LBB58_63:
	s_or_b64 exec, exec, s[6:7]
	s_and_saveexec_b64 s[6:7], s[12:13]
	s_cbranch_execz .LBB58_66
; %bb.64:
	ds_read_u8 v16, v22 offset:8
	s_waitcnt lgkmcnt(0)
	v_cmp_ne_u16_e64 s[4:5], 0, v16
	s_and_b64 exec, exec, s[4:5]
	s_cbranch_execz .LBB58_66
; %bb.65:
	ds_read2_b64 v[24:27], v23 offset1:8
	ds_read_u8 v17, v22
	ds_write_b16 v21, v15
	ds_write_b16 v21, v13 offset:16
	ds_write_b8 v22, v16
	s_waitcnt lgkmcnt(4)
	ds_write2_b64 v23, v[26:27], v[24:25] offset1:8
	s_waitcnt lgkmcnt(4)
	ds_write_b8 v22, v17 offset:8
.LBB58_66:
	s_or_b64 exec, exec, s[6:7]
	s_waitcnt lgkmcnt(0)
	s_barrier
	ds_read_u16 v15, v18 offset:8
	ds_read_u16 v13, v18
	s_waitcnt lgkmcnt(1)
	v_cmp_u_f16_e64 s[4:5], v15, v15
	s_waitcnt lgkmcnt(0)
	v_cmp_o_f16_e64 s[6:7], v13, v13
	s_and_b64 s[6:7], s[4:5], s[6:7]
	v_cmp_lt_f16_e64 s[4:5], v13, v15
	s_or_b64 s[4:5], s[6:7], s[4:5]
	s_xor_b64 s[12:13], s[4:5], -1
	s_and_saveexec_b64 s[6:7], s[4:5]
	s_cbranch_execz .LBB58_68
; %bb.67:
	ds_read_u8 v16, v19
	s_andn2_b64 s[12:13], s[12:13], exec
	s_waitcnt lgkmcnt(0)
	v_and_b32_e32 v16, 1, v16
	v_cmp_eq_u32_e64 s[4:5], 1, v16
	s_xor_b64 s[4:5], s[4:5], -1
	s_and_b64 s[4:5], s[4:5], exec
	s_or_b64 s[12:13], s[12:13], s[4:5]
.LBB58_68:
	s_or_b64 exec, exec, s[6:7]
	s_and_saveexec_b64 s[6:7], s[12:13]
	s_cbranch_execz .LBB58_71
; %bb.69:
	ds_read_u8 v16, v19 offset:4
	s_waitcnt lgkmcnt(0)
	v_cmp_ne_u16_e64 s[4:5], 0, v16
	s_and_b64 exec, exec, s[4:5]
	s_cbranch_execz .LBB58_71
; %bb.70:
	ds_read2_b64 v[22:25], v20 offset1:4
	ds_read_u8 v17, v19
	ds_write_b16 v18, v15
	ds_write_b16 v18, v13 offset:8
	ds_write_b8 v19, v16
	s_waitcnt lgkmcnt(4)
	ds_write2_b64 v20, v[24:25], v[22:23] offset1:4
	s_waitcnt lgkmcnt(4)
	ds_write_b8 v19, v17 offset:4
.LBB58_71:
	;; [unrolled: 45-line block ×3, first 2 shown]
	s_or_b64 exec, exec, s[6:7]
	s_waitcnt lgkmcnt(0)
	s_barrier
	ds_read_b32 v11, v1
	s_waitcnt lgkmcnt(0)
	v_cmp_u_f16_sdwa s[6:7], v11, v11 src0_sel:WORD_1 src1_sel:WORD_1
	v_cmp_o_f16_e64 s[4:5], v11, v11
	s_and_b64 s[4:5], s[6:7], s[4:5]
	v_cmp_lt_f16_sdwa s[6:7], v11, v11 src0_sel:DWORD src1_sel:WORD_1
	s_or_b64 s[4:5], s[4:5], s[6:7]
	s_xor_b64 s[12:13], s[4:5], -1
	s_and_saveexec_b64 s[6:7], s[4:5]
	s_cbranch_execz .LBB58_78
; %bb.77:
	ds_read_u8 v12, v0
	s_andn2_b64 s[12:13], s[12:13], exec
	s_waitcnt lgkmcnt(0)
	v_and_b32_e32 v12, 1, v12
	v_cmp_eq_u32_e64 s[4:5], 1, v12
	s_xor_b64 s[4:5], s[4:5], -1
	s_and_b64 s[4:5], s[4:5], exec
	s_or_b64 s[12:13], s[12:13], s[4:5]
.LBB58_78:
	s_or_b64 exec, exec, s[6:7]
	s_and_saveexec_b64 s[6:7], s[12:13]
	s_cbranch_execz .LBB58_81
; %bb.79:
	ds_read_u8 v12, v0 offset:1
	s_waitcnt lgkmcnt(0)
	v_cmp_ne_u16_e64 s[4:5], 0, v12
	s_and_b64 exec, exec, s[4:5]
	s_cbranch_execz .LBB58_81
; %bb.80:
	v_add_u32_e32 v10, v8, v10
	v_alignbit_b32 v11, v11, v11, 16
	ds_read_b128 v[14:17], v10
	ds_write_b32 v1, v11
	ds_read_u8 v1, v0
	s_waitcnt lgkmcnt(2)
	v_mov_b32_e32 v18, v14
	v_mov_b32_e32 v19, v15
	s_waitcnt lgkmcnt(0)
	v_lshlrev_b16_e32 v1, 8, v1
	v_or_b32_e32 v1, v12, v1
	ds_write_b128 v10, v[16:19]
	ds_write_b16 v0, v1
.LBB58_81:
	s_or_b64 exec, exec, s[6:7]
	s_waitcnt lgkmcnt(0)
	s_barrier
	s_and_saveexec_b64 s[4:5], vcc
	s_cbranch_execz .LBB58_86
; %bb.82:
	s_and_saveexec_b64 s[4:5], s[0:1]
	s_cbranch_execz .LBB58_84
; %bb.83:
	v_mad_u64_u32 v[0:1], s[0:1], v3, s14, v[4:5]
	ds_read_u16 v12, v9
	v_mov_b32_e32 v1, 0
	v_lshlrev_b64 v[10:11], 1, v[0:1]
	v_mov_b32_e32 v0, s9
	v_add_co_u32_e32 v10, vcc, s8, v10
	v_addc_co_u32_e32 v11, vcc, v0, v11, vcc
	ds_read_b64 v[8:9], v8
	s_waitcnt lgkmcnt(1)
	global_store_short v[10:11], v12, off
	v_mad_u64_u32 v[10:11], s[0:1], v3, s15, v[2:3]
	v_mov_b32_e32 v11, v1
	v_lshlrev_b64 v[0:1], 3, v[10:11]
	v_mov_b32_e32 v3, s11
	v_add_co_u32_e32 v0, vcc, s10, v0
	v_addc_co_u32_e32 v1, vcc, v3, v1, vcc
	s_waitcnt lgkmcnt(0)
	global_store_dwordx2 v[0:1], v[8:9], off
.LBB58_84:
	s_or_b64 exec, exec, s[4:5]
	s_and_b64 exec, exec, s[2:3]
	s_cbranch_execz .LBB58_86
; %bb.85:
	v_mad_u64_u32 v[0:1], s[0:1], v5, s14, v[4:5]
	ds_read_u16 v3, v7
	v_mov_b32_e32 v1, 0
	v_lshlrev_b64 v[8:9], 1, v[0:1]
	v_mov_b32_e32 v0, s9
	v_add_co_u32_e32 v8, vcc, s8, v8
	v_addc_co_u32_e32 v9, vcc, v0, v9, vcc
	ds_read_b64 v[6:7], v6
	s_waitcnt lgkmcnt(1)
	global_store_short v[8:9], v3, off
	v_mad_u64_u32 v[2:3], s[0:1], v5, s15, v[2:3]
	v_mov_b32_e32 v3, v1
	v_lshlrev_b64 v[0:1], 3, v[2:3]
	v_mov_b32_e32 v2, s11
	v_add_co_u32_e32 v0, vcc, s10, v0
	v_addc_co_u32_e32 v1, vcc, v2, v1, vcc
	s_waitcnt lgkmcnt(0)
	global_store_dwordx2 v[0:1], v[6:7], off
.LBB58_86:
	s_endpgm
.LBB58_87:
	ds_read_u8 v20, v0
	s_andn2_b64 s[6:7], s[6:7], exec
	s_mov_b32 s16, 1
	s_waitcnt lgkmcnt(0)
	v_and_b32_e32 v20, 1, v20
	v_cmp_eq_u32_e64 s[4:5], 1, v20
	s_xor_b64 s[4:5], s[4:5], -1
	s_and_b64 s[4:5], s[4:5], exec
	s_or_b64 s[6:7], s[6:7], s[4:5]
	s_or_b64 exec, exec, s[12:13]
	v_mov_b32_e32 v20, s16
	s_and_saveexec_b64 s[4:5], s[6:7]
	s_cbranch_execz .LBB58_22
.LBB58_88:
	ds_read_u8 v20, v0 offset:1
	s_waitcnt lgkmcnt(0)
	v_xor_b32_e32 v20, 1, v20
	s_or_b64 exec, exec, s[4:5]
	v_cmp_eq_u32_e64 s[4:5], v20, v18
	s_and_saveexec_b64 s[6:7], s[4:5]
	s_cbranch_execnz .LBB58_23
	s_branch .LBB58_24
.LBB58_89:
	ds_read_u8 v24, v12
	s_andn2_b64 s[6:7], s[6:7], exec
	s_mov_b32 s16, 1
	s_waitcnt lgkmcnt(0)
	v_and_b32_e32 v24, 1, v24
	v_cmp_eq_u32_e64 s[4:5], 1, v24
	s_xor_b64 s[4:5], s[4:5], -1
	s_and_b64 s[4:5], s[4:5], exec
	s_or_b64 s[6:7], s[6:7], s[4:5]
	s_or_b64 exec, exec, s[12:13]
	v_mov_b32_e32 v24, s16
	s_and_saveexec_b64 s[4:5], s[6:7]
	s_cbranch_execz .LBB58_32
.LBB58_90:
	ds_read_u8 v24, v12 offset:2
	s_waitcnt lgkmcnt(0)
	v_xor_b32_e32 v24, 1, v24
	s_or_b64 exec, exec, s[4:5]
	v_cmp_eq_u32_e64 s[4:5], v24, v21
	s_and_saveexec_b64 s[6:7], s[4:5]
	s_cbranch_execnz .LBB58_33
	s_branch .LBB58_34
.LBB58_91:
	ds_read_u8 v23, v0
	s_andn2_b64 s[6:7], s[6:7], exec
	s_mov_b32 s16, 1
	s_waitcnt lgkmcnt(0)
	v_and_b32_e32 v23, 1, v23
	v_cmp_eq_u32_e64 s[4:5], 1, v23
	s_xor_b64 s[4:5], s[4:5], -1
	s_and_b64 s[4:5], s[4:5], exec
	s_or_b64 s[6:7], s[6:7], s[4:5]
	s_or_b64 exec, exec, s[12:13]
	v_mov_b32_e32 v23, s16
	s_and_saveexec_b64 s[4:5], s[6:7]
	s_cbranch_execz .LBB58_36
.LBB58_92:
	ds_read_u8 v23, v0 offset:1
	s_waitcnt lgkmcnt(0)
	v_xor_b32_e32 v23, 1, v23
	s_or_b64 exec, exec, s[4:5]
	v_cmp_eq_u32_e64 s[4:5], v23, v21
	s_and_saveexec_b64 s[6:7], s[4:5]
	s_cbranch_execnz .LBB58_37
	s_branch .LBB58_38
.LBB58_93:
	ds_read_u8 v27, v19
	s_andn2_b64 s[6:7], s[6:7], exec
	s_mov_b32 s16, 1
	s_waitcnt lgkmcnt(0)
	v_and_b32_e32 v27, 1, v27
	v_cmp_eq_u32_e64 s[4:5], 1, v27
	s_xor_b64 s[4:5], s[4:5], -1
	s_and_b64 s[4:5], s[4:5], exec
	s_or_b64 s[6:7], s[6:7], s[4:5]
	s_or_b64 exec, exec, s[12:13]
	v_mov_b32_e32 v27, s16
	s_and_saveexec_b64 s[4:5], s[6:7]
	s_cbranch_execz .LBB58_46
.LBB58_94:
	ds_read_u8 v27, v19 offset:4
	s_waitcnt lgkmcnt(0)
	v_xor_b32_e32 v27, 1, v27
	s_or_b64 exec, exec, s[4:5]
	v_cmp_eq_u32_e64 s[4:5], v27, v24
	s_and_saveexec_b64 s[6:7], s[4:5]
	s_cbranch_execnz .LBB58_47
	s_branch .LBB58_48
.LBB58_95:
	ds_read_u8 v27, v12
	s_andn2_b64 s[6:7], s[6:7], exec
	s_mov_b32 s16, 1
	s_waitcnt lgkmcnt(0)
	v_and_b32_e32 v27, 1, v27
	v_cmp_eq_u32_e64 s[4:5], 1, v27
	s_xor_b64 s[4:5], s[4:5], -1
	s_and_b64 s[4:5], s[4:5], exec
	s_or_b64 s[6:7], s[6:7], s[4:5]
	s_or_b64 exec, exec, s[12:13]
	v_mov_b32_e32 v27, s16
	s_and_saveexec_b64 s[4:5], s[6:7]
	s_cbranch_execz .LBB58_50
.LBB58_96:
	ds_read_u8 v27, v12 offset:2
	s_waitcnt lgkmcnt(0)
	v_xor_b32_e32 v27, 1, v27
	s_or_b64 exec, exec, s[4:5]
	v_cmp_eq_u32_e64 s[4:5], v27, v24
	s_and_saveexec_b64 s[6:7], s[4:5]
	s_cbranch_execnz .LBB58_51
	s_branch .LBB58_52
.LBB58_97:
	ds_read_u8 v26, v0
	s_andn2_b64 s[6:7], s[6:7], exec
	s_mov_b32 s16, 1
	s_waitcnt lgkmcnt(0)
	v_and_b32_e32 v26, 1, v26
	v_cmp_eq_u32_e64 s[4:5], 1, v26
	s_xor_b64 s[4:5], s[4:5], -1
	s_and_b64 s[4:5], s[4:5], exec
	s_or_b64 s[6:7], s[6:7], s[4:5]
	s_or_b64 exec, exec, s[12:13]
	v_mov_b32_e32 v26, s16
	s_and_saveexec_b64 s[4:5], s[6:7]
	s_cbranch_execz .LBB58_54
.LBB58_98:
	ds_read_u8 v26, v0 offset:1
	s_waitcnt lgkmcnt(0)
	v_xor_b32_e32 v26, 1, v26
	s_or_b64 exec, exec, s[4:5]
	v_cmp_eq_u32_e64 s[4:5], v26, v24
	s_and_saveexec_b64 s[6:7], s[4:5]
	s_cbranch_execnz .LBB58_55
	s_branch .LBB58_56
	.section	.rodata,"a",@progbits
	.p2align	6, 0x0
	.amdhsa_kernel _ZN2at6native20bitonicSortKVInPlaceILi2ELin1ELi16ELi16EN3c104HalfElNS0_4LTOpIS3_Lb1EEEjEEvNS_4cuda6detail10TensorInfoIT3_T6_EESA_SA_SA_NS8_IT4_SA_EESA_T5_
		.amdhsa_group_segment_fixed_size 5632
		.amdhsa_private_segment_fixed_size 0
		.amdhsa_kernarg_size 712
		.amdhsa_user_sgpr_count 6
		.amdhsa_user_sgpr_private_segment_buffer 1
		.amdhsa_user_sgpr_dispatch_ptr 0
		.amdhsa_user_sgpr_queue_ptr 0
		.amdhsa_user_sgpr_kernarg_segment_ptr 1
		.amdhsa_user_sgpr_dispatch_id 0
		.amdhsa_user_sgpr_flat_scratch_init 0
		.amdhsa_user_sgpr_kernarg_preload_length 0
		.amdhsa_user_sgpr_kernarg_preload_offset 0
		.amdhsa_user_sgpr_private_segment_size 0
		.amdhsa_uses_dynamic_stack 0
		.amdhsa_system_sgpr_private_segment_wavefront_offset 0
		.amdhsa_system_sgpr_workgroup_id_x 1
		.amdhsa_system_sgpr_workgroup_id_y 1
		.amdhsa_system_sgpr_workgroup_id_z 1
		.amdhsa_system_sgpr_workgroup_info 0
		.amdhsa_system_vgpr_workitem_id 1
		.amdhsa_next_free_vgpr 33
		.amdhsa_next_free_sgpr 20
		.amdhsa_accum_offset 36
		.amdhsa_reserve_vcc 1
		.amdhsa_reserve_flat_scratch 0
		.amdhsa_float_round_mode_32 0
		.amdhsa_float_round_mode_16_64 0
		.amdhsa_float_denorm_mode_32 3
		.amdhsa_float_denorm_mode_16_64 3
		.amdhsa_dx10_clamp 1
		.amdhsa_ieee_mode 1
		.amdhsa_fp16_overflow 0
		.amdhsa_tg_split 0
		.amdhsa_exception_fp_ieee_invalid_op 0
		.amdhsa_exception_fp_denorm_src 0
		.amdhsa_exception_fp_ieee_div_zero 0
		.amdhsa_exception_fp_ieee_overflow 0
		.amdhsa_exception_fp_ieee_underflow 0
		.amdhsa_exception_fp_ieee_inexact 0
		.amdhsa_exception_int_div_zero 0
	.end_amdhsa_kernel
	.section	.text._ZN2at6native20bitonicSortKVInPlaceILi2ELin1ELi16ELi16EN3c104HalfElNS0_4LTOpIS3_Lb1EEEjEEvNS_4cuda6detail10TensorInfoIT3_T6_EESA_SA_SA_NS8_IT4_SA_EESA_T5_,"axG",@progbits,_ZN2at6native20bitonicSortKVInPlaceILi2ELin1ELi16ELi16EN3c104HalfElNS0_4LTOpIS3_Lb1EEEjEEvNS_4cuda6detail10TensorInfoIT3_T6_EESA_SA_SA_NS8_IT4_SA_EESA_T5_,comdat
.Lfunc_end58:
	.size	_ZN2at6native20bitonicSortKVInPlaceILi2ELin1ELi16ELi16EN3c104HalfElNS0_4LTOpIS3_Lb1EEEjEEvNS_4cuda6detail10TensorInfoIT3_T6_EESA_SA_SA_NS8_IT4_SA_EESA_T5_, .Lfunc_end58-_ZN2at6native20bitonicSortKVInPlaceILi2ELin1ELi16ELi16EN3c104HalfElNS0_4LTOpIS3_Lb1EEEjEEvNS_4cuda6detail10TensorInfoIT3_T6_EESA_SA_SA_NS8_IT4_SA_EESA_T5_
                                        ; -- End function
	.section	.AMDGPU.csdata,"",@progbits
; Kernel info:
; codeLenInByte = 5240
; NumSgprs: 24
; NumVgprs: 33
; NumAgprs: 0
; TotalNumVgprs: 33
; ScratchSize: 0
; MemoryBound: 0
; FloatMode: 240
; IeeeMode: 1
; LDSByteSize: 5632 bytes/workgroup (compile time only)
; SGPRBlocks: 2
; VGPRBlocks: 4
; NumSGPRsForWavesPerEU: 24
; NumVGPRsForWavesPerEU: 33
; AccumOffset: 36
; Occupancy: 8
; WaveLimiterHint : 1
; COMPUTE_PGM_RSRC2:SCRATCH_EN: 0
; COMPUTE_PGM_RSRC2:USER_SGPR: 6
; COMPUTE_PGM_RSRC2:TRAP_HANDLER: 0
; COMPUTE_PGM_RSRC2:TGID_X_EN: 1
; COMPUTE_PGM_RSRC2:TGID_Y_EN: 1
; COMPUTE_PGM_RSRC2:TGID_Z_EN: 1
; COMPUTE_PGM_RSRC2:TIDIG_COMP_CNT: 1
; COMPUTE_PGM_RSRC3_GFX90A:ACCUM_OFFSET: 8
; COMPUTE_PGM_RSRC3_GFX90A:TG_SPLIT: 0
	.section	.text._ZN2at6native20bitonicSortKVInPlaceILi2ELin1ELi16ELi16EN3c104HalfElNS0_4GTOpIS3_Lb1EEEjEEvNS_4cuda6detail10TensorInfoIT3_T6_EESA_SA_SA_NS8_IT4_SA_EESA_T5_,"axG",@progbits,_ZN2at6native20bitonicSortKVInPlaceILi2ELin1ELi16ELi16EN3c104HalfElNS0_4GTOpIS3_Lb1EEEjEEvNS_4cuda6detail10TensorInfoIT3_T6_EESA_SA_SA_NS8_IT4_SA_EESA_T5_,comdat
	.protected	_ZN2at6native20bitonicSortKVInPlaceILi2ELin1ELi16ELi16EN3c104HalfElNS0_4GTOpIS3_Lb1EEEjEEvNS_4cuda6detail10TensorInfoIT3_T6_EESA_SA_SA_NS8_IT4_SA_EESA_T5_ ; -- Begin function _ZN2at6native20bitonicSortKVInPlaceILi2ELin1ELi16ELi16EN3c104HalfElNS0_4GTOpIS3_Lb1EEEjEEvNS_4cuda6detail10TensorInfoIT3_T6_EESA_SA_SA_NS8_IT4_SA_EESA_T5_
	.globl	_ZN2at6native20bitonicSortKVInPlaceILi2ELin1ELi16ELi16EN3c104HalfElNS0_4GTOpIS3_Lb1EEEjEEvNS_4cuda6detail10TensorInfoIT3_T6_EESA_SA_SA_NS8_IT4_SA_EESA_T5_
	.p2align	8
	.type	_ZN2at6native20bitonicSortKVInPlaceILi2ELin1ELi16ELi16EN3c104HalfElNS0_4GTOpIS3_Lb1EEEjEEvNS_4cuda6detail10TensorInfoIT3_T6_EESA_SA_SA_NS8_IT4_SA_EESA_T5_,@function
_ZN2at6native20bitonicSortKVInPlaceILi2ELin1ELi16ELi16EN3c104HalfElNS0_4GTOpIS3_Lb1EEEjEEvNS_4cuda6detail10TensorInfoIT3_T6_EESA_SA_SA_NS8_IT4_SA_EESA_T5_: ; @_ZN2at6native20bitonicSortKVInPlaceILi2ELin1ELi16ELi16EN3c104HalfElNS0_4GTOpIS3_Lb1EEEjEEvNS_4cuda6detail10TensorInfoIT3_T6_EESA_SA_SA_NS8_IT4_SA_EESA_T5_
; %bb.0:
	s_load_dwordx2 s[0:1], s[4:5], 0x1c8
	s_load_dwordx4 s[12:15], s[4:5], 0xd8
	s_load_dword s9, s[4:5], 0x1d4
	s_add_u32 s2, s4, 0x1c8
	s_addc_u32 s3, s5, 0
	s_waitcnt lgkmcnt(0)
	s_mul_i32 s1, s1, s8
	s_add_i32 s1, s1, s7
	s_mul_i32 s0, s1, s0
	s_add_i32 s0, s0, s6
	s_lshr_b32 s1, s9, 16
	s_mul_i32 s0, s0, s1
	s_cmp_ge_u32 s0, s12
	s_cbranch_scc1 .LBB59_86
; %bb.1:
	s_load_dword s15, s[4:5], 0xc
	s_load_dwordx2 s[6:7], s[4:5], 0x6c
	s_load_dword s17, s[4:5], 0x1b8
	s_add_u32 s10, s4, 0xe8
	v_bfe_u32 v8, v0, 10, 10
	s_waitcnt lgkmcnt(0)
	v_cvt_f32_u32_e32 v1, s15
	s_load_dwordx2 s[8:9], s[4:5], 0x0
	s_addc_u32 s11, s5, 0
	s_mov_b32 s1, 0
	v_rcp_iflag_f32_e32 v1, v1
	v_mov_b32_e32 v2, 0
	v_mul_f32_e32 v1, 0x4f7ffffe, v1
	v_cvt_u32_f32_e32 v3, v1
	v_add_u32_e32 v1, s0, v8
	s_sub_i32 s0, 0, s15
	s_cmp_lt_i32 s17, 2
	v_mul_lo_u32 v4, s0, v3
	v_mul_hi_u32 v4, v3, v4
	v_add_u32_e32 v3, v3, v4
	v_mad_u64_u32 v[4:5], s[18:19], v1, v3, 0
	v_mov_b32_e32 v6, v1
	s_cbranch_scc1 .LBB59_4
; %bb.2:
	s_add_i32 s0, s17, -1
	s_add_i32 s16, s17, 1
	s_lshl_b64 s[0:1], s[0:1], 2
	s_add_u32 s0, s0, s10
	s_addc_u32 s1, s1, s11
	s_add_u32 s0, s0, 8
	s_addc_u32 s1, s1, 0
	v_mov_b32_e32 v2, 0
	v_mov_b32_e32 v6, v1
.LBB59_3:                               ; =>This Inner Loop Header: Depth=1
	s_load_dword s17, s[0:1], 0x0
	s_load_dword s18, s[0:1], 0x64
	v_mov_b32_e32 v3, v6
	s_add_i32 s16, s16, -1
	s_waitcnt lgkmcnt(0)
	v_cvt_f32_u32_e32 v4, s17
	s_sub_i32 s19, 0, s17
	s_add_u32 s0, s0, -4
	s_addc_u32 s1, s1, -1
	v_rcp_iflag_f32_e32 v4, v4
	s_cmp_gt_u32 s16, 2
	v_mul_f32_e32 v4, 0x4f7ffffe, v4
	v_cvt_u32_f32_e32 v4, v4
	v_mul_lo_u32 v6, s19, v4
	v_mul_hi_u32 v6, v4, v6
	v_add_u32_e32 v4, v4, v6
	v_mul_hi_u32 v4, v3, v4
	v_mul_lo_u32 v6, v4, s17
	v_sub_u32_e32 v6, v3, v6
	v_add_u32_e32 v7, 1, v4
	v_cmp_le_u32_e32 vcc, s17, v6
	v_cndmask_b32_e32 v4, v4, v7, vcc
	v_subrev_u32_e32 v7, s17, v6
	v_cndmask_b32_e32 v6, v6, v7, vcc
	v_add_u32_e32 v7, 1, v4
	v_cmp_le_u32_e32 vcc, s17, v6
	v_cndmask_b32_e32 v6, v4, v7, vcc
	v_mul_lo_u32 v4, v6, s17
	v_sub_u32_e32 v3, v3, v4
	v_mad_u64_u32 v[2:3], s[18:19], s18, v3, v[2:3]
	s_cbranch_scc1 .LBB59_3
.LBB59_4:
	v_mul_lo_u32 v3, v5, s15
	v_sub_u32_e32 v3, v1, v3
	v_add_u32_e32 v4, 1, v5
	v_cmp_le_u32_e64 s[0:1], s15, v3
	v_cndmask_b32_e64 v4, v5, v4, s[0:1]
	v_subrev_u32_e32 v5, s15, v3
	v_cndmask_b32_e64 v3, v3, v5, s[0:1]
	v_add_u32_e32 v5, 1, v4
	v_cmp_le_u32_e64 s[0:1], s15, v3
	v_cndmask_b32_e64 v3, v4, v5, s[0:1]
	v_mul_lo_u32 v4, v3, s15
	v_cmp_gt_u32_e32 vcc, s12, v1
	v_sub_u32_e32 v1, v1, v4
	v_mul_lo_u32 v4, v1, s7
	s_load_dword s15, s[4:5], 0x1c0
	s_load_dword s7, s[10:11], 0x6c
	;; [unrolled: 1-line block ×3, first 2 shown]
	v_mad_u64_u32 v[4:5], s[0:1], v3, s6, v[4:5]
	s_load_dwordx2 s[10:11], s[10:11], 0x0
	s_waitcnt lgkmcnt(0)
	v_mad_u64_u32 v[2:3], s[0:1], s7, v6, v[2:3]
	v_and_b32_e32 v3, 0x3ff, v0
	v_cmp_gt_u32_e64 s[0:1], s13, v3
	v_pk_mov_b32 v[0:1], 0, 0
	s_and_b64 s[4:5], vcc, s[0:1]
	v_mov_b32_e32 v10, 0
	v_mov_b32_e32 v5, 0
	v_pk_mov_b32 v[6:7], v[0:1], v[0:1] op_sel:[0,1]
	s_and_saveexec_b64 s[6:7], s[4:5]
	s_cbranch_execz .LBB59_6
; %bb.5:
	v_mad_u64_u32 v[6:7], s[2:3], v3, s14, v[4:5]
	v_mov_b32_e32 v7, 0
	v_lshlrev_b64 v[12:13], 1, v[6:7]
	v_mov_b32_e32 v5, s9
	v_add_co_u32_e64 v12, s[2:3], s8, v12
	v_addc_co_u32_e64 v13, s[2:3], v5, v13, s[2:3]
	global_load_ushort v5, v[12:13], off
	v_mad_u64_u32 v[12:13], s[2:3], v3, s15, v[2:3]
	v_mov_b32_e32 v13, v7
	v_lshlrev_b64 v[6:7], 3, v[12:13]
	v_mov_b32_e32 v9, s11
	v_add_co_u32_e64 v6, s[2:3], s10, v6
	v_addc_co_u32_e64 v7, s[2:3], v9, v7, s[2:3]
	global_load_dwordx2 v[6:7], v[6:7], off
.LBB59_6:
	s_or_b64 exec, exec, s[6:7]
	v_mov_b32_e32 v9, 0x1000
	v_lshl_add_u32 v16, v8, 6, v9
	v_mov_b32_e32 v9, 0x1400
	v_lshl_add_u32 v15, v8, 5, v9
	v_lshl_add_u32 v9, v3, 1, v16
	s_and_b32 s16, 0xffff, s12
	v_cndmask_b32_e64 v11, 0, 1, s[4:5]
	s_waitcnt vmcnt(1)
	ds_write_b16 v9, v5
	v_add_u32_e32 v5, v15, v3
	ds_write_b8 v5, v11
	v_add_u32_e32 v5, s16, v3
	v_lshlrev_b32_e32 v13, 8, v8
	v_cmp_gt_u32_e64 s[2:3], s13, v5
	v_lshl_add_u32 v8, v3, 3, v13
	s_and_b64 s[6:7], vcc, s[2:3]
	s_waitcnt vmcnt(0)
	ds_write_b64 v8, v[6:7]
	s_and_saveexec_b64 s[12:13], s[6:7]
	s_cbranch_execz .LBB59_8
; %bb.7:
	v_mad_u64_u32 v[0:1], s[4:5], v5, s14, v[4:5]
	v_mov_b32_e32 v1, 0
	v_lshlrev_b64 v[6:7], 1, v[0:1]
	v_mov_b32_e32 v0, s9
	v_add_co_u32_e64 v6, s[4:5], s8, v6
	v_addc_co_u32_e64 v7, s[4:5], v0, v7, s[4:5]
	global_load_ushort v10, v[6:7], off
	v_mad_u64_u32 v[6:7], s[4:5], v5, s15, v[2:3]
	v_mov_b32_e32 v7, v1
	v_lshlrev_b64 v[0:1], 3, v[6:7]
	v_mov_b32_e32 v6, s11
	v_add_co_u32_e64 v0, s[4:5], s10, v0
	v_addc_co_u32_e64 v1, s[4:5], v6, v1, s[4:5]
	global_load_dwordx2 v[0:1], v[0:1], off
.LBB59_8:
	s_or_b64 exec, exec, s[12:13]
	v_lshl_add_u32 v6, s16, 3, v8
	v_lshlrev_b32_e32 v17, 1, v3
	v_cndmask_b32_e64 v11, 0, 1, s[6:7]
	v_lshl_add_u32 v7, s16, 1, v9
	s_waitcnt vmcnt(0)
	ds_write_b64 v6, v[0:1]
	v_add_u32_e32 v0, v15, v5
	v_add_u32_e32 v1, v9, v17
	ds_write_b16 v7, v10
	ds_write_b8 v0, v11
	s_waitcnt lgkmcnt(0)
	s_barrier
	ds_read_b32 v11, v1
	s_mov_b32 s16, 1
	v_add_u32_e32 v0, v15, v17
	s_waitcnt lgkmcnt(0)
	v_cmp_u_f16_e64 s[4:5], v11, v11
	v_cmp_o_f16_sdwa s[6:7], v11, v11 src0_sel:WORD_1 src1_sel:WORD_1
	s_and_b64 s[4:5], s[4:5], s[6:7]
	v_cmp_gt_f16_sdwa s[6:7], v11, v11 src0_sel:DWORD src1_sel:WORD_1
	s_or_b64 s[4:5], s[4:5], s[6:7]
	s_xor_b64 s[6:7], s[4:5], -1
	s_and_saveexec_b64 s[12:13], s[4:5]
	s_xor_b64 s[12:13], exec, s[12:13]
	s_cbranch_execz .LBB59_10
; %bb.9:
	ds_read_u8 v10, v0
	s_andn2_b64 s[6:7], s[6:7], exec
	s_waitcnt lgkmcnt(0)
	v_and_b32_e32 v10, 1, v10
	v_cmp_eq_u32_e64 s[4:5], 1, v10
	s_xor_b64 s[4:5], s[4:5], -1
	s_and_b64 s[4:5], s[4:5], exec
	s_or_b64 s[6:7], s[6:7], s[4:5]
.LBB59_10:
	s_or_b64 exec, exec, s[12:13]
	v_mov_b32_e32 v14, s16
	s_and_saveexec_b64 s[4:5], s[6:7]
	s_cbranch_execz .LBB59_12
; %bb.11:
	ds_read_u8 v10, v0 offset:1
	s_waitcnt lgkmcnt(0)
	v_xor_b32_e32 v14, 1, v10
.LBB59_12:
	s_or_b64 exec, exec, s[4:5]
	v_and_b32_e32 v12, 1, v3
	v_lshlrev_b32_e32 v10, 3, v3
	v_cmp_eq_u32_e64 s[4:5], v14, v12
	s_and_saveexec_b64 s[6:7], s[4:5]
	s_cbranch_execz .LBB59_14
; %bb.13:
	v_add_u32_e32 v14, v8, v10
	v_alignbit_b32 v11, v11, v11, 16
	ds_read_b128 v[18:21], v14
	ds_write_b32 v1, v11
	ds_read_u16 v11, v0
	s_mov_b32 s4, 0xc0c0001
	s_waitcnt lgkmcnt(2)
	v_mov_b32_e32 v22, v18
	v_mov_b32_e32 v23, v19
	s_waitcnt lgkmcnt(0)
	v_perm_b32 v11, 0, v11, s4
	ds_write_b128 v14, v[20:23]
	ds_write_b16 v0, v11
.LBB59_14:
	s_or_b64 exec, exec, s[6:7]
	v_sub_u32_e32 v14, v17, v12
	v_lshl_add_u32 v11, v14, 1, v16
	s_waitcnt lgkmcnt(0)
	s_barrier
	ds_read_u16 v19, v11
	ds_read_u16 v20, v11 offset:4
	v_add_u32_e32 v12, v15, v14
                                        ; implicit-def: $sgpr12
	s_waitcnt lgkmcnt(1)
	v_cmp_u_f16_e64 s[4:5], v19, v19
	s_waitcnt lgkmcnt(0)
	v_cmp_o_f16_e64 s[6:7], v20, v20
	s_and_b64 s[6:7], s[4:5], s[6:7]
	v_cmp_gt_f16_e64 s[4:5], v19, v20
	s_or_b64 s[6:7], s[6:7], s[4:5]
	s_mov_b64 s[4:5], -1
	s_and_saveexec_b64 s[16:17], s[6:7]
	s_xor_b64 s[6:7], exec, s[16:17]
	s_cbranch_execz .LBB59_16
; %bb.15:
	ds_read_u8 v18, v12
	s_mov_b32 s12, 1
	s_waitcnt lgkmcnt(0)
	v_and_b32_e32 v18, 1, v18
	v_cmp_eq_u32_e64 s[4:5], 1, v18
	s_xor_b64 s[4:5], s[4:5], -1
	s_orn2_b64 s[4:5], s[4:5], exec
.LBB59_16:
	s_or_b64 exec, exec, s[6:7]
	v_mov_b32_e32 v21, s12
	s_and_saveexec_b64 s[6:7], s[4:5]
	s_cbranch_execz .LBB59_18
; %bb.17:
	ds_read_u8 v18, v12 offset:2
	s_waitcnt lgkmcnt(0)
	v_xor_b32_e32 v21, 1, v18
.LBB59_18:
	s_or_b64 exec, exec, s[6:7]
	v_bfe_u32 v18, v3, 1, 1
	v_lshl_add_u32 v14, v14, 3, v13
	v_cmp_eq_u32_e64 s[4:5], v21, v18
	s_and_saveexec_b64 s[6:7], s[4:5]
	s_cbranch_execz .LBB59_20
; %bb.19:
	ds_read2_b64 v[22:25], v14 offset1:2
	ds_read_u8 v21, v12 offset:2
	ds_read_u8 v26, v12
	ds_write_b16 v11, v20
	ds_write_b16 v11, v19 offset:4
	s_waitcnt lgkmcnt(4)
	ds_write2_b64 v14, v[24:25], v[22:23] offset1:2
	s_waitcnt lgkmcnt(4)
	ds_write_b8 v12, v21
	s_waitcnt lgkmcnt(4)
	ds_write_b8 v12, v26 offset:2
.LBB59_20:
	s_or_b64 exec, exec, s[6:7]
	s_waitcnt lgkmcnt(0)
	s_barrier
	ds_read_b32 v19, v1
                                        ; implicit-def: $sgpr16
	s_waitcnt lgkmcnt(0)
	v_cmp_u_f16_e64 s[4:5], v19, v19
	v_cmp_o_f16_sdwa s[6:7], v19, v19 src0_sel:WORD_1 src1_sel:WORD_1
	s_and_b64 s[4:5], s[4:5], s[6:7]
	v_cmp_gt_f16_sdwa s[6:7], v19, v19 src0_sel:DWORD src1_sel:WORD_1
	s_or_b64 s[4:5], s[4:5], s[6:7]
	s_xor_b64 s[6:7], s[4:5], -1
	s_and_saveexec_b64 s[12:13], s[4:5]
	s_cbranch_execnz .LBB59_87
; %bb.21:
	s_or_b64 exec, exec, s[12:13]
	v_mov_b32_e32 v20, s16
	s_and_saveexec_b64 s[4:5], s[6:7]
	s_cbranch_execnz .LBB59_88
.LBB59_22:
	s_or_b64 exec, exec, s[4:5]
	v_cmp_eq_u32_e64 s[4:5], v20, v18
	s_and_saveexec_b64 s[6:7], s[4:5]
	s_cbranch_execz .LBB59_24
.LBB59_23:
	v_add_u32_e32 v24, v8, v10
	ds_read_b128 v[20:23], v24
	ds_read_u16 v25, v0
	v_alignbit_b32 v18, v19, v19, 16
	ds_write_b32 v1, v18
	s_mov_b32 s4, 0xc0c0001
	s_waitcnt lgkmcnt(2)
	v_mov_b32_e32 v18, v22
	v_mov_b32_e32 v19, v23
	ds_write_b128 v24, v[18:21]
	s_waitcnt lgkmcnt(2)
	v_perm_b32 v18, 0, v25, s4
	ds_write_b16 v0, v18
.LBB59_24:
	s_or_b64 exec, exec, s[6:7]
	v_and_b32_e32 v18, 3, v3
	v_sub_u32_e32 v20, v17, v18
	v_lshl_add_u32 v18, v20, 1, v16
	s_waitcnt lgkmcnt(0)
	s_barrier
	ds_read_u16 v22, v18
	ds_read_u16 v23, v18 offset:8
	s_mov_b32 s16, 1
	v_add_u32_e32 v19, v15, v20
	s_waitcnt lgkmcnt(1)
	v_cmp_u_f16_e64 s[4:5], v22, v22
	s_waitcnt lgkmcnt(0)
	v_cmp_o_f16_e64 s[6:7], v23, v23
	s_and_b64 s[6:7], s[4:5], s[6:7]
	v_cmp_gt_f16_e64 s[4:5], v22, v23
	s_or_b64 s[4:5], s[6:7], s[4:5]
	s_xor_b64 s[6:7], s[4:5], -1
	s_and_saveexec_b64 s[12:13], s[4:5]
	s_cbranch_execz .LBB59_26
; %bb.25:
	ds_read_u8 v21, v19
	s_andn2_b64 s[6:7], s[6:7], exec
	s_waitcnt lgkmcnt(0)
	v_and_b32_e32 v21, 1, v21
	v_cmp_eq_u32_e64 s[4:5], 1, v21
	s_xor_b64 s[4:5], s[4:5], -1
	s_and_b64 s[4:5], s[4:5], exec
	s_or_b64 s[6:7], s[6:7], s[4:5]
.LBB59_26:
	s_or_b64 exec, exec, s[12:13]
	v_mov_b32_e32 v24, s16
	s_and_saveexec_b64 s[4:5], s[6:7]
	s_cbranch_execz .LBB59_28
; %bb.27:
	ds_read_u8 v21, v19 offset:4
	s_waitcnt lgkmcnt(0)
	v_xor_b32_e32 v24, 1, v21
.LBB59_28:
	s_or_b64 exec, exec, s[4:5]
	v_bfe_u32 v21, v3, 2, 1
	v_lshl_add_u32 v20, v20, 3, v13
	v_cmp_eq_u32_e64 s[4:5], v24, v21
	s_and_saveexec_b64 s[6:7], s[4:5]
	s_cbranch_execz .LBB59_30
; %bb.29:
	ds_read2_b64 v[24:27], v20 offset1:4
	ds_read_u8 v28, v19 offset:4
	ds_read_u8 v29, v19
	ds_write_b16 v18, v23
	ds_write_b16 v18, v22 offset:8
	s_waitcnt lgkmcnt(4)
	ds_write2_b64 v20, v[26:27], v[24:25] offset1:4
	s_waitcnt lgkmcnt(4)
	ds_write_b8 v19, v28
	s_waitcnt lgkmcnt(4)
	ds_write_b8 v19, v29 offset:4
.LBB59_30:
	s_or_b64 exec, exec, s[6:7]
	s_waitcnt lgkmcnt(0)
	s_barrier
	ds_read_u16 v22, v11
	ds_read_u16 v23, v11 offset:4
                                        ; implicit-def: $sgpr16
	s_waitcnt lgkmcnt(1)
	v_cmp_u_f16_e64 s[4:5], v22, v22
	s_waitcnt lgkmcnt(0)
	v_cmp_o_f16_e64 s[6:7], v23, v23
	s_and_b64 s[6:7], s[4:5], s[6:7]
	v_cmp_gt_f16_e64 s[4:5], v22, v23
	s_or_b64 s[4:5], s[6:7], s[4:5]
	s_xor_b64 s[6:7], s[4:5], -1
	s_and_saveexec_b64 s[12:13], s[4:5]
	s_cbranch_execnz .LBB59_89
; %bb.31:
	s_or_b64 exec, exec, s[12:13]
	v_mov_b32_e32 v24, s16
	s_and_saveexec_b64 s[4:5], s[6:7]
	s_cbranch_execnz .LBB59_90
.LBB59_32:
	s_or_b64 exec, exec, s[4:5]
	v_cmp_eq_u32_e64 s[4:5], v24, v21
	s_and_saveexec_b64 s[6:7], s[4:5]
	s_cbranch_execz .LBB59_34
.LBB59_33:
	ds_read2_b64 v[24:27], v14 offset1:2
	ds_read_u8 v28, v12 offset:2
	ds_read_u8 v29, v12
	ds_write_b16 v11, v23
	ds_write_b16 v11, v22 offset:4
	s_waitcnt lgkmcnt(4)
	ds_write2_b64 v14, v[26:27], v[24:25] offset1:2
	s_waitcnt lgkmcnt(4)
	ds_write_b8 v12, v28
	s_waitcnt lgkmcnt(4)
	ds_write_b8 v12, v29 offset:2
.LBB59_34:
	s_or_b64 exec, exec, s[6:7]
	s_waitcnt lgkmcnt(0)
	s_barrier
	ds_read_b32 v22, v1
                                        ; implicit-def: $sgpr16
	s_waitcnt lgkmcnt(0)
	v_cmp_u_f16_e64 s[4:5], v22, v22
	v_cmp_o_f16_sdwa s[6:7], v22, v22 src0_sel:WORD_1 src1_sel:WORD_1
	s_and_b64 s[4:5], s[4:5], s[6:7]
	v_cmp_gt_f16_sdwa s[6:7], v22, v22 src0_sel:DWORD src1_sel:WORD_1
	s_or_b64 s[4:5], s[4:5], s[6:7]
	s_xor_b64 s[6:7], s[4:5], -1
	s_and_saveexec_b64 s[12:13], s[4:5]
	s_cbranch_execnz .LBB59_91
; %bb.35:
	s_or_b64 exec, exec, s[12:13]
	v_mov_b32_e32 v23, s16
	s_and_saveexec_b64 s[4:5], s[6:7]
	s_cbranch_execnz .LBB59_92
.LBB59_36:
	s_or_b64 exec, exec, s[4:5]
	v_cmp_eq_u32_e64 s[4:5], v23, v21
	s_and_saveexec_b64 s[6:7], s[4:5]
	s_cbranch_execz .LBB59_38
.LBB59_37:
	v_add_u32_e32 v21, v8, v10
	ds_read_b128 v[24:27], v21
	ds_read_u16 v28, v0
	v_alignbit_b32 v22, v22, v22, 16
	ds_write_b32 v1, v22
	s_mov_b32 s4, 0xc0c0001
	s_waitcnt lgkmcnt(2)
	v_mov_b32_e32 v22, v26
	v_mov_b32_e32 v23, v27
	ds_write_b128 v21, v[22:25]
	s_waitcnt lgkmcnt(2)
	v_perm_b32 v21, 0, v28, s4
	ds_write_b16 v0, v21
.LBB59_38:
	s_or_b64 exec, exec, s[6:7]
	v_and_b32_e32 v21, 7, v3
	v_sub_u32_e32 v23, v17, v21
	v_lshl_add_u32 v21, v23, 1, v16
	s_waitcnt lgkmcnt(0)
	s_barrier
	ds_read_u16 v25, v21
	ds_read_u16 v26, v21 offset:16
	s_mov_b32 s16, 1
	v_add_u32_e32 v22, v15, v23
	s_waitcnt lgkmcnt(1)
	v_cmp_u_f16_e64 s[4:5], v25, v25
	s_waitcnt lgkmcnt(0)
	v_cmp_o_f16_e64 s[6:7], v26, v26
	s_and_b64 s[6:7], s[4:5], s[6:7]
	v_cmp_gt_f16_e64 s[4:5], v25, v26
	s_or_b64 s[4:5], s[6:7], s[4:5]
	s_xor_b64 s[6:7], s[4:5], -1
	s_and_saveexec_b64 s[12:13], s[4:5]
	s_cbranch_execz .LBB59_40
; %bb.39:
	ds_read_u8 v24, v22
	s_andn2_b64 s[6:7], s[6:7], exec
	s_waitcnt lgkmcnt(0)
	v_and_b32_e32 v24, 1, v24
	v_cmp_eq_u32_e64 s[4:5], 1, v24
	s_xor_b64 s[4:5], s[4:5], -1
	s_and_b64 s[4:5], s[4:5], exec
	s_or_b64 s[6:7], s[6:7], s[4:5]
.LBB59_40:
	s_or_b64 exec, exec, s[12:13]
	v_mov_b32_e32 v27, s16
	s_and_saveexec_b64 s[4:5], s[6:7]
	s_cbranch_execz .LBB59_42
; %bb.41:
	ds_read_u8 v24, v22 offset:8
	s_waitcnt lgkmcnt(0)
	v_xor_b32_e32 v27, 1, v24
.LBB59_42:
	s_or_b64 exec, exec, s[4:5]
	v_bfe_u32 v24, v3, 3, 1
	v_lshl_add_u32 v23, v23, 3, v13
	v_cmp_eq_u32_e64 s[4:5], v27, v24
	s_and_saveexec_b64 s[6:7], s[4:5]
	s_cbranch_execz .LBB59_44
; %bb.43:
	ds_read2_b64 v[28:31], v23 offset1:8
	ds_read_u8 v27, v22 offset:8
	ds_read_u8 v32, v22
	ds_write_b16 v21, v26
	ds_write_b16 v21, v25 offset:16
	s_waitcnt lgkmcnt(4)
	ds_write2_b64 v23, v[30:31], v[28:29] offset1:8
	s_waitcnt lgkmcnt(4)
	ds_write_b8 v22, v27
	s_waitcnt lgkmcnt(4)
	ds_write_b8 v22, v32 offset:8
.LBB59_44:
	s_or_b64 exec, exec, s[6:7]
	s_waitcnt lgkmcnt(0)
	s_barrier
	ds_read_u16 v25, v18
	ds_read_u16 v26, v18 offset:8
                                        ; implicit-def: $sgpr16
	s_waitcnt lgkmcnt(1)
	v_cmp_u_f16_e64 s[4:5], v25, v25
	s_waitcnt lgkmcnt(0)
	v_cmp_o_f16_e64 s[6:7], v26, v26
	s_and_b64 s[6:7], s[4:5], s[6:7]
	v_cmp_gt_f16_e64 s[4:5], v25, v26
	s_or_b64 s[4:5], s[6:7], s[4:5]
	s_xor_b64 s[6:7], s[4:5], -1
	s_and_saveexec_b64 s[12:13], s[4:5]
	s_cbranch_execnz .LBB59_93
; %bb.45:
	s_or_b64 exec, exec, s[12:13]
	v_mov_b32_e32 v27, s16
	s_and_saveexec_b64 s[4:5], s[6:7]
	s_cbranch_execnz .LBB59_94
.LBB59_46:
	s_or_b64 exec, exec, s[4:5]
	v_cmp_eq_u32_e64 s[4:5], v27, v24
	s_and_saveexec_b64 s[6:7], s[4:5]
	s_cbranch_execz .LBB59_48
.LBB59_47:
	ds_read2_b64 v[28:31], v20 offset1:4
	ds_read_u8 v27, v19 offset:4
	ds_read_u8 v32, v19
	ds_write_b16 v18, v26
	ds_write_b16 v18, v25 offset:8
	s_waitcnt lgkmcnt(4)
	ds_write2_b64 v20, v[30:31], v[28:29] offset1:4
	s_waitcnt lgkmcnt(4)
	ds_write_b8 v19, v27
	s_waitcnt lgkmcnt(4)
	ds_write_b8 v19, v32 offset:4
.LBB59_48:
	s_or_b64 exec, exec, s[6:7]
	s_waitcnt lgkmcnt(0)
	s_barrier
	ds_read_u16 v25, v11
	ds_read_u16 v26, v11 offset:4
                                        ; implicit-def: $sgpr16
	s_waitcnt lgkmcnt(1)
	v_cmp_u_f16_e64 s[4:5], v25, v25
	s_waitcnt lgkmcnt(0)
	v_cmp_o_f16_e64 s[6:7], v26, v26
	s_and_b64 s[6:7], s[4:5], s[6:7]
	v_cmp_gt_f16_e64 s[4:5], v25, v26
	s_or_b64 s[4:5], s[6:7], s[4:5]
	s_xor_b64 s[6:7], s[4:5], -1
	s_and_saveexec_b64 s[12:13], s[4:5]
	s_cbranch_execnz .LBB59_95
; %bb.49:
	s_or_b64 exec, exec, s[12:13]
	v_mov_b32_e32 v27, s16
	s_and_saveexec_b64 s[4:5], s[6:7]
	s_cbranch_execnz .LBB59_96
.LBB59_50:
	s_or_b64 exec, exec, s[4:5]
	v_cmp_eq_u32_e64 s[4:5], v27, v24
	s_and_saveexec_b64 s[6:7], s[4:5]
	s_cbranch_execz .LBB59_52
.LBB59_51:
	ds_read2_b64 v[28:31], v14 offset1:2
	ds_read_u8 v27, v12 offset:2
	ds_read_u8 v32, v12
	ds_write_b16 v11, v26
	ds_write_b16 v11, v25 offset:4
	s_waitcnt lgkmcnt(4)
	ds_write2_b64 v14, v[30:31], v[28:29] offset1:2
	s_waitcnt lgkmcnt(4)
	ds_write_b8 v12, v27
	s_waitcnt lgkmcnt(4)
	ds_write_b8 v12, v32 offset:2
.LBB59_52:
	s_or_b64 exec, exec, s[6:7]
	s_waitcnt lgkmcnt(0)
	s_barrier
	ds_read_b32 v25, v1
                                        ; implicit-def: $sgpr16
	s_waitcnt lgkmcnt(0)
	v_cmp_u_f16_e64 s[4:5], v25, v25
	v_cmp_o_f16_sdwa s[6:7], v25, v25 src0_sel:WORD_1 src1_sel:WORD_1
	s_and_b64 s[4:5], s[4:5], s[6:7]
	v_cmp_gt_f16_sdwa s[6:7], v25, v25 src0_sel:DWORD src1_sel:WORD_1
	s_or_b64 s[4:5], s[4:5], s[6:7]
	s_xor_b64 s[6:7], s[4:5], -1
	s_and_saveexec_b64 s[12:13], s[4:5]
	s_cbranch_execnz .LBB59_97
; %bb.53:
	s_or_b64 exec, exec, s[12:13]
	v_mov_b32_e32 v26, s16
	s_and_saveexec_b64 s[4:5], s[6:7]
	s_cbranch_execnz .LBB59_98
.LBB59_54:
	s_or_b64 exec, exec, s[4:5]
	v_cmp_eq_u32_e64 s[4:5], v26, v24
	s_and_saveexec_b64 s[6:7], s[4:5]
	s_cbranch_execz .LBB59_56
.LBB59_55:
	v_add_u32_e32 v30, v8, v10
	ds_read_b128 v[26:29], v30
	ds_read_u16 v31, v0
	v_alignbit_b32 v24, v25, v25, 16
	ds_write_b32 v1, v24
	s_mov_b32 s4, 0xc0c0001
	s_waitcnt lgkmcnt(2)
	v_mov_b32_e32 v24, v28
	v_mov_b32_e32 v25, v29
	ds_write_b128 v30, v[24:27]
	s_waitcnt lgkmcnt(2)
	v_perm_b32 v24, 0, v31, s4
	ds_write_b16 v0, v24
.LBB59_56:
	s_or_b64 exec, exec, s[6:7]
	v_and_b32_e32 v24, 15, v3
	v_sub_u32_e32 v25, v17, v24
	v_lshl_add_u32 v16, v25, 1, v16
	s_waitcnt lgkmcnt(0)
	s_barrier
	ds_read_u16 v17, v16
	ds_read_u16 v24, v16 offset:32
	v_add_u32_e32 v15, v15, v25
	s_waitcnt lgkmcnt(1)
	v_cmp_u_f16_e64 s[4:5], v17, v17
	s_waitcnt lgkmcnt(0)
	v_cmp_o_f16_e64 s[6:7], v24, v24
	s_and_b64 s[6:7], s[4:5], s[6:7]
	v_cmp_gt_f16_e64 s[4:5], v17, v24
	s_or_b64 s[4:5], s[6:7], s[4:5]
	s_xor_b64 s[12:13], s[4:5], -1
	s_and_saveexec_b64 s[6:7], s[4:5]
	s_cbranch_execz .LBB59_58
; %bb.57:
	ds_read_u8 v26, v15
	s_andn2_b64 s[12:13], s[12:13], exec
	s_waitcnt lgkmcnt(0)
	v_and_b32_e32 v26, 1, v26
	v_cmp_eq_u32_e64 s[4:5], 1, v26
	s_xor_b64 s[4:5], s[4:5], -1
	s_and_b64 s[4:5], s[4:5], exec
	s_or_b64 s[12:13], s[12:13], s[4:5]
.LBB59_58:
	s_or_b64 exec, exec, s[6:7]
	s_and_saveexec_b64 s[6:7], s[12:13]
	s_cbranch_execz .LBB59_61
; %bb.59:
	ds_read_u8 v26, v15 offset:16
	s_waitcnt lgkmcnt(0)
	v_cmp_ne_u16_e64 s[4:5], 0, v26
	s_and_b64 exec, exec, s[4:5]
	s_cbranch_execz .LBB59_61
; %bb.60:
	v_lshl_add_u32 v13, v25, 3, v13
	ds_read2_b64 v[28:31], v13 offset1:16
	ds_read_u8 v25, v15
	ds_write_b16 v16, v24
	ds_write_b16 v16, v17 offset:32
	ds_write_b8 v15, v26
	s_waitcnt lgkmcnt(4)
	ds_write2_b64 v13, v[30:31], v[28:29] offset1:16
	s_waitcnt lgkmcnt(4)
	ds_write_b8 v15, v25 offset:16
.LBB59_61:
	s_or_b64 exec, exec, s[6:7]
	s_waitcnt lgkmcnt(0)
	s_barrier
	ds_read_u16 v13, v21
	ds_read_u16 v15, v21 offset:16
	s_waitcnt lgkmcnt(1)
	v_cmp_u_f16_e64 s[4:5], v13, v13
	s_waitcnt lgkmcnt(0)
	v_cmp_o_f16_e64 s[6:7], v15, v15
	s_and_b64 s[6:7], s[4:5], s[6:7]
	v_cmp_gt_f16_e64 s[4:5], v13, v15
	s_or_b64 s[4:5], s[6:7], s[4:5]
	s_xor_b64 s[12:13], s[4:5], -1
	s_and_saveexec_b64 s[6:7], s[4:5]
	s_cbranch_execz .LBB59_63
; %bb.62:
	ds_read_u8 v16, v22
	s_andn2_b64 s[12:13], s[12:13], exec
	s_waitcnt lgkmcnt(0)
	v_and_b32_e32 v16, 1, v16
	v_cmp_eq_u32_e64 s[4:5], 1, v16
	s_xor_b64 s[4:5], s[4:5], -1
	s_and_b64 s[4:5], s[4:5], exec
	s_or_b64 s[12:13], s[12:13], s[4:5]
.LBB59_63:
	s_or_b64 exec, exec, s[6:7]
	s_and_saveexec_b64 s[6:7], s[12:13]
	s_cbranch_execz .LBB59_66
; %bb.64:
	ds_read_u8 v16, v22 offset:8
	s_waitcnt lgkmcnt(0)
	v_cmp_ne_u16_e64 s[4:5], 0, v16
	s_and_b64 exec, exec, s[4:5]
	s_cbranch_execz .LBB59_66
; %bb.65:
	ds_read2_b64 v[24:27], v23 offset1:8
	ds_read_u8 v17, v22
	ds_write_b16 v21, v15
	ds_write_b16 v21, v13 offset:16
	ds_write_b8 v22, v16
	s_waitcnt lgkmcnt(4)
	ds_write2_b64 v23, v[26:27], v[24:25] offset1:8
	s_waitcnt lgkmcnt(4)
	ds_write_b8 v22, v17 offset:8
.LBB59_66:
	s_or_b64 exec, exec, s[6:7]
	s_waitcnt lgkmcnt(0)
	s_barrier
	ds_read_u16 v13, v18
	ds_read_u16 v15, v18 offset:8
	s_waitcnt lgkmcnt(1)
	v_cmp_u_f16_e64 s[4:5], v13, v13
	s_waitcnt lgkmcnt(0)
	v_cmp_o_f16_e64 s[6:7], v15, v15
	s_and_b64 s[6:7], s[4:5], s[6:7]
	v_cmp_gt_f16_e64 s[4:5], v13, v15
	s_or_b64 s[4:5], s[6:7], s[4:5]
	s_xor_b64 s[12:13], s[4:5], -1
	s_and_saveexec_b64 s[6:7], s[4:5]
	s_cbranch_execz .LBB59_68
; %bb.67:
	ds_read_u8 v16, v19
	s_andn2_b64 s[12:13], s[12:13], exec
	s_waitcnt lgkmcnt(0)
	v_and_b32_e32 v16, 1, v16
	v_cmp_eq_u32_e64 s[4:5], 1, v16
	s_xor_b64 s[4:5], s[4:5], -1
	s_and_b64 s[4:5], s[4:5], exec
	s_or_b64 s[12:13], s[12:13], s[4:5]
.LBB59_68:
	s_or_b64 exec, exec, s[6:7]
	s_and_saveexec_b64 s[6:7], s[12:13]
	s_cbranch_execz .LBB59_71
; %bb.69:
	ds_read_u8 v16, v19 offset:4
	s_waitcnt lgkmcnt(0)
	v_cmp_ne_u16_e64 s[4:5], 0, v16
	s_and_b64 exec, exec, s[4:5]
	s_cbranch_execz .LBB59_71
; %bb.70:
	ds_read2_b64 v[22:25], v20 offset1:4
	ds_read_u8 v17, v19
	ds_write_b16 v18, v15
	ds_write_b16 v18, v13 offset:8
	ds_write_b8 v19, v16
	s_waitcnt lgkmcnt(4)
	ds_write2_b64 v20, v[24:25], v[22:23] offset1:4
	s_waitcnt lgkmcnt(4)
	ds_write_b8 v19, v17 offset:4
.LBB59_71:
	;; [unrolled: 45-line block ×3, first 2 shown]
	s_or_b64 exec, exec, s[6:7]
	s_waitcnt lgkmcnt(0)
	s_barrier
	ds_read_b32 v11, v1
	s_waitcnt lgkmcnt(0)
	v_cmp_u_f16_e64 s[4:5], v11, v11
	v_cmp_o_f16_sdwa s[6:7], v11, v11 src0_sel:WORD_1 src1_sel:WORD_1
	s_and_b64 s[4:5], s[4:5], s[6:7]
	v_cmp_gt_f16_sdwa s[6:7], v11, v11 src0_sel:DWORD src1_sel:WORD_1
	s_or_b64 s[4:5], s[4:5], s[6:7]
	s_xor_b64 s[12:13], s[4:5], -1
	s_and_saveexec_b64 s[6:7], s[4:5]
	s_cbranch_execz .LBB59_78
; %bb.77:
	ds_read_u8 v12, v0
	s_andn2_b64 s[12:13], s[12:13], exec
	s_waitcnt lgkmcnt(0)
	v_and_b32_e32 v12, 1, v12
	v_cmp_eq_u32_e64 s[4:5], 1, v12
	s_xor_b64 s[4:5], s[4:5], -1
	s_and_b64 s[4:5], s[4:5], exec
	s_or_b64 s[12:13], s[12:13], s[4:5]
.LBB59_78:
	s_or_b64 exec, exec, s[6:7]
	s_and_saveexec_b64 s[6:7], s[12:13]
	s_cbranch_execz .LBB59_81
; %bb.79:
	ds_read_u8 v12, v0 offset:1
	s_waitcnt lgkmcnt(0)
	v_cmp_ne_u16_e64 s[4:5], 0, v12
	s_and_b64 exec, exec, s[4:5]
	s_cbranch_execz .LBB59_81
; %bb.80:
	v_add_u32_e32 v10, v8, v10
	v_alignbit_b32 v11, v11, v11, 16
	ds_read_b128 v[14:17], v10
	ds_write_b32 v1, v11
	ds_read_u8 v1, v0
	s_waitcnt lgkmcnt(2)
	v_mov_b32_e32 v18, v14
	v_mov_b32_e32 v19, v15
	s_waitcnt lgkmcnt(0)
	v_lshlrev_b16_e32 v1, 8, v1
	v_or_b32_e32 v1, v12, v1
	ds_write_b128 v10, v[16:19]
	ds_write_b16 v0, v1
.LBB59_81:
	s_or_b64 exec, exec, s[6:7]
	s_waitcnt lgkmcnt(0)
	s_barrier
	s_and_saveexec_b64 s[4:5], vcc
	s_cbranch_execz .LBB59_86
; %bb.82:
	s_and_saveexec_b64 s[4:5], s[0:1]
	s_cbranch_execz .LBB59_84
; %bb.83:
	v_mad_u64_u32 v[0:1], s[0:1], v3, s14, v[4:5]
	ds_read_u16 v12, v9
	v_mov_b32_e32 v1, 0
	v_lshlrev_b64 v[10:11], 1, v[0:1]
	v_mov_b32_e32 v0, s9
	v_add_co_u32_e32 v10, vcc, s8, v10
	v_addc_co_u32_e32 v11, vcc, v0, v11, vcc
	ds_read_b64 v[8:9], v8
	s_waitcnt lgkmcnt(1)
	global_store_short v[10:11], v12, off
	v_mad_u64_u32 v[10:11], s[0:1], v3, s15, v[2:3]
	v_mov_b32_e32 v11, v1
	v_lshlrev_b64 v[0:1], 3, v[10:11]
	v_mov_b32_e32 v3, s11
	v_add_co_u32_e32 v0, vcc, s10, v0
	v_addc_co_u32_e32 v1, vcc, v3, v1, vcc
	s_waitcnt lgkmcnt(0)
	global_store_dwordx2 v[0:1], v[8:9], off
.LBB59_84:
	s_or_b64 exec, exec, s[4:5]
	s_and_b64 exec, exec, s[2:3]
	s_cbranch_execz .LBB59_86
; %bb.85:
	v_mad_u64_u32 v[0:1], s[0:1], v5, s14, v[4:5]
	ds_read_u16 v3, v7
	v_mov_b32_e32 v1, 0
	v_lshlrev_b64 v[8:9], 1, v[0:1]
	v_mov_b32_e32 v0, s9
	v_add_co_u32_e32 v8, vcc, s8, v8
	v_addc_co_u32_e32 v9, vcc, v0, v9, vcc
	ds_read_b64 v[6:7], v6
	s_waitcnt lgkmcnt(1)
	global_store_short v[8:9], v3, off
	v_mad_u64_u32 v[2:3], s[0:1], v5, s15, v[2:3]
	v_mov_b32_e32 v3, v1
	v_lshlrev_b64 v[0:1], 3, v[2:3]
	v_mov_b32_e32 v2, s11
	v_add_co_u32_e32 v0, vcc, s10, v0
	v_addc_co_u32_e32 v1, vcc, v2, v1, vcc
	s_waitcnt lgkmcnt(0)
	global_store_dwordx2 v[0:1], v[6:7], off
.LBB59_86:
	s_endpgm
.LBB59_87:
	ds_read_u8 v20, v0
	s_andn2_b64 s[6:7], s[6:7], exec
	s_mov_b32 s16, 1
	s_waitcnt lgkmcnt(0)
	v_and_b32_e32 v20, 1, v20
	v_cmp_eq_u32_e64 s[4:5], 1, v20
	s_xor_b64 s[4:5], s[4:5], -1
	s_and_b64 s[4:5], s[4:5], exec
	s_or_b64 s[6:7], s[6:7], s[4:5]
	s_or_b64 exec, exec, s[12:13]
	v_mov_b32_e32 v20, s16
	s_and_saveexec_b64 s[4:5], s[6:7]
	s_cbranch_execz .LBB59_22
.LBB59_88:
	ds_read_u8 v20, v0 offset:1
	s_waitcnt lgkmcnt(0)
	v_xor_b32_e32 v20, 1, v20
	s_or_b64 exec, exec, s[4:5]
	v_cmp_eq_u32_e64 s[4:5], v20, v18
	s_and_saveexec_b64 s[6:7], s[4:5]
	s_cbranch_execnz .LBB59_23
	s_branch .LBB59_24
.LBB59_89:
	ds_read_u8 v24, v12
	s_andn2_b64 s[6:7], s[6:7], exec
	s_mov_b32 s16, 1
	s_waitcnt lgkmcnt(0)
	v_and_b32_e32 v24, 1, v24
	v_cmp_eq_u32_e64 s[4:5], 1, v24
	s_xor_b64 s[4:5], s[4:5], -1
	s_and_b64 s[4:5], s[4:5], exec
	s_or_b64 s[6:7], s[6:7], s[4:5]
	s_or_b64 exec, exec, s[12:13]
	v_mov_b32_e32 v24, s16
	s_and_saveexec_b64 s[4:5], s[6:7]
	s_cbranch_execz .LBB59_32
.LBB59_90:
	ds_read_u8 v24, v12 offset:2
	s_waitcnt lgkmcnt(0)
	v_xor_b32_e32 v24, 1, v24
	s_or_b64 exec, exec, s[4:5]
	v_cmp_eq_u32_e64 s[4:5], v24, v21
	s_and_saveexec_b64 s[6:7], s[4:5]
	s_cbranch_execnz .LBB59_33
	s_branch .LBB59_34
.LBB59_91:
	ds_read_u8 v23, v0
	s_andn2_b64 s[6:7], s[6:7], exec
	s_mov_b32 s16, 1
	s_waitcnt lgkmcnt(0)
	v_and_b32_e32 v23, 1, v23
	v_cmp_eq_u32_e64 s[4:5], 1, v23
	s_xor_b64 s[4:5], s[4:5], -1
	s_and_b64 s[4:5], s[4:5], exec
	s_or_b64 s[6:7], s[6:7], s[4:5]
	s_or_b64 exec, exec, s[12:13]
	v_mov_b32_e32 v23, s16
	s_and_saveexec_b64 s[4:5], s[6:7]
	s_cbranch_execz .LBB59_36
.LBB59_92:
	ds_read_u8 v23, v0 offset:1
	s_waitcnt lgkmcnt(0)
	v_xor_b32_e32 v23, 1, v23
	s_or_b64 exec, exec, s[4:5]
	v_cmp_eq_u32_e64 s[4:5], v23, v21
	s_and_saveexec_b64 s[6:7], s[4:5]
	s_cbranch_execnz .LBB59_37
	s_branch .LBB59_38
.LBB59_93:
	ds_read_u8 v27, v19
	s_andn2_b64 s[6:7], s[6:7], exec
	s_mov_b32 s16, 1
	s_waitcnt lgkmcnt(0)
	v_and_b32_e32 v27, 1, v27
	v_cmp_eq_u32_e64 s[4:5], 1, v27
	s_xor_b64 s[4:5], s[4:5], -1
	s_and_b64 s[4:5], s[4:5], exec
	s_or_b64 s[6:7], s[6:7], s[4:5]
	s_or_b64 exec, exec, s[12:13]
	v_mov_b32_e32 v27, s16
	s_and_saveexec_b64 s[4:5], s[6:7]
	s_cbranch_execz .LBB59_46
.LBB59_94:
	ds_read_u8 v27, v19 offset:4
	s_waitcnt lgkmcnt(0)
	v_xor_b32_e32 v27, 1, v27
	s_or_b64 exec, exec, s[4:5]
	v_cmp_eq_u32_e64 s[4:5], v27, v24
	s_and_saveexec_b64 s[6:7], s[4:5]
	s_cbranch_execnz .LBB59_47
	s_branch .LBB59_48
.LBB59_95:
	ds_read_u8 v27, v12
	s_andn2_b64 s[6:7], s[6:7], exec
	s_mov_b32 s16, 1
	s_waitcnt lgkmcnt(0)
	v_and_b32_e32 v27, 1, v27
	v_cmp_eq_u32_e64 s[4:5], 1, v27
	s_xor_b64 s[4:5], s[4:5], -1
	s_and_b64 s[4:5], s[4:5], exec
	s_or_b64 s[6:7], s[6:7], s[4:5]
	s_or_b64 exec, exec, s[12:13]
	v_mov_b32_e32 v27, s16
	s_and_saveexec_b64 s[4:5], s[6:7]
	s_cbranch_execz .LBB59_50
.LBB59_96:
	ds_read_u8 v27, v12 offset:2
	s_waitcnt lgkmcnt(0)
	v_xor_b32_e32 v27, 1, v27
	s_or_b64 exec, exec, s[4:5]
	v_cmp_eq_u32_e64 s[4:5], v27, v24
	s_and_saveexec_b64 s[6:7], s[4:5]
	s_cbranch_execnz .LBB59_51
	s_branch .LBB59_52
.LBB59_97:
	ds_read_u8 v26, v0
	s_andn2_b64 s[6:7], s[6:7], exec
	s_mov_b32 s16, 1
	s_waitcnt lgkmcnt(0)
	v_and_b32_e32 v26, 1, v26
	v_cmp_eq_u32_e64 s[4:5], 1, v26
	s_xor_b64 s[4:5], s[4:5], -1
	s_and_b64 s[4:5], s[4:5], exec
	s_or_b64 s[6:7], s[6:7], s[4:5]
	s_or_b64 exec, exec, s[12:13]
	v_mov_b32_e32 v26, s16
	s_and_saveexec_b64 s[4:5], s[6:7]
	s_cbranch_execz .LBB59_54
.LBB59_98:
	ds_read_u8 v26, v0 offset:1
	s_waitcnt lgkmcnt(0)
	v_xor_b32_e32 v26, 1, v26
	s_or_b64 exec, exec, s[4:5]
	v_cmp_eq_u32_e64 s[4:5], v26, v24
	s_and_saveexec_b64 s[6:7], s[4:5]
	s_cbranch_execnz .LBB59_55
	s_branch .LBB59_56
	.section	.rodata,"a",@progbits
	.p2align	6, 0x0
	.amdhsa_kernel _ZN2at6native20bitonicSortKVInPlaceILi2ELin1ELi16ELi16EN3c104HalfElNS0_4GTOpIS3_Lb1EEEjEEvNS_4cuda6detail10TensorInfoIT3_T6_EESA_SA_SA_NS8_IT4_SA_EESA_T5_
		.amdhsa_group_segment_fixed_size 5632
		.amdhsa_private_segment_fixed_size 0
		.amdhsa_kernarg_size 712
		.amdhsa_user_sgpr_count 6
		.amdhsa_user_sgpr_private_segment_buffer 1
		.amdhsa_user_sgpr_dispatch_ptr 0
		.amdhsa_user_sgpr_queue_ptr 0
		.amdhsa_user_sgpr_kernarg_segment_ptr 1
		.amdhsa_user_sgpr_dispatch_id 0
		.amdhsa_user_sgpr_flat_scratch_init 0
		.amdhsa_user_sgpr_kernarg_preload_length 0
		.amdhsa_user_sgpr_kernarg_preload_offset 0
		.amdhsa_user_sgpr_private_segment_size 0
		.amdhsa_uses_dynamic_stack 0
		.amdhsa_system_sgpr_private_segment_wavefront_offset 0
		.amdhsa_system_sgpr_workgroup_id_x 1
		.amdhsa_system_sgpr_workgroup_id_y 1
		.amdhsa_system_sgpr_workgroup_id_z 1
		.amdhsa_system_sgpr_workgroup_info 0
		.amdhsa_system_vgpr_workitem_id 1
		.amdhsa_next_free_vgpr 33
		.amdhsa_next_free_sgpr 20
		.amdhsa_accum_offset 36
		.amdhsa_reserve_vcc 1
		.amdhsa_reserve_flat_scratch 0
		.amdhsa_float_round_mode_32 0
		.amdhsa_float_round_mode_16_64 0
		.amdhsa_float_denorm_mode_32 3
		.amdhsa_float_denorm_mode_16_64 3
		.amdhsa_dx10_clamp 1
		.amdhsa_ieee_mode 1
		.amdhsa_fp16_overflow 0
		.amdhsa_tg_split 0
		.amdhsa_exception_fp_ieee_invalid_op 0
		.amdhsa_exception_fp_denorm_src 0
		.amdhsa_exception_fp_ieee_div_zero 0
		.amdhsa_exception_fp_ieee_overflow 0
		.amdhsa_exception_fp_ieee_underflow 0
		.amdhsa_exception_fp_ieee_inexact 0
		.amdhsa_exception_int_div_zero 0
	.end_amdhsa_kernel
	.section	.text._ZN2at6native20bitonicSortKVInPlaceILi2ELin1ELi16ELi16EN3c104HalfElNS0_4GTOpIS3_Lb1EEEjEEvNS_4cuda6detail10TensorInfoIT3_T6_EESA_SA_SA_NS8_IT4_SA_EESA_T5_,"axG",@progbits,_ZN2at6native20bitonicSortKVInPlaceILi2ELin1ELi16ELi16EN3c104HalfElNS0_4GTOpIS3_Lb1EEEjEEvNS_4cuda6detail10TensorInfoIT3_T6_EESA_SA_SA_NS8_IT4_SA_EESA_T5_,comdat
.Lfunc_end59:
	.size	_ZN2at6native20bitonicSortKVInPlaceILi2ELin1ELi16ELi16EN3c104HalfElNS0_4GTOpIS3_Lb1EEEjEEvNS_4cuda6detail10TensorInfoIT3_T6_EESA_SA_SA_NS8_IT4_SA_EESA_T5_, .Lfunc_end59-_ZN2at6native20bitonicSortKVInPlaceILi2ELin1ELi16ELi16EN3c104HalfElNS0_4GTOpIS3_Lb1EEEjEEvNS_4cuda6detail10TensorInfoIT3_T6_EESA_SA_SA_NS8_IT4_SA_EESA_T5_
                                        ; -- End function
	.section	.AMDGPU.csdata,"",@progbits
; Kernel info:
; codeLenInByte = 5240
; NumSgprs: 24
; NumVgprs: 33
; NumAgprs: 0
; TotalNumVgprs: 33
; ScratchSize: 0
; MemoryBound: 0
; FloatMode: 240
; IeeeMode: 1
; LDSByteSize: 5632 bytes/workgroup (compile time only)
; SGPRBlocks: 2
; VGPRBlocks: 4
; NumSGPRsForWavesPerEU: 24
; NumVGPRsForWavesPerEU: 33
; AccumOffset: 36
; Occupancy: 8
; WaveLimiterHint : 1
; COMPUTE_PGM_RSRC2:SCRATCH_EN: 0
; COMPUTE_PGM_RSRC2:USER_SGPR: 6
; COMPUTE_PGM_RSRC2:TRAP_HANDLER: 0
; COMPUTE_PGM_RSRC2:TGID_X_EN: 1
; COMPUTE_PGM_RSRC2:TGID_Y_EN: 1
; COMPUTE_PGM_RSRC2:TGID_Z_EN: 1
; COMPUTE_PGM_RSRC2:TIDIG_COMP_CNT: 1
; COMPUTE_PGM_RSRC3_GFX90A:ACCUM_OFFSET: 8
; COMPUTE_PGM_RSRC3_GFX90A:TG_SPLIT: 0
	.section	.text._ZN2at6native20bitonicSortKVInPlaceILin1ELin1ELi16ELi16EN3c104HalfElNS0_4LTOpIS3_Lb1EEEjEEvNS_4cuda6detail10TensorInfoIT3_T6_EESA_SA_SA_NS8_IT4_SA_EESA_T5_,"axG",@progbits,_ZN2at6native20bitonicSortKVInPlaceILin1ELin1ELi16ELi16EN3c104HalfElNS0_4LTOpIS3_Lb1EEEjEEvNS_4cuda6detail10TensorInfoIT3_T6_EESA_SA_SA_NS8_IT4_SA_EESA_T5_,comdat
	.protected	_ZN2at6native20bitonicSortKVInPlaceILin1ELin1ELi16ELi16EN3c104HalfElNS0_4LTOpIS3_Lb1EEEjEEvNS_4cuda6detail10TensorInfoIT3_T6_EESA_SA_SA_NS8_IT4_SA_EESA_T5_ ; -- Begin function _ZN2at6native20bitonicSortKVInPlaceILin1ELin1ELi16ELi16EN3c104HalfElNS0_4LTOpIS3_Lb1EEEjEEvNS_4cuda6detail10TensorInfoIT3_T6_EESA_SA_SA_NS8_IT4_SA_EESA_T5_
	.globl	_ZN2at6native20bitonicSortKVInPlaceILin1ELin1ELi16ELi16EN3c104HalfElNS0_4LTOpIS3_Lb1EEEjEEvNS_4cuda6detail10TensorInfoIT3_T6_EESA_SA_SA_NS8_IT4_SA_EESA_T5_
	.p2align	8
	.type	_ZN2at6native20bitonicSortKVInPlaceILin1ELin1ELi16ELi16EN3c104HalfElNS0_4LTOpIS3_Lb1EEEjEEvNS_4cuda6detail10TensorInfoIT3_T6_EESA_SA_SA_NS8_IT4_SA_EESA_T5_,@function
_ZN2at6native20bitonicSortKVInPlaceILin1ELin1ELi16ELi16EN3c104HalfElNS0_4LTOpIS3_Lb1EEEjEEvNS_4cuda6detail10TensorInfoIT3_T6_EESA_SA_SA_NS8_IT4_SA_EESA_T5_: ; @_ZN2at6native20bitonicSortKVInPlaceILin1ELin1ELi16ELi16EN3c104HalfElNS0_4LTOpIS3_Lb1EEEjEEvNS_4cuda6detail10TensorInfoIT3_T6_EESA_SA_SA_NS8_IT4_SA_EESA_T5_
; %bb.0:
	s_load_dwordx2 s[2:3], s[4:5], 0x1c8
	s_load_dwordx4 s[12:15], s[4:5], 0xd8
	s_load_dword s9, s[4:5], 0x1d4
	s_add_u32 s0, s4, 0x1c8
	s_addc_u32 s1, s5, 0
	s_waitcnt lgkmcnt(0)
	s_mul_i32 s3, s3, s8
	s_add_i32 s3, s3, s7
	s_mul_i32 s2, s3, s2
	s_add_i32 s3, s2, s6
	s_lshr_b32 s2, s9, 16
	s_mul_i32 s3, s3, s2
	s_cmp_ge_u32 s3, s12
	s_cbranch_scc1 .LBB60_89
; %bb.1:
	s_load_dword s2, s[4:5], 0xd0
	v_bfe_u32 v8, v0, 10, 10
	v_add_u32_e32 v1, s3, v8
	v_mov_b32_e32 v2, 0
	v_mov_b32_e32 v4, v1
	s_waitcnt lgkmcnt(0)
	s_cmp_lt_i32 s2, 2
	s_cbranch_scc1 .LBB60_4
; %bb.2:
	s_add_i32 s6, s2, 1
	s_add_i32 s2, s2, -1
	s_mov_b32 s3, 0
	s_lshl_b64 s[2:3], s[2:3], 2
	s_add_u32 s2, s2, s4
	s_addc_u32 s3, s3, s5
	s_add_u32 s2, s2, 8
	s_addc_u32 s3, s3, 0
	v_mov_b32_e32 v2, 0
	v_mov_b32_e32 v4, v1
.LBB60_3:                               ; =>This Inner Loop Header: Depth=1
	s_load_dword s7, s[2:3], 0x0
	s_load_dword s8, s[2:3], 0x64
	v_mov_b32_e32 v3, v4
	s_add_i32 s6, s6, -1
	s_waitcnt lgkmcnt(0)
	v_cvt_f32_u32_e32 v4, s7
	s_sub_i32 s9, 0, s7
	s_add_u32 s2, s2, -4
	s_addc_u32 s3, s3, -1
	v_rcp_iflag_f32_e32 v4, v4
	s_cmp_gt_u32 s6, 2
	v_mul_f32_e32 v4, 0x4f7ffffe, v4
	v_cvt_u32_f32_e32 v4, v4
	v_mul_lo_u32 v5, s9, v4
	v_mul_hi_u32 v5, v4, v5
	v_add_u32_e32 v4, v4, v5
	v_mul_hi_u32 v4, v3, v4
	v_mul_lo_u32 v5, v4, s7
	v_sub_u32_e32 v5, v3, v5
	v_add_u32_e32 v6, 1, v4
	v_cmp_le_u32_e32 vcc, s7, v5
	v_cndmask_b32_e32 v4, v4, v6, vcc
	v_subrev_u32_e32 v6, s7, v5
	v_cndmask_b32_e32 v5, v5, v6, vcc
	v_add_u32_e32 v6, 1, v4
	v_cmp_le_u32_e32 vcc, s7, v5
	v_cndmask_b32_e32 v4, v4, v6, vcc
	v_mul_lo_u32 v5, v4, s7
	v_sub_u32_e32 v3, v3, v5
	v_mad_u64_u32 v[2:3], s[8:9], s8, v3, v[2:3]
	s_cbranch_scc1 .LBB60_3
.LBB60_4:
	s_load_dword s2, s[4:5], 0x1b8
	v_mov_b32_e32 v6, 0
	v_mov_b32_e32 v3, v1
	s_waitcnt lgkmcnt(0)
	s_cmp_lt_i32 s2, 2
	s_cbranch_scc1 .LBB60_7
; %bb.5:
	s_add_i32 s6, s2, 1
	s_add_i32 s2, s2, -1
	s_mov_b32 s3, 0
	s_lshl_b64 s[2:3], s[2:3], 2
	s_add_u32 s2, s2, s4
	s_addc_u32 s3, s3, s5
	s_add_u32 s2, s2, 0xf0
	s_addc_u32 s3, s3, 0
	v_mov_b32_e32 v6, 0
	v_mov_b32_e32 v3, v1
.LBB60_6:                               ; =>This Inner Loop Header: Depth=1
	s_load_dword s7, s[2:3], 0x0
	s_load_dword s8, s[2:3], 0x64
	v_mov_b32_e32 v5, v3
	s_add_i32 s6, s6, -1
	s_waitcnt lgkmcnt(0)
	v_cvt_f32_u32_e32 v3, s7
	s_sub_i32 s9, 0, s7
	s_add_u32 s2, s2, -4
	s_addc_u32 s3, s3, -1
	v_rcp_iflag_f32_e32 v3, v3
	s_cmp_gt_u32 s6, 2
	v_mul_f32_e32 v3, 0x4f7ffffe, v3
	v_cvt_u32_f32_e32 v3, v3
	v_mul_lo_u32 v7, s9, v3
	v_mul_hi_u32 v7, v3, v7
	v_add_u32_e32 v3, v3, v7
	v_mul_hi_u32 v3, v5, v3
	v_mul_lo_u32 v7, v3, s7
	v_sub_u32_e32 v7, v5, v7
	v_add_u32_e32 v9, 1, v3
	v_cmp_le_u32_e32 vcc, s7, v7
	v_cndmask_b32_e32 v3, v3, v9, vcc
	v_subrev_u32_e32 v9, s7, v7
	v_cndmask_b32_e32 v7, v7, v9, vcc
	v_add_u32_e32 v9, 1, v3
	v_cmp_le_u32_e32 vcc, s7, v7
	v_cndmask_b32_e32 v3, v3, v9, vcc
	v_mul_lo_u32 v7, v3, s7
	v_sub_u32_e32 v5, v5, v7
	v_mad_u64_u32 v[6:7], s[8:9], s8, v5, v[6:7]
	s_cbranch_scc1 .LBB60_6
.LBB60_7:
	s_load_dword s2, s[4:5], 0x6c
	v_cmp_gt_u32_e32 vcc, s12, v1
	v_mov_b32_e32 v10, 0
	s_waitcnt lgkmcnt(0)
	v_mad_u64_u32 v[4:5], s[2:3], s2, v4, v[2:3]
	s_load_dword s15, s[4:5], 0x1c0
	s_load_dword s2, s[4:5], 0x154
	s_load_dwordx2 s[10:11], s[4:5], 0x0
	s_load_dwordx2 s[8:9], s[4:5], 0xe8
	s_load_dword s12, s[0:1], 0xc
	v_mov_b32_e32 v5, 0
	s_waitcnt lgkmcnt(0)
	v_mad_u64_u32 v[2:3], s[2:3], s2, v3, v[6:7]
	v_and_b32_e32 v3, 0x3ff, v0
	v_cmp_gt_u32_e64 s[0:1], s13, v3
	v_pk_mov_b32 v[0:1], 0, 0
	s_and_b64 s[4:5], vcc, s[0:1]
	v_pk_mov_b32 v[6:7], v[0:1], v[0:1] op_sel:[0,1]
	s_and_saveexec_b64 s[6:7], s[4:5]
	s_cbranch_execz .LBB60_9
; %bb.8:
	v_mad_u64_u32 v[6:7], s[2:3], v3, s14, v[4:5]
	v_mov_b32_e32 v7, 0
	v_lshlrev_b64 v[12:13], 1, v[6:7]
	v_mov_b32_e32 v5, s11
	v_add_co_u32_e64 v12, s[2:3], s10, v12
	v_addc_co_u32_e64 v13, s[2:3], v5, v13, s[2:3]
	global_load_ushort v5, v[12:13], off
	v_mad_u64_u32 v[12:13], s[2:3], v3, s15, v[2:3]
	v_mov_b32_e32 v13, v7
	v_lshlrev_b64 v[6:7], 3, v[12:13]
	v_mov_b32_e32 v9, s9
	v_add_co_u32_e64 v6, s[2:3], s8, v6
	v_addc_co_u32_e64 v7, s[2:3], v9, v7, s[2:3]
	global_load_dwordx2 v[6:7], v[6:7], off
.LBB60_9:
	s_or_b64 exec, exec, s[6:7]
	v_mov_b32_e32 v9, 0x1000
	v_lshl_add_u32 v16, v8, 6, v9
	v_mov_b32_e32 v9, 0x1400
	v_lshl_add_u32 v15, v8, 5, v9
	v_lshl_add_u32 v9, v3, 1, v16
	s_and_b32 s16, 0xffff, s12
	v_cndmask_b32_e64 v11, 0, 1, s[4:5]
	s_waitcnt vmcnt(1)
	ds_write_b16 v9, v5
	v_add_u32_e32 v5, v15, v3
	ds_write_b8 v5, v11
	v_add_u32_e32 v5, s16, v3
	v_lshlrev_b32_e32 v13, 8, v8
	v_cmp_gt_u32_e64 s[2:3], s13, v5
	v_lshl_add_u32 v8, v3, 3, v13
	s_and_b64 s[6:7], vcc, s[2:3]
	s_waitcnt vmcnt(0)
	ds_write_b64 v8, v[6:7]
	s_and_saveexec_b64 s[12:13], s[6:7]
	s_cbranch_execz .LBB60_11
; %bb.10:
	v_mad_u64_u32 v[0:1], s[4:5], v5, s14, v[4:5]
	v_mov_b32_e32 v1, 0
	v_lshlrev_b64 v[6:7], 1, v[0:1]
	v_mov_b32_e32 v0, s11
	v_add_co_u32_e64 v6, s[4:5], s10, v6
	v_addc_co_u32_e64 v7, s[4:5], v0, v7, s[4:5]
	global_load_ushort v10, v[6:7], off
	v_mad_u64_u32 v[6:7], s[4:5], v5, s15, v[2:3]
	v_mov_b32_e32 v7, v1
	v_lshlrev_b64 v[0:1], 3, v[6:7]
	v_mov_b32_e32 v6, s9
	v_add_co_u32_e64 v0, s[4:5], s8, v0
	v_addc_co_u32_e64 v1, s[4:5], v6, v1, s[4:5]
	global_load_dwordx2 v[0:1], v[0:1], off
.LBB60_11:
	s_or_b64 exec, exec, s[12:13]
	v_lshl_add_u32 v6, s16, 3, v8
	v_lshlrev_b32_e32 v17, 1, v3
	v_cndmask_b32_e64 v11, 0, 1, s[6:7]
	v_lshl_add_u32 v7, s16, 1, v9
	s_waitcnt vmcnt(0)
	ds_write_b64 v6, v[0:1]
	v_add_u32_e32 v0, v15, v5
	v_add_u32_e32 v1, v9, v17
	ds_write_b16 v7, v10
	ds_write_b8 v0, v11
	s_waitcnt lgkmcnt(0)
	s_barrier
	ds_read_b32 v11, v1
	v_add_u32_e32 v0, v15, v17
                                        ; implicit-def: $sgpr16
	s_waitcnt lgkmcnt(0)
	v_cmp_u_f16_sdwa s[6:7], v11, v11 src0_sel:WORD_1 src1_sel:WORD_1
	v_cmp_o_f16_e64 s[4:5], v11, v11
	s_and_b64 s[4:5], s[6:7], s[4:5]
	v_cmp_lt_f16_sdwa s[6:7], v11, v11 src0_sel:DWORD src1_sel:WORD_1
	s_or_b64 s[4:5], s[4:5], s[6:7]
	s_xor_b64 s[6:7], s[4:5], -1
	s_and_saveexec_b64 s[12:13], s[4:5]
	s_xor_b64 s[12:13], exec, s[12:13]
	s_cbranch_execz .LBB60_13
; %bb.12:
	ds_read_u8 v10, v0
	s_andn2_b64 s[6:7], s[6:7], exec
	s_mov_b32 s16, 1
	s_waitcnt lgkmcnt(0)
	v_and_b32_e32 v10, 1, v10
	v_cmp_eq_u32_e64 s[4:5], 1, v10
	s_xor_b64 s[4:5], s[4:5], -1
	s_and_b64 s[4:5], s[4:5], exec
	s_or_b64 s[6:7], s[6:7], s[4:5]
.LBB60_13:
	s_or_b64 exec, exec, s[12:13]
	v_mov_b32_e32 v14, s16
	s_and_saveexec_b64 s[4:5], s[6:7]
	s_cbranch_execz .LBB60_15
; %bb.14:
	ds_read_u8 v10, v0 offset:1
	s_waitcnt lgkmcnt(0)
	v_xor_b32_e32 v14, 1, v10
.LBB60_15:
	s_or_b64 exec, exec, s[4:5]
	v_and_b32_e32 v12, 1, v3
	v_lshlrev_b32_e32 v10, 3, v3
	v_cmp_eq_u32_e64 s[4:5], v14, v12
	s_and_saveexec_b64 s[6:7], s[4:5]
	s_cbranch_execz .LBB60_17
; %bb.16:
	v_add_u32_e32 v14, v8, v10
	v_alignbit_b32 v11, v11, v11, 16
	ds_read_b128 v[18:21], v14
	ds_write_b32 v1, v11
	ds_read_u16 v11, v0
	s_mov_b32 s4, 0xc0c0001
	s_waitcnt lgkmcnt(2)
	v_mov_b32_e32 v22, v18
	v_mov_b32_e32 v23, v19
	s_waitcnt lgkmcnt(0)
	v_perm_b32 v11, 0, v11, s4
	ds_write_b128 v14, v[20:23]
	ds_write_b16 v0, v11
.LBB60_17:
	s_or_b64 exec, exec, s[6:7]
	v_sub_u32_e32 v14, v17, v12
	v_lshl_add_u32 v11, v14, 1, v16
	s_waitcnt lgkmcnt(0)
	s_barrier
	ds_read_u16 v20, v11 offset:4
	ds_read_u16 v19, v11
	v_add_u32_e32 v12, v15, v14
                                        ; implicit-def: $sgpr12
	s_waitcnt lgkmcnt(1)
	v_cmp_u_f16_e64 s[4:5], v20, v20
	s_waitcnt lgkmcnt(0)
	v_cmp_o_f16_e64 s[6:7], v19, v19
	s_and_b64 s[6:7], s[4:5], s[6:7]
	v_cmp_lt_f16_e64 s[4:5], v19, v20
	s_or_b64 s[6:7], s[6:7], s[4:5]
	s_mov_b64 s[4:5], -1
	s_and_saveexec_b64 s[16:17], s[6:7]
	s_xor_b64 s[6:7], exec, s[16:17]
	s_cbranch_execz .LBB60_19
; %bb.18:
	ds_read_u8 v18, v12
	s_mov_b32 s12, 1
	s_waitcnt lgkmcnt(0)
	v_and_b32_e32 v18, 1, v18
	v_cmp_eq_u32_e64 s[4:5], 1, v18
	s_xor_b64 s[4:5], s[4:5], -1
	s_orn2_b64 s[4:5], s[4:5], exec
.LBB60_19:
	s_or_b64 exec, exec, s[6:7]
	v_mov_b32_e32 v21, s12
	s_and_saveexec_b64 s[6:7], s[4:5]
	s_cbranch_execz .LBB60_21
; %bb.20:
	ds_read_u8 v18, v12 offset:2
	s_waitcnt lgkmcnt(0)
	v_xor_b32_e32 v21, 1, v18
.LBB60_21:
	s_or_b64 exec, exec, s[6:7]
	v_bfe_u32 v18, v3, 1, 1
	v_lshl_add_u32 v14, v14, 3, v13
	v_cmp_eq_u32_e64 s[4:5], v21, v18
	s_and_saveexec_b64 s[6:7], s[4:5]
	s_cbranch_execz .LBB60_23
; %bb.22:
	ds_read2_b64 v[22:25], v14 offset1:2
	ds_read_u8 v21, v12 offset:2
	ds_read_u8 v26, v12
	ds_write_b16 v11, v20
	ds_write_b16 v11, v19 offset:4
	s_waitcnt lgkmcnt(4)
	ds_write2_b64 v14, v[24:25], v[22:23] offset1:2
	s_waitcnt lgkmcnt(4)
	ds_write_b8 v12, v21
	s_waitcnt lgkmcnt(4)
	ds_write_b8 v12, v26 offset:2
.LBB60_23:
	s_or_b64 exec, exec, s[6:7]
	s_waitcnt lgkmcnt(0)
	s_barrier
	ds_read_b32 v19, v1
                                        ; implicit-def: $sgpr16
	s_waitcnt lgkmcnt(0)
	v_cmp_u_f16_sdwa s[6:7], v19, v19 src0_sel:WORD_1 src1_sel:WORD_1
	v_cmp_o_f16_e64 s[4:5], v19, v19
	s_and_b64 s[4:5], s[6:7], s[4:5]
	v_cmp_lt_f16_sdwa s[6:7], v19, v19 src0_sel:DWORD src1_sel:WORD_1
	s_or_b64 s[4:5], s[4:5], s[6:7]
	s_xor_b64 s[6:7], s[4:5], -1
	s_and_saveexec_b64 s[12:13], s[4:5]
	s_cbranch_execnz .LBB60_90
; %bb.24:
	s_or_b64 exec, exec, s[12:13]
	v_mov_b32_e32 v20, s16
	s_and_saveexec_b64 s[4:5], s[6:7]
	s_cbranch_execnz .LBB60_91
.LBB60_25:
	s_or_b64 exec, exec, s[4:5]
	v_cmp_eq_u32_e64 s[4:5], v20, v18
	s_and_saveexec_b64 s[6:7], s[4:5]
	s_cbranch_execz .LBB60_27
.LBB60_26:
	v_add_u32_e32 v24, v8, v10
	ds_read_b128 v[20:23], v24
	ds_read_u16 v25, v0
	v_alignbit_b32 v18, v19, v19, 16
	ds_write_b32 v1, v18
	s_mov_b32 s4, 0xc0c0001
	s_waitcnt lgkmcnt(2)
	v_mov_b32_e32 v18, v22
	v_mov_b32_e32 v19, v23
	ds_write_b128 v24, v[18:21]
	s_waitcnt lgkmcnt(2)
	v_perm_b32 v18, 0, v25, s4
	ds_write_b16 v0, v18
.LBB60_27:
	s_or_b64 exec, exec, s[6:7]
	v_and_b32_e32 v18, 3, v3
	v_sub_u32_e32 v20, v17, v18
	v_lshl_add_u32 v18, v20, 1, v16
	s_waitcnt lgkmcnt(0)
	s_barrier
	ds_read_u16 v23, v18 offset:8
	ds_read_u16 v22, v18
	s_mov_b32 s16, 1
	v_add_u32_e32 v19, v15, v20
	s_waitcnt lgkmcnt(1)
	v_cmp_u_f16_e64 s[4:5], v23, v23
	s_waitcnt lgkmcnt(0)
	v_cmp_o_f16_e64 s[6:7], v22, v22
	s_and_b64 s[6:7], s[4:5], s[6:7]
	v_cmp_lt_f16_e64 s[4:5], v22, v23
	s_or_b64 s[4:5], s[6:7], s[4:5]
	s_xor_b64 s[6:7], s[4:5], -1
	s_and_saveexec_b64 s[12:13], s[4:5]
	s_cbranch_execz .LBB60_29
; %bb.28:
	ds_read_u8 v21, v19
	s_andn2_b64 s[6:7], s[6:7], exec
	s_waitcnt lgkmcnt(0)
	v_and_b32_e32 v21, 1, v21
	v_cmp_eq_u32_e64 s[4:5], 1, v21
	s_xor_b64 s[4:5], s[4:5], -1
	s_and_b64 s[4:5], s[4:5], exec
	s_or_b64 s[6:7], s[6:7], s[4:5]
.LBB60_29:
	s_or_b64 exec, exec, s[12:13]
	v_mov_b32_e32 v24, s16
	s_and_saveexec_b64 s[4:5], s[6:7]
	s_cbranch_execz .LBB60_31
; %bb.30:
	ds_read_u8 v21, v19 offset:4
	s_waitcnt lgkmcnt(0)
	v_xor_b32_e32 v24, 1, v21
.LBB60_31:
	s_or_b64 exec, exec, s[4:5]
	v_bfe_u32 v21, v3, 2, 1
	v_lshl_add_u32 v20, v20, 3, v13
	v_cmp_eq_u32_e64 s[4:5], v24, v21
	s_and_saveexec_b64 s[6:7], s[4:5]
	s_cbranch_execz .LBB60_33
; %bb.32:
	ds_read2_b64 v[24:27], v20 offset1:4
	ds_read_u8 v28, v19 offset:4
	ds_read_u8 v29, v19
	ds_write_b16 v18, v23
	ds_write_b16 v18, v22 offset:8
	s_waitcnt lgkmcnt(4)
	ds_write2_b64 v20, v[26:27], v[24:25] offset1:4
	s_waitcnt lgkmcnt(4)
	ds_write_b8 v19, v28
	s_waitcnt lgkmcnt(4)
	ds_write_b8 v19, v29 offset:4
.LBB60_33:
	s_or_b64 exec, exec, s[6:7]
	s_waitcnt lgkmcnt(0)
	s_barrier
	ds_read_u16 v23, v11 offset:4
	ds_read_u16 v22, v11
                                        ; implicit-def: $sgpr16
	s_waitcnt lgkmcnt(1)
	v_cmp_u_f16_e64 s[4:5], v23, v23
	s_waitcnt lgkmcnt(0)
	v_cmp_o_f16_e64 s[6:7], v22, v22
	s_and_b64 s[6:7], s[4:5], s[6:7]
	v_cmp_lt_f16_e64 s[4:5], v22, v23
	s_or_b64 s[4:5], s[6:7], s[4:5]
	s_xor_b64 s[6:7], s[4:5], -1
	s_and_saveexec_b64 s[12:13], s[4:5]
	s_cbranch_execnz .LBB60_92
; %bb.34:
	s_or_b64 exec, exec, s[12:13]
	v_mov_b32_e32 v24, s16
	s_and_saveexec_b64 s[4:5], s[6:7]
	s_cbranch_execnz .LBB60_93
.LBB60_35:
	s_or_b64 exec, exec, s[4:5]
	v_cmp_eq_u32_e64 s[4:5], v24, v21
	s_and_saveexec_b64 s[6:7], s[4:5]
	s_cbranch_execz .LBB60_37
.LBB60_36:
	ds_read2_b64 v[24:27], v14 offset1:2
	ds_read_u8 v28, v12 offset:2
	ds_read_u8 v29, v12
	ds_write_b16 v11, v23
	ds_write_b16 v11, v22 offset:4
	s_waitcnt lgkmcnt(4)
	ds_write2_b64 v14, v[26:27], v[24:25] offset1:2
	s_waitcnt lgkmcnt(4)
	ds_write_b8 v12, v28
	s_waitcnt lgkmcnt(4)
	ds_write_b8 v12, v29 offset:2
.LBB60_37:
	s_or_b64 exec, exec, s[6:7]
	s_waitcnt lgkmcnt(0)
	s_barrier
	ds_read_b32 v22, v1
                                        ; implicit-def: $sgpr16
	s_waitcnt lgkmcnt(0)
	v_cmp_u_f16_sdwa s[6:7], v22, v22 src0_sel:WORD_1 src1_sel:WORD_1
	v_cmp_o_f16_e64 s[4:5], v22, v22
	s_and_b64 s[4:5], s[6:7], s[4:5]
	v_cmp_lt_f16_sdwa s[6:7], v22, v22 src0_sel:DWORD src1_sel:WORD_1
	s_or_b64 s[4:5], s[4:5], s[6:7]
	s_xor_b64 s[6:7], s[4:5], -1
	s_and_saveexec_b64 s[12:13], s[4:5]
	s_cbranch_execnz .LBB60_94
; %bb.38:
	s_or_b64 exec, exec, s[12:13]
	v_mov_b32_e32 v23, s16
	s_and_saveexec_b64 s[4:5], s[6:7]
	s_cbranch_execnz .LBB60_95
.LBB60_39:
	s_or_b64 exec, exec, s[4:5]
	v_cmp_eq_u32_e64 s[4:5], v23, v21
	s_and_saveexec_b64 s[6:7], s[4:5]
	s_cbranch_execz .LBB60_41
.LBB60_40:
	v_add_u32_e32 v21, v8, v10
	ds_read_b128 v[24:27], v21
	ds_read_u16 v28, v0
	v_alignbit_b32 v22, v22, v22, 16
	ds_write_b32 v1, v22
	s_mov_b32 s4, 0xc0c0001
	s_waitcnt lgkmcnt(2)
	v_mov_b32_e32 v22, v26
	v_mov_b32_e32 v23, v27
	ds_write_b128 v21, v[22:25]
	s_waitcnt lgkmcnt(2)
	v_perm_b32 v21, 0, v28, s4
	ds_write_b16 v0, v21
.LBB60_41:
	s_or_b64 exec, exec, s[6:7]
	v_and_b32_e32 v21, 7, v3
	v_sub_u32_e32 v23, v17, v21
	v_lshl_add_u32 v21, v23, 1, v16
	s_waitcnt lgkmcnt(0)
	s_barrier
	ds_read_u16 v26, v21 offset:16
	ds_read_u16 v25, v21
	s_mov_b32 s16, 1
	v_add_u32_e32 v22, v15, v23
	s_waitcnt lgkmcnt(1)
	v_cmp_u_f16_e64 s[4:5], v26, v26
	s_waitcnt lgkmcnt(0)
	v_cmp_o_f16_e64 s[6:7], v25, v25
	s_and_b64 s[6:7], s[4:5], s[6:7]
	v_cmp_lt_f16_e64 s[4:5], v25, v26
	s_or_b64 s[4:5], s[6:7], s[4:5]
	s_xor_b64 s[6:7], s[4:5], -1
	s_and_saveexec_b64 s[12:13], s[4:5]
	s_cbranch_execz .LBB60_43
; %bb.42:
	ds_read_u8 v24, v22
	s_andn2_b64 s[6:7], s[6:7], exec
	s_waitcnt lgkmcnt(0)
	v_and_b32_e32 v24, 1, v24
	v_cmp_eq_u32_e64 s[4:5], 1, v24
	s_xor_b64 s[4:5], s[4:5], -1
	s_and_b64 s[4:5], s[4:5], exec
	s_or_b64 s[6:7], s[6:7], s[4:5]
.LBB60_43:
	s_or_b64 exec, exec, s[12:13]
	v_mov_b32_e32 v27, s16
	s_and_saveexec_b64 s[4:5], s[6:7]
	s_cbranch_execz .LBB60_45
; %bb.44:
	ds_read_u8 v24, v22 offset:8
	s_waitcnt lgkmcnt(0)
	v_xor_b32_e32 v27, 1, v24
.LBB60_45:
	s_or_b64 exec, exec, s[4:5]
	v_bfe_u32 v24, v3, 3, 1
	v_lshl_add_u32 v23, v23, 3, v13
	v_cmp_eq_u32_e64 s[4:5], v27, v24
	s_and_saveexec_b64 s[6:7], s[4:5]
	s_cbranch_execz .LBB60_47
; %bb.46:
	ds_read2_b64 v[28:31], v23 offset1:8
	ds_read_u8 v27, v22 offset:8
	ds_read_u8 v32, v22
	ds_write_b16 v21, v26
	ds_write_b16 v21, v25 offset:16
	s_waitcnt lgkmcnt(4)
	ds_write2_b64 v23, v[30:31], v[28:29] offset1:8
	s_waitcnt lgkmcnt(4)
	ds_write_b8 v22, v27
	s_waitcnt lgkmcnt(4)
	ds_write_b8 v22, v32 offset:8
.LBB60_47:
	s_or_b64 exec, exec, s[6:7]
	s_waitcnt lgkmcnt(0)
	s_barrier
	ds_read_u16 v26, v18 offset:8
	ds_read_u16 v25, v18
                                        ; implicit-def: $sgpr16
	s_waitcnt lgkmcnt(1)
	v_cmp_u_f16_e64 s[4:5], v26, v26
	s_waitcnt lgkmcnt(0)
	v_cmp_o_f16_e64 s[6:7], v25, v25
	s_and_b64 s[6:7], s[4:5], s[6:7]
	v_cmp_lt_f16_e64 s[4:5], v25, v26
	s_or_b64 s[4:5], s[6:7], s[4:5]
	s_xor_b64 s[6:7], s[4:5], -1
	s_and_saveexec_b64 s[12:13], s[4:5]
	s_cbranch_execnz .LBB60_96
; %bb.48:
	s_or_b64 exec, exec, s[12:13]
	v_mov_b32_e32 v27, s16
	s_and_saveexec_b64 s[4:5], s[6:7]
	s_cbranch_execnz .LBB60_97
.LBB60_49:
	s_or_b64 exec, exec, s[4:5]
	v_cmp_eq_u32_e64 s[4:5], v27, v24
	s_and_saveexec_b64 s[6:7], s[4:5]
	s_cbranch_execz .LBB60_51
.LBB60_50:
	ds_read2_b64 v[28:31], v20 offset1:4
	ds_read_u8 v27, v19 offset:4
	ds_read_u8 v32, v19
	ds_write_b16 v18, v26
	ds_write_b16 v18, v25 offset:8
	s_waitcnt lgkmcnt(4)
	ds_write2_b64 v20, v[30:31], v[28:29] offset1:4
	s_waitcnt lgkmcnt(4)
	ds_write_b8 v19, v27
	s_waitcnt lgkmcnt(4)
	ds_write_b8 v19, v32 offset:4
.LBB60_51:
	s_or_b64 exec, exec, s[6:7]
	s_waitcnt lgkmcnt(0)
	s_barrier
	ds_read_u16 v26, v11 offset:4
	ds_read_u16 v25, v11
                                        ; implicit-def: $sgpr16
	s_waitcnt lgkmcnt(1)
	v_cmp_u_f16_e64 s[4:5], v26, v26
	s_waitcnt lgkmcnt(0)
	v_cmp_o_f16_e64 s[6:7], v25, v25
	s_and_b64 s[6:7], s[4:5], s[6:7]
	v_cmp_lt_f16_e64 s[4:5], v25, v26
	s_or_b64 s[4:5], s[6:7], s[4:5]
	s_xor_b64 s[6:7], s[4:5], -1
	s_and_saveexec_b64 s[12:13], s[4:5]
	s_cbranch_execnz .LBB60_98
; %bb.52:
	s_or_b64 exec, exec, s[12:13]
	v_mov_b32_e32 v27, s16
	s_and_saveexec_b64 s[4:5], s[6:7]
	s_cbranch_execnz .LBB60_99
.LBB60_53:
	s_or_b64 exec, exec, s[4:5]
	v_cmp_eq_u32_e64 s[4:5], v27, v24
	s_and_saveexec_b64 s[6:7], s[4:5]
	s_cbranch_execz .LBB60_55
.LBB60_54:
	ds_read2_b64 v[28:31], v14 offset1:2
	ds_read_u8 v27, v12 offset:2
	ds_read_u8 v32, v12
	ds_write_b16 v11, v26
	ds_write_b16 v11, v25 offset:4
	s_waitcnt lgkmcnt(4)
	ds_write2_b64 v14, v[30:31], v[28:29] offset1:2
	s_waitcnt lgkmcnt(4)
	ds_write_b8 v12, v27
	s_waitcnt lgkmcnt(4)
	ds_write_b8 v12, v32 offset:2
.LBB60_55:
	s_or_b64 exec, exec, s[6:7]
	s_waitcnt lgkmcnt(0)
	s_barrier
	ds_read_b32 v25, v1
                                        ; implicit-def: $sgpr16
	s_waitcnt lgkmcnt(0)
	v_cmp_u_f16_sdwa s[6:7], v25, v25 src0_sel:WORD_1 src1_sel:WORD_1
	v_cmp_o_f16_e64 s[4:5], v25, v25
	s_and_b64 s[4:5], s[6:7], s[4:5]
	v_cmp_lt_f16_sdwa s[6:7], v25, v25 src0_sel:DWORD src1_sel:WORD_1
	s_or_b64 s[4:5], s[4:5], s[6:7]
	s_xor_b64 s[6:7], s[4:5], -1
	s_and_saveexec_b64 s[12:13], s[4:5]
	s_cbranch_execnz .LBB60_100
; %bb.56:
	s_or_b64 exec, exec, s[12:13]
	v_mov_b32_e32 v26, s16
	s_and_saveexec_b64 s[4:5], s[6:7]
	s_cbranch_execnz .LBB60_101
.LBB60_57:
	s_or_b64 exec, exec, s[4:5]
	v_cmp_eq_u32_e64 s[4:5], v26, v24
	s_and_saveexec_b64 s[6:7], s[4:5]
	s_cbranch_execz .LBB60_59
.LBB60_58:
	v_add_u32_e32 v30, v8, v10
	ds_read_b128 v[26:29], v30
	ds_read_u16 v31, v0
	v_alignbit_b32 v24, v25, v25, 16
	ds_write_b32 v1, v24
	s_mov_b32 s4, 0xc0c0001
	s_waitcnt lgkmcnt(2)
	v_mov_b32_e32 v24, v28
	v_mov_b32_e32 v25, v29
	ds_write_b128 v30, v[24:27]
	s_waitcnt lgkmcnt(2)
	v_perm_b32 v24, 0, v31, s4
	ds_write_b16 v0, v24
.LBB60_59:
	s_or_b64 exec, exec, s[6:7]
	v_and_b32_e32 v24, 15, v3
	v_sub_u32_e32 v25, v17, v24
	v_lshl_add_u32 v16, v25, 1, v16
	s_waitcnt lgkmcnt(0)
	s_barrier
	ds_read_u16 v24, v16 offset:32
	ds_read_u16 v17, v16
	v_add_u32_e32 v15, v15, v25
	s_waitcnt lgkmcnt(1)
	v_cmp_u_f16_e64 s[4:5], v24, v24
	s_waitcnt lgkmcnt(0)
	v_cmp_o_f16_e64 s[6:7], v17, v17
	s_and_b64 s[6:7], s[4:5], s[6:7]
	v_cmp_lt_f16_e64 s[4:5], v17, v24
	s_or_b64 s[4:5], s[6:7], s[4:5]
	s_xor_b64 s[12:13], s[4:5], -1
	s_and_saveexec_b64 s[6:7], s[4:5]
	s_cbranch_execz .LBB60_61
; %bb.60:
	ds_read_u8 v26, v15
	s_andn2_b64 s[12:13], s[12:13], exec
	s_waitcnt lgkmcnt(0)
	v_and_b32_e32 v26, 1, v26
	v_cmp_eq_u32_e64 s[4:5], 1, v26
	s_xor_b64 s[4:5], s[4:5], -1
	s_and_b64 s[4:5], s[4:5], exec
	s_or_b64 s[12:13], s[12:13], s[4:5]
.LBB60_61:
	s_or_b64 exec, exec, s[6:7]
	s_and_saveexec_b64 s[6:7], s[12:13]
	s_cbranch_execz .LBB60_64
; %bb.62:
	ds_read_u8 v26, v15 offset:16
	s_waitcnt lgkmcnt(0)
	v_cmp_ne_u16_e64 s[4:5], 0, v26
	s_and_b64 exec, exec, s[4:5]
	s_cbranch_execz .LBB60_64
; %bb.63:
	v_lshl_add_u32 v13, v25, 3, v13
	ds_read2_b64 v[28:31], v13 offset1:16
	ds_read_u8 v25, v15
	ds_write_b16 v16, v24
	ds_write_b16 v16, v17 offset:32
	ds_write_b8 v15, v26
	s_waitcnt lgkmcnt(4)
	ds_write2_b64 v13, v[30:31], v[28:29] offset1:16
	s_waitcnt lgkmcnt(4)
	ds_write_b8 v15, v25 offset:16
.LBB60_64:
	s_or_b64 exec, exec, s[6:7]
	s_waitcnt lgkmcnt(0)
	s_barrier
	ds_read_u16 v15, v21 offset:16
	ds_read_u16 v13, v21
	s_waitcnt lgkmcnt(1)
	v_cmp_u_f16_e64 s[4:5], v15, v15
	s_waitcnt lgkmcnt(0)
	v_cmp_o_f16_e64 s[6:7], v13, v13
	s_and_b64 s[6:7], s[4:5], s[6:7]
	v_cmp_lt_f16_e64 s[4:5], v13, v15
	s_or_b64 s[4:5], s[6:7], s[4:5]
	s_xor_b64 s[12:13], s[4:5], -1
	s_and_saveexec_b64 s[6:7], s[4:5]
	s_cbranch_execz .LBB60_66
; %bb.65:
	ds_read_u8 v16, v22
	s_andn2_b64 s[12:13], s[12:13], exec
	s_waitcnt lgkmcnt(0)
	v_and_b32_e32 v16, 1, v16
	v_cmp_eq_u32_e64 s[4:5], 1, v16
	s_xor_b64 s[4:5], s[4:5], -1
	s_and_b64 s[4:5], s[4:5], exec
	s_or_b64 s[12:13], s[12:13], s[4:5]
.LBB60_66:
	s_or_b64 exec, exec, s[6:7]
	s_and_saveexec_b64 s[6:7], s[12:13]
	s_cbranch_execz .LBB60_69
; %bb.67:
	ds_read_u8 v16, v22 offset:8
	s_waitcnt lgkmcnt(0)
	v_cmp_ne_u16_e64 s[4:5], 0, v16
	s_and_b64 exec, exec, s[4:5]
	s_cbranch_execz .LBB60_69
; %bb.68:
	ds_read2_b64 v[24:27], v23 offset1:8
	ds_read_u8 v17, v22
	ds_write_b16 v21, v15
	ds_write_b16 v21, v13 offset:16
	ds_write_b8 v22, v16
	s_waitcnt lgkmcnt(4)
	ds_write2_b64 v23, v[26:27], v[24:25] offset1:8
	s_waitcnt lgkmcnt(4)
	ds_write_b8 v22, v17 offset:8
.LBB60_69:
	s_or_b64 exec, exec, s[6:7]
	s_waitcnt lgkmcnt(0)
	s_barrier
	ds_read_u16 v15, v18 offset:8
	ds_read_u16 v13, v18
	s_waitcnt lgkmcnt(1)
	v_cmp_u_f16_e64 s[4:5], v15, v15
	s_waitcnt lgkmcnt(0)
	v_cmp_o_f16_e64 s[6:7], v13, v13
	s_and_b64 s[6:7], s[4:5], s[6:7]
	v_cmp_lt_f16_e64 s[4:5], v13, v15
	s_or_b64 s[4:5], s[6:7], s[4:5]
	s_xor_b64 s[12:13], s[4:5], -1
	s_and_saveexec_b64 s[6:7], s[4:5]
	s_cbranch_execz .LBB60_71
; %bb.70:
	ds_read_u8 v16, v19
	s_andn2_b64 s[12:13], s[12:13], exec
	s_waitcnt lgkmcnt(0)
	v_and_b32_e32 v16, 1, v16
	v_cmp_eq_u32_e64 s[4:5], 1, v16
	s_xor_b64 s[4:5], s[4:5], -1
	s_and_b64 s[4:5], s[4:5], exec
	s_or_b64 s[12:13], s[12:13], s[4:5]
.LBB60_71:
	s_or_b64 exec, exec, s[6:7]
	s_and_saveexec_b64 s[6:7], s[12:13]
	s_cbranch_execz .LBB60_74
; %bb.72:
	ds_read_u8 v16, v19 offset:4
	s_waitcnt lgkmcnt(0)
	v_cmp_ne_u16_e64 s[4:5], 0, v16
	s_and_b64 exec, exec, s[4:5]
	s_cbranch_execz .LBB60_74
; %bb.73:
	ds_read2_b64 v[22:25], v20 offset1:4
	ds_read_u8 v17, v19
	ds_write_b16 v18, v15
	ds_write_b16 v18, v13 offset:8
	ds_write_b8 v19, v16
	s_waitcnt lgkmcnt(4)
	ds_write2_b64 v20, v[24:25], v[22:23] offset1:4
	s_waitcnt lgkmcnt(4)
	ds_write_b8 v19, v17 offset:4
.LBB60_74:
	s_or_b64 exec, exec, s[6:7]
	s_waitcnt lgkmcnt(0)
	s_barrier
	ds_read_u16 v15, v11 offset:4
	ds_read_u16 v13, v11
	s_waitcnt lgkmcnt(1)
	v_cmp_u_f16_e64 s[4:5], v15, v15
	s_waitcnt lgkmcnt(0)
	v_cmp_o_f16_e64 s[6:7], v13, v13
	s_and_b64 s[6:7], s[4:5], s[6:7]
	v_cmp_lt_f16_e64 s[4:5], v13, v15
	s_or_b64 s[4:5], s[6:7], s[4:5]
	s_xor_b64 s[12:13], s[4:5], -1
	s_and_saveexec_b64 s[6:7], s[4:5]
	s_cbranch_execz .LBB60_76
; %bb.75:
	ds_read_u8 v16, v12
	s_andn2_b64 s[12:13], s[12:13], exec
	s_waitcnt lgkmcnt(0)
	v_and_b32_e32 v16, 1, v16
	v_cmp_eq_u32_e64 s[4:5], 1, v16
	s_xor_b64 s[4:5], s[4:5], -1
	s_and_b64 s[4:5], s[4:5], exec
	s_or_b64 s[12:13], s[12:13], s[4:5]
.LBB60_76:
	s_or_b64 exec, exec, s[6:7]
	s_and_saveexec_b64 s[6:7], s[12:13]
	s_cbranch_execz .LBB60_79
; %bb.77:
	ds_read_u8 v16, v12 offset:2
	s_waitcnt lgkmcnt(0)
	v_cmp_ne_u16_e64 s[4:5], 0, v16
	s_and_b64 exec, exec, s[4:5]
	s_cbranch_execz .LBB60_79
; %bb.78:
	ds_read2_b64 v[18:21], v14 offset1:2
	ds_read_u8 v17, v12
	ds_write_b16 v11, v15
	ds_write_b16 v11, v13 offset:4
	ds_write_b8 v12, v16
	s_waitcnt lgkmcnt(4)
	ds_write2_b64 v14, v[20:21], v[18:19] offset1:2
	s_waitcnt lgkmcnt(4)
	ds_write_b8 v12, v17 offset:2
.LBB60_79:
	s_or_b64 exec, exec, s[6:7]
	s_waitcnt lgkmcnt(0)
	s_barrier
	ds_read_b32 v11, v1
	s_waitcnt lgkmcnt(0)
	v_cmp_u_f16_sdwa s[6:7], v11, v11 src0_sel:WORD_1 src1_sel:WORD_1
	v_cmp_o_f16_e64 s[4:5], v11, v11
	s_and_b64 s[4:5], s[6:7], s[4:5]
	v_cmp_lt_f16_sdwa s[6:7], v11, v11 src0_sel:DWORD src1_sel:WORD_1
	s_or_b64 s[4:5], s[4:5], s[6:7]
	s_xor_b64 s[12:13], s[4:5], -1
	s_and_saveexec_b64 s[6:7], s[4:5]
	s_cbranch_execz .LBB60_81
; %bb.80:
	ds_read_u8 v12, v0
	s_andn2_b64 s[12:13], s[12:13], exec
	s_waitcnt lgkmcnt(0)
	v_and_b32_e32 v12, 1, v12
	v_cmp_eq_u32_e64 s[4:5], 1, v12
	s_xor_b64 s[4:5], s[4:5], -1
	s_and_b64 s[4:5], s[4:5], exec
	s_or_b64 s[12:13], s[12:13], s[4:5]
.LBB60_81:
	s_or_b64 exec, exec, s[6:7]
	s_and_saveexec_b64 s[6:7], s[12:13]
	s_cbranch_execz .LBB60_84
; %bb.82:
	ds_read_u8 v12, v0 offset:1
	s_waitcnt lgkmcnt(0)
	v_cmp_ne_u16_e64 s[4:5], 0, v12
	s_and_b64 exec, exec, s[4:5]
	s_cbranch_execz .LBB60_84
; %bb.83:
	v_add_u32_e32 v10, v8, v10
	v_alignbit_b32 v11, v11, v11, 16
	ds_read_b128 v[14:17], v10
	ds_write_b32 v1, v11
	ds_read_u8 v1, v0
	s_waitcnt lgkmcnt(2)
	v_mov_b32_e32 v18, v14
	v_mov_b32_e32 v19, v15
	s_waitcnt lgkmcnt(0)
	v_lshlrev_b16_e32 v1, 8, v1
	v_or_b32_e32 v1, v12, v1
	ds_write_b128 v10, v[16:19]
	ds_write_b16 v0, v1
.LBB60_84:
	s_or_b64 exec, exec, s[6:7]
	s_waitcnt lgkmcnt(0)
	s_barrier
	s_and_saveexec_b64 s[4:5], vcc
	s_cbranch_execz .LBB60_89
; %bb.85:
	s_and_saveexec_b64 s[4:5], s[0:1]
	s_cbranch_execz .LBB60_87
; %bb.86:
	v_mad_u64_u32 v[0:1], s[0:1], v3, s14, v[4:5]
	ds_read_u16 v12, v9
	v_mov_b32_e32 v1, 0
	v_lshlrev_b64 v[10:11], 1, v[0:1]
	v_mov_b32_e32 v0, s11
	v_add_co_u32_e32 v10, vcc, s10, v10
	v_addc_co_u32_e32 v11, vcc, v0, v11, vcc
	ds_read_b64 v[8:9], v8
	s_waitcnt lgkmcnt(1)
	global_store_short v[10:11], v12, off
	v_mad_u64_u32 v[10:11], s[0:1], v3, s15, v[2:3]
	v_mov_b32_e32 v11, v1
	v_lshlrev_b64 v[0:1], 3, v[10:11]
	v_mov_b32_e32 v3, s9
	v_add_co_u32_e32 v0, vcc, s8, v0
	v_addc_co_u32_e32 v1, vcc, v3, v1, vcc
	s_waitcnt lgkmcnt(0)
	global_store_dwordx2 v[0:1], v[8:9], off
.LBB60_87:
	s_or_b64 exec, exec, s[4:5]
	s_and_b64 exec, exec, s[2:3]
	s_cbranch_execz .LBB60_89
; %bb.88:
	v_mad_u64_u32 v[0:1], s[0:1], v5, s14, v[4:5]
	ds_read_u16 v3, v7
	v_mov_b32_e32 v1, 0
	v_lshlrev_b64 v[8:9], 1, v[0:1]
	v_mov_b32_e32 v0, s11
	v_add_co_u32_e32 v8, vcc, s10, v8
	v_addc_co_u32_e32 v9, vcc, v0, v9, vcc
	ds_read_b64 v[6:7], v6
	s_waitcnt lgkmcnt(1)
	global_store_short v[8:9], v3, off
	v_mad_u64_u32 v[2:3], s[0:1], v5, s15, v[2:3]
	v_mov_b32_e32 v3, v1
	v_lshlrev_b64 v[0:1], 3, v[2:3]
	v_mov_b32_e32 v2, s9
	v_add_co_u32_e32 v0, vcc, s8, v0
	v_addc_co_u32_e32 v1, vcc, v2, v1, vcc
	s_waitcnt lgkmcnt(0)
	global_store_dwordx2 v[0:1], v[6:7], off
.LBB60_89:
	s_endpgm
.LBB60_90:
	ds_read_u8 v20, v0
	s_andn2_b64 s[6:7], s[6:7], exec
	s_mov_b32 s16, 1
	s_waitcnt lgkmcnt(0)
	v_and_b32_e32 v20, 1, v20
	v_cmp_eq_u32_e64 s[4:5], 1, v20
	s_xor_b64 s[4:5], s[4:5], -1
	s_and_b64 s[4:5], s[4:5], exec
	s_or_b64 s[6:7], s[6:7], s[4:5]
	s_or_b64 exec, exec, s[12:13]
	v_mov_b32_e32 v20, s16
	s_and_saveexec_b64 s[4:5], s[6:7]
	s_cbranch_execz .LBB60_25
.LBB60_91:
	ds_read_u8 v20, v0 offset:1
	s_waitcnt lgkmcnt(0)
	v_xor_b32_e32 v20, 1, v20
	s_or_b64 exec, exec, s[4:5]
	v_cmp_eq_u32_e64 s[4:5], v20, v18
	s_and_saveexec_b64 s[6:7], s[4:5]
	s_cbranch_execnz .LBB60_26
	s_branch .LBB60_27
.LBB60_92:
	ds_read_u8 v24, v12
	s_andn2_b64 s[6:7], s[6:7], exec
	s_mov_b32 s16, 1
	s_waitcnt lgkmcnt(0)
	v_and_b32_e32 v24, 1, v24
	v_cmp_eq_u32_e64 s[4:5], 1, v24
	s_xor_b64 s[4:5], s[4:5], -1
	s_and_b64 s[4:5], s[4:5], exec
	s_or_b64 s[6:7], s[6:7], s[4:5]
	s_or_b64 exec, exec, s[12:13]
	v_mov_b32_e32 v24, s16
	s_and_saveexec_b64 s[4:5], s[6:7]
	s_cbranch_execz .LBB60_35
.LBB60_93:
	ds_read_u8 v24, v12 offset:2
	s_waitcnt lgkmcnt(0)
	v_xor_b32_e32 v24, 1, v24
	s_or_b64 exec, exec, s[4:5]
	v_cmp_eq_u32_e64 s[4:5], v24, v21
	s_and_saveexec_b64 s[6:7], s[4:5]
	s_cbranch_execnz .LBB60_36
	s_branch .LBB60_37
.LBB60_94:
	ds_read_u8 v23, v0
	s_andn2_b64 s[6:7], s[6:7], exec
	s_mov_b32 s16, 1
	s_waitcnt lgkmcnt(0)
	v_and_b32_e32 v23, 1, v23
	v_cmp_eq_u32_e64 s[4:5], 1, v23
	s_xor_b64 s[4:5], s[4:5], -1
	s_and_b64 s[4:5], s[4:5], exec
	s_or_b64 s[6:7], s[6:7], s[4:5]
	s_or_b64 exec, exec, s[12:13]
	v_mov_b32_e32 v23, s16
	s_and_saveexec_b64 s[4:5], s[6:7]
	s_cbranch_execz .LBB60_39
.LBB60_95:
	ds_read_u8 v23, v0 offset:1
	s_waitcnt lgkmcnt(0)
	v_xor_b32_e32 v23, 1, v23
	s_or_b64 exec, exec, s[4:5]
	v_cmp_eq_u32_e64 s[4:5], v23, v21
	s_and_saveexec_b64 s[6:7], s[4:5]
	s_cbranch_execnz .LBB60_40
	s_branch .LBB60_41
.LBB60_96:
	ds_read_u8 v27, v19
	s_andn2_b64 s[6:7], s[6:7], exec
	s_mov_b32 s16, 1
	s_waitcnt lgkmcnt(0)
	v_and_b32_e32 v27, 1, v27
	v_cmp_eq_u32_e64 s[4:5], 1, v27
	s_xor_b64 s[4:5], s[4:5], -1
	s_and_b64 s[4:5], s[4:5], exec
	s_or_b64 s[6:7], s[6:7], s[4:5]
	s_or_b64 exec, exec, s[12:13]
	v_mov_b32_e32 v27, s16
	s_and_saveexec_b64 s[4:5], s[6:7]
	s_cbranch_execz .LBB60_49
.LBB60_97:
	ds_read_u8 v27, v19 offset:4
	s_waitcnt lgkmcnt(0)
	v_xor_b32_e32 v27, 1, v27
	s_or_b64 exec, exec, s[4:5]
	v_cmp_eq_u32_e64 s[4:5], v27, v24
	s_and_saveexec_b64 s[6:7], s[4:5]
	s_cbranch_execnz .LBB60_50
	s_branch .LBB60_51
.LBB60_98:
	ds_read_u8 v27, v12
	s_andn2_b64 s[6:7], s[6:7], exec
	s_mov_b32 s16, 1
	s_waitcnt lgkmcnt(0)
	v_and_b32_e32 v27, 1, v27
	v_cmp_eq_u32_e64 s[4:5], 1, v27
	s_xor_b64 s[4:5], s[4:5], -1
	s_and_b64 s[4:5], s[4:5], exec
	s_or_b64 s[6:7], s[6:7], s[4:5]
	s_or_b64 exec, exec, s[12:13]
	v_mov_b32_e32 v27, s16
	s_and_saveexec_b64 s[4:5], s[6:7]
	s_cbranch_execz .LBB60_53
.LBB60_99:
	ds_read_u8 v27, v12 offset:2
	s_waitcnt lgkmcnt(0)
	v_xor_b32_e32 v27, 1, v27
	s_or_b64 exec, exec, s[4:5]
	v_cmp_eq_u32_e64 s[4:5], v27, v24
	s_and_saveexec_b64 s[6:7], s[4:5]
	s_cbranch_execnz .LBB60_54
	s_branch .LBB60_55
.LBB60_100:
	ds_read_u8 v26, v0
	s_andn2_b64 s[6:7], s[6:7], exec
	s_mov_b32 s16, 1
	s_waitcnt lgkmcnt(0)
	v_and_b32_e32 v26, 1, v26
	v_cmp_eq_u32_e64 s[4:5], 1, v26
	s_xor_b64 s[4:5], s[4:5], -1
	s_and_b64 s[4:5], s[4:5], exec
	s_or_b64 s[6:7], s[6:7], s[4:5]
	s_or_b64 exec, exec, s[12:13]
	v_mov_b32_e32 v26, s16
	s_and_saveexec_b64 s[4:5], s[6:7]
	s_cbranch_execz .LBB60_57
.LBB60_101:
	ds_read_u8 v26, v0 offset:1
	s_waitcnt lgkmcnt(0)
	v_xor_b32_e32 v26, 1, v26
	s_or_b64 exec, exec, s[4:5]
	v_cmp_eq_u32_e64 s[4:5], v26, v24
	s_and_saveexec_b64 s[6:7], s[4:5]
	s_cbranch_execnz .LBB60_58
	s_branch .LBB60_59
	.section	.rodata,"a",@progbits
	.p2align	6, 0x0
	.amdhsa_kernel _ZN2at6native20bitonicSortKVInPlaceILin1ELin1ELi16ELi16EN3c104HalfElNS0_4LTOpIS3_Lb1EEEjEEvNS_4cuda6detail10TensorInfoIT3_T6_EESA_SA_SA_NS8_IT4_SA_EESA_T5_
		.amdhsa_group_segment_fixed_size 5632
		.amdhsa_private_segment_fixed_size 0
		.amdhsa_kernarg_size 712
		.amdhsa_user_sgpr_count 6
		.amdhsa_user_sgpr_private_segment_buffer 1
		.amdhsa_user_sgpr_dispatch_ptr 0
		.amdhsa_user_sgpr_queue_ptr 0
		.amdhsa_user_sgpr_kernarg_segment_ptr 1
		.amdhsa_user_sgpr_dispatch_id 0
		.amdhsa_user_sgpr_flat_scratch_init 0
		.amdhsa_user_sgpr_kernarg_preload_length 0
		.amdhsa_user_sgpr_kernarg_preload_offset 0
		.amdhsa_user_sgpr_private_segment_size 0
		.amdhsa_uses_dynamic_stack 0
		.amdhsa_system_sgpr_private_segment_wavefront_offset 0
		.amdhsa_system_sgpr_workgroup_id_x 1
		.amdhsa_system_sgpr_workgroup_id_y 1
		.amdhsa_system_sgpr_workgroup_id_z 1
		.amdhsa_system_sgpr_workgroup_info 0
		.amdhsa_system_vgpr_workitem_id 1
		.amdhsa_next_free_vgpr 33
		.amdhsa_next_free_sgpr 18
		.amdhsa_accum_offset 36
		.amdhsa_reserve_vcc 1
		.amdhsa_reserve_flat_scratch 0
		.amdhsa_float_round_mode_32 0
		.amdhsa_float_round_mode_16_64 0
		.amdhsa_float_denorm_mode_32 3
		.amdhsa_float_denorm_mode_16_64 3
		.amdhsa_dx10_clamp 1
		.amdhsa_ieee_mode 1
		.amdhsa_fp16_overflow 0
		.amdhsa_tg_split 0
		.amdhsa_exception_fp_ieee_invalid_op 0
		.amdhsa_exception_fp_denorm_src 0
		.amdhsa_exception_fp_ieee_div_zero 0
		.amdhsa_exception_fp_ieee_overflow 0
		.amdhsa_exception_fp_ieee_underflow 0
		.amdhsa_exception_fp_ieee_inexact 0
		.amdhsa_exception_int_div_zero 0
	.end_amdhsa_kernel
	.section	.text._ZN2at6native20bitonicSortKVInPlaceILin1ELin1ELi16ELi16EN3c104HalfElNS0_4LTOpIS3_Lb1EEEjEEvNS_4cuda6detail10TensorInfoIT3_T6_EESA_SA_SA_NS8_IT4_SA_EESA_T5_,"axG",@progbits,_ZN2at6native20bitonicSortKVInPlaceILin1ELin1ELi16ELi16EN3c104HalfElNS0_4LTOpIS3_Lb1EEEjEEvNS_4cuda6detail10TensorInfoIT3_T6_EESA_SA_SA_NS8_IT4_SA_EESA_T5_,comdat
.Lfunc_end60:
	.size	_ZN2at6native20bitonicSortKVInPlaceILin1ELin1ELi16ELi16EN3c104HalfElNS0_4LTOpIS3_Lb1EEEjEEvNS_4cuda6detail10TensorInfoIT3_T6_EESA_SA_SA_NS8_IT4_SA_EESA_T5_, .Lfunc_end60-_ZN2at6native20bitonicSortKVInPlaceILin1ELin1ELi16ELi16EN3c104HalfElNS0_4LTOpIS3_Lb1EEEjEEvNS_4cuda6detail10TensorInfoIT3_T6_EESA_SA_SA_NS8_IT4_SA_EESA_T5_
                                        ; -- End function
	.section	.AMDGPU.csdata,"",@progbits
; Kernel info:
; codeLenInByte = 5320
; NumSgprs: 22
; NumVgprs: 33
; NumAgprs: 0
; TotalNumVgprs: 33
; ScratchSize: 0
; MemoryBound: 0
; FloatMode: 240
; IeeeMode: 1
; LDSByteSize: 5632 bytes/workgroup (compile time only)
; SGPRBlocks: 2
; VGPRBlocks: 4
; NumSGPRsForWavesPerEU: 22
; NumVGPRsForWavesPerEU: 33
; AccumOffset: 36
; Occupancy: 8
; WaveLimiterHint : 1
; COMPUTE_PGM_RSRC2:SCRATCH_EN: 0
; COMPUTE_PGM_RSRC2:USER_SGPR: 6
; COMPUTE_PGM_RSRC2:TRAP_HANDLER: 0
; COMPUTE_PGM_RSRC2:TGID_X_EN: 1
; COMPUTE_PGM_RSRC2:TGID_Y_EN: 1
; COMPUTE_PGM_RSRC2:TGID_Z_EN: 1
; COMPUTE_PGM_RSRC2:TIDIG_COMP_CNT: 1
; COMPUTE_PGM_RSRC3_GFX90A:ACCUM_OFFSET: 8
; COMPUTE_PGM_RSRC3_GFX90A:TG_SPLIT: 0
	.section	.text._ZN2at6native20bitonicSortKVInPlaceILin1ELin1ELi16ELi16EN3c104HalfElNS0_4GTOpIS3_Lb1EEEjEEvNS_4cuda6detail10TensorInfoIT3_T6_EESA_SA_SA_NS8_IT4_SA_EESA_T5_,"axG",@progbits,_ZN2at6native20bitonicSortKVInPlaceILin1ELin1ELi16ELi16EN3c104HalfElNS0_4GTOpIS3_Lb1EEEjEEvNS_4cuda6detail10TensorInfoIT3_T6_EESA_SA_SA_NS8_IT4_SA_EESA_T5_,comdat
	.protected	_ZN2at6native20bitonicSortKVInPlaceILin1ELin1ELi16ELi16EN3c104HalfElNS0_4GTOpIS3_Lb1EEEjEEvNS_4cuda6detail10TensorInfoIT3_T6_EESA_SA_SA_NS8_IT4_SA_EESA_T5_ ; -- Begin function _ZN2at6native20bitonicSortKVInPlaceILin1ELin1ELi16ELi16EN3c104HalfElNS0_4GTOpIS3_Lb1EEEjEEvNS_4cuda6detail10TensorInfoIT3_T6_EESA_SA_SA_NS8_IT4_SA_EESA_T5_
	.globl	_ZN2at6native20bitonicSortKVInPlaceILin1ELin1ELi16ELi16EN3c104HalfElNS0_4GTOpIS3_Lb1EEEjEEvNS_4cuda6detail10TensorInfoIT3_T6_EESA_SA_SA_NS8_IT4_SA_EESA_T5_
	.p2align	8
	.type	_ZN2at6native20bitonicSortKVInPlaceILin1ELin1ELi16ELi16EN3c104HalfElNS0_4GTOpIS3_Lb1EEEjEEvNS_4cuda6detail10TensorInfoIT3_T6_EESA_SA_SA_NS8_IT4_SA_EESA_T5_,@function
_ZN2at6native20bitonicSortKVInPlaceILin1ELin1ELi16ELi16EN3c104HalfElNS0_4GTOpIS3_Lb1EEEjEEvNS_4cuda6detail10TensorInfoIT3_T6_EESA_SA_SA_NS8_IT4_SA_EESA_T5_: ; @_ZN2at6native20bitonicSortKVInPlaceILin1ELin1ELi16ELi16EN3c104HalfElNS0_4GTOpIS3_Lb1EEEjEEvNS_4cuda6detail10TensorInfoIT3_T6_EESA_SA_SA_NS8_IT4_SA_EESA_T5_
; %bb.0:
	s_load_dwordx2 s[2:3], s[4:5], 0x1c8
	s_load_dwordx4 s[12:15], s[4:5], 0xd8
	s_load_dword s9, s[4:5], 0x1d4
	s_add_u32 s0, s4, 0x1c8
	s_addc_u32 s1, s5, 0
	s_waitcnt lgkmcnt(0)
	s_mul_i32 s3, s3, s8
	s_add_i32 s3, s3, s7
	s_mul_i32 s2, s3, s2
	s_add_i32 s3, s2, s6
	s_lshr_b32 s2, s9, 16
	s_mul_i32 s3, s3, s2
	s_cmp_ge_u32 s3, s12
	s_cbranch_scc1 .LBB61_89
; %bb.1:
	s_load_dword s2, s[4:5], 0xd0
	v_bfe_u32 v8, v0, 10, 10
	v_add_u32_e32 v1, s3, v8
	v_mov_b32_e32 v2, 0
	v_mov_b32_e32 v4, v1
	s_waitcnt lgkmcnt(0)
	s_cmp_lt_i32 s2, 2
	s_cbranch_scc1 .LBB61_4
; %bb.2:
	s_add_i32 s6, s2, 1
	s_add_i32 s2, s2, -1
	s_mov_b32 s3, 0
	s_lshl_b64 s[2:3], s[2:3], 2
	s_add_u32 s2, s2, s4
	s_addc_u32 s3, s3, s5
	s_add_u32 s2, s2, 8
	s_addc_u32 s3, s3, 0
	v_mov_b32_e32 v2, 0
	v_mov_b32_e32 v4, v1
.LBB61_3:                               ; =>This Inner Loop Header: Depth=1
	s_load_dword s7, s[2:3], 0x0
	s_load_dword s8, s[2:3], 0x64
	v_mov_b32_e32 v3, v4
	s_add_i32 s6, s6, -1
	s_waitcnt lgkmcnt(0)
	v_cvt_f32_u32_e32 v4, s7
	s_sub_i32 s9, 0, s7
	s_add_u32 s2, s2, -4
	s_addc_u32 s3, s3, -1
	v_rcp_iflag_f32_e32 v4, v4
	s_cmp_gt_u32 s6, 2
	v_mul_f32_e32 v4, 0x4f7ffffe, v4
	v_cvt_u32_f32_e32 v4, v4
	v_mul_lo_u32 v5, s9, v4
	v_mul_hi_u32 v5, v4, v5
	v_add_u32_e32 v4, v4, v5
	v_mul_hi_u32 v4, v3, v4
	v_mul_lo_u32 v5, v4, s7
	v_sub_u32_e32 v5, v3, v5
	v_add_u32_e32 v6, 1, v4
	v_cmp_le_u32_e32 vcc, s7, v5
	v_cndmask_b32_e32 v4, v4, v6, vcc
	v_subrev_u32_e32 v6, s7, v5
	v_cndmask_b32_e32 v5, v5, v6, vcc
	v_add_u32_e32 v6, 1, v4
	v_cmp_le_u32_e32 vcc, s7, v5
	v_cndmask_b32_e32 v4, v4, v6, vcc
	v_mul_lo_u32 v5, v4, s7
	v_sub_u32_e32 v3, v3, v5
	v_mad_u64_u32 v[2:3], s[8:9], s8, v3, v[2:3]
	s_cbranch_scc1 .LBB61_3
.LBB61_4:
	s_load_dword s2, s[4:5], 0x1b8
	v_mov_b32_e32 v6, 0
	v_mov_b32_e32 v3, v1
	s_waitcnt lgkmcnt(0)
	s_cmp_lt_i32 s2, 2
	s_cbranch_scc1 .LBB61_7
; %bb.5:
	s_add_i32 s6, s2, 1
	s_add_i32 s2, s2, -1
	s_mov_b32 s3, 0
	s_lshl_b64 s[2:3], s[2:3], 2
	s_add_u32 s2, s2, s4
	s_addc_u32 s3, s3, s5
	s_add_u32 s2, s2, 0xf0
	s_addc_u32 s3, s3, 0
	v_mov_b32_e32 v6, 0
	v_mov_b32_e32 v3, v1
.LBB61_6:                               ; =>This Inner Loop Header: Depth=1
	s_load_dword s7, s[2:3], 0x0
	s_load_dword s8, s[2:3], 0x64
	v_mov_b32_e32 v5, v3
	s_add_i32 s6, s6, -1
	s_waitcnt lgkmcnt(0)
	v_cvt_f32_u32_e32 v3, s7
	s_sub_i32 s9, 0, s7
	s_add_u32 s2, s2, -4
	s_addc_u32 s3, s3, -1
	v_rcp_iflag_f32_e32 v3, v3
	s_cmp_gt_u32 s6, 2
	v_mul_f32_e32 v3, 0x4f7ffffe, v3
	v_cvt_u32_f32_e32 v3, v3
	v_mul_lo_u32 v7, s9, v3
	v_mul_hi_u32 v7, v3, v7
	v_add_u32_e32 v3, v3, v7
	v_mul_hi_u32 v3, v5, v3
	v_mul_lo_u32 v7, v3, s7
	v_sub_u32_e32 v7, v5, v7
	v_add_u32_e32 v9, 1, v3
	v_cmp_le_u32_e32 vcc, s7, v7
	v_cndmask_b32_e32 v3, v3, v9, vcc
	v_subrev_u32_e32 v9, s7, v7
	v_cndmask_b32_e32 v7, v7, v9, vcc
	v_add_u32_e32 v9, 1, v3
	v_cmp_le_u32_e32 vcc, s7, v7
	v_cndmask_b32_e32 v3, v3, v9, vcc
	v_mul_lo_u32 v7, v3, s7
	v_sub_u32_e32 v5, v5, v7
	v_mad_u64_u32 v[6:7], s[8:9], s8, v5, v[6:7]
	s_cbranch_scc1 .LBB61_6
.LBB61_7:
	s_load_dword s2, s[4:5], 0x6c
	v_cmp_gt_u32_e32 vcc, s12, v1
	v_mov_b32_e32 v10, 0
	s_waitcnt lgkmcnt(0)
	v_mad_u64_u32 v[4:5], s[2:3], s2, v4, v[2:3]
	s_load_dword s15, s[4:5], 0x1c0
	s_load_dword s2, s[4:5], 0x154
	s_load_dwordx2 s[10:11], s[4:5], 0x0
	s_load_dwordx2 s[8:9], s[4:5], 0xe8
	s_load_dword s12, s[0:1], 0xc
	v_mov_b32_e32 v5, 0
	s_waitcnt lgkmcnt(0)
	v_mad_u64_u32 v[2:3], s[2:3], s2, v3, v[6:7]
	v_and_b32_e32 v3, 0x3ff, v0
	v_cmp_gt_u32_e64 s[0:1], s13, v3
	v_pk_mov_b32 v[0:1], 0, 0
	s_and_b64 s[4:5], vcc, s[0:1]
	v_pk_mov_b32 v[6:7], v[0:1], v[0:1] op_sel:[0,1]
	s_and_saveexec_b64 s[6:7], s[4:5]
	s_cbranch_execz .LBB61_9
; %bb.8:
	v_mad_u64_u32 v[6:7], s[2:3], v3, s14, v[4:5]
	v_mov_b32_e32 v7, 0
	v_lshlrev_b64 v[12:13], 1, v[6:7]
	v_mov_b32_e32 v5, s11
	v_add_co_u32_e64 v12, s[2:3], s10, v12
	v_addc_co_u32_e64 v13, s[2:3], v5, v13, s[2:3]
	global_load_ushort v5, v[12:13], off
	v_mad_u64_u32 v[12:13], s[2:3], v3, s15, v[2:3]
	v_mov_b32_e32 v13, v7
	v_lshlrev_b64 v[6:7], 3, v[12:13]
	v_mov_b32_e32 v9, s9
	v_add_co_u32_e64 v6, s[2:3], s8, v6
	v_addc_co_u32_e64 v7, s[2:3], v9, v7, s[2:3]
	global_load_dwordx2 v[6:7], v[6:7], off
.LBB61_9:
	s_or_b64 exec, exec, s[6:7]
	v_mov_b32_e32 v9, 0x1000
	v_lshl_add_u32 v16, v8, 6, v9
	v_mov_b32_e32 v9, 0x1400
	v_lshl_add_u32 v15, v8, 5, v9
	v_lshl_add_u32 v9, v3, 1, v16
	s_and_b32 s16, 0xffff, s12
	v_cndmask_b32_e64 v11, 0, 1, s[4:5]
	s_waitcnt vmcnt(1)
	ds_write_b16 v9, v5
	v_add_u32_e32 v5, v15, v3
	ds_write_b8 v5, v11
	v_add_u32_e32 v5, s16, v3
	v_lshlrev_b32_e32 v13, 8, v8
	v_cmp_gt_u32_e64 s[2:3], s13, v5
	v_lshl_add_u32 v8, v3, 3, v13
	s_and_b64 s[6:7], vcc, s[2:3]
	s_waitcnt vmcnt(0)
	ds_write_b64 v8, v[6:7]
	s_and_saveexec_b64 s[12:13], s[6:7]
	s_cbranch_execz .LBB61_11
; %bb.10:
	v_mad_u64_u32 v[0:1], s[4:5], v5, s14, v[4:5]
	v_mov_b32_e32 v1, 0
	v_lshlrev_b64 v[6:7], 1, v[0:1]
	v_mov_b32_e32 v0, s11
	v_add_co_u32_e64 v6, s[4:5], s10, v6
	v_addc_co_u32_e64 v7, s[4:5], v0, v7, s[4:5]
	global_load_ushort v10, v[6:7], off
	v_mad_u64_u32 v[6:7], s[4:5], v5, s15, v[2:3]
	v_mov_b32_e32 v7, v1
	v_lshlrev_b64 v[0:1], 3, v[6:7]
	v_mov_b32_e32 v6, s9
	v_add_co_u32_e64 v0, s[4:5], s8, v0
	v_addc_co_u32_e64 v1, s[4:5], v6, v1, s[4:5]
	global_load_dwordx2 v[0:1], v[0:1], off
.LBB61_11:
	s_or_b64 exec, exec, s[12:13]
	v_lshl_add_u32 v6, s16, 3, v8
	v_lshlrev_b32_e32 v17, 1, v3
	v_cndmask_b32_e64 v11, 0, 1, s[6:7]
	v_lshl_add_u32 v7, s16, 1, v9
	s_waitcnt vmcnt(0)
	ds_write_b64 v6, v[0:1]
	v_add_u32_e32 v0, v15, v5
	v_add_u32_e32 v1, v9, v17
	ds_write_b16 v7, v10
	ds_write_b8 v0, v11
	s_waitcnt lgkmcnt(0)
	s_barrier
	ds_read_b32 v11, v1
	v_add_u32_e32 v0, v15, v17
                                        ; implicit-def: $sgpr16
	s_waitcnt lgkmcnt(0)
	v_cmp_u_f16_e64 s[4:5], v11, v11
	v_cmp_o_f16_sdwa s[6:7], v11, v11 src0_sel:WORD_1 src1_sel:WORD_1
	s_and_b64 s[4:5], s[4:5], s[6:7]
	v_cmp_gt_f16_sdwa s[6:7], v11, v11 src0_sel:DWORD src1_sel:WORD_1
	s_or_b64 s[4:5], s[4:5], s[6:7]
	s_xor_b64 s[6:7], s[4:5], -1
	s_and_saveexec_b64 s[12:13], s[4:5]
	s_xor_b64 s[12:13], exec, s[12:13]
	s_cbranch_execz .LBB61_13
; %bb.12:
	ds_read_u8 v10, v0
	s_andn2_b64 s[6:7], s[6:7], exec
	s_mov_b32 s16, 1
	s_waitcnt lgkmcnt(0)
	v_and_b32_e32 v10, 1, v10
	v_cmp_eq_u32_e64 s[4:5], 1, v10
	s_xor_b64 s[4:5], s[4:5], -1
	s_and_b64 s[4:5], s[4:5], exec
	s_or_b64 s[6:7], s[6:7], s[4:5]
.LBB61_13:
	s_or_b64 exec, exec, s[12:13]
	v_mov_b32_e32 v14, s16
	s_and_saveexec_b64 s[4:5], s[6:7]
	s_cbranch_execz .LBB61_15
; %bb.14:
	ds_read_u8 v10, v0 offset:1
	s_waitcnt lgkmcnt(0)
	v_xor_b32_e32 v14, 1, v10
.LBB61_15:
	s_or_b64 exec, exec, s[4:5]
	v_and_b32_e32 v12, 1, v3
	v_lshlrev_b32_e32 v10, 3, v3
	v_cmp_eq_u32_e64 s[4:5], v14, v12
	s_and_saveexec_b64 s[6:7], s[4:5]
	s_cbranch_execz .LBB61_17
; %bb.16:
	v_add_u32_e32 v14, v8, v10
	v_alignbit_b32 v11, v11, v11, 16
	ds_read_b128 v[18:21], v14
	ds_write_b32 v1, v11
	ds_read_u16 v11, v0
	s_mov_b32 s4, 0xc0c0001
	s_waitcnt lgkmcnt(2)
	v_mov_b32_e32 v22, v18
	v_mov_b32_e32 v23, v19
	s_waitcnt lgkmcnt(0)
	v_perm_b32 v11, 0, v11, s4
	ds_write_b128 v14, v[20:23]
	ds_write_b16 v0, v11
.LBB61_17:
	s_or_b64 exec, exec, s[6:7]
	v_sub_u32_e32 v14, v17, v12
	v_lshl_add_u32 v11, v14, 1, v16
	s_waitcnt lgkmcnt(0)
	s_barrier
	ds_read_u16 v19, v11
	ds_read_u16 v20, v11 offset:4
	v_add_u32_e32 v12, v15, v14
                                        ; implicit-def: $sgpr12
	s_waitcnt lgkmcnt(1)
	v_cmp_u_f16_e64 s[4:5], v19, v19
	s_waitcnt lgkmcnt(0)
	v_cmp_o_f16_e64 s[6:7], v20, v20
	s_and_b64 s[6:7], s[4:5], s[6:7]
	v_cmp_gt_f16_e64 s[4:5], v19, v20
	s_or_b64 s[6:7], s[6:7], s[4:5]
	s_mov_b64 s[4:5], -1
	s_and_saveexec_b64 s[16:17], s[6:7]
	s_xor_b64 s[6:7], exec, s[16:17]
	s_cbranch_execz .LBB61_19
; %bb.18:
	ds_read_u8 v18, v12
	s_mov_b32 s12, 1
	s_waitcnt lgkmcnt(0)
	v_and_b32_e32 v18, 1, v18
	v_cmp_eq_u32_e64 s[4:5], 1, v18
	s_xor_b64 s[4:5], s[4:5], -1
	s_orn2_b64 s[4:5], s[4:5], exec
.LBB61_19:
	s_or_b64 exec, exec, s[6:7]
	v_mov_b32_e32 v21, s12
	s_and_saveexec_b64 s[6:7], s[4:5]
	s_cbranch_execz .LBB61_21
; %bb.20:
	ds_read_u8 v18, v12 offset:2
	s_waitcnt lgkmcnt(0)
	v_xor_b32_e32 v21, 1, v18
.LBB61_21:
	s_or_b64 exec, exec, s[6:7]
	v_bfe_u32 v18, v3, 1, 1
	v_lshl_add_u32 v14, v14, 3, v13
	v_cmp_eq_u32_e64 s[4:5], v21, v18
	s_and_saveexec_b64 s[6:7], s[4:5]
	s_cbranch_execz .LBB61_23
; %bb.22:
	ds_read2_b64 v[22:25], v14 offset1:2
	ds_read_u8 v21, v12 offset:2
	ds_read_u8 v26, v12
	ds_write_b16 v11, v20
	ds_write_b16 v11, v19 offset:4
	s_waitcnt lgkmcnt(4)
	ds_write2_b64 v14, v[24:25], v[22:23] offset1:2
	s_waitcnt lgkmcnt(4)
	ds_write_b8 v12, v21
	s_waitcnt lgkmcnt(4)
	ds_write_b8 v12, v26 offset:2
.LBB61_23:
	s_or_b64 exec, exec, s[6:7]
	s_waitcnt lgkmcnt(0)
	s_barrier
	ds_read_b32 v19, v1
                                        ; implicit-def: $sgpr16
	s_waitcnt lgkmcnt(0)
	v_cmp_u_f16_e64 s[4:5], v19, v19
	v_cmp_o_f16_sdwa s[6:7], v19, v19 src0_sel:WORD_1 src1_sel:WORD_1
	s_and_b64 s[4:5], s[4:5], s[6:7]
	v_cmp_gt_f16_sdwa s[6:7], v19, v19 src0_sel:DWORD src1_sel:WORD_1
	s_or_b64 s[4:5], s[4:5], s[6:7]
	s_xor_b64 s[6:7], s[4:5], -1
	s_and_saveexec_b64 s[12:13], s[4:5]
	s_cbranch_execnz .LBB61_90
; %bb.24:
	s_or_b64 exec, exec, s[12:13]
	v_mov_b32_e32 v20, s16
	s_and_saveexec_b64 s[4:5], s[6:7]
	s_cbranch_execnz .LBB61_91
.LBB61_25:
	s_or_b64 exec, exec, s[4:5]
	v_cmp_eq_u32_e64 s[4:5], v20, v18
	s_and_saveexec_b64 s[6:7], s[4:5]
	s_cbranch_execz .LBB61_27
.LBB61_26:
	v_add_u32_e32 v24, v8, v10
	ds_read_b128 v[20:23], v24
	ds_read_u16 v25, v0
	v_alignbit_b32 v18, v19, v19, 16
	ds_write_b32 v1, v18
	s_mov_b32 s4, 0xc0c0001
	s_waitcnt lgkmcnt(2)
	v_mov_b32_e32 v18, v22
	v_mov_b32_e32 v19, v23
	ds_write_b128 v24, v[18:21]
	s_waitcnt lgkmcnt(2)
	v_perm_b32 v18, 0, v25, s4
	ds_write_b16 v0, v18
.LBB61_27:
	s_or_b64 exec, exec, s[6:7]
	v_and_b32_e32 v18, 3, v3
	v_sub_u32_e32 v20, v17, v18
	v_lshl_add_u32 v18, v20, 1, v16
	s_waitcnt lgkmcnt(0)
	s_barrier
	ds_read_u16 v22, v18
	ds_read_u16 v23, v18 offset:8
	s_mov_b32 s16, 1
	v_add_u32_e32 v19, v15, v20
	s_waitcnt lgkmcnt(1)
	v_cmp_u_f16_e64 s[4:5], v22, v22
	s_waitcnt lgkmcnt(0)
	v_cmp_o_f16_e64 s[6:7], v23, v23
	s_and_b64 s[6:7], s[4:5], s[6:7]
	v_cmp_gt_f16_e64 s[4:5], v22, v23
	s_or_b64 s[4:5], s[6:7], s[4:5]
	s_xor_b64 s[6:7], s[4:5], -1
	s_and_saveexec_b64 s[12:13], s[4:5]
	s_cbranch_execz .LBB61_29
; %bb.28:
	ds_read_u8 v21, v19
	s_andn2_b64 s[6:7], s[6:7], exec
	s_waitcnt lgkmcnt(0)
	v_and_b32_e32 v21, 1, v21
	v_cmp_eq_u32_e64 s[4:5], 1, v21
	s_xor_b64 s[4:5], s[4:5], -1
	s_and_b64 s[4:5], s[4:5], exec
	s_or_b64 s[6:7], s[6:7], s[4:5]
.LBB61_29:
	s_or_b64 exec, exec, s[12:13]
	v_mov_b32_e32 v24, s16
	s_and_saveexec_b64 s[4:5], s[6:7]
	s_cbranch_execz .LBB61_31
; %bb.30:
	ds_read_u8 v21, v19 offset:4
	s_waitcnt lgkmcnt(0)
	v_xor_b32_e32 v24, 1, v21
.LBB61_31:
	s_or_b64 exec, exec, s[4:5]
	v_bfe_u32 v21, v3, 2, 1
	v_lshl_add_u32 v20, v20, 3, v13
	v_cmp_eq_u32_e64 s[4:5], v24, v21
	s_and_saveexec_b64 s[6:7], s[4:5]
	s_cbranch_execz .LBB61_33
; %bb.32:
	ds_read2_b64 v[24:27], v20 offset1:4
	ds_read_u8 v28, v19 offset:4
	ds_read_u8 v29, v19
	ds_write_b16 v18, v23
	ds_write_b16 v18, v22 offset:8
	s_waitcnt lgkmcnt(4)
	ds_write2_b64 v20, v[26:27], v[24:25] offset1:4
	s_waitcnt lgkmcnt(4)
	ds_write_b8 v19, v28
	s_waitcnt lgkmcnt(4)
	ds_write_b8 v19, v29 offset:4
.LBB61_33:
	s_or_b64 exec, exec, s[6:7]
	s_waitcnt lgkmcnt(0)
	s_barrier
	ds_read_u16 v22, v11
	ds_read_u16 v23, v11 offset:4
                                        ; implicit-def: $sgpr16
	s_waitcnt lgkmcnt(1)
	v_cmp_u_f16_e64 s[4:5], v22, v22
	s_waitcnt lgkmcnt(0)
	v_cmp_o_f16_e64 s[6:7], v23, v23
	s_and_b64 s[6:7], s[4:5], s[6:7]
	v_cmp_gt_f16_e64 s[4:5], v22, v23
	s_or_b64 s[4:5], s[6:7], s[4:5]
	s_xor_b64 s[6:7], s[4:5], -1
	s_and_saveexec_b64 s[12:13], s[4:5]
	s_cbranch_execnz .LBB61_92
; %bb.34:
	s_or_b64 exec, exec, s[12:13]
	v_mov_b32_e32 v24, s16
	s_and_saveexec_b64 s[4:5], s[6:7]
	s_cbranch_execnz .LBB61_93
.LBB61_35:
	s_or_b64 exec, exec, s[4:5]
	v_cmp_eq_u32_e64 s[4:5], v24, v21
	s_and_saveexec_b64 s[6:7], s[4:5]
	s_cbranch_execz .LBB61_37
.LBB61_36:
	ds_read2_b64 v[24:27], v14 offset1:2
	ds_read_u8 v28, v12 offset:2
	ds_read_u8 v29, v12
	ds_write_b16 v11, v23
	ds_write_b16 v11, v22 offset:4
	s_waitcnt lgkmcnt(4)
	ds_write2_b64 v14, v[26:27], v[24:25] offset1:2
	s_waitcnt lgkmcnt(4)
	ds_write_b8 v12, v28
	s_waitcnt lgkmcnt(4)
	ds_write_b8 v12, v29 offset:2
.LBB61_37:
	s_or_b64 exec, exec, s[6:7]
	s_waitcnt lgkmcnt(0)
	s_barrier
	ds_read_b32 v22, v1
                                        ; implicit-def: $sgpr16
	s_waitcnt lgkmcnt(0)
	v_cmp_u_f16_e64 s[4:5], v22, v22
	v_cmp_o_f16_sdwa s[6:7], v22, v22 src0_sel:WORD_1 src1_sel:WORD_1
	s_and_b64 s[4:5], s[4:5], s[6:7]
	v_cmp_gt_f16_sdwa s[6:7], v22, v22 src0_sel:DWORD src1_sel:WORD_1
	s_or_b64 s[4:5], s[4:5], s[6:7]
	s_xor_b64 s[6:7], s[4:5], -1
	s_and_saveexec_b64 s[12:13], s[4:5]
	s_cbranch_execnz .LBB61_94
; %bb.38:
	s_or_b64 exec, exec, s[12:13]
	v_mov_b32_e32 v23, s16
	s_and_saveexec_b64 s[4:5], s[6:7]
	s_cbranch_execnz .LBB61_95
.LBB61_39:
	s_or_b64 exec, exec, s[4:5]
	v_cmp_eq_u32_e64 s[4:5], v23, v21
	s_and_saveexec_b64 s[6:7], s[4:5]
	s_cbranch_execz .LBB61_41
.LBB61_40:
	v_add_u32_e32 v21, v8, v10
	ds_read_b128 v[24:27], v21
	ds_read_u16 v28, v0
	v_alignbit_b32 v22, v22, v22, 16
	ds_write_b32 v1, v22
	s_mov_b32 s4, 0xc0c0001
	s_waitcnt lgkmcnt(2)
	v_mov_b32_e32 v22, v26
	v_mov_b32_e32 v23, v27
	ds_write_b128 v21, v[22:25]
	s_waitcnt lgkmcnt(2)
	v_perm_b32 v21, 0, v28, s4
	ds_write_b16 v0, v21
.LBB61_41:
	s_or_b64 exec, exec, s[6:7]
	v_and_b32_e32 v21, 7, v3
	v_sub_u32_e32 v23, v17, v21
	v_lshl_add_u32 v21, v23, 1, v16
	s_waitcnt lgkmcnt(0)
	s_barrier
	ds_read_u16 v25, v21
	ds_read_u16 v26, v21 offset:16
	s_mov_b32 s16, 1
	v_add_u32_e32 v22, v15, v23
	s_waitcnt lgkmcnt(1)
	v_cmp_u_f16_e64 s[4:5], v25, v25
	s_waitcnt lgkmcnt(0)
	v_cmp_o_f16_e64 s[6:7], v26, v26
	s_and_b64 s[6:7], s[4:5], s[6:7]
	v_cmp_gt_f16_e64 s[4:5], v25, v26
	s_or_b64 s[4:5], s[6:7], s[4:5]
	s_xor_b64 s[6:7], s[4:5], -1
	s_and_saveexec_b64 s[12:13], s[4:5]
	s_cbranch_execz .LBB61_43
; %bb.42:
	ds_read_u8 v24, v22
	s_andn2_b64 s[6:7], s[6:7], exec
	s_waitcnt lgkmcnt(0)
	v_and_b32_e32 v24, 1, v24
	v_cmp_eq_u32_e64 s[4:5], 1, v24
	s_xor_b64 s[4:5], s[4:5], -1
	s_and_b64 s[4:5], s[4:5], exec
	s_or_b64 s[6:7], s[6:7], s[4:5]
.LBB61_43:
	s_or_b64 exec, exec, s[12:13]
	v_mov_b32_e32 v27, s16
	s_and_saveexec_b64 s[4:5], s[6:7]
	s_cbranch_execz .LBB61_45
; %bb.44:
	ds_read_u8 v24, v22 offset:8
	s_waitcnt lgkmcnt(0)
	v_xor_b32_e32 v27, 1, v24
.LBB61_45:
	s_or_b64 exec, exec, s[4:5]
	v_bfe_u32 v24, v3, 3, 1
	v_lshl_add_u32 v23, v23, 3, v13
	v_cmp_eq_u32_e64 s[4:5], v27, v24
	s_and_saveexec_b64 s[6:7], s[4:5]
	s_cbranch_execz .LBB61_47
; %bb.46:
	ds_read2_b64 v[28:31], v23 offset1:8
	ds_read_u8 v27, v22 offset:8
	ds_read_u8 v32, v22
	ds_write_b16 v21, v26
	ds_write_b16 v21, v25 offset:16
	s_waitcnt lgkmcnt(4)
	ds_write2_b64 v23, v[30:31], v[28:29] offset1:8
	s_waitcnt lgkmcnt(4)
	ds_write_b8 v22, v27
	s_waitcnt lgkmcnt(4)
	ds_write_b8 v22, v32 offset:8
.LBB61_47:
	s_or_b64 exec, exec, s[6:7]
	s_waitcnt lgkmcnt(0)
	s_barrier
	ds_read_u16 v25, v18
	ds_read_u16 v26, v18 offset:8
                                        ; implicit-def: $sgpr16
	s_waitcnt lgkmcnt(1)
	v_cmp_u_f16_e64 s[4:5], v25, v25
	s_waitcnt lgkmcnt(0)
	v_cmp_o_f16_e64 s[6:7], v26, v26
	s_and_b64 s[6:7], s[4:5], s[6:7]
	v_cmp_gt_f16_e64 s[4:5], v25, v26
	s_or_b64 s[4:5], s[6:7], s[4:5]
	s_xor_b64 s[6:7], s[4:5], -1
	s_and_saveexec_b64 s[12:13], s[4:5]
	s_cbranch_execnz .LBB61_96
; %bb.48:
	s_or_b64 exec, exec, s[12:13]
	v_mov_b32_e32 v27, s16
	s_and_saveexec_b64 s[4:5], s[6:7]
	s_cbranch_execnz .LBB61_97
.LBB61_49:
	s_or_b64 exec, exec, s[4:5]
	v_cmp_eq_u32_e64 s[4:5], v27, v24
	s_and_saveexec_b64 s[6:7], s[4:5]
	s_cbranch_execz .LBB61_51
.LBB61_50:
	ds_read2_b64 v[28:31], v20 offset1:4
	ds_read_u8 v27, v19 offset:4
	ds_read_u8 v32, v19
	ds_write_b16 v18, v26
	ds_write_b16 v18, v25 offset:8
	s_waitcnt lgkmcnt(4)
	ds_write2_b64 v20, v[30:31], v[28:29] offset1:4
	s_waitcnt lgkmcnt(4)
	ds_write_b8 v19, v27
	s_waitcnt lgkmcnt(4)
	ds_write_b8 v19, v32 offset:4
.LBB61_51:
	s_or_b64 exec, exec, s[6:7]
	s_waitcnt lgkmcnt(0)
	s_barrier
	ds_read_u16 v25, v11
	ds_read_u16 v26, v11 offset:4
                                        ; implicit-def: $sgpr16
	s_waitcnt lgkmcnt(1)
	v_cmp_u_f16_e64 s[4:5], v25, v25
	s_waitcnt lgkmcnt(0)
	v_cmp_o_f16_e64 s[6:7], v26, v26
	s_and_b64 s[6:7], s[4:5], s[6:7]
	v_cmp_gt_f16_e64 s[4:5], v25, v26
	s_or_b64 s[4:5], s[6:7], s[4:5]
	s_xor_b64 s[6:7], s[4:5], -1
	s_and_saveexec_b64 s[12:13], s[4:5]
	s_cbranch_execnz .LBB61_98
; %bb.52:
	s_or_b64 exec, exec, s[12:13]
	v_mov_b32_e32 v27, s16
	s_and_saveexec_b64 s[4:5], s[6:7]
	s_cbranch_execnz .LBB61_99
.LBB61_53:
	s_or_b64 exec, exec, s[4:5]
	v_cmp_eq_u32_e64 s[4:5], v27, v24
	s_and_saveexec_b64 s[6:7], s[4:5]
	s_cbranch_execz .LBB61_55
.LBB61_54:
	ds_read2_b64 v[28:31], v14 offset1:2
	ds_read_u8 v27, v12 offset:2
	ds_read_u8 v32, v12
	ds_write_b16 v11, v26
	ds_write_b16 v11, v25 offset:4
	s_waitcnt lgkmcnt(4)
	ds_write2_b64 v14, v[30:31], v[28:29] offset1:2
	s_waitcnt lgkmcnt(4)
	ds_write_b8 v12, v27
	s_waitcnt lgkmcnt(4)
	ds_write_b8 v12, v32 offset:2
.LBB61_55:
	s_or_b64 exec, exec, s[6:7]
	s_waitcnt lgkmcnt(0)
	s_barrier
	ds_read_b32 v25, v1
                                        ; implicit-def: $sgpr16
	s_waitcnt lgkmcnt(0)
	v_cmp_u_f16_e64 s[4:5], v25, v25
	v_cmp_o_f16_sdwa s[6:7], v25, v25 src0_sel:WORD_1 src1_sel:WORD_1
	s_and_b64 s[4:5], s[4:5], s[6:7]
	v_cmp_gt_f16_sdwa s[6:7], v25, v25 src0_sel:DWORD src1_sel:WORD_1
	s_or_b64 s[4:5], s[4:5], s[6:7]
	s_xor_b64 s[6:7], s[4:5], -1
	s_and_saveexec_b64 s[12:13], s[4:5]
	s_cbranch_execnz .LBB61_100
; %bb.56:
	s_or_b64 exec, exec, s[12:13]
	v_mov_b32_e32 v26, s16
	s_and_saveexec_b64 s[4:5], s[6:7]
	s_cbranch_execnz .LBB61_101
.LBB61_57:
	s_or_b64 exec, exec, s[4:5]
	v_cmp_eq_u32_e64 s[4:5], v26, v24
	s_and_saveexec_b64 s[6:7], s[4:5]
	s_cbranch_execz .LBB61_59
.LBB61_58:
	v_add_u32_e32 v30, v8, v10
	ds_read_b128 v[26:29], v30
	ds_read_u16 v31, v0
	v_alignbit_b32 v24, v25, v25, 16
	ds_write_b32 v1, v24
	s_mov_b32 s4, 0xc0c0001
	s_waitcnt lgkmcnt(2)
	v_mov_b32_e32 v24, v28
	v_mov_b32_e32 v25, v29
	ds_write_b128 v30, v[24:27]
	s_waitcnt lgkmcnt(2)
	v_perm_b32 v24, 0, v31, s4
	ds_write_b16 v0, v24
.LBB61_59:
	s_or_b64 exec, exec, s[6:7]
	v_and_b32_e32 v24, 15, v3
	v_sub_u32_e32 v25, v17, v24
	v_lshl_add_u32 v16, v25, 1, v16
	s_waitcnt lgkmcnt(0)
	s_barrier
	ds_read_u16 v17, v16
	ds_read_u16 v24, v16 offset:32
	v_add_u32_e32 v15, v15, v25
	s_waitcnt lgkmcnt(1)
	v_cmp_u_f16_e64 s[4:5], v17, v17
	s_waitcnt lgkmcnt(0)
	v_cmp_o_f16_e64 s[6:7], v24, v24
	s_and_b64 s[6:7], s[4:5], s[6:7]
	v_cmp_gt_f16_e64 s[4:5], v17, v24
	s_or_b64 s[4:5], s[6:7], s[4:5]
	s_xor_b64 s[12:13], s[4:5], -1
	s_and_saveexec_b64 s[6:7], s[4:5]
	s_cbranch_execz .LBB61_61
; %bb.60:
	ds_read_u8 v26, v15
	s_andn2_b64 s[12:13], s[12:13], exec
	s_waitcnt lgkmcnt(0)
	v_and_b32_e32 v26, 1, v26
	v_cmp_eq_u32_e64 s[4:5], 1, v26
	s_xor_b64 s[4:5], s[4:5], -1
	s_and_b64 s[4:5], s[4:5], exec
	s_or_b64 s[12:13], s[12:13], s[4:5]
.LBB61_61:
	s_or_b64 exec, exec, s[6:7]
	s_and_saveexec_b64 s[6:7], s[12:13]
	s_cbranch_execz .LBB61_64
; %bb.62:
	ds_read_u8 v26, v15 offset:16
	s_waitcnt lgkmcnt(0)
	v_cmp_ne_u16_e64 s[4:5], 0, v26
	s_and_b64 exec, exec, s[4:5]
	s_cbranch_execz .LBB61_64
; %bb.63:
	v_lshl_add_u32 v13, v25, 3, v13
	ds_read2_b64 v[28:31], v13 offset1:16
	ds_read_u8 v25, v15
	ds_write_b16 v16, v24
	ds_write_b16 v16, v17 offset:32
	ds_write_b8 v15, v26
	s_waitcnt lgkmcnt(4)
	ds_write2_b64 v13, v[30:31], v[28:29] offset1:16
	s_waitcnt lgkmcnt(4)
	ds_write_b8 v15, v25 offset:16
.LBB61_64:
	s_or_b64 exec, exec, s[6:7]
	s_waitcnt lgkmcnt(0)
	s_barrier
	ds_read_u16 v13, v21
	ds_read_u16 v15, v21 offset:16
	s_waitcnt lgkmcnt(1)
	v_cmp_u_f16_e64 s[4:5], v13, v13
	s_waitcnt lgkmcnt(0)
	v_cmp_o_f16_e64 s[6:7], v15, v15
	s_and_b64 s[6:7], s[4:5], s[6:7]
	v_cmp_gt_f16_e64 s[4:5], v13, v15
	s_or_b64 s[4:5], s[6:7], s[4:5]
	s_xor_b64 s[12:13], s[4:5], -1
	s_and_saveexec_b64 s[6:7], s[4:5]
	s_cbranch_execz .LBB61_66
; %bb.65:
	ds_read_u8 v16, v22
	s_andn2_b64 s[12:13], s[12:13], exec
	s_waitcnt lgkmcnt(0)
	v_and_b32_e32 v16, 1, v16
	v_cmp_eq_u32_e64 s[4:5], 1, v16
	s_xor_b64 s[4:5], s[4:5], -1
	s_and_b64 s[4:5], s[4:5], exec
	s_or_b64 s[12:13], s[12:13], s[4:5]
.LBB61_66:
	s_or_b64 exec, exec, s[6:7]
	s_and_saveexec_b64 s[6:7], s[12:13]
	s_cbranch_execz .LBB61_69
; %bb.67:
	ds_read_u8 v16, v22 offset:8
	s_waitcnt lgkmcnt(0)
	v_cmp_ne_u16_e64 s[4:5], 0, v16
	s_and_b64 exec, exec, s[4:5]
	s_cbranch_execz .LBB61_69
; %bb.68:
	ds_read2_b64 v[24:27], v23 offset1:8
	ds_read_u8 v17, v22
	ds_write_b16 v21, v15
	ds_write_b16 v21, v13 offset:16
	ds_write_b8 v22, v16
	s_waitcnt lgkmcnt(4)
	ds_write2_b64 v23, v[26:27], v[24:25] offset1:8
	s_waitcnt lgkmcnt(4)
	ds_write_b8 v22, v17 offset:8
.LBB61_69:
	s_or_b64 exec, exec, s[6:7]
	s_waitcnt lgkmcnt(0)
	s_barrier
	ds_read_u16 v13, v18
	ds_read_u16 v15, v18 offset:8
	s_waitcnt lgkmcnt(1)
	v_cmp_u_f16_e64 s[4:5], v13, v13
	s_waitcnt lgkmcnt(0)
	v_cmp_o_f16_e64 s[6:7], v15, v15
	s_and_b64 s[6:7], s[4:5], s[6:7]
	v_cmp_gt_f16_e64 s[4:5], v13, v15
	s_or_b64 s[4:5], s[6:7], s[4:5]
	s_xor_b64 s[12:13], s[4:5], -1
	s_and_saveexec_b64 s[6:7], s[4:5]
	s_cbranch_execz .LBB61_71
; %bb.70:
	ds_read_u8 v16, v19
	s_andn2_b64 s[12:13], s[12:13], exec
	s_waitcnt lgkmcnt(0)
	v_and_b32_e32 v16, 1, v16
	v_cmp_eq_u32_e64 s[4:5], 1, v16
	s_xor_b64 s[4:5], s[4:5], -1
	s_and_b64 s[4:5], s[4:5], exec
	s_or_b64 s[12:13], s[12:13], s[4:5]
.LBB61_71:
	s_or_b64 exec, exec, s[6:7]
	s_and_saveexec_b64 s[6:7], s[12:13]
	s_cbranch_execz .LBB61_74
; %bb.72:
	ds_read_u8 v16, v19 offset:4
	s_waitcnt lgkmcnt(0)
	v_cmp_ne_u16_e64 s[4:5], 0, v16
	s_and_b64 exec, exec, s[4:5]
	s_cbranch_execz .LBB61_74
; %bb.73:
	ds_read2_b64 v[22:25], v20 offset1:4
	ds_read_u8 v17, v19
	ds_write_b16 v18, v15
	ds_write_b16 v18, v13 offset:8
	ds_write_b8 v19, v16
	s_waitcnt lgkmcnt(4)
	ds_write2_b64 v20, v[24:25], v[22:23] offset1:4
	s_waitcnt lgkmcnt(4)
	ds_write_b8 v19, v17 offset:4
.LBB61_74:
	;; [unrolled: 45-line block ×3, first 2 shown]
	s_or_b64 exec, exec, s[6:7]
	s_waitcnt lgkmcnt(0)
	s_barrier
	ds_read_b32 v11, v1
	s_waitcnt lgkmcnt(0)
	v_cmp_u_f16_e64 s[4:5], v11, v11
	v_cmp_o_f16_sdwa s[6:7], v11, v11 src0_sel:WORD_1 src1_sel:WORD_1
	s_and_b64 s[4:5], s[4:5], s[6:7]
	v_cmp_gt_f16_sdwa s[6:7], v11, v11 src0_sel:DWORD src1_sel:WORD_1
	s_or_b64 s[4:5], s[4:5], s[6:7]
	s_xor_b64 s[12:13], s[4:5], -1
	s_and_saveexec_b64 s[6:7], s[4:5]
	s_cbranch_execz .LBB61_81
; %bb.80:
	ds_read_u8 v12, v0
	s_andn2_b64 s[12:13], s[12:13], exec
	s_waitcnt lgkmcnt(0)
	v_and_b32_e32 v12, 1, v12
	v_cmp_eq_u32_e64 s[4:5], 1, v12
	s_xor_b64 s[4:5], s[4:5], -1
	s_and_b64 s[4:5], s[4:5], exec
	s_or_b64 s[12:13], s[12:13], s[4:5]
.LBB61_81:
	s_or_b64 exec, exec, s[6:7]
	s_and_saveexec_b64 s[6:7], s[12:13]
	s_cbranch_execz .LBB61_84
; %bb.82:
	ds_read_u8 v12, v0 offset:1
	s_waitcnt lgkmcnt(0)
	v_cmp_ne_u16_e64 s[4:5], 0, v12
	s_and_b64 exec, exec, s[4:5]
	s_cbranch_execz .LBB61_84
; %bb.83:
	v_add_u32_e32 v10, v8, v10
	v_alignbit_b32 v11, v11, v11, 16
	ds_read_b128 v[14:17], v10
	ds_write_b32 v1, v11
	ds_read_u8 v1, v0
	s_waitcnt lgkmcnt(2)
	v_mov_b32_e32 v18, v14
	v_mov_b32_e32 v19, v15
	s_waitcnt lgkmcnt(0)
	v_lshlrev_b16_e32 v1, 8, v1
	v_or_b32_e32 v1, v12, v1
	ds_write_b128 v10, v[16:19]
	ds_write_b16 v0, v1
.LBB61_84:
	s_or_b64 exec, exec, s[6:7]
	s_waitcnt lgkmcnt(0)
	s_barrier
	s_and_saveexec_b64 s[4:5], vcc
	s_cbranch_execz .LBB61_89
; %bb.85:
	s_and_saveexec_b64 s[4:5], s[0:1]
	s_cbranch_execz .LBB61_87
; %bb.86:
	v_mad_u64_u32 v[0:1], s[0:1], v3, s14, v[4:5]
	ds_read_u16 v12, v9
	v_mov_b32_e32 v1, 0
	v_lshlrev_b64 v[10:11], 1, v[0:1]
	v_mov_b32_e32 v0, s11
	v_add_co_u32_e32 v10, vcc, s10, v10
	v_addc_co_u32_e32 v11, vcc, v0, v11, vcc
	ds_read_b64 v[8:9], v8
	s_waitcnt lgkmcnt(1)
	global_store_short v[10:11], v12, off
	v_mad_u64_u32 v[10:11], s[0:1], v3, s15, v[2:3]
	v_mov_b32_e32 v11, v1
	v_lshlrev_b64 v[0:1], 3, v[10:11]
	v_mov_b32_e32 v3, s9
	v_add_co_u32_e32 v0, vcc, s8, v0
	v_addc_co_u32_e32 v1, vcc, v3, v1, vcc
	s_waitcnt lgkmcnt(0)
	global_store_dwordx2 v[0:1], v[8:9], off
.LBB61_87:
	s_or_b64 exec, exec, s[4:5]
	s_and_b64 exec, exec, s[2:3]
	s_cbranch_execz .LBB61_89
; %bb.88:
	v_mad_u64_u32 v[0:1], s[0:1], v5, s14, v[4:5]
	ds_read_u16 v3, v7
	v_mov_b32_e32 v1, 0
	v_lshlrev_b64 v[8:9], 1, v[0:1]
	v_mov_b32_e32 v0, s11
	v_add_co_u32_e32 v8, vcc, s10, v8
	v_addc_co_u32_e32 v9, vcc, v0, v9, vcc
	ds_read_b64 v[6:7], v6
	s_waitcnt lgkmcnt(1)
	global_store_short v[8:9], v3, off
	v_mad_u64_u32 v[2:3], s[0:1], v5, s15, v[2:3]
	v_mov_b32_e32 v3, v1
	v_lshlrev_b64 v[0:1], 3, v[2:3]
	v_mov_b32_e32 v2, s9
	v_add_co_u32_e32 v0, vcc, s8, v0
	v_addc_co_u32_e32 v1, vcc, v2, v1, vcc
	s_waitcnt lgkmcnt(0)
	global_store_dwordx2 v[0:1], v[6:7], off
.LBB61_89:
	s_endpgm
.LBB61_90:
	ds_read_u8 v20, v0
	s_andn2_b64 s[6:7], s[6:7], exec
	s_mov_b32 s16, 1
	s_waitcnt lgkmcnt(0)
	v_and_b32_e32 v20, 1, v20
	v_cmp_eq_u32_e64 s[4:5], 1, v20
	s_xor_b64 s[4:5], s[4:5], -1
	s_and_b64 s[4:5], s[4:5], exec
	s_or_b64 s[6:7], s[6:7], s[4:5]
	s_or_b64 exec, exec, s[12:13]
	v_mov_b32_e32 v20, s16
	s_and_saveexec_b64 s[4:5], s[6:7]
	s_cbranch_execz .LBB61_25
.LBB61_91:
	ds_read_u8 v20, v0 offset:1
	s_waitcnt lgkmcnt(0)
	v_xor_b32_e32 v20, 1, v20
	s_or_b64 exec, exec, s[4:5]
	v_cmp_eq_u32_e64 s[4:5], v20, v18
	s_and_saveexec_b64 s[6:7], s[4:5]
	s_cbranch_execnz .LBB61_26
	s_branch .LBB61_27
.LBB61_92:
	ds_read_u8 v24, v12
	s_andn2_b64 s[6:7], s[6:7], exec
	s_mov_b32 s16, 1
	s_waitcnt lgkmcnt(0)
	v_and_b32_e32 v24, 1, v24
	v_cmp_eq_u32_e64 s[4:5], 1, v24
	s_xor_b64 s[4:5], s[4:5], -1
	s_and_b64 s[4:5], s[4:5], exec
	s_or_b64 s[6:7], s[6:7], s[4:5]
	s_or_b64 exec, exec, s[12:13]
	v_mov_b32_e32 v24, s16
	s_and_saveexec_b64 s[4:5], s[6:7]
	s_cbranch_execz .LBB61_35
.LBB61_93:
	ds_read_u8 v24, v12 offset:2
	s_waitcnt lgkmcnt(0)
	v_xor_b32_e32 v24, 1, v24
	s_or_b64 exec, exec, s[4:5]
	v_cmp_eq_u32_e64 s[4:5], v24, v21
	s_and_saveexec_b64 s[6:7], s[4:5]
	s_cbranch_execnz .LBB61_36
	s_branch .LBB61_37
.LBB61_94:
	ds_read_u8 v23, v0
	s_andn2_b64 s[6:7], s[6:7], exec
	s_mov_b32 s16, 1
	s_waitcnt lgkmcnt(0)
	v_and_b32_e32 v23, 1, v23
	v_cmp_eq_u32_e64 s[4:5], 1, v23
	s_xor_b64 s[4:5], s[4:5], -1
	s_and_b64 s[4:5], s[4:5], exec
	s_or_b64 s[6:7], s[6:7], s[4:5]
	s_or_b64 exec, exec, s[12:13]
	v_mov_b32_e32 v23, s16
	s_and_saveexec_b64 s[4:5], s[6:7]
	s_cbranch_execz .LBB61_39
.LBB61_95:
	ds_read_u8 v23, v0 offset:1
	s_waitcnt lgkmcnt(0)
	v_xor_b32_e32 v23, 1, v23
	s_or_b64 exec, exec, s[4:5]
	v_cmp_eq_u32_e64 s[4:5], v23, v21
	s_and_saveexec_b64 s[6:7], s[4:5]
	s_cbranch_execnz .LBB61_40
	s_branch .LBB61_41
.LBB61_96:
	ds_read_u8 v27, v19
	s_andn2_b64 s[6:7], s[6:7], exec
	s_mov_b32 s16, 1
	s_waitcnt lgkmcnt(0)
	v_and_b32_e32 v27, 1, v27
	v_cmp_eq_u32_e64 s[4:5], 1, v27
	s_xor_b64 s[4:5], s[4:5], -1
	s_and_b64 s[4:5], s[4:5], exec
	s_or_b64 s[6:7], s[6:7], s[4:5]
	s_or_b64 exec, exec, s[12:13]
	v_mov_b32_e32 v27, s16
	s_and_saveexec_b64 s[4:5], s[6:7]
	s_cbranch_execz .LBB61_49
.LBB61_97:
	ds_read_u8 v27, v19 offset:4
	s_waitcnt lgkmcnt(0)
	v_xor_b32_e32 v27, 1, v27
	s_or_b64 exec, exec, s[4:5]
	v_cmp_eq_u32_e64 s[4:5], v27, v24
	s_and_saveexec_b64 s[6:7], s[4:5]
	s_cbranch_execnz .LBB61_50
	s_branch .LBB61_51
.LBB61_98:
	ds_read_u8 v27, v12
	s_andn2_b64 s[6:7], s[6:7], exec
	s_mov_b32 s16, 1
	s_waitcnt lgkmcnt(0)
	v_and_b32_e32 v27, 1, v27
	v_cmp_eq_u32_e64 s[4:5], 1, v27
	s_xor_b64 s[4:5], s[4:5], -1
	s_and_b64 s[4:5], s[4:5], exec
	s_or_b64 s[6:7], s[6:7], s[4:5]
	s_or_b64 exec, exec, s[12:13]
	v_mov_b32_e32 v27, s16
	s_and_saveexec_b64 s[4:5], s[6:7]
	s_cbranch_execz .LBB61_53
.LBB61_99:
	ds_read_u8 v27, v12 offset:2
	s_waitcnt lgkmcnt(0)
	v_xor_b32_e32 v27, 1, v27
	s_or_b64 exec, exec, s[4:5]
	v_cmp_eq_u32_e64 s[4:5], v27, v24
	s_and_saveexec_b64 s[6:7], s[4:5]
	s_cbranch_execnz .LBB61_54
	s_branch .LBB61_55
.LBB61_100:
	ds_read_u8 v26, v0
	s_andn2_b64 s[6:7], s[6:7], exec
	s_mov_b32 s16, 1
	s_waitcnt lgkmcnt(0)
	v_and_b32_e32 v26, 1, v26
	v_cmp_eq_u32_e64 s[4:5], 1, v26
	s_xor_b64 s[4:5], s[4:5], -1
	s_and_b64 s[4:5], s[4:5], exec
	s_or_b64 s[6:7], s[6:7], s[4:5]
	s_or_b64 exec, exec, s[12:13]
	v_mov_b32_e32 v26, s16
	s_and_saveexec_b64 s[4:5], s[6:7]
	s_cbranch_execz .LBB61_57
.LBB61_101:
	ds_read_u8 v26, v0 offset:1
	s_waitcnt lgkmcnt(0)
	v_xor_b32_e32 v26, 1, v26
	s_or_b64 exec, exec, s[4:5]
	v_cmp_eq_u32_e64 s[4:5], v26, v24
	s_and_saveexec_b64 s[6:7], s[4:5]
	s_cbranch_execnz .LBB61_58
	s_branch .LBB61_59
	.section	.rodata,"a",@progbits
	.p2align	6, 0x0
	.amdhsa_kernel _ZN2at6native20bitonicSortKVInPlaceILin1ELin1ELi16ELi16EN3c104HalfElNS0_4GTOpIS3_Lb1EEEjEEvNS_4cuda6detail10TensorInfoIT3_T6_EESA_SA_SA_NS8_IT4_SA_EESA_T5_
		.amdhsa_group_segment_fixed_size 5632
		.amdhsa_private_segment_fixed_size 0
		.amdhsa_kernarg_size 712
		.amdhsa_user_sgpr_count 6
		.amdhsa_user_sgpr_private_segment_buffer 1
		.amdhsa_user_sgpr_dispatch_ptr 0
		.amdhsa_user_sgpr_queue_ptr 0
		.amdhsa_user_sgpr_kernarg_segment_ptr 1
		.amdhsa_user_sgpr_dispatch_id 0
		.amdhsa_user_sgpr_flat_scratch_init 0
		.amdhsa_user_sgpr_kernarg_preload_length 0
		.amdhsa_user_sgpr_kernarg_preload_offset 0
		.amdhsa_user_sgpr_private_segment_size 0
		.amdhsa_uses_dynamic_stack 0
		.amdhsa_system_sgpr_private_segment_wavefront_offset 0
		.amdhsa_system_sgpr_workgroup_id_x 1
		.amdhsa_system_sgpr_workgroup_id_y 1
		.amdhsa_system_sgpr_workgroup_id_z 1
		.amdhsa_system_sgpr_workgroup_info 0
		.amdhsa_system_vgpr_workitem_id 1
		.amdhsa_next_free_vgpr 33
		.amdhsa_next_free_sgpr 18
		.amdhsa_accum_offset 36
		.amdhsa_reserve_vcc 1
		.amdhsa_reserve_flat_scratch 0
		.amdhsa_float_round_mode_32 0
		.amdhsa_float_round_mode_16_64 0
		.amdhsa_float_denorm_mode_32 3
		.amdhsa_float_denorm_mode_16_64 3
		.amdhsa_dx10_clamp 1
		.amdhsa_ieee_mode 1
		.amdhsa_fp16_overflow 0
		.amdhsa_tg_split 0
		.amdhsa_exception_fp_ieee_invalid_op 0
		.amdhsa_exception_fp_denorm_src 0
		.amdhsa_exception_fp_ieee_div_zero 0
		.amdhsa_exception_fp_ieee_overflow 0
		.amdhsa_exception_fp_ieee_underflow 0
		.amdhsa_exception_fp_ieee_inexact 0
		.amdhsa_exception_int_div_zero 0
	.end_amdhsa_kernel
	.section	.text._ZN2at6native20bitonicSortKVInPlaceILin1ELin1ELi16ELi16EN3c104HalfElNS0_4GTOpIS3_Lb1EEEjEEvNS_4cuda6detail10TensorInfoIT3_T6_EESA_SA_SA_NS8_IT4_SA_EESA_T5_,"axG",@progbits,_ZN2at6native20bitonicSortKVInPlaceILin1ELin1ELi16ELi16EN3c104HalfElNS0_4GTOpIS3_Lb1EEEjEEvNS_4cuda6detail10TensorInfoIT3_T6_EESA_SA_SA_NS8_IT4_SA_EESA_T5_,comdat
.Lfunc_end61:
	.size	_ZN2at6native20bitonicSortKVInPlaceILin1ELin1ELi16ELi16EN3c104HalfElNS0_4GTOpIS3_Lb1EEEjEEvNS_4cuda6detail10TensorInfoIT3_T6_EESA_SA_SA_NS8_IT4_SA_EESA_T5_, .Lfunc_end61-_ZN2at6native20bitonicSortKVInPlaceILin1ELin1ELi16ELi16EN3c104HalfElNS0_4GTOpIS3_Lb1EEEjEEvNS_4cuda6detail10TensorInfoIT3_T6_EESA_SA_SA_NS8_IT4_SA_EESA_T5_
                                        ; -- End function
	.section	.AMDGPU.csdata,"",@progbits
; Kernel info:
; codeLenInByte = 5320
; NumSgprs: 22
; NumVgprs: 33
; NumAgprs: 0
; TotalNumVgprs: 33
; ScratchSize: 0
; MemoryBound: 0
; FloatMode: 240
; IeeeMode: 1
; LDSByteSize: 5632 bytes/workgroup (compile time only)
; SGPRBlocks: 2
; VGPRBlocks: 4
; NumSGPRsForWavesPerEU: 22
; NumVGPRsForWavesPerEU: 33
; AccumOffset: 36
; Occupancy: 8
; WaveLimiterHint : 1
; COMPUTE_PGM_RSRC2:SCRATCH_EN: 0
; COMPUTE_PGM_RSRC2:USER_SGPR: 6
; COMPUTE_PGM_RSRC2:TRAP_HANDLER: 0
; COMPUTE_PGM_RSRC2:TGID_X_EN: 1
; COMPUTE_PGM_RSRC2:TGID_Y_EN: 1
; COMPUTE_PGM_RSRC2:TGID_Z_EN: 1
; COMPUTE_PGM_RSRC2:TIDIG_COMP_CNT: 1
; COMPUTE_PGM_RSRC3_GFX90A:ACCUM_OFFSET: 8
; COMPUTE_PGM_RSRC3_GFX90A:TG_SPLIT: 0
	.section	.text._ZN2at6native20bitonicSortKVInPlaceILin1ELin1ELi16ELi16EN3c104HalfElNS0_4LTOpIS3_Lb1EEEmEEvNS_4cuda6detail10TensorInfoIT3_T6_EESA_SA_SA_NS8_IT4_SA_EESA_T5_,"axG",@progbits,_ZN2at6native20bitonicSortKVInPlaceILin1ELin1ELi16ELi16EN3c104HalfElNS0_4LTOpIS3_Lb1EEEmEEvNS_4cuda6detail10TensorInfoIT3_T6_EESA_SA_SA_NS8_IT4_SA_EESA_T5_,comdat
	.protected	_ZN2at6native20bitonicSortKVInPlaceILin1ELin1ELi16ELi16EN3c104HalfElNS0_4LTOpIS3_Lb1EEEmEEvNS_4cuda6detail10TensorInfoIT3_T6_EESA_SA_SA_NS8_IT4_SA_EESA_T5_ ; -- Begin function _ZN2at6native20bitonicSortKVInPlaceILin1ELin1ELi16ELi16EN3c104HalfElNS0_4LTOpIS3_Lb1EEEmEEvNS_4cuda6detail10TensorInfoIT3_T6_EESA_SA_SA_NS8_IT4_SA_EESA_T5_
	.globl	_ZN2at6native20bitonicSortKVInPlaceILin1ELin1ELi16ELi16EN3c104HalfElNS0_4LTOpIS3_Lb1EEEmEEvNS_4cuda6detail10TensorInfoIT3_T6_EESA_SA_SA_NS8_IT4_SA_EESA_T5_
	.p2align	8
	.type	_ZN2at6native20bitonicSortKVInPlaceILin1ELin1ELi16ELi16EN3c104HalfElNS0_4LTOpIS3_Lb1EEEmEEvNS_4cuda6detail10TensorInfoIT3_T6_EESA_SA_SA_NS8_IT4_SA_EESA_T5_,@function
_ZN2at6native20bitonicSortKVInPlaceILin1ELin1ELi16ELi16EN3c104HalfElNS0_4LTOpIS3_Lb1EEEmEEvNS_4cuda6detail10TensorInfoIT3_T6_EESA_SA_SA_NS8_IT4_SA_EESA_T5_: ; @_ZN2at6native20bitonicSortKVInPlaceILin1ELin1ELi16ELi16EN3c104HalfElNS0_4LTOpIS3_Lb1EEEmEEvNS_4cuda6detail10TensorInfoIT3_T6_EESA_SA_SA_NS8_IT4_SA_EESA_T5_
; %bb.0:
	s_load_dwordx2 s[0:1], s[4:5], 0x368
	s_load_dwordx4 s[12:15], s[4:5], 0x1a0
	s_load_dword s9, s[4:5], 0x374
	s_add_u32 s2, s4, 0x368
	s_addc_u32 s3, s5, 0
	s_waitcnt lgkmcnt(0)
	s_mul_i32 s1, s1, s8
	s_add_i32 s1, s1, s7
	s_mul_i32 s0, s1, s0
	s_add_i32 s0, s0, s6
	s_lshr_b32 s6, s9, 16
	s_mul_hi_u32 s1, s0, s6
	s_mul_i32 s0, s0, s6
	v_pk_mov_b32 v[2:3], s[12:13], s[12:13] op_sel:[0,1]
	v_cmp_ge_u64_e32 vcc, s[0:1], v[2:3]
	s_cbranch_vccnz .LBB62_99
; %bb.1:
	v_mov_b32_e32 v1, s1
	s_load_dwordx2 s[8:9], s[4:5], 0x1b0
	s_load_dword s1, s[4:5], 0x198
	v_bfe_u32 v16, v0, 10, 10
	v_add_co_u32_e32 v4, vcc, s0, v16
	v_addc_co_u32_e32 v5, vcc, 0, v1, vcc
	v_mov_b32_e32 v8, 0
	s_waitcnt lgkmcnt(0)
	s_cmp_lt_i32 s1, 2
	v_pk_mov_b32 v[2:3], 0, 0
	v_pk_mov_b32 v[6:7], v[4:5], v[4:5] op_sel:[0,1]
	s_cbranch_scc1 .LBB62_9
; %bb.2:
	s_add_i32 s18, s1, 1
	s_add_i32 s0, s1, -1
	s_mov_b32 s1, 0
	s_lshl_b64 s[0:1], s[0:1], 3
	s_add_u32 s0, s0, s4
	s_addc_u32 s1, s1, s5
	s_add_u32 s6, s0, 8
	s_addc_u32 s7, s1, 0
	v_pk_mov_b32 v[2:3], 0, 0
	v_pk_mov_b32 v[10:11], v[4:5], v[4:5] op_sel:[0,1]
.LBB62_3:                               ; =>This Inner Loop Header: Depth=1
	s_load_dwordx2 s[10:11], s[6:7], 0x0
                                        ; implicit-def: $vgpr6_vgpr7
	s_waitcnt lgkmcnt(0)
	v_or_b32_e32 v9, s11, v11
	v_cmp_ne_u64_e32 vcc, 0, v[8:9]
	s_and_saveexec_b64 s[0:1], vcc
	s_xor_b64 s[16:17], exec, s[0:1]
	s_cbranch_execz .LBB62_5
; %bb.4:                                ;   in Loop: Header=BB62_3 Depth=1
	v_cvt_f32_u32_e32 v1, s10
	v_cvt_f32_u32_e32 v6, s11
	s_sub_u32 s0, 0, s10
	s_subb_u32 s1, 0, s11
	v_mac_f32_e32 v1, 0x4f800000, v6
	v_rcp_f32_e32 v1, v1
	v_mul_f32_e32 v1, 0x5f7ffffc, v1
	v_mul_f32_e32 v6, 0x2f800000, v1
	v_trunc_f32_e32 v6, v6
	v_mac_f32_e32 v1, 0xcf800000, v6
	v_cvt_u32_f32_e32 v6, v6
	v_cvt_u32_f32_e32 v1, v1
	v_mul_lo_u32 v7, s0, v6
	v_mul_hi_u32 v12, s0, v1
	v_mul_lo_u32 v9, s1, v1
	v_add_u32_e32 v7, v12, v7
	v_mul_lo_u32 v13, s0, v1
	v_add_u32_e32 v7, v7, v9
	v_mul_hi_u32 v12, v1, v13
	v_mul_lo_u32 v14, v1, v7
	v_mul_hi_u32 v9, v1, v7
	v_add_co_u32_e32 v12, vcc, v12, v14
	v_addc_co_u32_e32 v9, vcc, 0, v9, vcc
	v_mul_hi_u32 v15, v6, v13
	v_mul_lo_u32 v13, v6, v13
	v_add_co_u32_e32 v12, vcc, v12, v13
	v_mul_hi_u32 v14, v6, v7
	v_addc_co_u32_e32 v9, vcc, v9, v15, vcc
	v_addc_co_u32_e32 v12, vcc, 0, v14, vcc
	v_mul_lo_u32 v7, v6, v7
	v_add_co_u32_e32 v7, vcc, v9, v7
	v_addc_co_u32_e32 v9, vcc, 0, v12, vcc
	v_add_co_u32_e32 v1, vcc, v1, v7
	v_addc_co_u32_e32 v6, vcc, v6, v9, vcc
	v_mul_lo_u32 v7, s0, v6
	v_mul_hi_u32 v9, s0, v1
	v_add_u32_e32 v7, v9, v7
	v_mul_lo_u32 v9, s1, v1
	v_add_u32_e32 v7, v7, v9
	v_mul_lo_u32 v12, s0, v1
	v_mul_hi_u32 v13, v6, v12
	v_mul_lo_u32 v14, v6, v12
	v_mul_lo_u32 v17, v1, v7
	v_mul_hi_u32 v12, v1, v12
	v_mul_hi_u32 v15, v1, v7
	v_add_co_u32_e32 v12, vcc, v12, v17
	v_addc_co_u32_e32 v15, vcc, 0, v15, vcc
	v_add_co_u32_e32 v12, vcc, v12, v14
	v_mul_hi_u32 v9, v6, v7
	v_addc_co_u32_e32 v12, vcc, v15, v13, vcc
	v_addc_co_u32_e32 v9, vcc, 0, v9, vcc
	v_mul_lo_u32 v7, v6, v7
	v_add_co_u32_e32 v7, vcc, v12, v7
	v_addc_co_u32_e32 v9, vcc, 0, v9, vcc
	v_add_co_u32_e32 v1, vcc, v1, v7
	v_addc_co_u32_e32 v9, vcc, v6, v9, vcc
	v_mad_u64_u32 v[6:7], s[0:1], v10, v9, 0
	v_mul_hi_u32 v12, v10, v1
	v_add_co_u32_e32 v14, vcc, v12, v6
	v_addc_co_u32_e32 v15, vcc, 0, v7, vcc
	v_mad_u64_u32 v[12:13], s[0:1], v11, v1, 0
	v_add_co_u32_e32 v1, vcc, v14, v12
	v_mad_u64_u32 v[6:7], s[0:1], v11, v9, 0
	v_addc_co_u32_e32 v1, vcc, v15, v13, vcc
	v_addc_co_u32_e32 v7, vcc, 0, v7, vcc
	v_add_co_u32_e32 v1, vcc, v1, v6
	v_addc_co_u32_e32 v9, vcc, 0, v7, vcc
	v_mul_lo_u32 v12, s11, v1
	v_mul_lo_u32 v13, s10, v9
	v_mad_u64_u32 v[6:7], s[0:1], s10, v1, 0
	v_add3_u32 v7, v7, v13, v12
	v_sub_u32_e32 v12, v11, v7
	v_mov_b32_e32 v13, s11
	v_sub_co_u32_e32 v6, vcc, v10, v6
	v_subb_co_u32_e64 v12, s[0:1], v12, v13, vcc
	v_subrev_co_u32_e64 v13, s[0:1], s10, v6
	v_subbrev_co_u32_e64 v12, s[0:1], 0, v12, s[0:1]
	v_cmp_le_u32_e64 s[0:1], s11, v12
	v_cndmask_b32_e64 v14, 0, -1, s[0:1]
	v_cmp_le_u32_e64 s[0:1], s10, v13
	v_cndmask_b32_e64 v13, 0, -1, s[0:1]
	v_cmp_eq_u32_e64 s[0:1], s11, v12
	v_cndmask_b32_e64 v12, v14, v13, s[0:1]
	v_add_co_u32_e64 v13, s[0:1], 2, v1
	v_addc_co_u32_e64 v14, s[0:1], 0, v9, s[0:1]
	v_add_co_u32_e64 v15, s[0:1], 1, v1
	v_addc_co_u32_e64 v17, s[0:1], 0, v9, s[0:1]
	v_subb_co_u32_e32 v7, vcc, v11, v7, vcc
	v_cmp_ne_u32_e64 s[0:1], 0, v12
	v_cmp_le_u32_e32 vcc, s11, v7
	v_cndmask_b32_e64 v12, v17, v14, s[0:1]
	v_cndmask_b32_e64 v14, 0, -1, vcc
	v_cmp_le_u32_e32 vcc, s10, v6
	v_cndmask_b32_e64 v6, 0, -1, vcc
	v_cmp_eq_u32_e32 vcc, s11, v7
	v_cndmask_b32_e32 v6, v14, v6, vcc
	v_cmp_ne_u32_e32 vcc, 0, v6
	v_cndmask_b32_e64 v6, v15, v13, s[0:1]
	v_cndmask_b32_e32 v7, v9, v12, vcc
	v_cndmask_b32_e32 v6, v1, v6, vcc
.LBB62_5:                               ;   in Loop: Header=BB62_3 Depth=1
	s_andn2_saveexec_b64 s[0:1], s[16:17]
	s_cbranch_execz .LBB62_7
; %bb.6:                                ;   in Loop: Header=BB62_3 Depth=1
	v_cvt_f32_u32_e32 v1, s10
	s_sub_i32 s16, 0, s10
	v_rcp_iflag_f32_e32 v1, v1
	v_mul_f32_e32 v1, 0x4f7ffffe, v1
	v_cvt_u32_f32_e32 v1, v1
	v_mul_lo_u32 v6, s16, v1
	v_mul_hi_u32 v6, v1, v6
	v_add_u32_e32 v1, v1, v6
	v_mul_hi_u32 v1, v10, v1
	v_mul_lo_u32 v6, v1, s10
	v_sub_u32_e32 v6, v10, v6
	v_add_u32_e32 v7, 1, v1
	v_subrev_u32_e32 v9, s10, v6
	v_cmp_le_u32_e32 vcc, s10, v6
	v_cndmask_b32_e32 v6, v6, v9, vcc
	v_cndmask_b32_e32 v1, v1, v7, vcc
	v_add_u32_e32 v7, 1, v1
	v_cmp_le_u32_e32 vcc, s10, v6
	v_cndmask_b32_e32 v6, v1, v7, vcc
	v_mov_b32_e32 v7, v8
.LBB62_7:                               ;   in Loop: Header=BB62_3 Depth=1
	s_or_b64 exec, exec, s[0:1]
	v_mad_u64_u32 v[12:13], s[0:1], v6, s10, 0
	s_load_dwordx2 s[0:1], s[6:7], 0xc8
	v_mul_lo_u32 v1, v7, s10
	v_mul_lo_u32 v9, v6, s11
	v_add3_u32 v1, v13, v9, v1
	v_sub_co_u32_e32 v9, vcc, v10, v12
	s_add_i32 s18, s18, -1
	v_subb_co_u32_e32 v1, vcc, v11, v1, vcc
	s_add_u32 s6, s6, -8
	s_waitcnt lgkmcnt(0)
	v_mul_lo_u32 v1, s0, v1
	v_mul_lo_u32 v10, s1, v9
	v_mad_u64_u32 v[2:3], s[0:1], s0, v9, v[2:3]
	s_addc_u32 s7, s7, -1
	s_cmp_gt_u32 s18, 2
	v_add3_u32 v3, v10, v3, v1
	s_cbranch_scc0 .LBB62_9
; %bb.8:                                ;   in Loop: Header=BB62_3 Depth=1
	v_pk_mov_b32 v[10:11], v[6:7], v[6:7] op_sel:[0,1]
	s_branch .LBB62_3
.LBB62_9:
	s_load_dword s0, s[4:5], 0x350
	s_load_dwordx2 s[6:7], s[4:5], 0xd0
	v_pk_mov_b32 v[8:9], 0, 0
	v_pk_mov_b32 v[14:15], v[4:5], v[4:5] op_sel:[0,1]
	s_waitcnt lgkmcnt(0)
	s_cmp_lt_i32 s0, 2
	s_cbranch_scc1 .LBB62_17
; %bb.10:
	s_add_i32 s20, s0, 1
	s_add_i32 s0, s0, -1
	s_mov_b32 s1, 0
	s_lshl_b64 s[0:1], s[0:1], 3
	s_add_u32 s0, s0, s4
	s_addc_u32 s1, s1, s5
	s_add_u32 s10, s0, 0x1c0
	s_addc_u32 s11, s1, 0
	v_pk_mov_b32 v[8:9], 0, 0
	v_mov_b32_e32 v10, 0
	v_pk_mov_b32 v[12:13], v[4:5], v[4:5] op_sel:[0,1]
.LBB62_11:                              ; =>This Inner Loop Header: Depth=1
	s_load_dwordx2 s[16:17], s[10:11], 0x0
                                        ; implicit-def: $vgpr14_vgpr15
	s_waitcnt lgkmcnt(0)
	v_or_b32_e32 v11, s17, v13
	v_cmp_ne_u64_e32 vcc, 0, v[10:11]
	s_and_saveexec_b64 s[0:1], vcc
	s_xor_b64 s[18:19], exec, s[0:1]
	s_cbranch_execz .LBB62_13
; %bb.12:                               ;   in Loop: Header=BB62_11 Depth=1
	v_cvt_f32_u32_e32 v1, s16
	v_cvt_f32_u32_e32 v11, s17
	s_sub_u32 s0, 0, s16
	s_subb_u32 s1, 0, s17
	v_mac_f32_e32 v1, 0x4f800000, v11
	v_rcp_f32_e32 v1, v1
	v_mul_f32_e32 v1, 0x5f7ffffc, v1
	v_mul_f32_e32 v11, 0x2f800000, v1
	v_trunc_f32_e32 v11, v11
	v_mac_f32_e32 v1, 0xcf800000, v11
	v_cvt_u32_f32_e32 v11, v11
	v_cvt_u32_f32_e32 v1, v1
	v_mul_lo_u32 v14, s0, v11
	v_mul_hi_u32 v17, s0, v1
	v_mul_lo_u32 v15, s1, v1
	v_add_u32_e32 v14, v17, v14
	v_mul_lo_u32 v18, s0, v1
	v_add_u32_e32 v14, v14, v15
	v_mul_hi_u32 v17, v1, v18
	v_mul_lo_u32 v19, v1, v14
	v_mul_hi_u32 v15, v1, v14
	v_add_co_u32_e32 v17, vcc, v17, v19
	v_addc_co_u32_e32 v15, vcc, 0, v15, vcc
	v_mul_hi_u32 v20, v11, v18
	v_mul_lo_u32 v18, v11, v18
	v_add_co_u32_e32 v17, vcc, v17, v18
	v_mul_hi_u32 v19, v11, v14
	v_addc_co_u32_e32 v15, vcc, v15, v20, vcc
	v_addc_co_u32_e32 v17, vcc, 0, v19, vcc
	v_mul_lo_u32 v14, v11, v14
	v_add_co_u32_e32 v14, vcc, v15, v14
	v_addc_co_u32_e32 v15, vcc, 0, v17, vcc
	v_add_co_u32_e32 v1, vcc, v1, v14
	v_addc_co_u32_e32 v11, vcc, v11, v15, vcc
	v_mul_lo_u32 v14, s0, v11
	v_mul_hi_u32 v15, s0, v1
	v_add_u32_e32 v14, v15, v14
	v_mul_lo_u32 v15, s1, v1
	v_add_u32_e32 v14, v14, v15
	v_mul_lo_u32 v17, s0, v1
	v_mul_hi_u32 v18, v11, v17
	v_mul_lo_u32 v19, v11, v17
	v_mul_lo_u32 v21, v1, v14
	v_mul_hi_u32 v17, v1, v17
	v_mul_hi_u32 v20, v1, v14
	v_add_co_u32_e32 v17, vcc, v17, v21
	v_addc_co_u32_e32 v20, vcc, 0, v20, vcc
	v_add_co_u32_e32 v17, vcc, v17, v19
	v_mul_hi_u32 v15, v11, v14
	v_addc_co_u32_e32 v17, vcc, v20, v18, vcc
	v_addc_co_u32_e32 v15, vcc, 0, v15, vcc
	v_mul_lo_u32 v14, v11, v14
	v_add_co_u32_e32 v14, vcc, v17, v14
	v_addc_co_u32_e32 v15, vcc, 0, v15, vcc
	v_add_co_u32_e32 v1, vcc, v1, v14
	v_addc_co_u32_e32 v11, vcc, v11, v15, vcc
	v_mad_u64_u32 v[14:15], s[0:1], v12, v11, 0
	v_mul_hi_u32 v17, v12, v1
	v_add_co_u32_e32 v17, vcc, v17, v14
	v_addc_co_u32_e32 v20, vcc, 0, v15, vcc
	v_mad_u64_u32 v[18:19], s[0:1], v13, v1, 0
	v_add_co_u32_e32 v1, vcc, v17, v18
	v_mad_u64_u32 v[14:15], s[0:1], v13, v11, 0
	v_addc_co_u32_e32 v1, vcc, v20, v19, vcc
	v_addc_co_u32_e32 v11, vcc, 0, v15, vcc
	v_add_co_u32_e32 v1, vcc, v1, v14
	v_addc_co_u32_e32 v11, vcc, 0, v11, vcc
	v_mul_lo_u32 v17, s17, v1
	v_mul_lo_u32 v18, s16, v11
	v_mad_u64_u32 v[14:15], s[0:1], s16, v1, 0
	v_add3_u32 v15, v15, v18, v17
	v_sub_u32_e32 v17, v13, v15
	v_mov_b32_e32 v18, s17
	v_sub_co_u32_e32 v14, vcc, v12, v14
	v_subb_co_u32_e64 v17, s[0:1], v17, v18, vcc
	v_subrev_co_u32_e64 v18, s[0:1], s16, v14
	v_subbrev_co_u32_e64 v17, s[0:1], 0, v17, s[0:1]
	v_cmp_le_u32_e64 s[0:1], s17, v17
	v_cndmask_b32_e64 v19, 0, -1, s[0:1]
	v_cmp_le_u32_e64 s[0:1], s16, v18
	v_cndmask_b32_e64 v18, 0, -1, s[0:1]
	v_cmp_eq_u32_e64 s[0:1], s17, v17
	v_cndmask_b32_e64 v17, v19, v18, s[0:1]
	v_add_co_u32_e64 v18, s[0:1], 2, v1
	v_addc_co_u32_e64 v19, s[0:1], 0, v11, s[0:1]
	v_add_co_u32_e64 v20, s[0:1], 1, v1
	v_addc_co_u32_e64 v21, s[0:1], 0, v11, s[0:1]
	v_subb_co_u32_e32 v15, vcc, v13, v15, vcc
	v_cmp_ne_u32_e64 s[0:1], 0, v17
	v_cmp_le_u32_e32 vcc, s17, v15
	v_cndmask_b32_e64 v17, v21, v19, s[0:1]
	v_cndmask_b32_e64 v19, 0, -1, vcc
	v_cmp_le_u32_e32 vcc, s16, v14
	v_cndmask_b32_e64 v14, 0, -1, vcc
	v_cmp_eq_u32_e32 vcc, s17, v15
	v_cndmask_b32_e32 v14, v19, v14, vcc
	v_cmp_ne_u32_e32 vcc, 0, v14
	v_cndmask_b32_e32 v15, v11, v17, vcc
	v_cndmask_b32_e64 v11, v20, v18, s[0:1]
	v_cndmask_b32_e32 v14, v1, v11, vcc
.LBB62_13:                              ;   in Loop: Header=BB62_11 Depth=1
	s_andn2_saveexec_b64 s[0:1], s[18:19]
	s_cbranch_execz .LBB62_15
; %bb.14:                               ;   in Loop: Header=BB62_11 Depth=1
	v_cvt_f32_u32_e32 v1, s16
	s_sub_i32 s18, 0, s16
	v_rcp_iflag_f32_e32 v1, v1
	v_mul_f32_e32 v1, 0x4f7ffffe, v1
	v_cvt_u32_f32_e32 v1, v1
	v_mul_lo_u32 v11, s18, v1
	v_mul_hi_u32 v11, v1, v11
	v_add_u32_e32 v1, v1, v11
	v_mul_hi_u32 v1, v12, v1
	v_mul_lo_u32 v11, v1, s16
	v_sub_u32_e32 v11, v12, v11
	v_add_u32_e32 v14, 1, v1
	v_subrev_u32_e32 v15, s16, v11
	v_cmp_le_u32_e32 vcc, s16, v11
	v_cndmask_b32_e32 v11, v11, v15, vcc
	v_cndmask_b32_e32 v1, v1, v14, vcc
	v_add_u32_e32 v14, 1, v1
	v_cmp_le_u32_e32 vcc, s16, v11
	v_cndmask_b32_e32 v14, v1, v14, vcc
	v_mov_b32_e32 v15, v10
.LBB62_15:                              ;   in Loop: Header=BB62_11 Depth=1
	s_or_b64 exec, exec, s[0:1]
	v_mad_u64_u32 v[18:19], s[0:1], v14, s16, 0
	s_load_dwordx2 s[0:1], s[10:11], 0xc8
	v_mul_lo_u32 v1, v15, s16
	v_mul_lo_u32 v11, v14, s17
	v_add3_u32 v1, v19, v11, v1
	v_sub_co_u32_e32 v11, vcc, v12, v18
	s_add_i32 s20, s20, -1
	v_subb_co_u32_e32 v1, vcc, v13, v1, vcc
	s_add_u32 s10, s10, -8
	s_waitcnt lgkmcnt(0)
	v_mul_lo_u32 v1, s0, v1
	v_mul_lo_u32 v12, s1, v11
	v_mad_u64_u32 v[8:9], s[0:1], s0, v11, v[8:9]
	s_addc_u32 s11, s11, -1
	s_cmp_gt_u32 s20, 2
	v_add3_u32 v9, v12, v9, v1
	s_cbranch_scc0 .LBB62_17
; %bb.16:                               ;   in Loop: Header=BB62_11 Depth=1
	v_pk_mov_b32 v[12:13], v[14:15], v[14:15] op_sel:[0,1]
	s_branch .LBB62_11
.LBB62_17:
	v_mul_lo_u32 v1, s7, v6
	v_mul_lo_u32 v10, s6, v7
	v_mad_u64_u32 v[6:7], s[0:1], s6, v6, 0
	s_load_dwordx2 s[10:11], s[4:5], 0x358
	s_load_dwordx2 s[0:1], s[4:5], 0x288
	s_load_dwordx2 s[6:7], s[4:5], 0x0
	s_load_dwordx2 s[16:17], s[4:5], 0x1b8
	v_add3_u32 v7, v7, v10, v1
	v_cmp_gt_u64_e32 vcc, s[12:13], v[4:5]
	v_lshlrev_b64 v[6:7], 1, v[6:7]
	s_waitcnt lgkmcnt(0)
	v_mul_lo_u32 v1, s1, v14
	v_mul_lo_u32 v10, s0, v15
	v_mad_u64_u32 v[4:5], s[0:1], s0, v14, 0
	v_add3_u32 v5, v5, v10, v1
	v_mov_b32_e32 v1, s7
	v_add_co_u32_e64 v6, s[0:1], s6, v6
	v_addc_co_u32_e64 v1, s[0:1], v1, v7, s[0:1]
	v_lshlrev_b64 v[2:3], 1, v[2:3]
	v_add_co_u32_e64 v10, s[0:1], v6, v2
	v_addc_co_u32_e64 v11, s[0:1], v1, v3, s[0:1]
	v_lshlrev_b64 v[2:3], 3, v[4:5]
	v_mov_b32_e32 v1, s17
	v_add_co_u32_e64 v4, s[0:1], s16, v2
	v_addc_co_u32_e64 v1, s[0:1], v1, v3, s[0:1]
	v_lshlrev_b64 v[2:3], 3, v[8:9]
	s_load_dword s12, s[2:3], 0xc
	v_add_co_u32_e64 v8, s[0:1], v4, v2
	v_addc_co_u32_e64 v9, s[0:1], v1, v3, s[0:1]
	v_mov_b32_e32 v1, 0
	v_and_b32_e32 v2, 0x3ff, v0
	v_mov_b32_e32 v3, v1
	v_cmp_gt_u64_e64 s[0:1], s[14:15], v[2:3]
	v_pk_mov_b32 v[4:5], 0, 0
	s_and_b64 s[4:5], vcc, s[0:1]
	v_mov_b32_e32 v0, 0
	v_pk_mov_b32 v[6:7], v[4:5], v[4:5] op_sel:[0,1]
	s_and_saveexec_b64 s[6:7], s[4:5]
	s_cbranch_execz .LBB62_19
; %bb.18:
	v_mad_u64_u32 v[6:7], s[2:3], v2, s8, 0
	v_mov_b32_e32 v0, v7
	v_mad_u64_u32 v[12:13], s[2:3], v2, s9, v[0:1]
	v_mov_b32_e32 v7, v12
	v_lshlrev_b64 v[6:7], 1, v[6:7]
	v_add_co_u32_e64 v6, s[2:3], v10, v6
	v_addc_co_u32_e64 v7, s[2:3], v11, v7, s[2:3]
	global_load_ushort v0, v[6:7], off
	v_mad_u64_u32 v[6:7], s[2:3], v2, s10, 0
	v_mov_b32_e32 v12, v7
	v_mad_u64_u32 v[12:13], s[2:3], v2, s11, v[12:13]
	v_mov_b32_e32 v7, v12
	v_lshlrev_b64 v[6:7], 3, v[6:7]
	v_add_co_u32_e64 v6, s[2:3], v8, v6
	v_addc_co_u32_e64 v7, s[2:3], v9, v7, s[2:3]
	global_load_dwordx2 v[6:7], v[6:7], off
.LBB62_19:
	s_or_b64 exec, exec, s[6:7]
	v_mov_b32_e32 v3, 0x1000
	v_lshl_add_u32 v18, v16, 6, v3
	v_mov_b32_e32 v3, 0x1400
	v_lshl_add_u32 v17, v16, 5, v3
	v_lshl_add_u32 v12, v2, 1, v18
	s_waitcnt lgkmcnt(0)
	s_and_b32 s16, 0xffff, s12
	v_cndmask_b32_e64 v13, 0, 1, s[4:5]
	s_waitcnt vmcnt(1)
	ds_write_b16 v12, v0
	v_add_u32_e32 v0, v17, v2
	ds_write_b8 v0, v13
	v_add_u32_e32 v0, s16, v2
	v_lshlrev_b32_e32 v15, 8, v16
	v_cmp_gt_u64_e64 s[2:3], s[14:15], v[0:1]
	v_lshl_add_u32 v3, v2, 3, v15
	s_and_b64 s[6:7], vcc, s[2:3]
	s_waitcnt vmcnt(0)
	ds_write_b64 v3, v[6:7]
	s_and_saveexec_b64 s[12:13], s[6:7]
	s_cbranch_execz .LBB62_21
; %bb.20:
	v_mad_u64_u32 v[4:5], s[4:5], v0, s8, 0
	v_mov_b32_e32 v6, v5
	v_mad_u64_u32 v[6:7], s[4:5], v0, s9, v[6:7]
	v_mov_b32_e32 v5, v6
	v_lshlrev_b64 v[4:5], 1, v[4:5]
	v_add_co_u32_e64 v4, s[4:5], v10, v4
	v_addc_co_u32_e64 v5, s[4:5], v11, v5, s[4:5]
	global_load_ushort v1, v[4:5], off
	v_mad_u64_u32 v[4:5], s[4:5], v0, s10, 0
	v_mov_b32_e32 v6, v5
	v_mad_u64_u32 v[6:7], s[4:5], v0, s11, v[6:7]
	v_mov_b32_e32 v5, v6
	v_lshlrev_b64 v[4:5], 3, v[4:5]
	v_add_co_u32_e64 v4, s[4:5], v8, v4
	v_addc_co_u32_e64 v5, s[4:5], v9, v5, s[4:5]
	global_load_dwordx2 v[4:5], v[4:5], off
.LBB62_21:
	s_or_b64 exec, exec, s[12:13]
	v_lshl_add_u32 v6, s16, 1, v12
	s_waitcnt vmcnt(1)
	ds_write_b16 v6, v1
	v_lshl_add_u32 v1, s16, 3, v3
	v_lshlrev_b32_e32 v19, 1, v2
	v_cndmask_b32_e64 v7, 0, 1, s[6:7]
	s_waitcnt vmcnt(0)
	ds_write_b64 v1, v[4:5]
	v_add_u32_e32 v4, v17, v0
	v_add_u32_e32 v5, v12, v19
	ds_write_b8 v4, v7
	s_waitcnt lgkmcnt(0)
	s_barrier
	ds_read_b32 v13, v5
	s_mov_b32 s14, 1
	v_add_u32_e32 v4, v17, v19
	s_waitcnt lgkmcnt(0)
	v_cmp_u_f16_sdwa s[6:7], v13, v13 src0_sel:WORD_1 src1_sel:WORD_1
	v_cmp_o_f16_e64 s[4:5], v13, v13
	s_and_b64 s[4:5], s[6:7], s[4:5]
	v_cmp_lt_f16_sdwa s[6:7], v13, v13 src0_sel:DWORD src1_sel:WORD_1
	s_or_b64 s[4:5], s[4:5], s[6:7]
	s_xor_b64 s[6:7], s[4:5], -1
	s_and_saveexec_b64 s[12:13], s[4:5]
	s_xor_b64 s[12:13], exec, s[12:13]
	s_cbranch_execz .LBB62_23
; %bb.22:
	ds_read_u8 v7, v4
	s_andn2_b64 s[6:7], s[6:7], exec
	s_waitcnt lgkmcnt(0)
	v_and_b32_e32 v7, 1, v7
	v_cmp_eq_u32_e64 s[4:5], 1, v7
	s_xor_b64 s[4:5], s[4:5], -1
	s_and_b64 s[4:5], s[4:5], exec
	s_or_b64 s[6:7], s[6:7], s[4:5]
.LBB62_23:
	s_or_b64 exec, exec, s[12:13]
	v_mov_b32_e32 v16, s14
	s_and_saveexec_b64 s[4:5], s[6:7]
	s_cbranch_execz .LBB62_25
; %bb.24:
	ds_read_u8 v7, v4 offset:1
	s_waitcnt lgkmcnt(0)
	v_xor_b32_e32 v16, 1, v7
.LBB62_25:
	s_or_b64 exec, exec, s[4:5]
	v_and_b32_e32 v14, 1, v2
	v_lshlrev_b32_e32 v7, 3, v2
	v_cmp_eq_u32_e64 s[4:5], v16, v14
	s_and_saveexec_b64 s[6:7], s[4:5]
	s_cbranch_execz .LBB62_27
; %bb.26:
	v_add_u32_e32 v16, v3, v7
	v_alignbit_b32 v13, v13, v13, 16
	ds_read_b128 v[20:23], v16
	ds_write_b32 v5, v13
	ds_read_u16 v13, v4
	s_mov_b32 s4, 0xc0c0001
	s_waitcnt lgkmcnt(2)
	v_mov_b32_e32 v24, v20
	v_mov_b32_e32 v25, v21
	s_waitcnt lgkmcnt(0)
	v_perm_b32 v13, 0, v13, s4
	ds_write_b128 v16, v[22:25]
	ds_write_b16 v4, v13
.LBB62_27:
	s_or_b64 exec, exec, s[6:7]
	v_sub_u32_e32 v16, v19, v14
	v_lshl_add_u32 v13, v16, 1, v18
	s_waitcnt lgkmcnt(0)
	s_barrier
	ds_read_u16 v22, v13 offset:4
	ds_read_u16 v21, v13
	v_add_u32_e32 v14, v17, v16
                                        ; implicit-def: $sgpr12
	s_waitcnt lgkmcnt(1)
	v_cmp_u_f16_e64 s[4:5], v22, v22
	s_waitcnt lgkmcnt(0)
	v_cmp_o_f16_e64 s[6:7], v21, v21
	s_and_b64 s[6:7], s[4:5], s[6:7]
	v_cmp_lt_f16_e64 s[4:5], v21, v22
	s_or_b64 s[6:7], s[6:7], s[4:5]
	s_mov_b64 s[4:5], -1
	s_and_saveexec_b64 s[14:15], s[6:7]
	s_xor_b64 s[6:7], exec, s[14:15]
	s_cbranch_execz .LBB62_29
; %bb.28:
	ds_read_u8 v20, v14
	s_mov_b32 s12, 1
	s_waitcnt lgkmcnt(0)
	v_and_b32_e32 v20, 1, v20
	v_cmp_eq_u32_e64 s[4:5], 1, v20
	s_xor_b64 s[4:5], s[4:5], -1
	s_orn2_b64 s[4:5], s[4:5], exec
.LBB62_29:
	s_or_b64 exec, exec, s[6:7]
	v_mov_b32_e32 v23, s12
	s_and_saveexec_b64 s[6:7], s[4:5]
	s_cbranch_execz .LBB62_31
; %bb.30:
	ds_read_u8 v20, v14 offset:2
	s_waitcnt lgkmcnt(0)
	v_xor_b32_e32 v23, 1, v20
.LBB62_31:
	s_or_b64 exec, exec, s[6:7]
	v_bfe_u32 v20, v2, 1, 1
	v_lshl_add_u32 v16, v16, 3, v15
	v_cmp_eq_u32_e64 s[4:5], v23, v20
	s_and_saveexec_b64 s[6:7], s[4:5]
	s_cbranch_execz .LBB62_33
; %bb.32:
	ds_read2_b64 v[24:27], v16 offset1:2
	ds_read_u8 v23, v14 offset:2
	ds_read_u8 v28, v14
	ds_write_b16 v13, v22
	ds_write_b16 v13, v21 offset:4
	s_waitcnt lgkmcnt(4)
	ds_write2_b64 v16, v[26:27], v[24:25] offset1:2
	s_waitcnt lgkmcnt(4)
	ds_write_b8 v14, v23
	s_waitcnt lgkmcnt(4)
	ds_write_b8 v14, v28 offset:2
.LBB62_33:
	s_or_b64 exec, exec, s[6:7]
	s_waitcnt lgkmcnt(0)
	s_barrier
	ds_read_b32 v21, v5
                                        ; implicit-def: $sgpr14
	s_waitcnt lgkmcnt(0)
	v_cmp_u_f16_sdwa s[6:7], v21, v21 src0_sel:WORD_1 src1_sel:WORD_1
	v_cmp_o_f16_e64 s[4:5], v21, v21
	s_and_b64 s[4:5], s[6:7], s[4:5]
	v_cmp_lt_f16_sdwa s[6:7], v21, v21 src0_sel:DWORD src1_sel:WORD_1
	s_or_b64 s[4:5], s[4:5], s[6:7]
	s_xor_b64 s[6:7], s[4:5], -1
	s_and_saveexec_b64 s[12:13], s[4:5]
	s_cbranch_execnz .LBB62_100
; %bb.34:
	s_or_b64 exec, exec, s[12:13]
	v_mov_b32_e32 v22, s14
	s_and_saveexec_b64 s[4:5], s[6:7]
	s_cbranch_execnz .LBB62_101
.LBB62_35:
	s_or_b64 exec, exec, s[4:5]
	v_cmp_eq_u32_e64 s[4:5], v22, v20
	s_and_saveexec_b64 s[6:7], s[4:5]
	s_cbranch_execz .LBB62_37
.LBB62_36:
	v_add_u32_e32 v26, v3, v7
	ds_read_b128 v[22:25], v26
	ds_read_u16 v27, v4
	v_alignbit_b32 v20, v21, v21, 16
	ds_write_b32 v5, v20
	s_mov_b32 s4, 0xc0c0001
	s_waitcnt lgkmcnt(2)
	v_mov_b32_e32 v20, v24
	v_mov_b32_e32 v21, v25
	ds_write_b128 v26, v[20:23]
	s_waitcnt lgkmcnt(2)
	v_perm_b32 v20, 0, v27, s4
	ds_write_b16 v4, v20
.LBB62_37:
	s_or_b64 exec, exec, s[6:7]
	v_and_b32_e32 v20, 3, v2
	v_sub_u32_e32 v22, v19, v20
	v_lshl_add_u32 v20, v22, 1, v18
	s_waitcnt lgkmcnt(0)
	s_barrier
	ds_read_u16 v25, v20 offset:8
	ds_read_u16 v24, v20
	s_mov_b32 s14, 1
	v_add_u32_e32 v21, v17, v22
	s_waitcnt lgkmcnt(1)
	v_cmp_u_f16_e64 s[4:5], v25, v25
	s_waitcnt lgkmcnt(0)
	v_cmp_o_f16_e64 s[6:7], v24, v24
	s_and_b64 s[6:7], s[4:5], s[6:7]
	v_cmp_lt_f16_e64 s[4:5], v24, v25
	s_or_b64 s[4:5], s[6:7], s[4:5]
	s_xor_b64 s[6:7], s[4:5], -1
	s_and_saveexec_b64 s[12:13], s[4:5]
	s_cbranch_execz .LBB62_39
; %bb.38:
	ds_read_u8 v23, v21
	s_andn2_b64 s[6:7], s[6:7], exec
	s_waitcnt lgkmcnt(0)
	v_and_b32_e32 v23, 1, v23
	v_cmp_eq_u32_e64 s[4:5], 1, v23
	s_xor_b64 s[4:5], s[4:5], -1
	s_and_b64 s[4:5], s[4:5], exec
	s_or_b64 s[6:7], s[6:7], s[4:5]
.LBB62_39:
	s_or_b64 exec, exec, s[12:13]
	v_mov_b32_e32 v26, s14
	s_and_saveexec_b64 s[4:5], s[6:7]
	s_cbranch_execz .LBB62_41
; %bb.40:
	ds_read_u8 v23, v21 offset:4
	s_waitcnt lgkmcnt(0)
	v_xor_b32_e32 v26, 1, v23
.LBB62_41:
	s_or_b64 exec, exec, s[4:5]
	v_bfe_u32 v23, v2, 2, 1
	v_lshl_add_u32 v22, v22, 3, v15
	v_cmp_eq_u32_e64 s[4:5], v26, v23
	s_and_saveexec_b64 s[6:7], s[4:5]
	s_cbranch_execz .LBB62_43
; %bb.42:
	ds_read2_b64 v[26:29], v22 offset1:4
	ds_read_u8 v30, v21 offset:4
	ds_read_u8 v31, v21
	ds_write_b16 v20, v25
	ds_write_b16 v20, v24 offset:8
	s_waitcnt lgkmcnt(4)
	ds_write2_b64 v22, v[28:29], v[26:27] offset1:4
	s_waitcnt lgkmcnt(4)
	ds_write_b8 v21, v30
	s_waitcnt lgkmcnt(4)
	ds_write_b8 v21, v31 offset:4
.LBB62_43:
	s_or_b64 exec, exec, s[6:7]
	s_waitcnt lgkmcnt(0)
	s_barrier
	ds_read_u16 v25, v13 offset:4
	ds_read_u16 v24, v13
                                        ; implicit-def: $sgpr14
	s_waitcnt lgkmcnt(1)
	v_cmp_u_f16_e64 s[4:5], v25, v25
	s_waitcnt lgkmcnt(0)
	v_cmp_o_f16_e64 s[6:7], v24, v24
	s_and_b64 s[6:7], s[4:5], s[6:7]
	v_cmp_lt_f16_e64 s[4:5], v24, v25
	s_or_b64 s[4:5], s[6:7], s[4:5]
	s_xor_b64 s[6:7], s[4:5], -1
	s_and_saveexec_b64 s[12:13], s[4:5]
	s_cbranch_execnz .LBB62_102
; %bb.44:
	s_or_b64 exec, exec, s[12:13]
	v_mov_b32_e32 v26, s14
	s_and_saveexec_b64 s[4:5], s[6:7]
	s_cbranch_execnz .LBB62_103
.LBB62_45:
	s_or_b64 exec, exec, s[4:5]
	v_cmp_eq_u32_e64 s[4:5], v26, v23
	s_and_saveexec_b64 s[6:7], s[4:5]
	s_cbranch_execz .LBB62_47
.LBB62_46:
	ds_read2_b64 v[26:29], v16 offset1:2
	ds_read_u8 v30, v14 offset:2
	ds_read_u8 v31, v14
	ds_write_b16 v13, v25
	ds_write_b16 v13, v24 offset:4
	s_waitcnt lgkmcnt(4)
	ds_write2_b64 v16, v[28:29], v[26:27] offset1:2
	s_waitcnt lgkmcnt(4)
	ds_write_b8 v14, v30
	s_waitcnt lgkmcnt(4)
	ds_write_b8 v14, v31 offset:2
.LBB62_47:
	s_or_b64 exec, exec, s[6:7]
	s_waitcnt lgkmcnt(0)
	s_barrier
	ds_read_b32 v24, v5
                                        ; implicit-def: $sgpr14
	s_waitcnt lgkmcnt(0)
	v_cmp_u_f16_sdwa s[6:7], v24, v24 src0_sel:WORD_1 src1_sel:WORD_1
	v_cmp_o_f16_e64 s[4:5], v24, v24
	s_and_b64 s[4:5], s[6:7], s[4:5]
	v_cmp_lt_f16_sdwa s[6:7], v24, v24 src0_sel:DWORD src1_sel:WORD_1
	s_or_b64 s[4:5], s[4:5], s[6:7]
	s_xor_b64 s[6:7], s[4:5], -1
	s_and_saveexec_b64 s[12:13], s[4:5]
	s_cbranch_execnz .LBB62_104
; %bb.48:
	s_or_b64 exec, exec, s[12:13]
	v_mov_b32_e32 v25, s14
	s_and_saveexec_b64 s[4:5], s[6:7]
	s_cbranch_execnz .LBB62_105
.LBB62_49:
	s_or_b64 exec, exec, s[4:5]
	v_cmp_eq_u32_e64 s[4:5], v25, v23
	s_and_saveexec_b64 s[6:7], s[4:5]
	s_cbranch_execz .LBB62_51
.LBB62_50:
	v_add_u32_e32 v23, v3, v7
	ds_read_b128 v[26:29], v23
	ds_read_u16 v30, v4
	v_alignbit_b32 v24, v24, v24, 16
	ds_write_b32 v5, v24
	s_mov_b32 s4, 0xc0c0001
	s_waitcnt lgkmcnt(2)
	v_mov_b32_e32 v24, v28
	v_mov_b32_e32 v25, v29
	ds_write_b128 v23, v[24:27]
	s_waitcnt lgkmcnt(2)
	v_perm_b32 v23, 0, v30, s4
	ds_write_b16 v4, v23
.LBB62_51:
	s_or_b64 exec, exec, s[6:7]
	v_and_b32_e32 v23, 7, v2
	v_sub_u32_e32 v25, v19, v23
	v_lshl_add_u32 v23, v25, 1, v18
	s_waitcnt lgkmcnt(0)
	s_barrier
	ds_read_u16 v28, v23 offset:16
	ds_read_u16 v27, v23
	s_mov_b32 s14, 1
	v_add_u32_e32 v24, v17, v25
	s_waitcnt lgkmcnt(1)
	v_cmp_u_f16_e64 s[4:5], v28, v28
	s_waitcnt lgkmcnt(0)
	v_cmp_o_f16_e64 s[6:7], v27, v27
	s_and_b64 s[6:7], s[4:5], s[6:7]
	v_cmp_lt_f16_e64 s[4:5], v27, v28
	s_or_b64 s[4:5], s[6:7], s[4:5]
	s_xor_b64 s[6:7], s[4:5], -1
	s_and_saveexec_b64 s[12:13], s[4:5]
	s_cbranch_execz .LBB62_53
; %bb.52:
	ds_read_u8 v26, v24
	s_andn2_b64 s[6:7], s[6:7], exec
	s_waitcnt lgkmcnt(0)
	v_and_b32_e32 v26, 1, v26
	v_cmp_eq_u32_e64 s[4:5], 1, v26
	s_xor_b64 s[4:5], s[4:5], -1
	s_and_b64 s[4:5], s[4:5], exec
	s_or_b64 s[6:7], s[6:7], s[4:5]
.LBB62_53:
	s_or_b64 exec, exec, s[12:13]
	v_mov_b32_e32 v29, s14
	s_and_saveexec_b64 s[4:5], s[6:7]
	s_cbranch_execz .LBB62_55
; %bb.54:
	ds_read_u8 v26, v24 offset:8
	s_waitcnt lgkmcnt(0)
	v_xor_b32_e32 v29, 1, v26
.LBB62_55:
	s_or_b64 exec, exec, s[4:5]
	v_bfe_u32 v26, v2, 3, 1
	v_lshl_add_u32 v25, v25, 3, v15
	v_cmp_eq_u32_e64 s[4:5], v29, v26
	s_and_saveexec_b64 s[6:7], s[4:5]
	s_cbranch_execz .LBB62_57
; %bb.56:
	ds_read2_b64 v[30:33], v25 offset1:8
	ds_read_u8 v29, v24 offset:8
	ds_read_u8 v34, v24
	ds_write_b16 v23, v28
	ds_write_b16 v23, v27 offset:16
	s_waitcnt lgkmcnt(4)
	ds_write2_b64 v25, v[32:33], v[30:31] offset1:8
	s_waitcnt lgkmcnt(4)
	ds_write_b8 v24, v29
	s_waitcnt lgkmcnt(4)
	ds_write_b8 v24, v34 offset:8
.LBB62_57:
	s_or_b64 exec, exec, s[6:7]
	s_waitcnt lgkmcnt(0)
	s_barrier
	ds_read_u16 v28, v20 offset:8
	ds_read_u16 v27, v20
                                        ; implicit-def: $sgpr14
	s_waitcnt lgkmcnt(1)
	v_cmp_u_f16_e64 s[4:5], v28, v28
	s_waitcnt lgkmcnt(0)
	v_cmp_o_f16_e64 s[6:7], v27, v27
	s_and_b64 s[6:7], s[4:5], s[6:7]
	v_cmp_lt_f16_e64 s[4:5], v27, v28
	s_or_b64 s[4:5], s[6:7], s[4:5]
	s_xor_b64 s[6:7], s[4:5], -1
	s_and_saveexec_b64 s[12:13], s[4:5]
	s_cbranch_execnz .LBB62_106
; %bb.58:
	s_or_b64 exec, exec, s[12:13]
	v_mov_b32_e32 v29, s14
	s_and_saveexec_b64 s[4:5], s[6:7]
	s_cbranch_execnz .LBB62_107
.LBB62_59:
	s_or_b64 exec, exec, s[4:5]
	v_cmp_eq_u32_e64 s[4:5], v29, v26
	s_and_saveexec_b64 s[6:7], s[4:5]
	s_cbranch_execz .LBB62_61
.LBB62_60:
	ds_read2_b64 v[30:33], v22 offset1:4
	ds_read_u8 v29, v21 offset:4
	ds_read_u8 v34, v21
	ds_write_b16 v20, v28
	ds_write_b16 v20, v27 offset:8
	s_waitcnt lgkmcnt(4)
	ds_write2_b64 v22, v[32:33], v[30:31] offset1:4
	s_waitcnt lgkmcnt(4)
	ds_write_b8 v21, v29
	s_waitcnt lgkmcnt(4)
	ds_write_b8 v21, v34 offset:4
.LBB62_61:
	s_or_b64 exec, exec, s[6:7]
	s_waitcnt lgkmcnt(0)
	s_barrier
	ds_read_u16 v28, v13 offset:4
	ds_read_u16 v27, v13
                                        ; implicit-def: $sgpr14
	s_waitcnt lgkmcnt(1)
	v_cmp_u_f16_e64 s[4:5], v28, v28
	s_waitcnt lgkmcnt(0)
	v_cmp_o_f16_e64 s[6:7], v27, v27
	s_and_b64 s[6:7], s[4:5], s[6:7]
	v_cmp_lt_f16_e64 s[4:5], v27, v28
	s_or_b64 s[4:5], s[6:7], s[4:5]
	s_xor_b64 s[6:7], s[4:5], -1
	s_and_saveexec_b64 s[12:13], s[4:5]
	s_cbranch_execnz .LBB62_108
; %bb.62:
	s_or_b64 exec, exec, s[12:13]
	v_mov_b32_e32 v29, s14
	s_and_saveexec_b64 s[4:5], s[6:7]
	s_cbranch_execnz .LBB62_109
.LBB62_63:
	s_or_b64 exec, exec, s[4:5]
	v_cmp_eq_u32_e64 s[4:5], v29, v26
	s_and_saveexec_b64 s[6:7], s[4:5]
	s_cbranch_execz .LBB62_65
.LBB62_64:
	ds_read2_b64 v[30:33], v16 offset1:2
	ds_read_u8 v29, v14 offset:2
	ds_read_u8 v34, v14
	ds_write_b16 v13, v28
	ds_write_b16 v13, v27 offset:4
	s_waitcnt lgkmcnt(4)
	ds_write2_b64 v16, v[32:33], v[30:31] offset1:2
	s_waitcnt lgkmcnt(4)
	ds_write_b8 v14, v29
	s_waitcnt lgkmcnt(4)
	ds_write_b8 v14, v34 offset:2
.LBB62_65:
	s_or_b64 exec, exec, s[6:7]
	s_waitcnt lgkmcnt(0)
	s_barrier
	ds_read_b32 v27, v5
                                        ; implicit-def: $sgpr14
	s_waitcnt lgkmcnt(0)
	v_cmp_u_f16_sdwa s[6:7], v27, v27 src0_sel:WORD_1 src1_sel:WORD_1
	v_cmp_o_f16_e64 s[4:5], v27, v27
	s_and_b64 s[4:5], s[6:7], s[4:5]
	v_cmp_lt_f16_sdwa s[6:7], v27, v27 src0_sel:DWORD src1_sel:WORD_1
	s_or_b64 s[4:5], s[4:5], s[6:7]
	s_xor_b64 s[6:7], s[4:5], -1
	s_and_saveexec_b64 s[12:13], s[4:5]
	s_cbranch_execnz .LBB62_110
; %bb.66:
	s_or_b64 exec, exec, s[12:13]
	v_mov_b32_e32 v28, s14
	s_and_saveexec_b64 s[4:5], s[6:7]
	s_cbranch_execnz .LBB62_111
.LBB62_67:
	s_or_b64 exec, exec, s[4:5]
	v_cmp_eq_u32_e64 s[4:5], v28, v26
	s_and_saveexec_b64 s[6:7], s[4:5]
	s_cbranch_execz .LBB62_69
.LBB62_68:
	v_add_u32_e32 v32, v3, v7
	ds_read_b128 v[28:31], v32
	ds_read_u16 v33, v4
	v_alignbit_b32 v26, v27, v27, 16
	ds_write_b32 v5, v26
	s_mov_b32 s4, 0xc0c0001
	s_waitcnt lgkmcnt(2)
	v_mov_b32_e32 v26, v30
	v_mov_b32_e32 v27, v31
	ds_write_b128 v32, v[26:29]
	s_waitcnt lgkmcnt(2)
	v_perm_b32 v26, 0, v33, s4
	ds_write_b16 v4, v26
.LBB62_69:
	s_or_b64 exec, exec, s[6:7]
	v_and_b32_e32 v26, 15, v2
	v_sub_u32_e32 v27, v19, v26
	v_lshl_add_u32 v18, v27, 1, v18
	s_waitcnt lgkmcnt(0)
	s_barrier
	ds_read_u16 v26, v18 offset:32
	ds_read_u16 v19, v18
	v_add_u32_e32 v17, v17, v27
	s_waitcnt lgkmcnt(1)
	v_cmp_u_f16_e64 s[4:5], v26, v26
	s_waitcnt lgkmcnt(0)
	v_cmp_o_f16_e64 s[6:7], v19, v19
	s_and_b64 s[6:7], s[4:5], s[6:7]
	v_cmp_lt_f16_e64 s[4:5], v19, v26
	s_or_b64 s[4:5], s[6:7], s[4:5]
	s_xor_b64 s[12:13], s[4:5], -1
	s_and_saveexec_b64 s[6:7], s[4:5]
	s_cbranch_execz .LBB62_71
; %bb.70:
	ds_read_u8 v28, v17
	s_andn2_b64 s[12:13], s[12:13], exec
	s_waitcnt lgkmcnt(0)
	v_and_b32_e32 v28, 1, v28
	v_cmp_eq_u32_e64 s[4:5], 1, v28
	s_xor_b64 s[4:5], s[4:5], -1
	s_and_b64 s[4:5], s[4:5], exec
	s_or_b64 s[12:13], s[12:13], s[4:5]
.LBB62_71:
	s_or_b64 exec, exec, s[6:7]
	s_and_saveexec_b64 s[6:7], s[12:13]
	s_cbranch_execz .LBB62_74
; %bb.72:
	ds_read_u8 v28, v17 offset:16
	s_waitcnt lgkmcnt(0)
	v_cmp_ne_u16_e64 s[4:5], 0, v28
	s_and_b64 exec, exec, s[4:5]
	s_cbranch_execz .LBB62_74
; %bb.73:
	v_lshl_add_u32 v15, v27, 3, v15
	ds_read2_b64 v[30:33], v15 offset1:16
	ds_read_u8 v27, v17
	ds_write_b16 v18, v26
	ds_write_b16 v18, v19 offset:32
	ds_write_b8 v17, v28
	s_waitcnt lgkmcnt(4)
	ds_write2_b64 v15, v[32:33], v[30:31] offset1:16
	s_waitcnt lgkmcnt(4)
	ds_write_b8 v17, v27 offset:16
.LBB62_74:
	s_or_b64 exec, exec, s[6:7]
	s_waitcnt lgkmcnt(0)
	s_barrier
	ds_read_u16 v17, v23 offset:16
	ds_read_u16 v15, v23
	s_waitcnt lgkmcnt(1)
	v_cmp_u_f16_e64 s[4:5], v17, v17
	s_waitcnt lgkmcnt(0)
	v_cmp_o_f16_e64 s[6:7], v15, v15
	s_and_b64 s[6:7], s[4:5], s[6:7]
	v_cmp_lt_f16_e64 s[4:5], v15, v17
	s_or_b64 s[4:5], s[6:7], s[4:5]
	s_xor_b64 s[12:13], s[4:5], -1
	s_and_saveexec_b64 s[6:7], s[4:5]
	s_cbranch_execz .LBB62_76
; %bb.75:
	ds_read_u8 v18, v24
	s_andn2_b64 s[12:13], s[12:13], exec
	s_waitcnt lgkmcnt(0)
	v_and_b32_e32 v18, 1, v18
	v_cmp_eq_u32_e64 s[4:5], 1, v18
	s_xor_b64 s[4:5], s[4:5], -1
	s_and_b64 s[4:5], s[4:5], exec
	s_or_b64 s[12:13], s[12:13], s[4:5]
.LBB62_76:
	s_or_b64 exec, exec, s[6:7]
	s_and_saveexec_b64 s[6:7], s[12:13]
	s_cbranch_execz .LBB62_79
; %bb.77:
	ds_read_u8 v18, v24 offset:8
	s_waitcnt lgkmcnt(0)
	v_cmp_ne_u16_e64 s[4:5], 0, v18
	s_and_b64 exec, exec, s[4:5]
	s_cbranch_execz .LBB62_79
; %bb.78:
	ds_read2_b64 v[26:29], v25 offset1:8
	ds_read_u8 v19, v24
	ds_write_b16 v23, v17
	ds_write_b16 v23, v15 offset:16
	ds_write_b8 v24, v18
	s_waitcnt lgkmcnt(4)
	ds_write2_b64 v25, v[28:29], v[26:27] offset1:8
	s_waitcnt lgkmcnt(4)
	ds_write_b8 v24, v19 offset:8
.LBB62_79:
	s_or_b64 exec, exec, s[6:7]
	s_waitcnt lgkmcnt(0)
	s_barrier
	ds_read_u16 v17, v20 offset:8
	ds_read_u16 v15, v20
	s_waitcnt lgkmcnt(1)
	v_cmp_u_f16_e64 s[4:5], v17, v17
	s_waitcnt lgkmcnt(0)
	v_cmp_o_f16_e64 s[6:7], v15, v15
	s_and_b64 s[6:7], s[4:5], s[6:7]
	v_cmp_lt_f16_e64 s[4:5], v15, v17
	s_or_b64 s[4:5], s[6:7], s[4:5]
	s_xor_b64 s[12:13], s[4:5], -1
	s_and_saveexec_b64 s[6:7], s[4:5]
	s_cbranch_execz .LBB62_81
; %bb.80:
	ds_read_u8 v18, v21
	s_andn2_b64 s[12:13], s[12:13], exec
	s_waitcnt lgkmcnt(0)
	v_and_b32_e32 v18, 1, v18
	v_cmp_eq_u32_e64 s[4:5], 1, v18
	s_xor_b64 s[4:5], s[4:5], -1
	s_and_b64 s[4:5], s[4:5], exec
	s_or_b64 s[12:13], s[12:13], s[4:5]
.LBB62_81:
	s_or_b64 exec, exec, s[6:7]
	s_and_saveexec_b64 s[6:7], s[12:13]
	s_cbranch_execz .LBB62_84
; %bb.82:
	ds_read_u8 v18, v21 offset:4
	s_waitcnt lgkmcnt(0)
	v_cmp_ne_u16_e64 s[4:5], 0, v18
	s_and_b64 exec, exec, s[4:5]
	s_cbranch_execz .LBB62_84
; %bb.83:
	ds_read2_b64 v[24:27], v22 offset1:4
	ds_read_u8 v19, v21
	ds_write_b16 v20, v17
	ds_write_b16 v20, v15 offset:8
	ds_write_b8 v21, v18
	s_waitcnt lgkmcnt(4)
	ds_write2_b64 v22, v[26:27], v[24:25] offset1:4
	s_waitcnt lgkmcnt(4)
	ds_write_b8 v21, v19 offset:4
.LBB62_84:
	;; [unrolled: 45-line block ×3, first 2 shown]
	s_or_b64 exec, exec, s[6:7]
	s_waitcnt lgkmcnt(0)
	s_barrier
	ds_read_b32 v13, v5
	s_waitcnt lgkmcnt(0)
	v_cmp_u_f16_sdwa s[6:7], v13, v13 src0_sel:WORD_1 src1_sel:WORD_1
	v_cmp_o_f16_e64 s[4:5], v13, v13
	s_and_b64 s[4:5], s[6:7], s[4:5]
	v_cmp_lt_f16_sdwa s[6:7], v13, v13 src0_sel:DWORD src1_sel:WORD_1
	s_or_b64 s[4:5], s[4:5], s[6:7]
	s_xor_b64 s[12:13], s[4:5], -1
	s_and_saveexec_b64 s[6:7], s[4:5]
	s_cbranch_execz .LBB62_91
; %bb.90:
	ds_read_u8 v14, v4
	s_andn2_b64 s[12:13], s[12:13], exec
	s_waitcnt lgkmcnt(0)
	v_and_b32_e32 v14, 1, v14
	v_cmp_eq_u32_e64 s[4:5], 1, v14
	s_xor_b64 s[4:5], s[4:5], -1
	s_and_b64 s[4:5], s[4:5], exec
	s_or_b64 s[12:13], s[12:13], s[4:5]
.LBB62_91:
	s_or_b64 exec, exec, s[6:7]
	s_and_saveexec_b64 s[6:7], s[12:13]
	s_cbranch_execz .LBB62_94
; %bb.92:
	ds_read_u8 v14, v4 offset:1
	s_waitcnt lgkmcnt(0)
	v_cmp_ne_u16_e64 s[4:5], 0, v14
	s_and_b64 exec, exec, s[4:5]
	s_cbranch_execz .LBB62_94
; %bb.93:
	v_add_u32_e32 v7, v3, v7
	v_alignbit_b32 v13, v13, v13, 16
	ds_read_b128 v[16:19], v7
	ds_write_b32 v5, v13
	ds_read_u8 v5, v4
	s_waitcnt lgkmcnt(2)
	v_mov_b32_e32 v20, v16
	v_mov_b32_e32 v21, v17
	s_waitcnt lgkmcnt(0)
	v_lshlrev_b16_e32 v5, 8, v5
	v_or_b32_e32 v5, v14, v5
	ds_write_b128 v7, v[18:21]
	ds_write_b16 v4, v5
.LBB62_94:
	s_or_b64 exec, exec, s[6:7]
	s_waitcnt lgkmcnt(0)
	s_barrier
	s_and_saveexec_b64 s[4:5], vcc
	s_cbranch_execz .LBB62_99
; %bb.95:
	s_and_saveexec_b64 s[4:5], s[0:1]
	s_cbranch_execz .LBB62_97
; %bb.96:
	v_mad_u64_u32 v[4:5], s[0:1], v2, s8, 0
	v_mov_b32_e32 v14, v5
	v_mad_u64_u32 v[14:15], s[0:1], v2, s9, v[14:15]
	ds_read_u16 v7, v12
	v_mov_b32_e32 v5, v14
	v_lshlrev_b64 v[4:5], 1, v[4:5]
	v_add_co_u32_e32 v4, vcc, v10, v4
	v_addc_co_u32_e32 v5, vcc, v11, v5, vcc
	s_waitcnt lgkmcnt(0)
	global_store_short v[4:5], v7, off
	v_mad_u64_u32 v[4:5], s[0:1], v2, s10, 0
	v_mov_b32_e32 v14, v5
	ds_read_b64 v[12:13], v3
	v_mad_u64_u32 v[2:3], s[0:1], v2, s11, v[14:15]
	v_mov_b32_e32 v5, v2
	v_lshlrev_b64 v[2:3], 3, v[4:5]
	v_add_co_u32_e32 v2, vcc, v8, v2
	v_addc_co_u32_e32 v3, vcc, v9, v3, vcc
	s_waitcnt lgkmcnt(0)
	global_store_dwordx2 v[2:3], v[12:13], off
.LBB62_97:
	s_or_b64 exec, exec, s[4:5]
	s_and_b64 exec, exec, s[2:3]
	s_cbranch_execz .LBB62_99
; %bb.98:
	v_mad_u64_u32 v[2:3], s[0:1], v0, s8, 0
	v_mov_b32_e32 v4, v3
	v_mad_u64_u32 v[4:5], s[0:1], v0, s9, v[4:5]
	ds_read_u16 v6, v6
	v_mov_b32_e32 v3, v4
	ds_read_b64 v[4:5], v1
	v_lshlrev_b64 v[2:3], 1, v[2:3]
	v_add_co_u32_e32 v2, vcc, v10, v2
	v_addc_co_u32_e32 v3, vcc, v11, v3, vcc
	s_waitcnt lgkmcnt(1)
	global_store_short v[2:3], v6, off
	v_mad_u64_u32 v[2:3], s[0:1], v0, s10, 0
	v_mov_b32_e32 v6, v3
	v_mad_u64_u32 v[0:1], s[0:1], v0, s11, v[6:7]
	v_mov_b32_e32 v3, v0
	v_lshlrev_b64 v[0:1], 3, v[2:3]
	v_add_co_u32_e32 v0, vcc, v8, v0
	v_addc_co_u32_e32 v1, vcc, v9, v1, vcc
	s_waitcnt lgkmcnt(0)
	global_store_dwordx2 v[0:1], v[4:5], off
.LBB62_99:
	s_endpgm
.LBB62_100:
	ds_read_u8 v22, v4
	s_andn2_b64 s[6:7], s[6:7], exec
	s_mov_b32 s14, 1
	s_waitcnt lgkmcnt(0)
	v_and_b32_e32 v22, 1, v22
	v_cmp_eq_u32_e64 s[4:5], 1, v22
	s_xor_b64 s[4:5], s[4:5], -1
	s_and_b64 s[4:5], s[4:5], exec
	s_or_b64 s[6:7], s[6:7], s[4:5]
	s_or_b64 exec, exec, s[12:13]
	v_mov_b32_e32 v22, s14
	s_and_saveexec_b64 s[4:5], s[6:7]
	s_cbranch_execz .LBB62_35
.LBB62_101:
	ds_read_u8 v22, v4 offset:1
	s_waitcnt lgkmcnt(0)
	v_xor_b32_e32 v22, 1, v22
	s_or_b64 exec, exec, s[4:5]
	v_cmp_eq_u32_e64 s[4:5], v22, v20
	s_and_saveexec_b64 s[6:7], s[4:5]
	s_cbranch_execnz .LBB62_36
	s_branch .LBB62_37
.LBB62_102:
	ds_read_u8 v26, v14
	s_andn2_b64 s[6:7], s[6:7], exec
	s_mov_b32 s14, 1
	s_waitcnt lgkmcnt(0)
	v_and_b32_e32 v26, 1, v26
	v_cmp_eq_u32_e64 s[4:5], 1, v26
	s_xor_b64 s[4:5], s[4:5], -1
	s_and_b64 s[4:5], s[4:5], exec
	s_or_b64 s[6:7], s[6:7], s[4:5]
	s_or_b64 exec, exec, s[12:13]
	v_mov_b32_e32 v26, s14
	s_and_saveexec_b64 s[4:5], s[6:7]
	s_cbranch_execz .LBB62_45
.LBB62_103:
	ds_read_u8 v26, v14 offset:2
	s_waitcnt lgkmcnt(0)
	v_xor_b32_e32 v26, 1, v26
	s_or_b64 exec, exec, s[4:5]
	v_cmp_eq_u32_e64 s[4:5], v26, v23
	s_and_saveexec_b64 s[6:7], s[4:5]
	s_cbranch_execnz .LBB62_46
	s_branch .LBB62_47
.LBB62_104:
	ds_read_u8 v25, v4
	s_andn2_b64 s[6:7], s[6:7], exec
	s_mov_b32 s14, 1
	s_waitcnt lgkmcnt(0)
	v_and_b32_e32 v25, 1, v25
	v_cmp_eq_u32_e64 s[4:5], 1, v25
	s_xor_b64 s[4:5], s[4:5], -1
	s_and_b64 s[4:5], s[4:5], exec
	s_or_b64 s[6:7], s[6:7], s[4:5]
	s_or_b64 exec, exec, s[12:13]
	v_mov_b32_e32 v25, s14
	s_and_saveexec_b64 s[4:5], s[6:7]
	s_cbranch_execz .LBB62_49
.LBB62_105:
	ds_read_u8 v25, v4 offset:1
	s_waitcnt lgkmcnt(0)
	v_xor_b32_e32 v25, 1, v25
	s_or_b64 exec, exec, s[4:5]
	v_cmp_eq_u32_e64 s[4:5], v25, v23
	s_and_saveexec_b64 s[6:7], s[4:5]
	s_cbranch_execnz .LBB62_50
	s_branch .LBB62_51
.LBB62_106:
	ds_read_u8 v29, v21
	s_andn2_b64 s[6:7], s[6:7], exec
	s_mov_b32 s14, 1
	s_waitcnt lgkmcnt(0)
	v_and_b32_e32 v29, 1, v29
	v_cmp_eq_u32_e64 s[4:5], 1, v29
	s_xor_b64 s[4:5], s[4:5], -1
	s_and_b64 s[4:5], s[4:5], exec
	s_or_b64 s[6:7], s[6:7], s[4:5]
	s_or_b64 exec, exec, s[12:13]
	v_mov_b32_e32 v29, s14
	s_and_saveexec_b64 s[4:5], s[6:7]
	s_cbranch_execz .LBB62_59
.LBB62_107:
	ds_read_u8 v29, v21 offset:4
	s_waitcnt lgkmcnt(0)
	v_xor_b32_e32 v29, 1, v29
	s_or_b64 exec, exec, s[4:5]
	v_cmp_eq_u32_e64 s[4:5], v29, v26
	s_and_saveexec_b64 s[6:7], s[4:5]
	s_cbranch_execnz .LBB62_60
	s_branch .LBB62_61
.LBB62_108:
	ds_read_u8 v29, v14
	s_andn2_b64 s[6:7], s[6:7], exec
	s_mov_b32 s14, 1
	s_waitcnt lgkmcnt(0)
	v_and_b32_e32 v29, 1, v29
	v_cmp_eq_u32_e64 s[4:5], 1, v29
	s_xor_b64 s[4:5], s[4:5], -1
	s_and_b64 s[4:5], s[4:5], exec
	s_or_b64 s[6:7], s[6:7], s[4:5]
	s_or_b64 exec, exec, s[12:13]
	v_mov_b32_e32 v29, s14
	s_and_saveexec_b64 s[4:5], s[6:7]
	s_cbranch_execz .LBB62_63
.LBB62_109:
	ds_read_u8 v29, v14 offset:2
	s_waitcnt lgkmcnt(0)
	v_xor_b32_e32 v29, 1, v29
	s_or_b64 exec, exec, s[4:5]
	v_cmp_eq_u32_e64 s[4:5], v29, v26
	s_and_saveexec_b64 s[6:7], s[4:5]
	s_cbranch_execnz .LBB62_64
	s_branch .LBB62_65
.LBB62_110:
	ds_read_u8 v28, v4
	s_andn2_b64 s[6:7], s[6:7], exec
	s_mov_b32 s14, 1
	s_waitcnt lgkmcnt(0)
	v_and_b32_e32 v28, 1, v28
	v_cmp_eq_u32_e64 s[4:5], 1, v28
	s_xor_b64 s[4:5], s[4:5], -1
	s_and_b64 s[4:5], s[4:5], exec
	s_or_b64 s[6:7], s[6:7], s[4:5]
	s_or_b64 exec, exec, s[12:13]
	v_mov_b32_e32 v28, s14
	s_and_saveexec_b64 s[4:5], s[6:7]
	s_cbranch_execz .LBB62_67
.LBB62_111:
	ds_read_u8 v28, v4 offset:1
	s_waitcnt lgkmcnt(0)
	v_xor_b32_e32 v28, 1, v28
	s_or_b64 exec, exec, s[4:5]
	v_cmp_eq_u32_e64 s[4:5], v28, v26
	s_and_saveexec_b64 s[6:7], s[4:5]
	s_cbranch_execnz .LBB62_68
	s_branch .LBB62_69
	.section	.rodata,"a",@progbits
	.p2align	6, 0x0
	.amdhsa_kernel _ZN2at6native20bitonicSortKVInPlaceILin1ELin1ELi16ELi16EN3c104HalfElNS0_4LTOpIS3_Lb1EEEmEEvNS_4cuda6detail10TensorInfoIT3_T6_EESA_SA_SA_NS8_IT4_SA_EESA_T5_
		.amdhsa_group_segment_fixed_size 5632
		.amdhsa_private_segment_fixed_size 0
		.amdhsa_kernarg_size 1128
		.amdhsa_user_sgpr_count 6
		.amdhsa_user_sgpr_private_segment_buffer 1
		.amdhsa_user_sgpr_dispatch_ptr 0
		.amdhsa_user_sgpr_queue_ptr 0
		.amdhsa_user_sgpr_kernarg_segment_ptr 1
		.amdhsa_user_sgpr_dispatch_id 0
		.amdhsa_user_sgpr_flat_scratch_init 0
		.amdhsa_user_sgpr_kernarg_preload_length 0
		.amdhsa_user_sgpr_kernarg_preload_offset 0
		.amdhsa_user_sgpr_private_segment_size 0
		.amdhsa_uses_dynamic_stack 0
		.amdhsa_system_sgpr_private_segment_wavefront_offset 0
		.amdhsa_system_sgpr_workgroup_id_x 1
		.amdhsa_system_sgpr_workgroup_id_y 1
		.amdhsa_system_sgpr_workgroup_id_z 1
		.amdhsa_system_sgpr_workgroup_info 0
		.amdhsa_system_vgpr_workitem_id 1
		.amdhsa_next_free_vgpr 35
		.amdhsa_next_free_sgpr 21
		.amdhsa_accum_offset 36
		.amdhsa_reserve_vcc 1
		.amdhsa_reserve_flat_scratch 0
		.amdhsa_float_round_mode_32 0
		.amdhsa_float_round_mode_16_64 0
		.amdhsa_float_denorm_mode_32 3
		.amdhsa_float_denorm_mode_16_64 3
		.amdhsa_dx10_clamp 1
		.amdhsa_ieee_mode 1
		.amdhsa_fp16_overflow 0
		.amdhsa_tg_split 0
		.amdhsa_exception_fp_ieee_invalid_op 0
		.amdhsa_exception_fp_denorm_src 0
		.amdhsa_exception_fp_ieee_div_zero 0
		.amdhsa_exception_fp_ieee_overflow 0
		.amdhsa_exception_fp_ieee_underflow 0
		.amdhsa_exception_fp_ieee_inexact 0
		.amdhsa_exception_int_div_zero 0
	.end_amdhsa_kernel
	.section	.text._ZN2at6native20bitonicSortKVInPlaceILin1ELin1ELi16ELi16EN3c104HalfElNS0_4LTOpIS3_Lb1EEEmEEvNS_4cuda6detail10TensorInfoIT3_T6_EESA_SA_SA_NS8_IT4_SA_EESA_T5_,"axG",@progbits,_ZN2at6native20bitonicSortKVInPlaceILin1ELin1ELi16ELi16EN3c104HalfElNS0_4LTOpIS3_Lb1EEEmEEvNS_4cuda6detail10TensorInfoIT3_T6_EESA_SA_SA_NS8_IT4_SA_EESA_T5_,comdat
.Lfunc_end62:
	.size	_ZN2at6native20bitonicSortKVInPlaceILin1ELin1ELi16ELi16EN3c104HalfElNS0_4LTOpIS3_Lb1EEEmEEvNS_4cuda6detail10TensorInfoIT3_T6_EESA_SA_SA_NS8_IT4_SA_EESA_T5_, .Lfunc_end62-_ZN2at6native20bitonicSortKVInPlaceILin1ELin1ELi16ELi16EN3c104HalfElNS0_4LTOpIS3_Lb1EEEmEEvNS_4cuda6detail10TensorInfoIT3_T6_EESA_SA_SA_NS8_IT4_SA_EESA_T5_
                                        ; -- End function
	.section	.AMDGPU.csdata,"",@progbits
; Kernel info:
; codeLenInByte = 7028
; NumSgprs: 25
; NumVgprs: 35
; NumAgprs: 0
; TotalNumVgprs: 35
; ScratchSize: 0
; MemoryBound: 0
; FloatMode: 240
; IeeeMode: 1
; LDSByteSize: 5632 bytes/workgroup (compile time only)
; SGPRBlocks: 3
; VGPRBlocks: 4
; NumSGPRsForWavesPerEU: 25
; NumVGPRsForWavesPerEU: 35
; AccumOffset: 36
; Occupancy: 8
; WaveLimiterHint : 1
; COMPUTE_PGM_RSRC2:SCRATCH_EN: 0
; COMPUTE_PGM_RSRC2:USER_SGPR: 6
; COMPUTE_PGM_RSRC2:TRAP_HANDLER: 0
; COMPUTE_PGM_RSRC2:TGID_X_EN: 1
; COMPUTE_PGM_RSRC2:TGID_Y_EN: 1
; COMPUTE_PGM_RSRC2:TGID_Z_EN: 1
; COMPUTE_PGM_RSRC2:TIDIG_COMP_CNT: 1
; COMPUTE_PGM_RSRC3_GFX90A:ACCUM_OFFSET: 8
; COMPUTE_PGM_RSRC3_GFX90A:TG_SPLIT: 0
	.section	.text._ZN2at6native20bitonicSortKVInPlaceILin1ELin1ELi16ELi16EN3c104HalfElNS0_4GTOpIS3_Lb1EEEmEEvNS_4cuda6detail10TensorInfoIT3_T6_EESA_SA_SA_NS8_IT4_SA_EESA_T5_,"axG",@progbits,_ZN2at6native20bitonicSortKVInPlaceILin1ELin1ELi16ELi16EN3c104HalfElNS0_4GTOpIS3_Lb1EEEmEEvNS_4cuda6detail10TensorInfoIT3_T6_EESA_SA_SA_NS8_IT4_SA_EESA_T5_,comdat
	.protected	_ZN2at6native20bitonicSortKVInPlaceILin1ELin1ELi16ELi16EN3c104HalfElNS0_4GTOpIS3_Lb1EEEmEEvNS_4cuda6detail10TensorInfoIT3_T6_EESA_SA_SA_NS8_IT4_SA_EESA_T5_ ; -- Begin function _ZN2at6native20bitonicSortKVInPlaceILin1ELin1ELi16ELi16EN3c104HalfElNS0_4GTOpIS3_Lb1EEEmEEvNS_4cuda6detail10TensorInfoIT3_T6_EESA_SA_SA_NS8_IT4_SA_EESA_T5_
	.globl	_ZN2at6native20bitonicSortKVInPlaceILin1ELin1ELi16ELi16EN3c104HalfElNS0_4GTOpIS3_Lb1EEEmEEvNS_4cuda6detail10TensorInfoIT3_T6_EESA_SA_SA_NS8_IT4_SA_EESA_T5_
	.p2align	8
	.type	_ZN2at6native20bitonicSortKVInPlaceILin1ELin1ELi16ELi16EN3c104HalfElNS0_4GTOpIS3_Lb1EEEmEEvNS_4cuda6detail10TensorInfoIT3_T6_EESA_SA_SA_NS8_IT4_SA_EESA_T5_,@function
_ZN2at6native20bitonicSortKVInPlaceILin1ELin1ELi16ELi16EN3c104HalfElNS0_4GTOpIS3_Lb1EEEmEEvNS_4cuda6detail10TensorInfoIT3_T6_EESA_SA_SA_NS8_IT4_SA_EESA_T5_: ; @_ZN2at6native20bitonicSortKVInPlaceILin1ELin1ELi16ELi16EN3c104HalfElNS0_4GTOpIS3_Lb1EEEmEEvNS_4cuda6detail10TensorInfoIT3_T6_EESA_SA_SA_NS8_IT4_SA_EESA_T5_
; %bb.0:
	s_load_dwordx2 s[0:1], s[4:5], 0x368
	s_load_dwordx4 s[12:15], s[4:5], 0x1a0
	s_load_dword s9, s[4:5], 0x374
	s_add_u32 s2, s4, 0x368
	s_addc_u32 s3, s5, 0
	s_waitcnt lgkmcnt(0)
	s_mul_i32 s1, s1, s8
	s_add_i32 s1, s1, s7
	s_mul_i32 s0, s1, s0
	s_add_i32 s0, s0, s6
	s_lshr_b32 s6, s9, 16
	s_mul_hi_u32 s1, s0, s6
	s_mul_i32 s0, s0, s6
	v_pk_mov_b32 v[2:3], s[12:13], s[12:13] op_sel:[0,1]
	v_cmp_ge_u64_e32 vcc, s[0:1], v[2:3]
	s_cbranch_vccnz .LBB63_99
; %bb.1:
	v_mov_b32_e32 v1, s1
	s_load_dwordx2 s[8:9], s[4:5], 0x1b0
	s_load_dword s1, s[4:5], 0x198
	v_bfe_u32 v16, v0, 10, 10
	v_add_co_u32_e32 v4, vcc, s0, v16
	v_addc_co_u32_e32 v5, vcc, 0, v1, vcc
	v_mov_b32_e32 v8, 0
	s_waitcnt lgkmcnt(0)
	s_cmp_lt_i32 s1, 2
	v_pk_mov_b32 v[2:3], 0, 0
	v_pk_mov_b32 v[6:7], v[4:5], v[4:5] op_sel:[0,1]
	s_cbranch_scc1 .LBB63_9
; %bb.2:
	s_add_i32 s18, s1, 1
	s_add_i32 s0, s1, -1
	s_mov_b32 s1, 0
	s_lshl_b64 s[0:1], s[0:1], 3
	s_add_u32 s0, s0, s4
	s_addc_u32 s1, s1, s5
	s_add_u32 s6, s0, 8
	s_addc_u32 s7, s1, 0
	v_pk_mov_b32 v[2:3], 0, 0
	v_pk_mov_b32 v[10:11], v[4:5], v[4:5] op_sel:[0,1]
.LBB63_3:                               ; =>This Inner Loop Header: Depth=1
	s_load_dwordx2 s[10:11], s[6:7], 0x0
                                        ; implicit-def: $vgpr6_vgpr7
	s_waitcnt lgkmcnt(0)
	v_or_b32_e32 v9, s11, v11
	v_cmp_ne_u64_e32 vcc, 0, v[8:9]
	s_and_saveexec_b64 s[0:1], vcc
	s_xor_b64 s[16:17], exec, s[0:1]
	s_cbranch_execz .LBB63_5
; %bb.4:                                ;   in Loop: Header=BB63_3 Depth=1
	v_cvt_f32_u32_e32 v1, s10
	v_cvt_f32_u32_e32 v6, s11
	s_sub_u32 s0, 0, s10
	s_subb_u32 s1, 0, s11
	v_mac_f32_e32 v1, 0x4f800000, v6
	v_rcp_f32_e32 v1, v1
	v_mul_f32_e32 v1, 0x5f7ffffc, v1
	v_mul_f32_e32 v6, 0x2f800000, v1
	v_trunc_f32_e32 v6, v6
	v_mac_f32_e32 v1, 0xcf800000, v6
	v_cvt_u32_f32_e32 v6, v6
	v_cvt_u32_f32_e32 v1, v1
	v_mul_lo_u32 v7, s0, v6
	v_mul_hi_u32 v12, s0, v1
	v_mul_lo_u32 v9, s1, v1
	v_add_u32_e32 v7, v12, v7
	v_mul_lo_u32 v13, s0, v1
	v_add_u32_e32 v7, v7, v9
	v_mul_hi_u32 v12, v1, v13
	v_mul_lo_u32 v14, v1, v7
	v_mul_hi_u32 v9, v1, v7
	v_add_co_u32_e32 v12, vcc, v12, v14
	v_addc_co_u32_e32 v9, vcc, 0, v9, vcc
	v_mul_hi_u32 v15, v6, v13
	v_mul_lo_u32 v13, v6, v13
	v_add_co_u32_e32 v12, vcc, v12, v13
	v_mul_hi_u32 v14, v6, v7
	v_addc_co_u32_e32 v9, vcc, v9, v15, vcc
	v_addc_co_u32_e32 v12, vcc, 0, v14, vcc
	v_mul_lo_u32 v7, v6, v7
	v_add_co_u32_e32 v7, vcc, v9, v7
	v_addc_co_u32_e32 v9, vcc, 0, v12, vcc
	v_add_co_u32_e32 v1, vcc, v1, v7
	v_addc_co_u32_e32 v6, vcc, v6, v9, vcc
	v_mul_lo_u32 v7, s0, v6
	v_mul_hi_u32 v9, s0, v1
	v_add_u32_e32 v7, v9, v7
	v_mul_lo_u32 v9, s1, v1
	v_add_u32_e32 v7, v7, v9
	v_mul_lo_u32 v12, s0, v1
	v_mul_hi_u32 v13, v6, v12
	v_mul_lo_u32 v14, v6, v12
	v_mul_lo_u32 v17, v1, v7
	v_mul_hi_u32 v12, v1, v12
	v_mul_hi_u32 v15, v1, v7
	v_add_co_u32_e32 v12, vcc, v12, v17
	v_addc_co_u32_e32 v15, vcc, 0, v15, vcc
	v_add_co_u32_e32 v12, vcc, v12, v14
	v_mul_hi_u32 v9, v6, v7
	v_addc_co_u32_e32 v12, vcc, v15, v13, vcc
	v_addc_co_u32_e32 v9, vcc, 0, v9, vcc
	v_mul_lo_u32 v7, v6, v7
	v_add_co_u32_e32 v7, vcc, v12, v7
	v_addc_co_u32_e32 v9, vcc, 0, v9, vcc
	v_add_co_u32_e32 v1, vcc, v1, v7
	v_addc_co_u32_e32 v9, vcc, v6, v9, vcc
	v_mad_u64_u32 v[6:7], s[0:1], v10, v9, 0
	v_mul_hi_u32 v12, v10, v1
	v_add_co_u32_e32 v14, vcc, v12, v6
	v_addc_co_u32_e32 v15, vcc, 0, v7, vcc
	v_mad_u64_u32 v[12:13], s[0:1], v11, v1, 0
	v_add_co_u32_e32 v1, vcc, v14, v12
	v_mad_u64_u32 v[6:7], s[0:1], v11, v9, 0
	v_addc_co_u32_e32 v1, vcc, v15, v13, vcc
	v_addc_co_u32_e32 v7, vcc, 0, v7, vcc
	v_add_co_u32_e32 v1, vcc, v1, v6
	v_addc_co_u32_e32 v9, vcc, 0, v7, vcc
	v_mul_lo_u32 v12, s11, v1
	v_mul_lo_u32 v13, s10, v9
	v_mad_u64_u32 v[6:7], s[0:1], s10, v1, 0
	v_add3_u32 v7, v7, v13, v12
	v_sub_u32_e32 v12, v11, v7
	v_mov_b32_e32 v13, s11
	v_sub_co_u32_e32 v6, vcc, v10, v6
	v_subb_co_u32_e64 v12, s[0:1], v12, v13, vcc
	v_subrev_co_u32_e64 v13, s[0:1], s10, v6
	v_subbrev_co_u32_e64 v12, s[0:1], 0, v12, s[0:1]
	v_cmp_le_u32_e64 s[0:1], s11, v12
	v_cndmask_b32_e64 v14, 0, -1, s[0:1]
	v_cmp_le_u32_e64 s[0:1], s10, v13
	v_cndmask_b32_e64 v13, 0, -1, s[0:1]
	v_cmp_eq_u32_e64 s[0:1], s11, v12
	v_cndmask_b32_e64 v12, v14, v13, s[0:1]
	v_add_co_u32_e64 v13, s[0:1], 2, v1
	v_addc_co_u32_e64 v14, s[0:1], 0, v9, s[0:1]
	v_add_co_u32_e64 v15, s[0:1], 1, v1
	v_addc_co_u32_e64 v17, s[0:1], 0, v9, s[0:1]
	v_subb_co_u32_e32 v7, vcc, v11, v7, vcc
	v_cmp_ne_u32_e64 s[0:1], 0, v12
	v_cmp_le_u32_e32 vcc, s11, v7
	v_cndmask_b32_e64 v12, v17, v14, s[0:1]
	v_cndmask_b32_e64 v14, 0, -1, vcc
	v_cmp_le_u32_e32 vcc, s10, v6
	v_cndmask_b32_e64 v6, 0, -1, vcc
	v_cmp_eq_u32_e32 vcc, s11, v7
	v_cndmask_b32_e32 v6, v14, v6, vcc
	v_cmp_ne_u32_e32 vcc, 0, v6
	v_cndmask_b32_e64 v6, v15, v13, s[0:1]
	v_cndmask_b32_e32 v7, v9, v12, vcc
	v_cndmask_b32_e32 v6, v1, v6, vcc
.LBB63_5:                               ;   in Loop: Header=BB63_3 Depth=1
	s_andn2_saveexec_b64 s[0:1], s[16:17]
	s_cbranch_execz .LBB63_7
; %bb.6:                                ;   in Loop: Header=BB63_3 Depth=1
	v_cvt_f32_u32_e32 v1, s10
	s_sub_i32 s16, 0, s10
	v_rcp_iflag_f32_e32 v1, v1
	v_mul_f32_e32 v1, 0x4f7ffffe, v1
	v_cvt_u32_f32_e32 v1, v1
	v_mul_lo_u32 v6, s16, v1
	v_mul_hi_u32 v6, v1, v6
	v_add_u32_e32 v1, v1, v6
	v_mul_hi_u32 v1, v10, v1
	v_mul_lo_u32 v6, v1, s10
	v_sub_u32_e32 v6, v10, v6
	v_add_u32_e32 v7, 1, v1
	v_subrev_u32_e32 v9, s10, v6
	v_cmp_le_u32_e32 vcc, s10, v6
	v_cndmask_b32_e32 v6, v6, v9, vcc
	v_cndmask_b32_e32 v1, v1, v7, vcc
	v_add_u32_e32 v7, 1, v1
	v_cmp_le_u32_e32 vcc, s10, v6
	v_cndmask_b32_e32 v6, v1, v7, vcc
	v_mov_b32_e32 v7, v8
.LBB63_7:                               ;   in Loop: Header=BB63_3 Depth=1
	s_or_b64 exec, exec, s[0:1]
	v_mad_u64_u32 v[12:13], s[0:1], v6, s10, 0
	s_load_dwordx2 s[0:1], s[6:7], 0xc8
	v_mul_lo_u32 v1, v7, s10
	v_mul_lo_u32 v9, v6, s11
	v_add3_u32 v1, v13, v9, v1
	v_sub_co_u32_e32 v9, vcc, v10, v12
	s_add_i32 s18, s18, -1
	v_subb_co_u32_e32 v1, vcc, v11, v1, vcc
	s_add_u32 s6, s6, -8
	s_waitcnt lgkmcnt(0)
	v_mul_lo_u32 v1, s0, v1
	v_mul_lo_u32 v10, s1, v9
	v_mad_u64_u32 v[2:3], s[0:1], s0, v9, v[2:3]
	s_addc_u32 s7, s7, -1
	s_cmp_gt_u32 s18, 2
	v_add3_u32 v3, v10, v3, v1
	s_cbranch_scc0 .LBB63_9
; %bb.8:                                ;   in Loop: Header=BB63_3 Depth=1
	v_pk_mov_b32 v[10:11], v[6:7], v[6:7] op_sel:[0,1]
	s_branch .LBB63_3
.LBB63_9:
	s_load_dword s0, s[4:5], 0x350
	s_load_dwordx2 s[6:7], s[4:5], 0xd0
	v_pk_mov_b32 v[8:9], 0, 0
	v_pk_mov_b32 v[14:15], v[4:5], v[4:5] op_sel:[0,1]
	s_waitcnt lgkmcnt(0)
	s_cmp_lt_i32 s0, 2
	s_cbranch_scc1 .LBB63_17
; %bb.10:
	s_add_i32 s20, s0, 1
	s_add_i32 s0, s0, -1
	s_mov_b32 s1, 0
	s_lshl_b64 s[0:1], s[0:1], 3
	s_add_u32 s0, s0, s4
	s_addc_u32 s1, s1, s5
	s_add_u32 s10, s0, 0x1c0
	s_addc_u32 s11, s1, 0
	v_pk_mov_b32 v[8:9], 0, 0
	v_mov_b32_e32 v10, 0
	v_pk_mov_b32 v[12:13], v[4:5], v[4:5] op_sel:[0,1]
.LBB63_11:                              ; =>This Inner Loop Header: Depth=1
	s_load_dwordx2 s[16:17], s[10:11], 0x0
                                        ; implicit-def: $vgpr14_vgpr15
	s_waitcnt lgkmcnt(0)
	v_or_b32_e32 v11, s17, v13
	v_cmp_ne_u64_e32 vcc, 0, v[10:11]
	s_and_saveexec_b64 s[0:1], vcc
	s_xor_b64 s[18:19], exec, s[0:1]
	s_cbranch_execz .LBB63_13
; %bb.12:                               ;   in Loop: Header=BB63_11 Depth=1
	v_cvt_f32_u32_e32 v1, s16
	v_cvt_f32_u32_e32 v11, s17
	s_sub_u32 s0, 0, s16
	s_subb_u32 s1, 0, s17
	v_mac_f32_e32 v1, 0x4f800000, v11
	v_rcp_f32_e32 v1, v1
	v_mul_f32_e32 v1, 0x5f7ffffc, v1
	v_mul_f32_e32 v11, 0x2f800000, v1
	v_trunc_f32_e32 v11, v11
	v_mac_f32_e32 v1, 0xcf800000, v11
	v_cvt_u32_f32_e32 v11, v11
	v_cvt_u32_f32_e32 v1, v1
	v_mul_lo_u32 v14, s0, v11
	v_mul_hi_u32 v17, s0, v1
	v_mul_lo_u32 v15, s1, v1
	v_add_u32_e32 v14, v17, v14
	v_mul_lo_u32 v18, s0, v1
	v_add_u32_e32 v14, v14, v15
	v_mul_hi_u32 v17, v1, v18
	v_mul_lo_u32 v19, v1, v14
	v_mul_hi_u32 v15, v1, v14
	v_add_co_u32_e32 v17, vcc, v17, v19
	v_addc_co_u32_e32 v15, vcc, 0, v15, vcc
	v_mul_hi_u32 v20, v11, v18
	v_mul_lo_u32 v18, v11, v18
	v_add_co_u32_e32 v17, vcc, v17, v18
	v_mul_hi_u32 v19, v11, v14
	v_addc_co_u32_e32 v15, vcc, v15, v20, vcc
	v_addc_co_u32_e32 v17, vcc, 0, v19, vcc
	v_mul_lo_u32 v14, v11, v14
	v_add_co_u32_e32 v14, vcc, v15, v14
	v_addc_co_u32_e32 v15, vcc, 0, v17, vcc
	v_add_co_u32_e32 v1, vcc, v1, v14
	v_addc_co_u32_e32 v11, vcc, v11, v15, vcc
	v_mul_lo_u32 v14, s0, v11
	v_mul_hi_u32 v15, s0, v1
	v_add_u32_e32 v14, v15, v14
	v_mul_lo_u32 v15, s1, v1
	v_add_u32_e32 v14, v14, v15
	v_mul_lo_u32 v17, s0, v1
	v_mul_hi_u32 v18, v11, v17
	v_mul_lo_u32 v19, v11, v17
	v_mul_lo_u32 v21, v1, v14
	v_mul_hi_u32 v17, v1, v17
	v_mul_hi_u32 v20, v1, v14
	v_add_co_u32_e32 v17, vcc, v17, v21
	v_addc_co_u32_e32 v20, vcc, 0, v20, vcc
	v_add_co_u32_e32 v17, vcc, v17, v19
	v_mul_hi_u32 v15, v11, v14
	v_addc_co_u32_e32 v17, vcc, v20, v18, vcc
	v_addc_co_u32_e32 v15, vcc, 0, v15, vcc
	v_mul_lo_u32 v14, v11, v14
	v_add_co_u32_e32 v14, vcc, v17, v14
	v_addc_co_u32_e32 v15, vcc, 0, v15, vcc
	v_add_co_u32_e32 v1, vcc, v1, v14
	v_addc_co_u32_e32 v11, vcc, v11, v15, vcc
	v_mad_u64_u32 v[14:15], s[0:1], v12, v11, 0
	v_mul_hi_u32 v17, v12, v1
	v_add_co_u32_e32 v17, vcc, v17, v14
	v_addc_co_u32_e32 v20, vcc, 0, v15, vcc
	v_mad_u64_u32 v[18:19], s[0:1], v13, v1, 0
	v_add_co_u32_e32 v1, vcc, v17, v18
	v_mad_u64_u32 v[14:15], s[0:1], v13, v11, 0
	v_addc_co_u32_e32 v1, vcc, v20, v19, vcc
	v_addc_co_u32_e32 v11, vcc, 0, v15, vcc
	v_add_co_u32_e32 v1, vcc, v1, v14
	v_addc_co_u32_e32 v11, vcc, 0, v11, vcc
	v_mul_lo_u32 v17, s17, v1
	v_mul_lo_u32 v18, s16, v11
	v_mad_u64_u32 v[14:15], s[0:1], s16, v1, 0
	v_add3_u32 v15, v15, v18, v17
	v_sub_u32_e32 v17, v13, v15
	v_mov_b32_e32 v18, s17
	v_sub_co_u32_e32 v14, vcc, v12, v14
	v_subb_co_u32_e64 v17, s[0:1], v17, v18, vcc
	v_subrev_co_u32_e64 v18, s[0:1], s16, v14
	v_subbrev_co_u32_e64 v17, s[0:1], 0, v17, s[0:1]
	v_cmp_le_u32_e64 s[0:1], s17, v17
	v_cndmask_b32_e64 v19, 0, -1, s[0:1]
	v_cmp_le_u32_e64 s[0:1], s16, v18
	v_cndmask_b32_e64 v18, 0, -1, s[0:1]
	v_cmp_eq_u32_e64 s[0:1], s17, v17
	v_cndmask_b32_e64 v17, v19, v18, s[0:1]
	v_add_co_u32_e64 v18, s[0:1], 2, v1
	v_addc_co_u32_e64 v19, s[0:1], 0, v11, s[0:1]
	v_add_co_u32_e64 v20, s[0:1], 1, v1
	v_addc_co_u32_e64 v21, s[0:1], 0, v11, s[0:1]
	v_subb_co_u32_e32 v15, vcc, v13, v15, vcc
	v_cmp_ne_u32_e64 s[0:1], 0, v17
	v_cmp_le_u32_e32 vcc, s17, v15
	v_cndmask_b32_e64 v17, v21, v19, s[0:1]
	v_cndmask_b32_e64 v19, 0, -1, vcc
	v_cmp_le_u32_e32 vcc, s16, v14
	v_cndmask_b32_e64 v14, 0, -1, vcc
	v_cmp_eq_u32_e32 vcc, s17, v15
	v_cndmask_b32_e32 v14, v19, v14, vcc
	v_cmp_ne_u32_e32 vcc, 0, v14
	v_cndmask_b32_e32 v15, v11, v17, vcc
	v_cndmask_b32_e64 v11, v20, v18, s[0:1]
	v_cndmask_b32_e32 v14, v1, v11, vcc
.LBB63_13:                              ;   in Loop: Header=BB63_11 Depth=1
	s_andn2_saveexec_b64 s[0:1], s[18:19]
	s_cbranch_execz .LBB63_15
; %bb.14:                               ;   in Loop: Header=BB63_11 Depth=1
	v_cvt_f32_u32_e32 v1, s16
	s_sub_i32 s18, 0, s16
	v_rcp_iflag_f32_e32 v1, v1
	v_mul_f32_e32 v1, 0x4f7ffffe, v1
	v_cvt_u32_f32_e32 v1, v1
	v_mul_lo_u32 v11, s18, v1
	v_mul_hi_u32 v11, v1, v11
	v_add_u32_e32 v1, v1, v11
	v_mul_hi_u32 v1, v12, v1
	v_mul_lo_u32 v11, v1, s16
	v_sub_u32_e32 v11, v12, v11
	v_add_u32_e32 v14, 1, v1
	v_subrev_u32_e32 v15, s16, v11
	v_cmp_le_u32_e32 vcc, s16, v11
	v_cndmask_b32_e32 v11, v11, v15, vcc
	v_cndmask_b32_e32 v1, v1, v14, vcc
	v_add_u32_e32 v14, 1, v1
	v_cmp_le_u32_e32 vcc, s16, v11
	v_cndmask_b32_e32 v14, v1, v14, vcc
	v_mov_b32_e32 v15, v10
.LBB63_15:                              ;   in Loop: Header=BB63_11 Depth=1
	s_or_b64 exec, exec, s[0:1]
	v_mad_u64_u32 v[18:19], s[0:1], v14, s16, 0
	s_load_dwordx2 s[0:1], s[10:11], 0xc8
	v_mul_lo_u32 v1, v15, s16
	v_mul_lo_u32 v11, v14, s17
	v_add3_u32 v1, v19, v11, v1
	v_sub_co_u32_e32 v11, vcc, v12, v18
	s_add_i32 s20, s20, -1
	v_subb_co_u32_e32 v1, vcc, v13, v1, vcc
	s_add_u32 s10, s10, -8
	s_waitcnt lgkmcnt(0)
	v_mul_lo_u32 v1, s0, v1
	v_mul_lo_u32 v12, s1, v11
	v_mad_u64_u32 v[8:9], s[0:1], s0, v11, v[8:9]
	s_addc_u32 s11, s11, -1
	s_cmp_gt_u32 s20, 2
	v_add3_u32 v9, v12, v9, v1
	s_cbranch_scc0 .LBB63_17
; %bb.16:                               ;   in Loop: Header=BB63_11 Depth=1
	v_pk_mov_b32 v[12:13], v[14:15], v[14:15] op_sel:[0,1]
	s_branch .LBB63_11
.LBB63_17:
	v_mul_lo_u32 v1, s7, v6
	v_mul_lo_u32 v10, s6, v7
	v_mad_u64_u32 v[6:7], s[0:1], s6, v6, 0
	s_load_dwordx2 s[10:11], s[4:5], 0x358
	s_load_dwordx2 s[0:1], s[4:5], 0x288
	;; [unrolled: 1-line block ×4, first 2 shown]
	v_add3_u32 v7, v7, v10, v1
	v_cmp_gt_u64_e32 vcc, s[12:13], v[4:5]
	v_lshlrev_b64 v[6:7], 1, v[6:7]
	s_waitcnt lgkmcnt(0)
	v_mul_lo_u32 v1, s1, v14
	v_mul_lo_u32 v10, s0, v15
	v_mad_u64_u32 v[4:5], s[0:1], s0, v14, 0
	v_add3_u32 v5, v5, v10, v1
	v_mov_b32_e32 v1, s7
	v_add_co_u32_e64 v6, s[0:1], s6, v6
	v_addc_co_u32_e64 v1, s[0:1], v1, v7, s[0:1]
	v_lshlrev_b64 v[2:3], 1, v[2:3]
	v_add_co_u32_e64 v10, s[0:1], v6, v2
	v_addc_co_u32_e64 v11, s[0:1], v1, v3, s[0:1]
	v_lshlrev_b64 v[2:3], 3, v[4:5]
	v_mov_b32_e32 v1, s17
	v_add_co_u32_e64 v4, s[0:1], s16, v2
	v_addc_co_u32_e64 v1, s[0:1], v1, v3, s[0:1]
	v_lshlrev_b64 v[2:3], 3, v[8:9]
	s_load_dword s12, s[2:3], 0xc
	v_add_co_u32_e64 v8, s[0:1], v4, v2
	v_addc_co_u32_e64 v9, s[0:1], v1, v3, s[0:1]
	v_mov_b32_e32 v1, 0
	v_and_b32_e32 v2, 0x3ff, v0
	v_mov_b32_e32 v3, v1
	v_cmp_gt_u64_e64 s[0:1], s[14:15], v[2:3]
	v_pk_mov_b32 v[4:5], 0, 0
	s_and_b64 s[4:5], vcc, s[0:1]
	v_mov_b32_e32 v0, 0
	v_pk_mov_b32 v[6:7], v[4:5], v[4:5] op_sel:[0,1]
	s_and_saveexec_b64 s[6:7], s[4:5]
	s_cbranch_execz .LBB63_19
; %bb.18:
	v_mad_u64_u32 v[6:7], s[2:3], v2, s8, 0
	v_mov_b32_e32 v0, v7
	v_mad_u64_u32 v[12:13], s[2:3], v2, s9, v[0:1]
	v_mov_b32_e32 v7, v12
	v_lshlrev_b64 v[6:7], 1, v[6:7]
	v_add_co_u32_e64 v6, s[2:3], v10, v6
	v_addc_co_u32_e64 v7, s[2:3], v11, v7, s[2:3]
	global_load_ushort v0, v[6:7], off
	v_mad_u64_u32 v[6:7], s[2:3], v2, s10, 0
	v_mov_b32_e32 v12, v7
	v_mad_u64_u32 v[12:13], s[2:3], v2, s11, v[12:13]
	v_mov_b32_e32 v7, v12
	v_lshlrev_b64 v[6:7], 3, v[6:7]
	v_add_co_u32_e64 v6, s[2:3], v8, v6
	v_addc_co_u32_e64 v7, s[2:3], v9, v7, s[2:3]
	global_load_dwordx2 v[6:7], v[6:7], off
.LBB63_19:
	s_or_b64 exec, exec, s[6:7]
	v_mov_b32_e32 v3, 0x1000
	v_lshl_add_u32 v18, v16, 6, v3
	v_mov_b32_e32 v3, 0x1400
	v_lshl_add_u32 v17, v16, 5, v3
	v_lshl_add_u32 v12, v2, 1, v18
	s_waitcnt lgkmcnt(0)
	s_and_b32 s16, 0xffff, s12
	v_cndmask_b32_e64 v13, 0, 1, s[4:5]
	s_waitcnt vmcnt(1)
	ds_write_b16 v12, v0
	v_add_u32_e32 v0, v17, v2
	ds_write_b8 v0, v13
	v_add_u32_e32 v0, s16, v2
	v_lshlrev_b32_e32 v15, 8, v16
	v_cmp_gt_u64_e64 s[2:3], s[14:15], v[0:1]
	v_lshl_add_u32 v3, v2, 3, v15
	s_and_b64 s[6:7], vcc, s[2:3]
	s_waitcnt vmcnt(0)
	ds_write_b64 v3, v[6:7]
	s_and_saveexec_b64 s[12:13], s[6:7]
	s_cbranch_execz .LBB63_21
; %bb.20:
	v_mad_u64_u32 v[4:5], s[4:5], v0, s8, 0
	v_mov_b32_e32 v6, v5
	v_mad_u64_u32 v[6:7], s[4:5], v0, s9, v[6:7]
	v_mov_b32_e32 v5, v6
	v_lshlrev_b64 v[4:5], 1, v[4:5]
	v_add_co_u32_e64 v4, s[4:5], v10, v4
	v_addc_co_u32_e64 v5, s[4:5], v11, v5, s[4:5]
	global_load_ushort v1, v[4:5], off
	v_mad_u64_u32 v[4:5], s[4:5], v0, s10, 0
	v_mov_b32_e32 v6, v5
	v_mad_u64_u32 v[6:7], s[4:5], v0, s11, v[6:7]
	v_mov_b32_e32 v5, v6
	v_lshlrev_b64 v[4:5], 3, v[4:5]
	v_add_co_u32_e64 v4, s[4:5], v8, v4
	v_addc_co_u32_e64 v5, s[4:5], v9, v5, s[4:5]
	global_load_dwordx2 v[4:5], v[4:5], off
.LBB63_21:
	s_or_b64 exec, exec, s[12:13]
	v_lshl_add_u32 v6, s16, 1, v12
	s_waitcnt vmcnt(1)
	ds_write_b16 v6, v1
	v_lshl_add_u32 v1, s16, 3, v3
	v_lshlrev_b32_e32 v19, 1, v2
	v_cndmask_b32_e64 v7, 0, 1, s[6:7]
	s_waitcnt vmcnt(0)
	ds_write_b64 v1, v[4:5]
	v_add_u32_e32 v4, v17, v0
	v_add_u32_e32 v5, v12, v19
	ds_write_b8 v4, v7
	s_waitcnt lgkmcnt(0)
	s_barrier
	ds_read_b32 v13, v5
	s_mov_b32 s14, 1
	v_add_u32_e32 v4, v17, v19
	s_waitcnt lgkmcnt(0)
	v_cmp_u_f16_e64 s[4:5], v13, v13
	v_cmp_o_f16_sdwa s[6:7], v13, v13 src0_sel:WORD_1 src1_sel:WORD_1
	s_and_b64 s[4:5], s[4:5], s[6:7]
	v_cmp_gt_f16_sdwa s[6:7], v13, v13 src0_sel:DWORD src1_sel:WORD_1
	s_or_b64 s[4:5], s[4:5], s[6:7]
	s_xor_b64 s[6:7], s[4:5], -1
	s_and_saveexec_b64 s[12:13], s[4:5]
	s_xor_b64 s[12:13], exec, s[12:13]
	s_cbranch_execz .LBB63_23
; %bb.22:
	ds_read_u8 v7, v4
	s_andn2_b64 s[6:7], s[6:7], exec
	s_waitcnt lgkmcnt(0)
	v_and_b32_e32 v7, 1, v7
	v_cmp_eq_u32_e64 s[4:5], 1, v7
	s_xor_b64 s[4:5], s[4:5], -1
	s_and_b64 s[4:5], s[4:5], exec
	s_or_b64 s[6:7], s[6:7], s[4:5]
.LBB63_23:
	s_or_b64 exec, exec, s[12:13]
	v_mov_b32_e32 v16, s14
	s_and_saveexec_b64 s[4:5], s[6:7]
	s_cbranch_execz .LBB63_25
; %bb.24:
	ds_read_u8 v7, v4 offset:1
	s_waitcnt lgkmcnt(0)
	v_xor_b32_e32 v16, 1, v7
.LBB63_25:
	s_or_b64 exec, exec, s[4:5]
	v_and_b32_e32 v14, 1, v2
	v_lshlrev_b32_e32 v7, 3, v2
	v_cmp_eq_u32_e64 s[4:5], v16, v14
	s_and_saveexec_b64 s[6:7], s[4:5]
	s_cbranch_execz .LBB63_27
; %bb.26:
	v_add_u32_e32 v16, v3, v7
	v_alignbit_b32 v13, v13, v13, 16
	ds_read_b128 v[20:23], v16
	ds_write_b32 v5, v13
	ds_read_u16 v13, v4
	s_mov_b32 s4, 0xc0c0001
	s_waitcnt lgkmcnt(2)
	v_mov_b32_e32 v24, v20
	v_mov_b32_e32 v25, v21
	s_waitcnt lgkmcnt(0)
	v_perm_b32 v13, 0, v13, s4
	ds_write_b128 v16, v[22:25]
	ds_write_b16 v4, v13
.LBB63_27:
	s_or_b64 exec, exec, s[6:7]
	v_sub_u32_e32 v16, v19, v14
	v_lshl_add_u32 v13, v16, 1, v18
	s_waitcnt lgkmcnt(0)
	s_barrier
	ds_read_u16 v21, v13
	ds_read_u16 v22, v13 offset:4
	v_add_u32_e32 v14, v17, v16
                                        ; implicit-def: $sgpr12
	s_waitcnt lgkmcnt(1)
	v_cmp_u_f16_e64 s[4:5], v21, v21
	s_waitcnt lgkmcnt(0)
	v_cmp_o_f16_e64 s[6:7], v22, v22
	s_and_b64 s[6:7], s[4:5], s[6:7]
	v_cmp_gt_f16_e64 s[4:5], v21, v22
	s_or_b64 s[6:7], s[6:7], s[4:5]
	s_mov_b64 s[4:5], -1
	s_and_saveexec_b64 s[14:15], s[6:7]
	s_xor_b64 s[6:7], exec, s[14:15]
	s_cbranch_execz .LBB63_29
; %bb.28:
	ds_read_u8 v20, v14
	s_mov_b32 s12, 1
	s_waitcnt lgkmcnt(0)
	v_and_b32_e32 v20, 1, v20
	v_cmp_eq_u32_e64 s[4:5], 1, v20
	s_xor_b64 s[4:5], s[4:5], -1
	s_orn2_b64 s[4:5], s[4:5], exec
.LBB63_29:
	s_or_b64 exec, exec, s[6:7]
	v_mov_b32_e32 v23, s12
	s_and_saveexec_b64 s[6:7], s[4:5]
	s_cbranch_execz .LBB63_31
; %bb.30:
	ds_read_u8 v20, v14 offset:2
	s_waitcnt lgkmcnt(0)
	v_xor_b32_e32 v23, 1, v20
.LBB63_31:
	s_or_b64 exec, exec, s[6:7]
	v_bfe_u32 v20, v2, 1, 1
	v_lshl_add_u32 v16, v16, 3, v15
	v_cmp_eq_u32_e64 s[4:5], v23, v20
	s_and_saveexec_b64 s[6:7], s[4:5]
	s_cbranch_execz .LBB63_33
; %bb.32:
	ds_read2_b64 v[24:27], v16 offset1:2
	ds_read_u8 v23, v14 offset:2
	ds_read_u8 v28, v14
	ds_write_b16 v13, v22
	ds_write_b16 v13, v21 offset:4
	s_waitcnt lgkmcnt(4)
	ds_write2_b64 v16, v[26:27], v[24:25] offset1:2
	s_waitcnt lgkmcnt(4)
	ds_write_b8 v14, v23
	s_waitcnt lgkmcnt(4)
	ds_write_b8 v14, v28 offset:2
.LBB63_33:
	s_or_b64 exec, exec, s[6:7]
	s_waitcnt lgkmcnt(0)
	s_barrier
	ds_read_b32 v21, v5
                                        ; implicit-def: $sgpr14
	s_waitcnt lgkmcnt(0)
	v_cmp_u_f16_e64 s[4:5], v21, v21
	v_cmp_o_f16_sdwa s[6:7], v21, v21 src0_sel:WORD_1 src1_sel:WORD_1
	s_and_b64 s[4:5], s[4:5], s[6:7]
	v_cmp_gt_f16_sdwa s[6:7], v21, v21 src0_sel:DWORD src1_sel:WORD_1
	s_or_b64 s[4:5], s[4:5], s[6:7]
	s_xor_b64 s[6:7], s[4:5], -1
	s_and_saveexec_b64 s[12:13], s[4:5]
	s_cbranch_execnz .LBB63_100
; %bb.34:
	s_or_b64 exec, exec, s[12:13]
	v_mov_b32_e32 v22, s14
	s_and_saveexec_b64 s[4:5], s[6:7]
	s_cbranch_execnz .LBB63_101
.LBB63_35:
	s_or_b64 exec, exec, s[4:5]
	v_cmp_eq_u32_e64 s[4:5], v22, v20
	s_and_saveexec_b64 s[6:7], s[4:5]
	s_cbranch_execz .LBB63_37
.LBB63_36:
	v_add_u32_e32 v26, v3, v7
	ds_read_b128 v[22:25], v26
	ds_read_u16 v27, v4
	v_alignbit_b32 v20, v21, v21, 16
	ds_write_b32 v5, v20
	s_mov_b32 s4, 0xc0c0001
	s_waitcnt lgkmcnt(2)
	v_mov_b32_e32 v20, v24
	v_mov_b32_e32 v21, v25
	ds_write_b128 v26, v[20:23]
	s_waitcnt lgkmcnt(2)
	v_perm_b32 v20, 0, v27, s4
	ds_write_b16 v4, v20
.LBB63_37:
	s_or_b64 exec, exec, s[6:7]
	v_and_b32_e32 v20, 3, v2
	v_sub_u32_e32 v22, v19, v20
	v_lshl_add_u32 v20, v22, 1, v18
	s_waitcnt lgkmcnt(0)
	s_barrier
	ds_read_u16 v24, v20
	ds_read_u16 v25, v20 offset:8
	s_mov_b32 s14, 1
	v_add_u32_e32 v21, v17, v22
	s_waitcnt lgkmcnt(1)
	v_cmp_u_f16_e64 s[4:5], v24, v24
	s_waitcnt lgkmcnt(0)
	v_cmp_o_f16_e64 s[6:7], v25, v25
	s_and_b64 s[6:7], s[4:5], s[6:7]
	v_cmp_gt_f16_e64 s[4:5], v24, v25
	s_or_b64 s[4:5], s[6:7], s[4:5]
	s_xor_b64 s[6:7], s[4:5], -1
	s_and_saveexec_b64 s[12:13], s[4:5]
	s_cbranch_execz .LBB63_39
; %bb.38:
	ds_read_u8 v23, v21
	s_andn2_b64 s[6:7], s[6:7], exec
	s_waitcnt lgkmcnt(0)
	v_and_b32_e32 v23, 1, v23
	v_cmp_eq_u32_e64 s[4:5], 1, v23
	s_xor_b64 s[4:5], s[4:5], -1
	s_and_b64 s[4:5], s[4:5], exec
	s_or_b64 s[6:7], s[6:7], s[4:5]
.LBB63_39:
	s_or_b64 exec, exec, s[12:13]
	v_mov_b32_e32 v26, s14
	s_and_saveexec_b64 s[4:5], s[6:7]
	s_cbranch_execz .LBB63_41
; %bb.40:
	ds_read_u8 v23, v21 offset:4
	s_waitcnt lgkmcnt(0)
	v_xor_b32_e32 v26, 1, v23
.LBB63_41:
	s_or_b64 exec, exec, s[4:5]
	v_bfe_u32 v23, v2, 2, 1
	v_lshl_add_u32 v22, v22, 3, v15
	v_cmp_eq_u32_e64 s[4:5], v26, v23
	s_and_saveexec_b64 s[6:7], s[4:5]
	s_cbranch_execz .LBB63_43
; %bb.42:
	ds_read2_b64 v[26:29], v22 offset1:4
	ds_read_u8 v30, v21 offset:4
	ds_read_u8 v31, v21
	ds_write_b16 v20, v25
	ds_write_b16 v20, v24 offset:8
	s_waitcnt lgkmcnt(4)
	ds_write2_b64 v22, v[28:29], v[26:27] offset1:4
	s_waitcnt lgkmcnt(4)
	ds_write_b8 v21, v30
	s_waitcnt lgkmcnt(4)
	ds_write_b8 v21, v31 offset:4
.LBB63_43:
	s_or_b64 exec, exec, s[6:7]
	s_waitcnt lgkmcnt(0)
	s_barrier
	ds_read_u16 v24, v13
	ds_read_u16 v25, v13 offset:4
                                        ; implicit-def: $sgpr14
	s_waitcnt lgkmcnt(1)
	v_cmp_u_f16_e64 s[4:5], v24, v24
	s_waitcnt lgkmcnt(0)
	v_cmp_o_f16_e64 s[6:7], v25, v25
	s_and_b64 s[6:7], s[4:5], s[6:7]
	v_cmp_gt_f16_e64 s[4:5], v24, v25
	s_or_b64 s[4:5], s[6:7], s[4:5]
	s_xor_b64 s[6:7], s[4:5], -1
	s_and_saveexec_b64 s[12:13], s[4:5]
	s_cbranch_execnz .LBB63_102
; %bb.44:
	s_or_b64 exec, exec, s[12:13]
	v_mov_b32_e32 v26, s14
	s_and_saveexec_b64 s[4:5], s[6:7]
	s_cbranch_execnz .LBB63_103
.LBB63_45:
	s_or_b64 exec, exec, s[4:5]
	v_cmp_eq_u32_e64 s[4:5], v26, v23
	s_and_saveexec_b64 s[6:7], s[4:5]
	s_cbranch_execz .LBB63_47
.LBB63_46:
	ds_read2_b64 v[26:29], v16 offset1:2
	ds_read_u8 v30, v14 offset:2
	ds_read_u8 v31, v14
	ds_write_b16 v13, v25
	ds_write_b16 v13, v24 offset:4
	s_waitcnt lgkmcnt(4)
	ds_write2_b64 v16, v[28:29], v[26:27] offset1:2
	s_waitcnt lgkmcnt(4)
	ds_write_b8 v14, v30
	s_waitcnt lgkmcnt(4)
	ds_write_b8 v14, v31 offset:2
.LBB63_47:
	s_or_b64 exec, exec, s[6:7]
	s_waitcnt lgkmcnt(0)
	s_barrier
	ds_read_b32 v24, v5
                                        ; implicit-def: $sgpr14
	s_waitcnt lgkmcnt(0)
	v_cmp_u_f16_e64 s[4:5], v24, v24
	v_cmp_o_f16_sdwa s[6:7], v24, v24 src0_sel:WORD_1 src1_sel:WORD_1
	s_and_b64 s[4:5], s[4:5], s[6:7]
	v_cmp_gt_f16_sdwa s[6:7], v24, v24 src0_sel:DWORD src1_sel:WORD_1
	s_or_b64 s[4:5], s[4:5], s[6:7]
	s_xor_b64 s[6:7], s[4:5], -1
	s_and_saveexec_b64 s[12:13], s[4:5]
	s_cbranch_execnz .LBB63_104
; %bb.48:
	s_or_b64 exec, exec, s[12:13]
	v_mov_b32_e32 v25, s14
	s_and_saveexec_b64 s[4:5], s[6:7]
	s_cbranch_execnz .LBB63_105
.LBB63_49:
	s_or_b64 exec, exec, s[4:5]
	v_cmp_eq_u32_e64 s[4:5], v25, v23
	s_and_saveexec_b64 s[6:7], s[4:5]
	s_cbranch_execz .LBB63_51
.LBB63_50:
	v_add_u32_e32 v23, v3, v7
	ds_read_b128 v[26:29], v23
	ds_read_u16 v30, v4
	v_alignbit_b32 v24, v24, v24, 16
	ds_write_b32 v5, v24
	s_mov_b32 s4, 0xc0c0001
	s_waitcnt lgkmcnt(2)
	v_mov_b32_e32 v24, v28
	v_mov_b32_e32 v25, v29
	ds_write_b128 v23, v[24:27]
	s_waitcnt lgkmcnt(2)
	v_perm_b32 v23, 0, v30, s4
	ds_write_b16 v4, v23
.LBB63_51:
	s_or_b64 exec, exec, s[6:7]
	v_and_b32_e32 v23, 7, v2
	v_sub_u32_e32 v25, v19, v23
	v_lshl_add_u32 v23, v25, 1, v18
	s_waitcnt lgkmcnt(0)
	s_barrier
	ds_read_u16 v27, v23
	ds_read_u16 v28, v23 offset:16
	s_mov_b32 s14, 1
	v_add_u32_e32 v24, v17, v25
	s_waitcnt lgkmcnt(1)
	v_cmp_u_f16_e64 s[4:5], v27, v27
	s_waitcnt lgkmcnt(0)
	v_cmp_o_f16_e64 s[6:7], v28, v28
	s_and_b64 s[6:7], s[4:5], s[6:7]
	v_cmp_gt_f16_e64 s[4:5], v27, v28
	s_or_b64 s[4:5], s[6:7], s[4:5]
	s_xor_b64 s[6:7], s[4:5], -1
	s_and_saveexec_b64 s[12:13], s[4:5]
	s_cbranch_execz .LBB63_53
; %bb.52:
	ds_read_u8 v26, v24
	s_andn2_b64 s[6:7], s[6:7], exec
	s_waitcnt lgkmcnt(0)
	v_and_b32_e32 v26, 1, v26
	v_cmp_eq_u32_e64 s[4:5], 1, v26
	s_xor_b64 s[4:5], s[4:5], -1
	s_and_b64 s[4:5], s[4:5], exec
	s_or_b64 s[6:7], s[6:7], s[4:5]
.LBB63_53:
	s_or_b64 exec, exec, s[12:13]
	v_mov_b32_e32 v29, s14
	s_and_saveexec_b64 s[4:5], s[6:7]
	s_cbranch_execz .LBB63_55
; %bb.54:
	ds_read_u8 v26, v24 offset:8
	s_waitcnt lgkmcnt(0)
	v_xor_b32_e32 v29, 1, v26
.LBB63_55:
	s_or_b64 exec, exec, s[4:5]
	v_bfe_u32 v26, v2, 3, 1
	v_lshl_add_u32 v25, v25, 3, v15
	v_cmp_eq_u32_e64 s[4:5], v29, v26
	s_and_saveexec_b64 s[6:7], s[4:5]
	s_cbranch_execz .LBB63_57
; %bb.56:
	ds_read2_b64 v[30:33], v25 offset1:8
	ds_read_u8 v29, v24 offset:8
	ds_read_u8 v34, v24
	ds_write_b16 v23, v28
	ds_write_b16 v23, v27 offset:16
	s_waitcnt lgkmcnt(4)
	ds_write2_b64 v25, v[32:33], v[30:31] offset1:8
	s_waitcnt lgkmcnt(4)
	ds_write_b8 v24, v29
	s_waitcnt lgkmcnt(4)
	ds_write_b8 v24, v34 offset:8
.LBB63_57:
	s_or_b64 exec, exec, s[6:7]
	s_waitcnt lgkmcnt(0)
	s_barrier
	ds_read_u16 v27, v20
	ds_read_u16 v28, v20 offset:8
                                        ; implicit-def: $sgpr14
	s_waitcnt lgkmcnt(1)
	v_cmp_u_f16_e64 s[4:5], v27, v27
	s_waitcnt lgkmcnt(0)
	v_cmp_o_f16_e64 s[6:7], v28, v28
	s_and_b64 s[6:7], s[4:5], s[6:7]
	v_cmp_gt_f16_e64 s[4:5], v27, v28
	s_or_b64 s[4:5], s[6:7], s[4:5]
	s_xor_b64 s[6:7], s[4:5], -1
	s_and_saveexec_b64 s[12:13], s[4:5]
	s_cbranch_execnz .LBB63_106
; %bb.58:
	s_or_b64 exec, exec, s[12:13]
	v_mov_b32_e32 v29, s14
	s_and_saveexec_b64 s[4:5], s[6:7]
	s_cbranch_execnz .LBB63_107
.LBB63_59:
	s_or_b64 exec, exec, s[4:5]
	v_cmp_eq_u32_e64 s[4:5], v29, v26
	s_and_saveexec_b64 s[6:7], s[4:5]
	s_cbranch_execz .LBB63_61
.LBB63_60:
	ds_read2_b64 v[30:33], v22 offset1:4
	ds_read_u8 v29, v21 offset:4
	ds_read_u8 v34, v21
	ds_write_b16 v20, v28
	ds_write_b16 v20, v27 offset:8
	s_waitcnt lgkmcnt(4)
	ds_write2_b64 v22, v[32:33], v[30:31] offset1:4
	s_waitcnt lgkmcnt(4)
	ds_write_b8 v21, v29
	s_waitcnt lgkmcnt(4)
	ds_write_b8 v21, v34 offset:4
.LBB63_61:
	s_or_b64 exec, exec, s[6:7]
	s_waitcnt lgkmcnt(0)
	s_barrier
	ds_read_u16 v27, v13
	ds_read_u16 v28, v13 offset:4
                                        ; implicit-def: $sgpr14
	s_waitcnt lgkmcnt(1)
	v_cmp_u_f16_e64 s[4:5], v27, v27
	s_waitcnt lgkmcnt(0)
	v_cmp_o_f16_e64 s[6:7], v28, v28
	s_and_b64 s[6:7], s[4:5], s[6:7]
	v_cmp_gt_f16_e64 s[4:5], v27, v28
	s_or_b64 s[4:5], s[6:7], s[4:5]
	s_xor_b64 s[6:7], s[4:5], -1
	s_and_saveexec_b64 s[12:13], s[4:5]
	s_cbranch_execnz .LBB63_108
; %bb.62:
	s_or_b64 exec, exec, s[12:13]
	v_mov_b32_e32 v29, s14
	s_and_saveexec_b64 s[4:5], s[6:7]
	s_cbranch_execnz .LBB63_109
.LBB63_63:
	s_or_b64 exec, exec, s[4:5]
	v_cmp_eq_u32_e64 s[4:5], v29, v26
	s_and_saveexec_b64 s[6:7], s[4:5]
	s_cbranch_execz .LBB63_65
.LBB63_64:
	ds_read2_b64 v[30:33], v16 offset1:2
	ds_read_u8 v29, v14 offset:2
	ds_read_u8 v34, v14
	ds_write_b16 v13, v28
	ds_write_b16 v13, v27 offset:4
	s_waitcnt lgkmcnt(4)
	ds_write2_b64 v16, v[32:33], v[30:31] offset1:2
	s_waitcnt lgkmcnt(4)
	ds_write_b8 v14, v29
	s_waitcnt lgkmcnt(4)
	ds_write_b8 v14, v34 offset:2
.LBB63_65:
	s_or_b64 exec, exec, s[6:7]
	s_waitcnt lgkmcnt(0)
	s_barrier
	ds_read_b32 v27, v5
                                        ; implicit-def: $sgpr14
	s_waitcnt lgkmcnt(0)
	v_cmp_u_f16_e64 s[4:5], v27, v27
	v_cmp_o_f16_sdwa s[6:7], v27, v27 src0_sel:WORD_1 src1_sel:WORD_1
	s_and_b64 s[4:5], s[4:5], s[6:7]
	v_cmp_gt_f16_sdwa s[6:7], v27, v27 src0_sel:DWORD src1_sel:WORD_1
	s_or_b64 s[4:5], s[4:5], s[6:7]
	s_xor_b64 s[6:7], s[4:5], -1
	s_and_saveexec_b64 s[12:13], s[4:5]
	s_cbranch_execnz .LBB63_110
; %bb.66:
	s_or_b64 exec, exec, s[12:13]
	v_mov_b32_e32 v28, s14
	s_and_saveexec_b64 s[4:5], s[6:7]
	s_cbranch_execnz .LBB63_111
.LBB63_67:
	s_or_b64 exec, exec, s[4:5]
	v_cmp_eq_u32_e64 s[4:5], v28, v26
	s_and_saveexec_b64 s[6:7], s[4:5]
	s_cbranch_execz .LBB63_69
.LBB63_68:
	v_add_u32_e32 v32, v3, v7
	ds_read_b128 v[28:31], v32
	ds_read_u16 v33, v4
	v_alignbit_b32 v26, v27, v27, 16
	ds_write_b32 v5, v26
	s_mov_b32 s4, 0xc0c0001
	s_waitcnt lgkmcnt(2)
	v_mov_b32_e32 v26, v30
	v_mov_b32_e32 v27, v31
	ds_write_b128 v32, v[26:29]
	s_waitcnt lgkmcnt(2)
	v_perm_b32 v26, 0, v33, s4
	ds_write_b16 v4, v26
.LBB63_69:
	s_or_b64 exec, exec, s[6:7]
	v_and_b32_e32 v26, 15, v2
	v_sub_u32_e32 v27, v19, v26
	v_lshl_add_u32 v18, v27, 1, v18
	s_waitcnt lgkmcnt(0)
	s_barrier
	ds_read_u16 v19, v18
	ds_read_u16 v26, v18 offset:32
	v_add_u32_e32 v17, v17, v27
	s_waitcnt lgkmcnt(1)
	v_cmp_u_f16_e64 s[4:5], v19, v19
	s_waitcnt lgkmcnt(0)
	v_cmp_o_f16_e64 s[6:7], v26, v26
	s_and_b64 s[6:7], s[4:5], s[6:7]
	v_cmp_gt_f16_e64 s[4:5], v19, v26
	s_or_b64 s[4:5], s[6:7], s[4:5]
	s_xor_b64 s[12:13], s[4:5], -1
	s_and_saveexec_b64 s[6:7], s[4:5]
	s_cbranch_execz .LBB63_71
; %bb.70:
	ds_read_u8 v28, v17
	s_andn2_b64 s[12:13], s[12:13], exec
	s_waitcnt lgkmcnt(0)
	v_and_b32_e32 v28, 1, v28
	v_cmp_eq_u32_e64 s[4:5], 1, v28
	s_xor_b64 s[4:5], s[4:5], -1
	s_and_b64 s[4:5], s[4:5], exec
	s_or_b64 s[12:13], s[12:13], s[4:5]
.LBB63_71:
	s_or_b64 exec, exec, s[6:7]
	s_and_saveexec_b64 s[6:7], s[12:13]
	s_cbranch_execz .LBB63_74
; %bb.72:
	ds_read_u8 v28, v17 offset:16
	s_waitcnt lgkmcnt(0)
	v_cmp_ne_u16_e64 s[4:5], 0, v28
	s_and_b64 exec, exec, s[4:5]
	s_cbranch_execz .LBB63_74
; %bb.73:
	v_lshl_add_u32 v15, v27, 3, v15
	ds_read2_b64 v[30:33], v15 offset1:16
	ds_read_u8 v27, v17
	ds_write_b16 v18, v26
	ds_write_b16 v18, v19 offset:32
	ds_write_b8 v17, v28
	s_waitcnt lgkmcnt(4)
	ds_write2_b64 v15, v[32:33], v[30:31] offset1:16
	s_waitcnt lgkmcnt(4)
	ds_write_b8 v17, v27 offset:16
.LBB63_74:
	s_or_b64 exec, exec, s[6:7]
	s_waitcnt lgkmcnt(0)
	s_barrier
	ds_read_u16 v15, v23
	ds_read_u16 v17, v23 offset:16
	s_waitcnt lgkmcnt(1)
	v_cmp_u_f16_e64 s[4:5], v15, v15
	s_waitcnt lgkmcnt(0)
	v_cmp_o_f16_e64 s[6:7], v17, v17
	s_and_b64 s[6:7], s[4:5], s[6:7]
	v_cmp_gt_f16_e64 s[4:5], v15, v17
	s_or_b64 s[4:5], s[6:7], s[4:5]
	s_xor_b64 s[12:13], s[4:5], -1
	s_and_saveexec_b64 s[6:7], s[4:5]
	s_cbranch_execz .LBB63_76
; %bb.75:
	ds_read_u8 v18, v24
	s_andn2_b64 s[12:13], s[12:13], exec
	s_waitcnt lgkmcnt(0)
	v_and_b32_e32 v18, 1, v18
	v_cmp_eq_u32_e64 s[4:5], 1, v18
	s_xor_b64 s[4:5], s[4:5], -1
	s_and_b64 s[4:5], s[4:5], exec
	s_or_b64 s[12:13], s[12:13], s[4:5]
.LBB63_76:
	s_or_b64 exec, exec, s[6:7]
	s_and_saveexec_b64 s[6:7], s[12:13]
	s_cbranch_execz .LBB63_79
; %bb.77:
	ds_read_u8 v18, v24 offset:8
	s_waitcnt lgkmcnt(0)
	v_cmp_ne_u16_e64 s[4:5], 0, v18
	s_and_b64 exec, exec, s[4:5]
	s_cbranch_execz .LBB63_79
; %bb.78:
	ds_read2_b64 v[26:29], v25 offset1:8
	ds_read_u8 v19, v24
	ds_write_b16 v23, v17
	ds_write_b16 v23, v15 offset:16
	ds_write_b8 v24, v18
	s_waitcnt lgkmcnt(4)
	ds_write2_b64 v25, v[28:29], v[26:27] offset1:8
	s_waitcnt lgkmcnt(4)
	ds_write_b8 v24, v19 offset:8
.LBB63_79:
	s_or_b64 exec, exec, s[6:7]
	s_waitcnt lgkmcnt(0)
	s_barrier
	ds_read_u16 v15, v20
	ds_read_u16 v17, v20 offset:8
	s_waitcnt lgkmcnt(1)
	v_cmp_u_f16_e64 s[4:5], v15, v15
	s_waitcnt lgkmcnt(0)
	v_cmp_o_f16_e64 s[6:7], v17, v17
	s_and_b64 s[6:7], s[4:5], s[6:7]
	v_cmp_gt_f16_e64 s[4:5], v15, v17
	s_or_b64 s[4:5], s[6:7], s[4:5]
	s_xor_b64 s[12:13], s[4:5], -1
	s_and_saveexec_b64 s[6:7], s[4:5]
	s_cbranch_execz .LBB63_81
; %bb.80:
	ds_read_u8 v18, v21
	s_andn2_b64 s[12:13], s[12:13], exec
	s_waitcnt lgkmcnt(0)
	v_and_b32_e32 v18, 1, v18
	v_cmp_eq_u32_e64 s[4:5], 1, v18
	s_xor_b64 s[4:5], s[4:5], -1
	s_and_b64 s[4:5], s[4:5], exec
	s_or_b64 s[12:13], s[12:13], s[4:5]
.LBB63_81:
	s_or_b64 exec, exec, s[6:7]
	s_and_saveexec_b64 s[6:7], s[12:13]
	s_cbranch_execz .LBB63_84
; %bb.82:
	ds_read_u8 v18, v21 offset:4
	s_waitcnt lgkmcnt(0)
	v_cmp_ne_u16_e64 s[4:5], 0, v18
	s_and_b64 exec, exec, s[4:5]
	s_cbranch_execz .LBB63_84
; %bb.83:
	ds_read2_b64 v[24:27], v22 offset1:4
	ds_read_u8 v19, v21
	ds_write_b16 v20, v17
	ds_write_b16 v20, v15 offset:8
	ds_write_b8 v21, v18
	s_waitcnt lgkmcnt(4)
	ds_write2_b64 v22, v[26:27], v[24:25] offset1:4
	s_waitcnt lgkmcnt(4)
	ds_write_b8 v21, v19 offset:4
.LBB63_84:
	;; [unrolled: 45-line block ×3, first 2 shown]
	s_or_b64 exec, exec, s[6:7]
	s_waitcnt lgkmcnt(0)
	s_barrier
	ds_read_b32 v13, v5
	s_waitcnt lgkmcnt(0)
	v_cmp_u_f16_e64 s[4:5], v13, v13
	v_cmp_o_f16_sdwa s[6:7], v13, v13 src0_sel:WORD_1 src1_sel:WORD_1
	s_and_b64 s[4:5], s[4:5], s[6:7]
	v_cmp_gt_f16_sdwa s[6:7], v13, v13 src0_sel:DWORD src1_sel:WORD_1
	s_or_b64 s[4:5], s[4:5], s[6:7]
	s_xor_b64 s[12:13], s[4:5], -1
	s_and_saveexec_b64 s[6:7], s[4:5]
	s_cbranch_execz .LBB63_91
; %bb.90:
	ds_read_u8 v14, v4
	s_andn2_b64 s[12:13], s[12:13], exec
	s_waitcnt lgkmcnt(0)
	v_and_b32_e32 v14, 1, v14
	v_cmp_eq_u32_e64 s[4:5], 1, v14
	s_xor_b64 s[4:5], s[4:5], -1
	s_and_b64 s[4:5], s[4:5], exec
	s_or_b64 s[12:13], s[12:13], s[4:5]
.LBB63_91:
	s_or_b64 exec, exec, s[6:7]
	s_and_saveexec_b64 s[6:7], s[12:13]
	s_cbranch_execz .LBB63_94
; %bb.92:
	ds_read_u8 v14, v4 offset:1
	s_waitcnt lgkmcnt(0)
	v_cmp_ne_u16_e64 s[4:5], 0, v14
	s_and_b64 exec, exec, s[4:5]
	s_cbranch_execz .LBB63_94
; %bb.93:
	v_add_u32_e32 v7, v3, v7
	v_alignbit_b32 v13, v13, v13, 16
	ds_read_b128 v[16:19], v7
	ds_write_b32 v5, v13
	ds_read_u8 v5, v4
	s_waitcnt lgkmcnt(2)
	v_mov_b32_e32 v20, v16
	v_mov_b32_e32 v21, v17
	s_waitcnt lgkmcnt(0)
	v_lshlrev_b16_e32 v5, 8, v5
	v_or_b32_e32 v5, v14, v5
	ds_write_b128 v7, v[18:21]
	ds_write_b16 v4, v5
.LBB63_94:
	s_or_b64 exec, exec, s[6:7]
	s_waitcnt lgkmcnt(0)
	s_barrier
	s_and_saveexec_b64 s[4:5], vcc
	s_cbranch_execz .LBB63_99
; %bb.95:
	s_and_saveexec_b64 s[4:5], s[0:1]
	s_cbranch_execz .LBB63_97
; %bb.96:
	v_mad_u64_u32 v[4:5], s[0:1], v2, s8, 0
	v_mov_b32_e32 v14, v5
	v_mad_u64_u32 v[14:15], s[0:1], v2, s9, v[14:15]
	ds_read_u16 v7, v12
	v_mov_b32_e32 v5, v14
	v_lshlrev_b64 v[4:5], 1, v[4:5]
	v_add_co_u32_e32 v4, vcc, v10, v4
	v_addc_co_u32_e32 v5, vcc, v11, v5, vcc
	s_waitcnt lgkmcnt(0)
	global_store_short v[4:5], v7, off
	v_mad_u64_u32 v[4:5], s[0:1], v2, s10, 0
	v_mov_b32_e32 v14, v5
	ds_read_b64 v[12:13], v3
	v_mad_u64_u32 v[2:3], s[0:1], v2, s11, v[14:15]
	v_mov_b32_e32 v5, v2
	v_lshlrev_b64 v[2:3], 3, v[4:5]
	v_add_co_u32_e32 v2, vcc, v8, v2
	v_addc_co_u32_e32 v3, vcc, v9, v3, vcc
	s_waitcnt lgkmcnt(0)
	global_store_dwordx2 v[2:3], v[12:13], off
.LBB63_97:
	s_or_b64 exec, exec, s[4:5]
	s_and_b64 exec, exec, s[2:3]
	s_cbranch_execz .LBB63_99
; %bb.98:
	v_mad_u64_u32 v[2:3], s[0:1], v0, s8, 0
	v_mov_b32_e32 v4, v3
	v_mad_u64_u32 v[4:5], s[0:1], v0, s9, v[4:5]
	ds_read_u16 v6, v6
	v_mov_b32_e32 v3, v4
	ds_read_b64 v[4:5], v1
	v_lshlrev_b64 v[2:3], 1, v[2:3]
	v_add_co_u32_e32 v2, vcc, v10, v2
	v_addc_co_u32_e32 v3, vcc, v11, v3, vcc
	s_waitcnt lgkmcnt(1)
	global_store_short v[2:3], v6, off
	v_mad_u64_u32 v[2:3], s[0:1], v0, s10, 0
	v_mov_b32_e32 v6, v3
	v_mad_u64_u32 v[0:1], s[0:1], v0, s11, v[6:7]
	v_mov_b32_e32 v3, v0
	v_lshlrev_b64 v[0:1], 3, v[2:3]
	v_add_co_u32_e32 v0, vcc, v8, v0
	v_addc_co_u32_e32 v1, vcc, v9, v1, vcc
	s_waitcnt lgkmcnt(0)
	global_store_dwordx2 v[0:1], v[4:5], off
.LBB63_99:
	s_endpgm
.LBB63_100:
	ds_read_u8 v22, v4
	s_andn2_b64 s[6:7], s[6:7], exec
	s_mov_b32 s14, 1
	s_waitcnt lgkmcnt(0)
	v_and_b32_e32 v22, 1, v22
	v_cmp_eq_u32_e64 s[4:5], 1, v22
	s_xor_b64 s[4:5], s[4:5], -1
	s_and_b64 s[4:5], s[4:5], exec
	s_or_b64 s[6:7], s[6:7], s[4:5]
	s_or_b64 exec, exec, s[12:13]
	v_mov_b32_e32 v22, s14
	s_and_saveexec_b64 s[4:5], s[6:7]
	s_cbranch_execz .LBB63_35
.LBB63_101:
	ds_read_u8 v22, v4 offset:1
	s_waitcnt lgkmcnt(0)
	v_xor_b32_e32 v22, 1, v22
	s_or_b64 exec, exec, s[4:5]
	v_cmp_eq_u32_e64 s[4:5], v22, v20
	s_and_saveexec_b64 s[6:7], s[4:5]
	s_cbranch_execnz .LBB63_36
	s_branch .LBB63_37
.LBB63_102:
	ds_read_u8 v26, v14
	s_andn2_b64 s[6:7], s[6:7], exec
	s_mov_b32 s14, 1
	s_waitcnt lgkmcnt(0)
	v_and_b32_e32 v26, 1, v26
	v_cmp_eq_u32_e64 s[4:5], 1, v26
	s_xor_b64 s[4:5], s[4:5], -1
	s_and_b64 s[4:5], s[4:5], exec
	s_or_b64 s[6:7], s[6:7], s[4:5]
	s_or_b64 exec, exec, s[12:13]
	v_mov_b32_e32 v26, s14
	s_and_saveexec_b64 s[4:5], s[6:7]
	s_cbranch_execz .LBB63_45
.LBB63_103:
	ds_read_u8 v26, v14 offset:2
	s_waitcnt lgkmcnt(0)
	v_xor_b32_e32 v26, 1, v26
	s_or_b64 exec, exec, s[4:5]
	v_cmp_eq_u32_e64 s[4:5], v26, v23
	s_and_saveexec_b64 s[6:7], s[4:5]
	s_cbranch_execnz .LBB63_46
	s_branch .LBB63_47
.LBB63_104:
	ds_read_u8 v25, v4
	s_andn2_b64 s[6:7], s[6:7], exec
	s_mov_b32 s14, 1
	s_waitcnt lgkmcnt(0)
	v_and_b32_e32 v25, 1, v25
	v_cmp_eq_u32_e64 s[4:5], 1, v25
	s_xor_b64 s[4:5], s[4:5], -1
	s_and_b64 s[4:5], s[4:5], exec
	s_or_b64 s[6:7], s[6:7], s[4:5]
	s_or_b64 exec, exec, s[12:13]
	v_mov_b32_e32 v25, s14
	s_and_saveexec_b64 s[4:5], s[6:7]
	s_cbranch_execz .LBB63_49
.LBB63_105:
	ds_read_u8 v25, v4 offset:1
	s_waitcnt lgkmcnt(0)
	v_xor_b32_e32 v25, 1, v25
	s_or_b64 exec, exec, s[4:5]
	v_cmp_eq_u32_e64 s[4:5], v25, v23
	s_and_saveexec_b64 s[6:7], s[4:5]
	s_cbranch_execnz .LBB63_50
	s_branch .LBB63_51
.LBB63_106:
	ds_read_u8 v29, v21
	s_andn2_b64 s[6:7], s[6:7], exec
	s_mov_b32 s14, 1
	s_waitcnt lgkmcnt(0)
	v_and_b32_e32 v29, 1, v29
	v_cmp_eq_u32_e64 s[4:5], 1, v29
	s_xor_b64 s[4:5], s[4:5], -1
	s_and_b64 s[4:5], s[4:5], exec
	s_or_b64 s[6:7], s[6:7], s[4:5]
	s_or_b64 exec, exec, s[12:13]
	v_mov_b32_e32 v29, s14
	s_and_saveexec_b64 s[4:5], s[6:7]
	s_cbranch_execz .LBB63_59
.LBB63_107:
	ds_read_u8 v29, v21 offset:4
	s_waitcnt lgkmcnt(0)
	v_xor_b32_e32 v29, 1, v29
	s_or_b64 exec, exec, s[4:5]
	v_cmp_eq_u32_e64 s[4:5], v29, v26
	s_and_saveexec_b64 s[6:7], s[4:5]
	s_cbranch_execnz .LBB63_60
	s_branch .LBB63_61
.LBB63_108:
	ds_read_u8 v29, v14
	s_andn2_b64 s[6:7], s[6:7], exec
	s_mov_b32 s14, 1
	s_waitcnt lgkmcnt(0)
	v_and_b32_e32 v29, 1, v29
	v_cmp_eq_u32_e64 s[4:5], 1, v29
	s_xor_b64 s[4:5], s[4:5], -1
	s_and_b64 s[4:5], s[4:5], exec
	s_or_b64 s[6:7], s[6:7], s[4:5]
	s_or_b64 exec, exec, s[12:13]
	v_mov_b32_e32 v29, s14
	s_and_saveexec_b64 s[4:5], s[6:7]
	s_cbranch_execz .LBB63_63
.LBB63_109:
	ds_read_u8 v29, v14 offset:2
	s_waitcnt lgkmcnt(0)
	v_xor_b32_e32 v29, 1, v29
	s_or_b64 exec, exec, s[4:5]
	v_cmp_eq_u32_e64 s[4:5], v29, v26
	s_and_saveexec_b64 s[6:7], s[4:5]
	s_cbranch_execnz .LBB63_64
	s_branch .LBB63_65
.LBB63_110:
	ds_read_u8 v28, v4
	s_andn2_b64 s[6:7], s[6:7], exec
	s_mov_b32 s14, 1
	s_waitcnt lgkmcnt(0)
	v_and_b32_e32 v28, 1, v28
	v_cmp_eq_u32_e64 s[4:5], 1, v28
	s_xor_b64 s[4:5], s[4:5], -1
	s_and_b64 s[4:5], s[4:5], exec
	s_or_b64 s[6:7], s[6:7], s[4:5]
	s_or_b64 exec, exec, s[12:13]
	v_mov_b32_e32 v28, s14
	s_and_saveexec_b64 s[4:5], s[6:7]
	s_cbranch_execz .LBB63_67
.LBB63_111:
	ds_read_u8 v28, v4 offset:1
	s_waitcnt lgkmcnt(0)
	v_xor_b32_e32 v28, 1, v28
	s_or_b64 exec, exec, s[4:5]
	v_cmp_eq_u32_e64 s[4:5], v28, v26
	s_and_saveexec_b64 s[6:7], s[4:5]
	s_cbranch_execnz .LBB63_68
	s_branch .LBB63_69
	.section	.rodata,"a",@progbits
	.p2align	6, 0x0
	.amdhsa_kernel _ZN2at6native20bitonicSortKVInPlaceILin1ELin1ELi16ELi16EN3c104HalfElNS0_4GTOpIS3_Lb1EEEmEEvNS_4cuda6detail10TensorInfoIT3_T6_EESA_SA_SA_NS8_IT4_SA_EESA_T5_
		.amdhsa_group_segment_fixed_size 5632
		.amdhsa_private_segment_fixed_size 0
		.amdhsa_kernarg_size 1128
		.amdhsa_user_sgpr_count 6
		.amdhsa_user_sgpr_private_segment_buffer 1
		.amdhsa_user_sgpr_dispatch_ptr 0
		.amdhsa_user_sgpr_queue_ptr 0
		.amdhsa_user_sgpr_kernarg_segment_ptr 1
		.amdhsa_user_sgpr_dispatch_id 0
		.amdhsa_user_sgpr_flat_scratch_init 0
		.amdhsa_user_sgpr_kernarg_preload_length 0
		.amdhsa_user_sgpr_kernarg_preload_offset 0
		.amdhsa_user_sgpr_private_segment_size 0
		.amdhsa_uses_dynamic_stack 0
		.amdhsa_system_sgpr_private_segment_wavefront_offset 0
		.amdhsa_system_sgpr_workgroup_id_x 1
		.amdhsa_system_sgpr_workgroup_id_y 1
		.amdhsa_system_sgpr_workgroup_id_z 1
		.amdhsa_system_sgpr_workgroup_info 0
		.amdhsa_system_vgpr_workitem_id 1
		.amdhsa_next_free_vgpr 35
		.amdhsa_next_free_sgpr 21
		.amdhsa_accum_offset 36
		.amdhsa_reserve_vcc 1
		.amdhsa_reserve_flat_scratch 0
		.amdhsa_float_round_mode_32 0
		.amdhsa_float_round_mode_16_64 0
		.amdhsa_float_denorm_mode_32 3
		.amdhsa_float_denorm_mode_16_64 3
		.amdhsa_dx10_clamp 1
		.amdhsa_ieee_mode 1
		.amdhsa_fp16_overflow 0
		.amdhsa_tg_split 0
		.amdhsa_exception_fp_ieee_invalid_op 0
		.amdhsa_exception_fp_denorm_src 0
		.amdhsa_exception_fp_ieee_div_zero 0
		.amdhsa_exception_fp_ieee_overflow 0
		.amdhsa_exception_fp_ieee_underflow 0
		.amdhsa_exception_fp_ieee_inexact 0
		.amdhsa_exception_int_div_zero 0
	.end_amdhsa_kernel
	.section	.text._ZN2at6native20bitonicSortKVInPlaceILin1ELin1ELi16ELi16EN3c104HalfElNS0_4GTOpIS3_Lb1EEEmEEvNS_4cuda6detail10TensorInfoIT3_T6_EESA_SA_SA_NS8_IT4_SA_EESA_T5_,"axG",@progbits,_ZN2at6native20bitonicSortKVInPlaceILin1ELin1ELi16ELi16EN3c104HalfElNS0_4GTOpIS3_Lb1EEEmEEvNS_4cuda6detail10TensorInfoIT3_T6_EESA_SA_SA_NS8_IT4_SA_EESA_T5_,comdat
.Lfunc_end63:
	.size	_ZN2at6native20bitonicSortKVInPlaceILin1ELin1ELi16ELi16EN3c104HalfElNS0_4GTOpIS3_Lb1EEEmEEvNS_4cuda6detail10TensorInfoIT3_T6_EESA_SA_SA_NS8_IT4_SA_EESA_T5_, .Lfunc_end63-_ZN2at6native20bitonicSortKVInPlaceILin1ELin1ELi16ELi16EN3c104HalfElNS0_4GTOpIS3_Lb1EEEmEEvNS_4cuda6detail10TensorInfoIT3_T6_EESA_SA_SA_NS8_IT4_SA_EESA_T5_
                                        ; -- End function
	.section	.AMDGPU.csdata,"",@progbits
; Kernel info:
; codeLenInByte = 7028
; NumSgprs: 25
; NumVgprs: 35
; NumAgprs: 0
; TotalNumVgprs: 35
; ScratchSize: 0
; MemoryBound: 0
; FloatMode: 240
; IeeeMode: 1
; LDSByteSize: 5632 bytes/workgroup (compile time only)
; SGPRBlocks: 3
; VGPRBlocks: 4
; NumSGPRsForWavesPerEU: 25
; NumVGPRsForWavesPerEU: 35
; AccumOffset: 36
; Occupancy: 8
; WaveLimiterHint : 1
; COMPUTE_PGM_RSRC2:SCRATCH_EN: 0
; COMPUTE_PGM_RSRC2:USER_SGPR: 6
; COMPUTE_PGM_RSRC2:TRAP_HANDLER: 0
; COMPUTE_PGM_RSRC2:TGID_X_EN: 1
; COMPUTE_PGM_RSRC2:TGID_Y_EN: 1
; COMPUTE_PGM_RSRC2:TGID_Z_EN: 1
; COMPUTE_PGM_RSRC2:TIDIG_COMP_CNT: 1
; COMPUTE_PGM_RSRC3_GFX90A:ACCUM_OFFSET: 8
; COMPUTE_PGM_RSRC3_GFX90A:TG_SPLIT: 0
	.section	.text._ZN2at6native20bitonicSortKVInPlaceILin2ELin1ELi16ELi16EN3c108BFloat16ElNS0_4LTOpIS3_Lb1EEEjEEvNS_4cuda6detail10TensorInfoIT3_T6_EESA_SA_SA_NS8_IT4_SA_EESA_T5_,"axG",@progbits,_ZN2at6native20bitonicSortKVInPlaceILin2ELin1ELi16ELi16EN3c108BFloat16ElNS0_4LTOpIS3_Lb1EEEjEEvNS_4cuda6detail10TensorInfoIT3_T6_EESA_SA_SA_NS8_IT4_SA_EESA_T5_,comdat
	.protected	_ZN2at6native20bitonicSortKVInPlaceILin2ELin1ELi16ELi16EN3c108BFloat16ElNS0_4LTOpIS3_Lb1EEEjEEvNS_4cuda6detail10TensorInfoIT3_T6_EESA_SA_SA_NS8_IT4_SA_EESA_T5_ ; -- Begin function _ZN2at6native20bitonicSortKVInPlaceILin2ELin1ELi16ELi16EN3c108BFloat16ElNS0_4LTOpIS3_Lb1EEEjEEvNS_4cuda6detail10TensorInfoIT3_T6_EESA_SA_SA_NS8_IT4_SA_EESA_T5_
	.globl	_ZN2at6native20bitonicSortKVInPlaceILin2ELin1ELi16ELi16EN3c108BFloat16ElNS0_4LTOpIS3_Lb1EEEjEEvNS_4cuda6detail10TensorInfoIT3_T6_EESA_SA_SA_NS8_IT4_SA_EESA_T5_
	.p2align	8
	.type	_ZN2at6native20bitonicSortKVInPlaceILin2ELin1ELi16ELi16EN3c108BFloat16ElNS0_4LTOpIS3_Lb1EEEjEEvNS_4cuda6detail10TensorInfoIT3_T6_EESA_SA_SA_NS8_IT4_SA_EESA_T5_,@function
_ZN2at6native20bitonicSortKVInPlaceILin2ELin1ELi16ELi16EN3c108BFloat16ElNS0_4LTOpIS3_Lb1EEEjEEvNS_4cuda6detail10TensorInfoIT3_T6_EESA_SA_SA_NS8_IT4_SA_EESA_T5_: ; @_ZN2at6native20bitonicSortKVInPlaceILin2ELin1ELi16ELi16EN3c108BFloat16ElNS0_4LTOpIS3_Lb1EEEjEEvNS_4cuda6detail10TensorInfoIT3_T6_EESA_SA_SA_NS8_IT4_SA_EESA_T5_
; %bb.0:
	s_load_dwordx2 s[2:3], s[4:5], 0x1c8
	s_load_dwordx4 s[12:15], s[4:5], 0xd8
	s_load_dword s9, s[4:5], 0x1d4
	s_add_u32 s0, s4, 0x1c8
	s_addc_u32 s1, s5, 0
	s_waitcnt lgkmcnt(0)
	s_mul_i32 s3, s3, s8
	s_add_i32 s3, s3, s7
	s_mul_i32 s2, s3, s2
	s_add_i32 s6, s2, s6
	s_lshr_b32 s2, s9, 16
	s_mul_i32 s6, s6, s2
	s_cmp_ge_u32 s6, s12
	s_cbranch_scc1 .LBB64_86
; %bb.1:
	s_load_dwordx2 s[8:9], s[4:5], 0x0
	s_load_dword s7, s[4:5], 0x1b8
	s_add_u32 s2, s4, 0xe8
	v_bfe_u32 v5, v0, 10, 10
	s_addc_u32 s3, s5, 0
	v_add_u32_e32 v1, s6, v5
	s_waitcnt lgkmcnt(0)
	s_cmp_lt_i32 s7, 2
	v_mov_b32_e32 v2, 0
	v_mov_b32_e32 v6, v1
	s_cbranch_scc1 .LBB64_4
; %bb.2:
	s_add_i32 s10, s7, 1
	s_add_i32 s6, s7, -1
	s_mov_b32 s7, 0
	s_lshl_b64 s[6:7], s[6:7], 2
	s_add_u32 s6, s6, s2
	s_addc_u32 s7, s7, s3
	s_add_u32 s6, s6, 8
	s_addc_u32 s7, s7, 0
	v_mov_b32_e32 v2, 0
	v_mov_b32_e32 v6, v1
.LBB64_3:                               ; =>This Inner Loop Header: Depth=1
	s_load_dword s11, s[6:7], 0x0
	s_load_dword s15, s[6:7], 0x64
	v_mov_b32_e32 v3, v6
	s_add_i32 s10, s10, -1
	s_waitcnt lgkmcnt(0)
	v_cvt_f32_u32_e32 v4, s11
	s_sub_i32 s16, 0, s11
	s_add_u32 s6, s6, -4
	s_addc_u32 s7, s7, -1
	v_rcp_iflag_f32_e32 v4, v4
	s_cmp_gt_u32 s10, 2
	v_mul_f32_e32 v4, 0x4f7ffffe, v4
	v_cvt_u32_f32_e32 v4, v4
	v_mul_lo_u32 v6, s16, v4
	v_mul_hi_u32 v6, v4, v6
	v_add_u32_e32 v4, v4, v6
	v_mul_hi_u32 v4, v3, v4
	v_mul_lo_u32 v6, v4, s11
	v_sub_u32_e32 v6, v3, v6
	v_add_u32_e32 v7, 1, v4
	v_cmp_le_u32_e32 vcc, s11, v6
	v_cndmask_b32_e32 v4, v4, v7, vcc
	v_subrev_u32_e32 v7, s11, v6
	v_cndmask_b32_e32 v6, v6, v7, vcc
	v_add_u32_e32 v7, 1, v4
	v_cmp_le_u32_e32 vcc, s11, v6
	v_cndmask_b32_e32 v6, v4, v7, vcc
	v_mul_lo_u32 v4, v6, s11
	v_sub_u32_e32 v3, v3, v4
	v_mad_u64_u32 v[2:3], s[16:17], s15, v3, v[2:3]
	s_cbranch_scc1 .LBB64_3
.LBB64_4:
	s_load_dword s6, s[4:5], 0x6c
	s_load_dword s15, s[4:5], 0x1c0
	;; [unrolled: 1-line block ×3, first 2 shown]
	v_cmp_gt_u32_e32 vcc, s12, v1
	s_load_dwordx2 s[10:11], s[2:3], 0x0
	s_load_dword s12, s[0:1], 0xc
	s_waitcnt lgkmcnt(0)
	v_mul_lo_u32 v4, s6, v1
	v_mad_u64_u32 v[2:3], s[2:3], s7, v6, v[2:3]
	v_and_b32_e32 v3, 0x3ff, v0
	v_cmp_gt_u32_e64 s[0:1], s13, v3
	v_pk_mov_b32 v[0:1], 0, 0
	s_and_b64 s[4:5], vcc, s[0:1]
	v_mov_b32_e32 v10, 0
	v_mov_b32_e32 v8, 0
	v_pk_mov_b32 v[6:7], v[0:1], v[0:1] op_sel:[0,1]
	s_and_saveexec_b64 s[6:7], s[4:5]
	s_cbranch_execz .LBB64_6
; %bb.5:
	v_mad_u64_u32 v[6:7], s[2:3], v3, s14, v[4:5]
	v_mov_b32_e32 v7, 0
	v_lshlrev_b64 v[8:9], 1, v[6:7]
	v_mov_b32_e32 v6, s9
	v_add_co_u32_e64 v8, s[2:3], s8, v8
	v_addc_co_u32_e64 v9, s[2:3], v6, v9, s[2:3]
	v_mad_u64_u32 v[12:13], s[2:3], v3, s15, v[2:3]
	v_mov_b32_e32 v13, v7
	v_lshlrev_b64 v[6:7], 3, v[12:13]
	global_load_ushort v8, v[8:9], off
	v_mov_b32_e32 v9, s11
	v_add_co_u32_e64 v6, s[2:3], s10, v6
	v_addc_co_u32_e64 v7, s[2:3], v9, v7, s[2:3]
	global_load_dwordx2 v[6:7], v[6:7], off
.LBB64_6:
	s_or_b64 exec, exec, s[6:7]
	v_mov_b32_e32 v9, 0x1000
	v_lshl_add_u32 v16, v5, 6, v9
	v_mov_b32_e32 v9, 0x1400
	v_lshl_add_u32 v15, v5, 5, v9
	s_and_b32 s16, 0xffff, s12
	v_cndmask_b32_e64 v11, 0, 1, s[4:5]
	v_lshlrev_b32_e32 v13, 8, v5
	v_add_u32_e32 v5, v15, v3
	ds_write_b8 v5, v11
	v_add_u32_e32 v5, s16, v3
	v_lshl_add_u32 v9, v3, 1, v16
	v_cmp_gt_u32_e64 s[2:3], s13, v5
	s_waitcnt vmcnt(1)
	ds_write_b16 v9, v8
	v_lshl_add_u32 v8, v3, 3, v13
	s_and_b64 s[6:7], vcc, s[2:3]
	s_waitcnt vmcnt(0)
	ds_write_b64 v8, v[6:7]
	s_and_saveexec_b64 s[12:13], s[6:7]
	s_cbranch_execz .LBB64_8
; %bb.7:
	v_mad_u64_u32 v[0:1], s[4:5], v5, s14, v[4:5]
	v_mov_b32_e32 v1, 0
	v_lshlrev_b64 v[6:7], 1, v[0:1]
	v_mov_b32_e32 v0, s9
	v_add_co_u32_e64 v6, s[4:5], s8, v6
	v_addc_co_u32_e64 v7, s[4:5], v0, v7, s[4:5]
	global_load_ushort v10, v[6:7], off
	v_mad_u64_u32 v[6:7], s[4:5], v5, s15, v[2:3]
	v_mov_b32_e32 v7, v1
	v_lshlrev_b64 v[0:1], 3, v[6:7]
	v_mov_b32_e32 v6, s11
	v_add_co_u32_e64 v0, s[4:5], s10, v0
	v_addc_co_u32_e64 v1, s[4:5], v6, v1, s[4:5]
	global_load_dwordx2 v[0:1], v[0:1], off
.LBB64_8:
	s_or_b64 exec, exec, s[12:13]
	v_lshl_add_u32 v6, s16, 3, v8
	v_lshlrev_b32_e32 v17, 1, v3
	v_cndmask_b32_e64 v11, 0, 1, s[6:7]
	v_lshl_add_u32 v7, s16, 1, v9
	s_waitcnt vmcnt(0)
	ds_write_b64 v6, v[0:1]
	v_add_u32_e32 v0, v15, v5
	v_add_u32_e32 v1, v9, v17
	ds_write_b16 v7, v10
	ds_write_b8 v0, v11
	s_waitcnt lgkmcnt(0)
	s_barrier
	ds_read_b32 v11, v1
                                        ; implicit-def: $sgpr16
	s_waitcnt lgkmcnt(0)
	v_lshlrev_b32_e32 v0, 16, v11
	v_and_b32_e32 v10, 0xffff0000, v11
	v_cmp_u_f32_e64 s[4:5], v10, v10
	v_cmp_o_f32_e64 s[6:7], v0, v0
	s_and_b64 s[6:7], s[4:5], s[6:7]
	v_cmp_lt_f32_e64 s[4:5], v0, v10
	s_or_b64 s[4:5], s[6:7], s[4:5]
	s_xor_b64 s[6:7], s[4:5], -1
	v_add_u32_e32 v0, v15, v17
	s_and_saveexec_b64 s[12:13], s[4:5]
	s_xor_b64 s[12:13], exec, s[12:13]
	s_cbranch_execz .LBB64_10
; %bb.9:
	ds_read_u8 v10, v0
	s_andn2_b64 s[6:7], s[6:7], exec
	s_mov_b32 s16, 1
	s_waitcnt lgkmcnt(0)
	v_and_b32_e32 v10, 1, v10
	v_cmp_eq_u32_e64 s[4:5], 1, v10
	s_xor_b64 s[4:5], s[4:5], -1
	s_and_b64 s[4:5], s[4:5], exec
	s_or_b64 s[6:7], s[6:7], s[4:5]
.LBB64_10:
	s_or_b64 exec, exec, s[12:13]
	v_mov_b32_e32 v14, s16
	s_and_saveexec_b64 s[4:5], s[6:7]
	s_cbranch_execz .LBB64_12
; %bb.11:
	ds_read_u8 v10, v0 offset:1
	s_waitcnt lgkmcnt(0)
	v_xor_b32_e32 v14, 1, v10
.LBB64_12:
	s_or_b64 exec, exec, s[4:5]
	v_and_b32_e32 v12, 1, v3
	v_lshlrev_b32_e32 v10, 3, v3
	v_cmp_eq_u32_e64 s[4:5], v14, v12
	s_and_saveexec_b64 s[6:7], s[4:5]
	s_cbranch_execz .LBB64_14
; %bb.13:
	v_add_u32_e32 v14, v8, v10
	v_alignbit_b32 v11, v11, v11, 16
	ds_read_b128 v[18:21], v14
	ds_write_b32 v1, v11
	ds_read_u16 v11, v0
	s_mov_b32 s4, 0xc0c0001
	s_waitcnt lgkmcnt(2)
	v_mov_b32_e32 v22, v18
	v_mov_b32_e32 v23, v19
	s_waitcnt lgkmcnt(0)
	v_perm_b32 v11, 0, v11, s4
	ds_write_b128 v14, v[20:23]
	ds_write_b16 v0, v11
.LBB64_14:
	s_or_b64 exec, exec, s[6:7]
	v_sub_u32_e32 v14, v17, v12
	v_lshl_add_u32 v11, v14, 1, v16
	s_waitcnt lgkmcnt(0)
	s_barrier
	ds_read_u16 v19, v11
	ds_read_u16 v20, v11 offset:4
                                        ; implicit-def: $sgpr12
	s_waitcnt lgkmcnt(1)
	v_lshlrev_b32_e32 v12, 16, v19
	s_waitcnt lgkmcnt(0)
	v_lshlrev_b32_e32 v18, 16, v20
	v_cmp_u_f32_e64 s[4:5], v18, v18
	v_cmp_o_f32_e64 s[6:7], v12, v12
	s_and_b64 s[6:7], s[4:5], s[6:7]
	v_cmp_lt_f32_e64 s[4:5], v12, v18
	s_or_b64 s[6:7], s[6:7], s[4:5]
	s_mov_b64 s[4:5], -1
	v_add_u32_e32 v12, v15, v14
	s_and_saveexec_b64 s[16:17], s[6:7]
	s_xor_b64 s[6:7], exec, s[16:17]
	s_cbranch_execz .LBB64_16
; %bb.15:
	ds_read_u8 v18, v12
	s_mov_b32 s12, 1
	s_waitcnt lgkmcnt(0)
	v_and_b32_e32 v18, 1, v18
	v_cmp_eq_u32_e64 s[4:5], 1, v18
	s_xor_b64 s[4:5], s[4:5], -1
	s_orn2_b64 s[4:5], s[4:5], exec
.LBB64_16:
	s_or_b64 exec, exec, s[6:7]
	v_mov_b32_e32 v21, s12
	s_and_saveexec_b64 s[6:7], s[4:5]
	s_cbranch_execz .LBB64_18
; %bb.17:
	ds_read_u8 v18, v12 offset:2
	s_waitcnt lgkmcnt(0)
	v_xor_b32_e32 v21, 1, v18
.LBB64_18:
	s_or_b64 exec, exec, s[6:7]
	v_bfe_u32 v18, v3, 1, 1
	v_lshl_add_u32 v14, v14, 3, v13
	v_cmp_eq_u32_e64 s[4:5], v21, v18
	s_and_saveexec_b64 s[6:7], s[4:5]
	s_cbranch_execz .LBB64_20
; %bb.19:
	ds_read2_b64 v[22:25], v14 offset1:2
	ds_read_u8 v21, v12 offset:2
	ds_read_u8 v26, v12
	ds_write_b16 v11, v20
	ds_write_b16 v11, v19 offset:4
	s_waitcnt lgkmcnt(4)
	ds_write2_b64 v14, v[24:25], v[22:23] offset1:2
	s_waitcnt lgkmcnt(4)
	ds_write_b8 v12, v21
	s_waitcnt lgkmcnt(4)
	ds_write_b8 v12, v26 offset:2
.LBB64_20:
	s_or_b64 exec, exec, s[6:7]
	s_waitcnt lgkmcnt(0)
	s_barrier
	ds_read_b32 v19, v1
                                        ; implicit-def: $sgpr16
	s_waitcnt lgkmcnt(0)
	v_lshlrev_b32_e32 v20, 16, v19
	v_and_b32_e32 v21, 0xffff0000, v19
	v_cmp_u_f32_e64 s[4:5], v21, v21
	v_cmp_o_f32_e64 s[6:7], v20, v20
	s_and_b64 s[6:7], s[4:5], s[6:7]
	v_cmp_lt_f32_e64 s[4:5], v20, v21
	s_or_b64 s[4:5], s[6:7], s[4:5]
	s_xor_b64 s[6:7], s[4:5], -1
	s_and_saveexec_b64 s[12:13], s[4:5]
	s_cbranch_execnz .LBB64_87
; %bb.21:
	s_or_b64 exec, exec, s[12:13]
	v_mov_b32_e32 v20, s16
	s_and_saveexec_b64 s[4:5], s[6:7]
	s_cbranch_execnz .LBB64_88
.LBB64_22:
	s_or_b64 exec, exec, s[4:5]
	v_cmp_eq_u32_e64 s[4:5], v20, v18
	s_and_saveexec_b64 s[6:7], s[4:5]
	s_cbranch_execz .LBB64_24
.LBB64_23:
	v_add_u32_e32 v24, v8, v10
	ds_read_b128 v[20:23], v24
	ds_read_u16 v25, v0
	v_alignbit_b32 v18, v19, v19, 16
	ds_write_b32 v1, v18
	s_mov_b32 s4, 0xc0c0001
	s_waitcnt lgkmcnt(2)
	v_mov_b32_e32 v18, v22
	v_mov_b32_e32 v19, v23
	ds_write_b128 v24, v[18:21]
	s_waitcnt lgkmcnt(2)
	v_perm_b32 v18, 0, v25, s4
	ds_write_b16 v0, v18
.LBB64_24:
	s_or_b64 exec, exec, s[6:7]
	v_and_b32_e32 v18, 3, v3
	v_sub_u32_e32 v20, v17, v18
	v_lshl_add_u32 v18, v20, 1, v16
	s_waitcnt lgkmcnt(0)
	s_barrier
	ds_read_u16 v22, v18
	ds_read_u16 v23, v18 offset:8
	s_mov_b32 s16, 1
	s_waitcnt lgkmcnt(1)
	v_lshlrev_b32_e32 v19, 16, v22
	s_waitcnt lgkmcnt(0)
	v_lshlrev_b32_e32 v21, 16, v23
	v_cmp_u_f32_e64 s[4:5], v21, v21
	v_cmp_o_f32_e64 s[6:7], v19, v19
	s_and_b64 s[6:7], s[4:5], s[6:7]
	v_cmp_lt_f32_e64 s[4:5], v19, v21
	s_or_b64 s[4:5], s[6:7], s[4:5]
	s_xor_b64 s[6:7], s[4:5], -1
	v_add_u32_e32 v19, v15, v20
	s_and_saveexec_b64 s[12:13], s[4:5]
	s_cbranch_execz .LBB64_26
; %bb.25:
	ds_read_u8 v21, v19
	s_andn2_b64 s[6:7], s[6:7], exec
	s_waitcnt lgkmcnt(0)
	v_and_b32_e32 v21, 1, v21
	v_cmp_eq_u32_e64 s[4:5], 1, v21
	s_xor_b64 s[4:5], s[4:5], -1
	s_and_b64 s[4:5], s[4:5], exec
	s_or_b64 s[6:7], s[6:7], s[4:5]
.LBB64_26:
	s_or_b64 exec, exec, s[12:13]
	v_mov_b32_e32 v24, s16
	s_and_saveexec_b64 s[4:5], s[6:7]
	s_cbranch_execz .LBB64_28
; %bb.27:
	ds_read_u8 v21, v19 offset:4
	s_waitcnt lgkmcnt(0)
	v_xor_b32_e32 v24, 1, v21
.LBB64_28:
	s_or_b64 exec, exec, s[4:5]
	v_bfe_u32 v21, v3, 2, 1
	v_lshl_add_u32 v20, v20, 3, v13
	v_cmp_eq_u32_e64 s[4:5], v24, v21
	s_and_saveexec_b64 s[6:7], s[4:5]
	s_cbranch_execz .LBB64_30
; %bb.29:
	ds_read2_b64 v[24:27], v20 offset1:4
	ds_read_u8 v28, v19 offset:4
	ds_read_u8 v29, v19
	ds_write_b16 v18, v23
	ds_write_b16 v18, v22 offset:8
	s_waitcnt lgkmcnt(4)
	ds_write2_b64 v20, v[26:27], v[24:25] offset1:4
	s_waitcnt lgkmcnt(4)
	ds_write_b8 v19, v28
	s_waitcnt lgkmcnt(4)
	ds_write_b8 v19, v29 offset:4
.LBB64_30:
	s_or_b64 exec, exec, s[6:7]
	s_waitcnt lgkmcnt(0)
	s_barrier
	ds_read_u16 v22, v11
	ds_read_u16 v23, v11 offset:4
                                        ; implicit-def: $sgpr16
	s_waitcnt lgkmcnt(1)
	v_lshlrev_b32_e32 v24, 16, v22
	s_waitcnt lgkmcnt(0)
	v_lshlrev_b32_e32 v25, 16, v23
	v_cmp_u_f32_e64 s[4:5], v25, v25
	v_cmp_o_f32_e64 s[6:7], v24, v24
	s_and_b64 s[6:7], s[4:5], s[6:7]
	v_cmp_lt_f32_e64 s[4:5], v24, v25
	s_or_b64 s[4:5], s[6:7], s[4:5]
	s_xor_b64 s[6:7], s[4:5], -1
	s_and_saveexec_b64 s[12:13], s[4:5]
	s_cbranch_execnz .LBB64_89
; %bb.31:
	s_or_b64 exec, exec, s[12:13]
	v_mov_b32_e32 v24, s16
	s_and_saveexec_b64 s[4:5], s[6:7]
	s_cbranch_execnz .LBB64_90
.LBB64_32:
	s_or_b64 exec, exec, s[4:5]
	v_cmp_eq_u32_e64 s[4:5], v24, v21
	s_and_saveexec_b64 s[6:7], s[4:5]
	s_cbranch_execz .LBB64_34
.LBB64_33:
	ds_read2_b64 v[24:27], v14 offset1:2
	ds_read_u8 v28, v12 offset:2
	ds_read_u8 v29, v12
	ds_write_b16 v11, v23
	ds_write_b16 v11, v22 offset:4
	s_waitcnt lgkmcnt(4)
	ds_write2_b64 v14, v[26:27], v[24:25] offset1:2
	s_waitcnt lgkmcnt(4)
	ds_write_b8 v12, v28
	s_waitcnt lgkmcnt(4)
	ds_write_b8 v12, v29 offset:2
.LBB64_34:
	s_or_b64 exec, exec, s[6:7]
	s_waitcnt lgkmcnt(0)
	s_barrier
	ds_read_b32 v22, v1
                                        ; implicit-def: $sgpr16
	s_waitcnt lgkmcnt(0)
	v_lshlrev_b32_e32 v23, 16, v22
	v_and_b32_e32 v24, 0xffff0000, v22
	v_cmp_u_f32_e64 s[4:5], v24, v24
	v_cmp_o_f32_e64 s[6:7], v23, v23
	s_and_b64 s[6:7], s[4:5], s[6:7]
	v_cmp_lt_f32_e64 s[4:5], v23, v24
	s_or_b64 s[4:5], s[6:7], s[4:5]
	s_xor_b64 s[6:7], s[4:5], -1
	s_and_saveexec_b64 s[12:13], s[4:5]
	s_cbranch_execnz .LBB64_91
; %bb.35:
	s_or_b64 exec, exec, s[12:13]
	v_mov_b32_e32 v23, s16
	s_and_saveexec_b64 s[4:5], s[6:7]
	s_cbranch_execnz .LBB64_92
.LBB64_36:
	s_or_b64 exec, exec, s[4:5]
	v_cmp_eq_u32_e64 s[4:5], v23, v21
	s_and_saveexec_b64 s[6:7], s[4:5]
	s_cbranch_execz .LBB64_38
.LBB64_37:
	v_add_u32_e32 v21, v8, v10
	ds_read_b128 v[24:27], v21
	ds_read_u16 v28, v0
	v_alignbit_b32 v22, v22, v22, 16
	ds_write_b32 v1, v22
	s_mov_b32 s4, 0xc0c0001
	s_waitcnt lgkmcnt(2)
	v_mov_b32_e32 v22, v26
	v_mov_b32_e32 v23, v27
	ds_write_b128 v21, v[22:25]
	s_waitcnt lgkmcnt(2)
	v_perm_b32 v21, 0, v28, s4
	ds_write_b16 v0, v21
.LBB64_38:
	s_or_b64 exec, exec, s[6:7]
	v_and_b32_e32 v21, 7, v3
	v_sub_u32_e32 v23, v17, v21
	v_lshl_add_u32 v21, v23, 1, v16
	s_waitcnt lgkmcnt(0)
	s_barrier
	ds_read_u16 v25, v21
	ds_read_u16 v26, v21 offset:16
	s_mov_b32 s16, 1
	s_waitcnt lgkmcnt(1)
	v_lshlrev_b32_e32 v22, 16, v25
	s_waitcnt lgkmcnt(0)
	v_lshlrev_b32_e32 v24, 16, v26
	v_cmp_u_f32_e64 s[4:5], v24, v24
	v_cmp_o_f32_e64 s[6:7], v22, v22
	s_and_b64 s[6:7], s[4:5], s[6:7]
	v_cmp_lt_f32_e64 s[4:5], v22, v24
	s_or_b64 s[4:5], s[6:7], s[4:5]
	s_xor_b64 s[6:7], s[4:5], -1
	v_add_u32_e32 v22, v15, v23
	s_and_saveexec_b64 s[12:13], s[4:5]
	s_cbranch_execz .LBB64_40
; %bb.39:
	ds_read_u8 v24, v22
	s_andn2_b64 s[6:7], s[6:7], exec
	s_waitcnt lgkmcnt(0)
	v_and_b32_e32 v24, 1, v24
	v_cmp_eq_u32_e64 s[4:5], 1, v24
	s_xor_b64 s[4:5], s[4:5], -1
	s_and_b64 s[4:5], s[4:5], exec
	s_or_b64 s[6:7], s[6:7], s[4:5]
.LBB64_40:
	s_or_b64 exec, exec, s[12:13]
	v_mov_b32_e32 v27, s16
	s_and_saveexec_b64 s[4:5], s[6:7]
	s_cbranch_execz .LBB64_42
; %bb.41:
	ds_read_u8 v24, v22 offset:8
	s_waitcnt lgkmcnt(0)
	v_xor_b32_e32 v27, 1, v24
.LBB64_42:
	s_or_b64 exec, exec, s[4:5]
	v_bfe_u32 v24, v3, 3, 1
	v_lshl_add_u32 v23, v23, 3, v13
	v_cmp_eq_u32_e64 s[4:5], v27, v24
	s_and_saveexec_b64 s[6:7], s[4:5]
	s_cbranch_execz .LBB64_44
; %bb.43:
	ds_read2_b64 v[28:31], v23 offset1:8
	ds_read_u8 v27, v22 offset:8
	ds_read_u8 v32, v22
	ds_write_b16 v21, v26
	ds_write_b16 v21, v25 offset:16
	s_waitcnt lgkmcnt(4)
	ds_write2_b64 v23, v[30:31], v[28:29] offset1:8
	s_waitcnt lgkmcnt(4)
	ds_write_b8 v22, v27
	s_waitcnt lgkmcnt(4)
	ds_write_b8 v22, v32 offset:8
.LBB64_44:
	s_or_b64 exec, exec, s[6:7]
	s_waitcnt lgkmcnt(0)
	s_barrier
	ds_read_u16 v25, v18
	ds_read_u16 v26, v18 offset:8
                                        ; implicit-def: $sgpr16
	s_waitcnt lgkmcnt(1)
	v_lshlrev_b32_e32 v27, 16, v25
	s_waitcnt lgkmcnt(0)
	v_lshlrev_b32_e32 v28, 16, v26
	v_cmp_u_f32_e64 s[4:5], v28, v28
	v_cmp_o_f32_e64 s[6:7], v27, v27
	s_and_b64 s[6:7], s[4:5], s[6:7]
	v_cmp_lt_f32_e64 s[4:5], v27, v28
	s_or_b64 s[4:5], s[6:7], s[4:5]
	s_xor_b64 s[6:7], s[4:5], -1
	s_and_saveexec_b64 s[12:13], s[4:5]
	s_cbranch_execnz .LBB64_93
; %bb.45:
	s_or_b64 exec, exec, s[12:13]
	v_mov_b32_e32 v27, s16
	s_and_saveexec_b64 s[4:5], s[6:7]
	s_cbranch_execnz .LBB64_94
.LBB64_46:
	s_or_b64 exec, exec, s[4:5]
	v_cmp_eq_u32_e64 s[4:5], v27, v24
	s_and_saveexec_b64 s[6:7], s[4:5]
	s_cbranch_execz .LBB64_48
.LBB64_47:
	ds_read2_b64 v[28:31], v20 offset1:4
	ds_read_u8 v27, v19 offset:4
	ds_read_u8 v32, v19
	ds_write_b16 v18, v26
	ds_write_b16 v18, v25 offset:8
	s_waitcnt lgkmcnt(4)
	ds_write2_b64 v20, v[30:31], v[28:29] offset1:4
	s_waitcnt lgkmcnt(4)
	ds_write_b8 v19, v27
	s_waitcnt lgkmcnt(4)
	ds_write_b8 v19, v32 offset:4
.LBB64_48:
	s_or_b64 exec, exec, s[6:7]
	s_waitcnt lgkmcnt(0)
	s_barrier
	ds_read_u16 v25, v11
	ds_read_u16 v26, v11 offset:4
                                        ; implicit-def: $sgpr16
	s_waitcnt lgkmcnt(1)
	v_lshlrev_b32_e32 v27, 16, v25
	s_waitcnt lgkmcnt(0)
	v_lshlrev_b32_e32 v28, 16, v26
	v_cmp_u_f32_e64 s[4:5], v28, v28
	v_cmp_o_f32_e64 s[6:7], v27, v27
	s_and_b64 s[6:7], s[4:5], s[6:7]
	v_cmp_lt_f32_e64 s[4:5], v27, v28
	s_or_b64 s[4:5], s[6:7], s[4:5]
	s_xor_b64 s[6:7], s[4:5], -1
	s_and_saveexec_b64 s[12:13], s[4:5]
	s_cbranch_execnz .LBB64_95
; %bb.49:
	s_or_b64 exec, exec, s[12:13]
	v_mov_b32_e32 v27, s16
	s_and_saveexec_b64 s[4:5], s[6:7]
	s_cbranch_execnz .LBB64_96
.LBB64_50:
	s_or_b64 exec, exec, s[4:5]
	v_cmp_eq_u32_e64 s[4:5], v27, v24
	s_and_saveexec_b64 s[6:7], s[4:5]
	s_cbranch_execz .LBB64_52
.LBB64_51:
	ds_read2_b64 v[28:31], v14 offset1:2
	ds_read_u8 v27, v12 offset:2
	ds_read_u8 v32, v12
	ds_write_b16 v11, v26
	ds_write_b16 v11, v25 offset:4
	s_waitcnt lgkmcnt(4)
	ds_write2_b64 v14, v[30:31], v[28:29] offset1:2
	s_waitcnt lgkmcnt(4)
	ds_write_b8 v12, v27
	s_waitcnt lgkmcnt(4)
	ds_write_b8 v12, v32 offset:2
.LBB64_52:
	s_or_b64 exec, exec, s[6:7]
	s_waitcnt lgkmcnt(0)
	s_barrier
	ds_read_b32 v25, v1
                                        ; implicit-def: $sgpr16
	s_waitcnt lgkmcnt(0)
	v_lshlrev_b32_e32 v26, 16, v25
	v_and_b32_e32 v27, 0xffff0000, v25
	v_cmp_u_f32_e64 s[4:5], v27, v27
	v_cmp_o_f32_e64 s[6:7], v26, v26
	s_and_b64 s[6:7], s[4:5], s[6:7]
	v_cmp_lt_f32_e64 s[4:5], v26, v27
	s_or_b64 s[4:5], s[6:7], s[4:5]
	s_xor_b64 s[6:7], s[4:5], -1
	s_and_saveexec_b64 s[12:13], s[4:5]
	s_cbranch_execnz .LBB64_97
; %bb.53:
	s_or_b64 exec, exec, s[12:13]
	v_mov_b32_e32 v26, s16
	s_and_saveexec_b64 s[4:5], s[6:7]
	s_cbranch_execnz .LBB64_98
.LBB64_54:
	s_or_b64 exec, exec, s[4:5]
	v_cmp_eq_u32_e64 s[4:5], v26, v24
	s_and_saveexec_b64 s[6:7], s[4:5]
	s_cbranch_execz .LBB64_56
.LBB64_55:
	v_add_u32_e32 v30, v8, v10
	ds_read_b128 v[26:29], v30
	ds_read_u16 v31, v0
	v_alignbit_b32 v24, v25, v25, 16
	ds_write_b32 v1, v24
	s_mov_b32 s4, 0xc0c0001
	s_waitcnt lgkmcnt(2)
	v_mov_b32_e32 v24, v28
	v_mov_b32_e32 v25, v29
	ds_write_b128 v30, v[24:27]
	s_waitcnt lgkmcnt(2)
	v_perm_b32 v24, 0, v31, s4
	ds_write_b16 v0, v24
.LBB64_56:
	s_or_b64 exec, exec, s[6:7]
	v_and_b32_e32 v24, 15, v3
	v_sub_u32_e32 v25, v17, v24
	v_lshl_add_u32 v16, v25, 1, v16
	s_waitcnt lgkmcnt(0)
	s_barrier
	ds_read_u16 v17, v16
	ds_read_u16 v24, v16 offset:32
	v_add_u32_e32 v15, v15, v25
	s_waitcnt lgkmcnt(1)
	v_lshlrev_b32_e32 v26, 16, v17
	s_waitcnt lgkmcnt(0)
	v_lshlrev_b32_e32 v27, 16, v24
	v_cmp_u_f32_e64 s[4:5], v27, v27
	v_cmp_o_f32_e64 s[6:7], v26, v26
	s_and_b64 s[6:7], s[4:5], s[6:7]
	v_cmp_lt_f32_e64 s[4:5], v26, v27
	s_or_b64 s[4:5], s[6:7], s[4:5]
	s_xor_b64 s[12:13], s[4:5], -1
	s_and_saveexec_b64 s[6:7], s[4:5]
	s_cbranch_execz .LBB64_58
; %bb.57:
	ds_read_u8 v26, v15
	s_andn2_b64 s[12:13], s[12:13], exec
	s_waitcnt lgkmcnt(0)
	v_and_b32_e32 v26, 1, v26
	v_cmp_eq_u32_e64 s[4:5], 1, v26
	s_xor_b64 s[4:5], s[4:5], -1
	s_and_b64 s[4:5], s[4:5], exec
	s_or_b64 s[12:13], s[12:13], s[4:5]
.LBB64_58:
	s_or_b64 exec, exec, s[6:7]
	s_and_saveexec_b64 s[6:7], s[12:13]
	s_cbranch_execz .LBB64_61
; %bb.59:
	ds_read_u8 v26, v15 offset:16
	s_waitcnt lgkmcnt(0)
	v_cmp_ne_u16_e64 s[4:5], 0, v26
	s_and_b64 exec, exec, s[4:5]
	s_cbranch_execz .LBB64_61
; %bb.60:
	v_lshl_add_u32 v13, v25, 3, v13
	ds_read2_b64 v[28:31], v13 offset1:16
	ds_read_u8 v25, v15
	ds_write_b16 v16, v24
	ds_write_b16 v16, v17 offset:32
	ds_write_b8 v15, v26
	s_waitcnt lgkmcnt(4)
	ds_write2_b64 v13, v[30:31], v[28:29] offset1:16
	s_waitcnt lgkmcnt(4)
	ds_write_b8 v15, v25 offset:16
.LBB64_61:
	s_or_b64 exec, exec, s[6:7]
	s_waitcnt lgkmcnt(0)
	s_barrier
	ds_read_u16 v13, v21
	ds_read_u16 v15, v21 offset:16
	s_waitcnt lgkmcnt(1)
	v_lshlrev_b32_e32 v16, 16, v13
	s_waitcnt lgkmcnt(0)
	v_lshlrev_b32_e32 v17, 16, v15
	v_cmp_u_f32_e64 s[4:5], v17, v17
	v_cmp_o_f32_e64 s[6:7], v16, v16
	s_and_b64 s[6:7], s[4:5], s[6:7]
	v_cmp_lt_f32_e64 s[4:5], v16, v17
	s_or_b64 s[4:5], s[6:7], s[4:5]
	s_xor_b64 s[12:13], s[4:5], -1
	s_and_saveexec_b64 s[6:7], s[4:5]
	s_cbranch_execz .LBB64_63
; %bb.62:
	ds_read_u8 v16, v22
	s_andn2_b64 s[12:13], s[12:13], exec
	s_waitcnt lgkmcnt(0)
	v_and_b32_e32 v16, 1, v16
	v_cmp_eq_u32_e64 s[4:5], 1, v16
	s_xor_b64 s[4:5], s[4:5], -1
	s_and_b64 s[4:5], s[4:5], exec
	s_or_b64 s[12:13], s[12:13], s[4:5]
.LBB64_63:
	s_or_b64 exec, exec, s[6:7]
	s_and_saveexec_b64 s[6:7], s[12:13]
	s_cbranch_execz .LBB64_66
; %bb.64:
	ds_read_u8 v16, v22 offset:8
	s_waitcnt lgkmcnt(0)
	v_cmp_ne_u16_e64 s[4:5], 0, v16
	s_and_b64 exec, exec, s[4:5]
	s_cbranch_execz .LBB64_66
; %bb.65:
	ds_read2_b64 v[24:27], v23 offset1:8
	ds_read_u8 v17, v22
	ds_write_b16 v21, v15
	ds_write_b16 v21, v13 offset:16
	ds_write_b8 v22, v16
	s_waitcnt lgkmcnt(4)
	ds_write2_b64 v23, v[26:27], v[24:25] offset1:8
	s_waitcnt lgkmcnt(4)
	ds_write_b8 v22, v17 offset:8
.LBB64_66:
	s_or_b64 exec, exec, s[6:7]
	s_waitcnt lgkmcnt(0)
	s_barrier
	ds_read_u16 v13, v18
	ds_read_u16 v15, v18 offset:8
	s_waitcnt lgkmcnt(1)
	v_lshlrev_b32_e32 v16, 16, v13
	s_waitcnt lgkmcnt(0)
	v_lshlrev_b32_e32 v17, 16, v15
	v_cmp_u_f32_e64 s[4:5], v17, v17
	v_cmp_o_f32_e64 s[6:7], v16, v16
	s_and_b64 s[6:7], s[4:5], s[6:7]
	v_cmp_lt_f32_e64 s[4:5], v16, v17
	s_or_b64 s[4:5], s[6:7], s[4:5]
	s_xor_b64 s[12:13], s[4:5], -1
	s_and_saveexec_b64 s[6:7], s[4:5]
	s_cbranch_execz .LBB64_68
; %bb.67:
	ds_read_u8 v16, v19
	s_andn2_b64 s[12:13], s[12:13], exec
	s_waitcnt lgkmcnt(0)
	v_and_b32_e32 v16, 1, v16
	v_cmp_eq_u32_e64 s[4:5], 1, v16
	s_xor_b64 s[4:5], s[4:5], -1
	s_and_b64 s[4:5], s[4:5], exec
	s_or_b64 s[12:13], s[12:13], s[4:5]
.LBB64_68:
	s_or_b64 exec, exec, s[6:7]
	s_and_saveexec_b64 s[6:7], s[12:13]
	s_cbranch_execz .LBB64_71
; %bb.69:
	ds_read_u8 v16, v19 offset:4
	s_waitcnt lgkmcnt(0)
	v_cmp_ne_u16_e64 s[4:5], 0, v16
	s_and_b64 exec, exec, s[4:5]
	s_cbranch_execz .LBB64_71
; %bb.70:
	ds_read2_b64 v[22:25], v20 offset1:4
	ds_read_u8 v17, v19
	ds_write_b16 v18, v15
	ds_write_b16 v18, v13 offset:8
	ds_write_b8 v19, v16
	s_waitcnt lgkmcnt(4)
	ds_write2_b64 v20, v[24:25], v[22:23] offset1:4
	s_waitcnt lgkmcnt(4)
	ds_write_b8 v19, v17 offset:4
.LBB64_71:
	;; [unrolled: 47-line block ×3, first 2 shown]
	s_or_b64 exec, exec, s[6:7]
	s_waitcnt lgkmcnt(0)
	s_barrier
	ds_read_b32 v11, v1
	s_waitcnt lgkmcnt(0)
	v_lshlrev_b32_e32 v12, 16, v11
	v_and_b32_e32 v13, 0xffff0000, v11
	v_cmp_u_f32_e64 s[4:5], v13, v13
	v_cmp_o_f32_e64 s[6:7], v12, v12
	s_and_b64 s[6:7], s[4:5], s[6:7]
	v_cmp_lt_f32_e64 s[4:5], v12, v13
	s_or_b64 s[4:5], s[6:7], s[4:5]
	s_xor_b64 s[12:13], s[4:5], -1
	s_and_saveexec_b64 s[6:7], s[4:5]
	s_cbranch_execz .LBB64_78
; %bb.77:
	ds_read_u8 v12, v0
	s_andn2_b64 s[12:13], s[12:13], exec
	s_waitcnt lgkmcnt(0)
	v_and_b32_e32 v12, 1, v12
	v_cmp_eq_u32_e64 s[4:5], 1, v12
	s_xor_b64 s[4:5], s[4:5], -1
	s_and_b64 s[4:5], s[4:5], exec
	s_or_b64 s[12:13], s[12:13], s[4:5]
.LBB64_78:
	s_or_b64 exec, exec, s[6:7]
	s_and_saveexec_b64 s[6:7], s[12:13]
	s_cbranch_execz .LBB64_81
; %bb.79:
	ds_read_u8 v12, v0 offset:1
	s_waitcnt lgkmcnt(0)
	v_cmp_ne_u16_e64 s[4:5], 0, v12
	s_and_b64 exec, exec, s[4:5]
	s_cbranch_execz .LBB64_81
; %bb.80:
	v_add_u32_e32 v10, v8, v10
	v_alignbit_b32 v11, v11, v11, 16
	ds_read_b128 v[14:17], v10
	ds_write_b32 v1, v11
	ds_read_u8 v1, v0
	s_waitcnt lgkmcnt(2)
	v_mov_b32_e32 v18, v14
	v_mov_b32_e32 v19, v15
	s_waitcnt lgkmcnt(0)
	v_lshlrev_b16_e32 v1, 8, v1
	v_or_b32_e32 v1, v12, v1
	ds_write_b128 v10, v[16:19]
	ds_write_b16 v0, v1
.LBB64_81:
	s_or_b64 exec, exec, s[6:7]
	s_waitcnt lgkmcnt(0)
	s_barrier
	s_and_saveexec_b64 s[4:5], vcc
	s_cbranch_execz .LBB64_86
; %bb.82:
	s_and_saveexec_b64 s[4:5], s[0:1]
	s_cbranch_execz .LBB64_84
; %bb.83:
	v_mad_u64_u32 v[0:1], s[0:1], v3, s14, v[4:5]
	ds_read_u16 v12, v9
	v_mov_b32_e32 v1, 0
	v_lshlrev_b64 v[10:11], 1, v[0:1]
	v_mov_b32_e32 v0, s9
	v_add_co_u32_e32 v10, vcc, s8, v10
	v_addc_co_u32_e32 v11, vcc, v0, v11, vcc
	ds_read_b64 v[8:9], v8
	s_waitcnt lgkmcnt(1)
	global_store_short v[10:11], v12, off
	v_mad_u64_u32 v[10:11], s[0:1], v3, s15, v[2:3]
	v_mov_b32_e32 v11, v1
	v_lshlrev_b64 v[0:1], 3, v[10:11]
	v_mov_b32_e32 v3, s11
	v_add_co_u32_e32 v0, vcc, s10, v0
	v_addc_co_u32_e32 v1, vcc, v3, v1, vcc
	s_waitcnt lgkmcnt(0)
	global_store_dwordx2 v[0:1], v[8:9], off
.LBB64_84:
	s_or_b64 exec, exec, s[4:5]
	s_and_b64 exec, exec, s[2:3]
	s_cbranch_execz .LBB64_86
; %bb.85:
	v_mad_u64_u32 v[0:1], s[0:1], v5, s14, v[4:5]
	ds_read_u16 v3, v7
	v_mov_b32_e32 v1, 0
	v_lshlrev_b64 v[8:9], 1, v[0:1]
	v_mov_b32_e32 v0, s9
	v_add_co_u32_e32 v8, vcc, s8, v8
	v_addc_co_u32_e32 v9, vcc, v0, v9, vcc
	ds_read_b64 v[6:7], v6
	s_waitcnt lgkmcnt(1)
	global_store_short v[8:9], v3, off
	v_mad_u64_u32 v[2:3], s[0:1], v5, s15, v[2:3]
	v_mov_b32_e32 v3, v1
	v_lshlrev_b64 v[0:1], 3, v[2:3]
	v_mov_b32_e32 v2, s11
	v_add_co_u32_e32 v0, vcc, s10, v0
	v_addc_co_u32_e32 v1, vcc, v2, v1, vcc
	s_waitcnt lgkmcnt(0)
	global_store_dwordx2 v[0:1], v[6:7], off
.LBB64_86:
	s_endpgm
.LBB64_87:
	ds_read_u8 v20, v0
	s_andn2_b64 s[6:7], s[6:7], exec
	s_mov_b32 s16, 1
	s_waitcnt lgkmcnt(0)
	v_and_b32_e32 v20, 1, v20
	v_cmp_eq_u32_e64 s[4:5], 1, v20
	s_xor_b64 s[4:5], s[4:5], -1
	s_and_b64 s[4:5], s[4:5], exec
	s_or_b64 s[6:7], s[6:7], s[4:5]
	s_or_b64 exec, exec, s[12:13]
	v_mov_b32_e32 v20, s16
	s_and_saveexec_b64 s[4:5], s[6:7]
	s_cbranch_execz .LBB64_22
.LBB64_88:
	ds_read_u8 v20, v0 offset:1
	s_waitcnt lgkmcnt(0)
	v_xor_b32_e32 v20, 1, v20
	s_or_b64 exec, exec, s[4:5]
	v_cmp_eq_u32_e64 s[4:5], v20, v18
	s_and_saveexec_b64 s[6:7], s[4:5]
	s_cbranch_execnz .LBB64_23
	s_branch .LBB64_24
.LBB64_89:
	ds_read_u8 v24, v12
	s_andn2_b64 s[6:7], s[6:7], exec
	s_mov_b32 s16, 1
	s_waitcnt lgkmcnt(0)
	v_and_b32_e32 v24, 1, v24
	v_cmp_eq_u32_e64 s[4:5], 1, v24
	s_xor_b64 s[4:5], s[4:5], -1
	s_and_b64 s[4:5], s[4:5], exec
	s_or_b64 s[6:7], s[6:7], s[4:5]
	s_or_b64 exec, exec, s[12:13]
	v_mov_b32_e32 v24, s16
	s_and_saveexec_b64 s[4:5], s[6:7]
	s_cbranch_execz .LBB64_32
.LBB64_90:
	ds_read_u8 v24, v12 offset:2
	s_waitcnt lgkmcnt(0)
	v_xor_b32_e32 v24, 1, v24
	s_or_b64 exec, exec, s[4:5]
	v_cmp_eq_u32_e64 s[4:5], v24, v21
	s_and_saveexec_b64 s[6:7], s[4:5]
	s_cbranch_execnz .LBB64_33
	s_branch .LBB64_34
.LBB64_91:
	ds_read_u8 v23, v0
	s_andn2_b64 s[6:7], s[6:7], exec
	s_mov_b32 s16, 1
	s_waitcnt lgkmcnt(0)
	v_and_b32_e32 v23, 1, v23
	v_cmp_eq_u32_e64 s[4:5], 1, v23
	s_xor_b64 s[4:5], s[4:5], -1
	s_and_b64 s[4:5], s[4:5], exec
	s_or_b64 s[6:7], s[6:7], s[4:5]
	s_or_b64 exec, exec, s[12:13]
	v_mov_b32_e32 v23, s16
	s_and_saveexec_b64 s[4:5], s[6:7]
	s_cbranch_execz .LBB64_36
.LBB64_92:
	ds_read_u8 v23, v0 offset:1
	s_waitcnt lgkmcnt(0)
	v_xor_b32_e32 v23, 1, v23
	s_or_b64 exec, exec, s[4:5]
	v_cmp_eq_u32_e64 s[4:5], v23, v21
	s_and_saveexec_b64 s[6:7], s[4:5]
	s_cbranch_execnz .LBB64_37
	s_branch .LBB64_38
.LBB64_93:
	ds_read_u8 v27, v19
	s_andn2_b64 s[6:7], s[6:7], exec
	s_mov_b32 s16, 1
	s_waitcnt lgkmcnt(0)
	v_and_b32_e32 v27, 1, v27
	v_cmp_eq_u32_e64 s[4:5], 1, v27
	s_xor_b64 s[4:5], s[4:5], -1
	s_and_b64 s[4:5], s[4:5], exec
	s_or_b64 s[6:7], s[6:7], s[4:5]
	s_or_b64 exec, exec, s[12:13]
	v_mov_b32_e32 v27, s16
	s_and_saveexec_b64 s[4:5], s[6:7]
	s_cbranch_execz .LBB64_46
.LBB64_94:
	ds_read_u8 v27, v19 offset:4
	s_waitcnt lgkmcnt(0)
	v_xor_b32_e32 v27, 1, v27
	s_or_b64 exec, exec, s[4:5]
	v_cmp_eq_u32_e64 s[4:5], v27, v24
	s_and_saveexec_b64 s[6:7], s[4:5]
	s_cbranch_execnz .LBB64_47
	s_branch .LBB64_48
.LBB64_95:
	ds_read_u8 v27, v12
	s_andn2_b64 s[6:7], s[6:7], exec
	s_mov_b32 s16, 1
	s_waitcnt lgkmcnt(0)
	v_and_b32_e32 v27, 1, v27
	v_cmp_eq_u32_e64 s[4:5], 1, v27
	s_xor_b64 s[4:5], s[4:5], -1
	s_and_b64 s[4:5], s[4:5], exec
	s_or_b64 s[6:7], s[6:7], s[4:5]
	s_or_b64 exec, exec, s[12:13]
	v_mov_b32_e32 v27, s16
	s_and_saveexec_b64 s[4:5], s[6:7]
	s_cbranch_execz .LBB64_50
.LBB64_96:
	ds_read_u8 v27, v12 offset:2
	s_waitcnt lgkmcnt(0)
	v_xor_b32_e32 v27, 1, v27
	s_or_b64 exec, exec, s[4:5]
	v_cmp_eq_u32_e64 s[4:5], v27, v24
	s_and_saveexec_b64 s[6:7], s[4:5]
	s_cbranch_execnz .LBB64_51
	s_branch .LBB64_52
.LBB64_97:
	ds_read_u8 v26, v0
	s_andn2_b64 s[6:7], s[6:7], exec
	s_mov_b32 s16, 1
	s_waitcnt lgkmcnt(0)
	v_and_b32_e32 v26, 1, v26
	v_cmp_eq_u32_e64 s[4:5], 1, v26
	s_xor_b64 s[4:5], s[4:5], -1
	s_and_b64 s[4:5], s[4:5], exec
	s_or_b64 s[6:7], s[6:7], s[4:5]
	s_or_b64 exec, exec, s[12:13]
	v_mov_b32_e32 v26, s16
	s_and_saveexec_b64 s[4:5], s[6:7]
	s_cbranch_execz .LBB64_54
.LBB64_98:
	ds_read_u8 v26, v0 offset:1
	s_waitcnt lgkmcnt(0)
	v_xor_b32_e32 v26, 1, v26
	s_or_b64 exec, exec, s[4:5]
	v_cmp_eq_u32_e64 s[4:5], v26, v24
	s_and_saveexec_b64 s[6:7], s[4:5]
	s_cbranch_execnz .LBB64_55
	s_branch .LBB64_56
	.section	.rodata,"a",@progbits
	.p2align	6, 0x0
	.amdhsa_kernel _ZN2at6native20bitonicSortKVInPlaceILin2ELin1ELi16ELi16EN3c108BFloat16ElNS0_4LTOpIS3_Lb1EEEjEEvNS_4cuda6detail10TensorInfoIT3_T6_EESA_SA_SA_NS8_IT4_SA_EESA_T5_
		.amdhsa_group_segment_fixed_size 5632
		.amdhsa_private_segment_fixed_size 0
		.amdhsa_kernarg_size 712
		.amdhsa_user_sgpr_count 6
		.amdhsa_user_sgpr_private_segment_buffer 1
		.amdhsa_user_sgpr_dispatch_ptr 0
		.amdhsa_user_sgpr_queue_ptr 0
		.amdhsa_user_sgpr_kernarg_segment_ptr 1
		.amdhsa_user_sgpr_dispatch_id 0
		.amdhsa_user_sgpr_flat_scratch_init 0
		.amdhsa_user_sgpr_kernarg_preload_length 0
		.amdhsa_user_sgpr_kernarg_preload_offset 0
		.amdhsa_user_sgpr_private_segment_size 0
		.amdhsa_uses_dynamic_stack 0
		.amdhsa_system_sgpr_private_segment_wavefront_offset 0
		.amdhsa_system_sgpr_workgroup_id_x 1
		.amdhsa_system_sgpr_workgroup_id_y 1
		.amdhsa_system_sgpr_workgroup_id_z 1
		.amdhsa_system_sgpr_workgroup_info 0
		.amdhsa_system_vgpr_workitem_id 1
		.amdhsa_next_free_vgpr 33
		.amdhsa_next_free_sgpr 18
		.amdhsa_accum_offset 36
		.amdhsa_reserve_vcc 1
		.amdhsa_reserve_flat_scratch 0
		.amdhsa_float_round_mode_32 0
		.amdhsa_float_round_mode_16_64 0
		.amdhsa_float_denorm_mode_32 3
		.amdhsa_float_denorm_mode_16_64 3
		.amdhsa_dx10_clamp 1
		.amdhsa_ieee_mode 1
		.amdhsa_fp16_overflow 0
		.amdhsa_tg_split 0
		.amdhsa_exception_fp_ieee_invalid_op 0
		.amdhsa_exception_fp_denorm_src 0
		.amdhsa_exception_fp_ieee_div_zero 0
		.amdhsa_exception_fp_ieee_overflow 0
		.amdhsa_exception_fp_ieee_underflow 0
		.amdhsa_exception_fp_ieee_inexact 0
		.amdhsa_exception_int_div_zero 0
	.end_amdhsa_kernel
	.section	.text._ZN2at6native20bitonicSortKVInPlaceILin2ELin1ELi16ELi16EN3c108BFloat16ElNS0_4LTOpIS3_Lb1EEEjEEvNS_4cuda6detail10TensorInfoIT3_T6_EESA_SA_SA_NS8_IT4_SA_EESA_T5_,"axG",@progbits,_ZN2at6native20bitonicSortKVInPlaceILin2ELin1ELi16ELi16EN3c108BFloat16ElNS0_4LTOpIS3_Lb1EEEjEEvNS_4cuda6detail10TensorInfoIT3_T6_EESA_SA_SA_NS8_IT4_SA_EESA_T5_,comdat
.Lfunc_end64:
	.size	_ZN2at6native20bitonicSortKVInPlaceILin2ELin1ELi16ELi16EN3c108BFloat16ElNS0_4LTOpIS3_Lb1EEEjEEvNS_4cuda6detail10TensorInfoIT3_T6_EESA_SA_SA_NS8_IT4_SA_EESA_T5_, .Lfunc_end64-_ZN2at6native20bitonicSortKVInPlaceILin2ELin1ELi16ELi16EN3c108BFloat16ElNS0_4LTOpIS3_Lb1EEEjEEvNS_4cuda6detail10TensorInfoIT3_T6_EESA_SA_SA_NS8_IT4_SA_EESA_T5_
                                        ; -- End function
	.section	.AMDGPU.csdata,"",@progbits
; Kernel info:
; codeLenInByte = 5236
; NumSgprs: 22
; NumVgprs: 33
; NumAgprs: 0
; TotalNumVgprs: 33
; ScratchSize: 0
; MemoryBound: 0
; FloatMode: 240
; IeeeMode: 1
; LDSByteSize: 5632 bytes/workgroup (compile time only)
; SGPRBlocks: 2
; VGPRBlocks: 4
; NumSGPRsForWavesPerEU: 22
; NumVGPRsForWavesPerEU: 33
; AccumOffset: 36
; Occupancy: 8
; WaveLimiterHint : 1
; COMPUTE_PGM_RSRC2:SCRATCH_EN: 0
; COMPUTE_PGM_RSRC2:USER_SGPR: 6
; COMPUTE_PGM_RSRC2:TRAP_HANDLER: 0
; COMPUTE_PGM_RSRC2:TGID_X_EN: 1
; COMPUTE_PGM_RSRC2:TGID_Y_EN: 1
; COMPUTE_PGM_RSRC2:TGID_Z_EN: 1
; COMPUTE_PGM_RSRC2:TIDIG_COMP_CNT: 1
; COMPUTE_PGM_RSRC3_GFX90A:ACCUM_OFFSET: 8
; COMPUTE_PGM_RSRC3_GFX90A:TG_SPLIT: 0
	.section	.text._ZN2at6native20bitonicSortKVInPlaceILin2ELin1ELi16ELi16EN3c108BFloat16ElNS0_4GTOpIS3_Lb1EEEjEEvNS_4cuda6detail10TensorInfoIT3_T6_EESA_SA_SA_NS8_IT4_SA_EESA_T5_,"axG",@progbits,_ZN2at6native20bitonicSortKVInPlaceILin2ELin1ELi16ELi16EN3c108BFloat16ElNS0_4GTOpIS3_Lb1EEEjEEvNS_4cuda6detail10TensorInfoIT3_T6_EESA_SA_SA_NS8_IT4_SA_EESA_T5_,comdat
	.protected	_ZN2at6native20bitonicSortKVInPlaceILin2ELin1ELi16ELi16EN3c108BFloat16ElNS0_4GTOpIS3_Lb1EEEjEEvNS_4cuda6detail10TensorInfoIT3_T6_EESA_SA_SA_NS8_IT4_SA_EESA_T5_ ; -- Begin function _ZN2at6native20bitonicSortKVInPlaceILin2ELin1ELi16ELi16EN3c108BFloat16ElNS0_4GTOpIS3_Lb1EEEjEEvNS_4cuda6detail10TensorInfoIT3_T6_EESA_SA_SA_NS8_IT4_SA_EESA_T5_
	.globl	_ZN2at6native20bitonicSortKVInPlaceILin2ELin1ELi16ELi16EN3c108BFloat16ElNS0_4GTOpIS3_Lb1EEEjEEvNS_4cuda6detail10TensorInfoIT3_T6_EESA_SA_SA_NS8_IT4_SA_EESA_T5_
	.p2align	8
	.type	_ZN2at6native20bitonicSortKVInPlaceILin2ELin1ELi16ELi16EN3c108BFloat16ElNS0_4GTOpIS3_Lb1EEEjEEvNS_4cuda6detail10TensorInfoIT3_T6_EESA_SA_SA_NS8_IT4_SA_EESA_T5_,@function
_ZN2at6native20bitonicSortKVInPlaceILin2ELin1ELi16ELi16EN3c108BFloat16ElNS0_4GTOpIS3_Lb1EEEjEEvNS_4cuda6detail10TensorInfoIT3_T6_EESA_SA_SA_NS8_IT4_SA_EESA_T5_: ; @_ZN2at6native20bitonicSortKVInPlaceILin2ELin1ELi16ELi16EN3c108BFloat16ElNS0_4GTOpIS3_Lb1EEEjEEvNS_4cuda6detail10TensorInfoIT3_T6_EESA_SA_SA_NS8_IT4_SA_EESA_T5_
; %bb.0:
	s_load_dwordx2 s[2:3], s[4:5], 0x1c8
	s_load_dwordx4 s[12:15], s[4:5], 0xd8
	s_load_dword s9, s[4:5], 0x1d4
	s_add_u32 s0, s4, 0x1c8
	s_addc_u32 s1, s5, 0
	s_waitcnt lgkmcnt(0)
	s_mul_i32 s3, s3, s8
	s_add_i32 s3, s3, s7
	s_mul_i32 s2, s3, s2
	s_add_i32 s6, s2, s6
	s_lshr_b32 s2, s9, 16
	s_mul_i32 s6, s6, s2
	s_cmp_ge_u32 s6, s12
	s_cbranch_scc1 .LBB65_86
; %bb.1:
	s_load_dwordx2 s[8:9], s[4:5], 0x0
	s_load_dword s7, s[4:5], 0x1b8
	s_add_u32 s2, s4, 0xe8
	v_bfe_u32 v5, v0, 10, 10
	s_addc_u32 s3, s5, 0
	v_add_u32_e32 v1, s6, v5
	s_waitcnt lgkmcnt(0)
	s_cmp_lt_i32 s7, 2
	v_mov_b32_e32 v2, 0
	v_mov_b32_e32 v6, v1
	s_cbranch_scc1 .LBB65_4
; %bb.2:
	s_add_i32 s10, s7, 1
	s_add_i32 s6, s7, -1
	s_mov_b32 s7, 0
	s_lshl_b64 s[6:7], s[6:7], 2
	s_add_u32 s6, s6, s2
	s_addc_u32 s7, s7, s3
	s_add_u32 s6, s6, 8
	s_addc_u32 s7, s7, 0
	v_mov_b32_e32 v2, 0
	v_mov_b32_e32 v6, v1
.LBB65_3:                               ; =>This Inner Loop Header: Depth=1
	s_load_dword s11, s[6:7], 0x0
	s_load_dword s15, s[6:7], 0x64
	v_mov_b32_e32 v3, v6
	s_add_i32 s10, s10, -1
	s_waitcnt lgkmcnt(0)
	v_cvt_f32_u32_e32 v4, s11
	s_sub_i32 s16, 0, s11
	s_add_u32 s6, s6, -4
	s_addc_u32 s7, s7, -1
	v_rcp_iflag_f32_e32 v4, v4
	s_cmp_gt_u32 s10, 2
	v_mul_f32_e32 v4, 0x4f7ffffe, v4
	v_cvt_u32_f32_e32 v4, v4
	v_mul_lo_u32 v6, s16, v4
	v_mul_hi_u32 v6, v4, v6
	v_add_u32_e32 v4, v4, v6
	v_mul_hi_u32 v4, v3, v4
	v_mul_lo_u32 v6, v4, s11
	v_sub_u32_e32 v6, v3, v6
	v_add_u32_e32 v7, 1, v4
	v_cmp_le_u32_e32 vcc, s11, v6
	v_cndmask_b32_e32 v4, v4, v7, vcc
	v_subrev_u32_e32 v7, s11, v6
	v_cndmask_b32_e32 v6, v6, v7, vcc
	v_add_u32_e32 v7, 1, v4
	v_cmp_le_u32_e32 vcc, s11, v6
	v_cndmask_b32_e32 v6, v4, v7, vcc
	v_mul_lo_u32 v4, v6, s11
	v_sub_u32_e32 v3, v3, v4
	v_mad_u64_u32 v[2:3], s[16:17], s15, v3, v[2:3]
	s_cbranch_scc1 .LBB65_3
.LBB65_4:
	s_load_dword s6, s[4:5], 0x6c
	s_load_dword s15, s[4:5], 0x1c0
	;; [unrolled: 1-line block ×3, first 2 shown]
	v_cmp_gt_u32_e32 vcc, s12, v1
	s_load_dwordx2 s[10:11], s[2:3], 0x0
	s_load_dword s12, s[0:1], 0xc
	s_waitcnt lgkmcnt(0)
	v_mul_lo_u32 v4, s6, v1
	v_mad_u64_u32 v[2:3], s[2:3], s7, v6, v[2:3]
	v_and_b32_e32 v3, 0x3ff, v0
	v_cmp_gt_u32_e64 s[0:1], s13, v3
	v_pk_mov_b32 v[0:1], 0, 0
	s_and_b64 s[4:5], vcc, s[0:1]
	v_mov_b32_e32 v10, 0
	v_mov_b32_e32 v8, 0
	v_pk_mov_b32 v[6:7], v[0:1], v[0:1] op_sel:[0,1]
	s_and_saveexec_b64 s[6:7], s[4:5]
	s_cbranch_execz .LBB65_6
; %bb.5:
	v_mad_u64_u32 v[6:7], s[2:3], v3, s14, v[4:5]
	v_mov_b32_e32 v7, 0
	v_lshlrev_b64 v[8:9], 1, v[6:7]
	v_mov_b32_e32 v6, s9
	v_add_co_u32_e64 v8, s[2:3], s8, v8
	v_addc_co_u32_e64 v9, s[2:3], v6, v9, s[2:3]
	v_mad_u64_u32 v[12:13], s[2:3], v3, s15, v[2:3]
	v_mov_b32_e32 v13, v7
	v_lshlrev_b64 v[6:7], 3, v[12:13]
	global_load_ushort v8, v[8:9], off
	v_mov_b32_e32 v9, s11
	v_add_co_u32_e64 v6, s[2:3], s10, v6
	v_addc_co_u32_e64 v7, s[2:3], v9, v7, s[2:3]
	global_load_dwordx2 v[6:7], v[6:7], off
.LBB65_6:
	s_or_b64 exec, exec, s[6:7]
	v_mov_b32_e32 v9, 0x1000
	v_lshl_add_u32 v16, v5, 6, v9
	v_mov_b32_e32 v9, 0x1400
	v_lshl_add_u32 v15, v5, 5, v9
	s_and_b32 s16, 0xffff, s12
	v_cndmask_b32_e64 v11, 0, 1, s[4:5]
	v_lshlrev_b32_e32 v13, 8, v5
	v_add_u32_e32 v5, v15, v3
	ds_write_b8 v5, v11
	v_add_u32_e32 v5, s16, v3
	v_lshl_add_u32 v9, v3, 1, v16
	v_cmp_gt_u32_e64 s[2:3], s13, v5
	s_waitcnt vmcnt(1)
	ds_write_b16 v9, v8
	v_lshl_add_u32 v8, v3, 3, v13
	s_and_b64 s[6:7], vcc, s[2:3]
	s_waitcnt vmcnt(0)
	ds_write_b64 v8, v[6:7]
	s_and_saveexec_b64 s[12:13], s[6:7]
	s_cbranch_execz .LBB65_8
; %bb.7:
	v_mad_u64_u32 v[0:1], s[4:5], v5, s14, v[4:5]
	v_mov_b32_e32 v1, 0
	v_lshlrev_b64 v[6:7], 1, v[0:1]
	v_mov_b32_e32 v0, s9
	v_add_co_u32_e64 v6, s[4:5], s8, v6
	v_addc_co_u32_e64 v7, s[4:5], v0, v7, s[4:5]
	global_load_ushort v10, v[6:7], off
	v_mad_u64_u32 v[6:7], s[4:5], v5, s15, v[2:3]
	v_mov_b32_e32 v7, v1
	v_lshlrev_b64 v[0:1], 3, v[6:7]
	v_mov_b32_e32 v6, s11
	v_add_co_u32_e64 v0, s[4:5], s10, v0
	v_addc_co_u32_e64 v1, s[4:5], v6, v1, s[4:5]
	global_load_dwordx2 v[0:1], v[0:1], off
.LBB65_8:
	s_or_b64 exec, exec, s[12:13]
	v_lshl_add_u32 v6, s16, 3, v8
	v_lshlrev_b32_e32 v17, 1, v3
	v_cndmask_b32_e64 v11, 0, 1, s[6:7]
	v_lshl_add_u32 v7, s16, 1, v9
	s_waitcnt vmcnt(0)
	ds_write_b64 v6, v[0:1]
	v_add_u32_e32 v0, v15, v5
	v_add_u32_e32 v1, v9, v17
	ds_write_b16 v7, v10
	ds_write_b8 v0, v11
	s_waitcnt lgkmcnt(0)
	s_barrier
	ds_read_b32 v11, v1
                                        ; implicit-def: $sgpr16
	s_waitcnt lgkmcnt(0)
	v_and_b32_e32 v0, 0xffff0000, v11
	v_lshlrev_b32_e32 v10, 16, v11
	v_cmp_u_f32_e64 s[4:5], v10, v10
	v_cmp_o_f32_e64 s[6:7], v0, v0
	s_and_b64 s[6:7], s[4:5], s[6:7]
	v_cmp_lt_f32_e64 s[4:5], v0, v10
	s_or_b64 s[4:5], s[6:7], s[4:5]
	s_xor_b64 s[6:7], s[4:5], -1
	v_add_u32_e32 v0, v15, v17
	s_and_saveexec_b64 s[12:13], s[4:5]
	s_xor_b64 s[12:13], exec, s[12:13]
	s_cbranch_execz .LBB65_10
; %bb.9:
	ds_read_u8 v10, v0
	s_andn2_b64 s[6:7], s[6:7], exec
	s_mov_b32 s16, 1
	s_waitcnt lgkmcnt(0)
	v_and_b32_e32 v10, 1, v10
	v_cmp_eq_u32_e64 s[4:5], 1, v10
	s_xor_b64 s[4:5], s[4:5], -1
	s_and_b64 s[4:5], s[4:5], exec
	s_or_b64 s[6:7], s[6:7], s[4:5]
.LBB65_10:
	s_or_b64 exec, exec, s[12:13]
	v_mov_b32_e32 v14, s16
	s_and_saveexec_b64 s[4:5], s[6:7]
	s_cbranch_execz .LBB65_12
; %bb.11:
	ds_read_u8 v10, v0 offset:1
	s_waitcnt lgkmcnt(0)
	v_xor_b32_e32 v14, 1, v10
.LBB65_12:
	s_or_b64 exec, exec, s[4:5]
	v_and_b32_e32 v12, 1, v3
	v_lshlrev_b32_e32 v10, 3, v3
	v_cmp_eq_u32_e64 s[4:5], v14, v12
	s_and_saveexec_b64 s[6:7], s[4:5]
	s_cbranch_execz .LBB65_14
; %bb.13:
	v_add_u32_e32 v14, v8, v10
	v_alignbit_b32 v11, v11, v11, 16
	ds_read_b128 v[18:21], v14
	ds_write_b32 v1, v11
	ds_read_u16 v11, v0
	s_mov_b32 s4, 0xc0c0001
	s_waitcnt lgkmcnt(2)
	v_mov_b32_e32 v22, v18
	v_mov_b32_e32 v23, v19
	s_waitcnt lgkmcnt(0)
	v_perm_b32 v11, 0, v11, s4
	ds_write_b128 v14, v[20:23]
	ds_write_b16 v0, v11
.LBB65_14:
	s_or_b64 exec, exec, s[6:7]
	v_sub_u32_e32 v14, v17, v12
	v_lshl_add_u32 v11, v14, 1, v16
	s_waitcnt lgkmcnt(0)
	s_barrier
	ds_read_u16 v20, v11 offset:4
	ds_read_u16 v19, v11
                                        ; implicit-def: $sgpr12
	s_waitcnt lgkmcnt(1)
	v_lshlrev_b32_e32 v12, 16, v20
	s_waitcnt lgkmcnt(0)
	v_lshlrev_b32_e32 v18, 16, v19
	v_cmp_u_f32_e64 s[4:5], v18, v18
	v_cmp_o_f32_e64 s[6:7], v12, v12
	s_and_b64 s[6:7], s[4:5], s[6:7]
	v_cmp_lt_f32_e64 s[4:5], v12, v18
	s_or_b64 s[6:7], s[6:7], s[4:5]
	s_mov_b64 s[4:5], -1
	v_add_u32_e32 v12, v15, v14
	s_and_saveexec_b64 s[16:17], s[6:7]
	s_xor_b64 s[6:7], exec, s[16:17]
	s_cbranch_execz .LBB65_16
; %bb.15:
	ds_read_u8 v18, v12
	s_mov_b32 s12, 1
	s_waitcnt lgkmcnt(0)
	v_and_b32_e32 v18, 1, v18
	v_cmp_eq_u32_e64 s[4:5], 1, v18
	s_xor_b64 s[4:5], s[4:5], -1
	s_orn2_b64 s[4:5], s[4:5], exec
.LBB65_16:
	s_or_b64 exec, exec, s[6:7]
	v_mov_b32_e32 v21, s12
	s_and_saveexec_b64 s[6:7], s[4:5]
	s_cbranch_execz .LBB65_18
; %bb.17:
	ds_read_u8 v18, v12 offset:2
	s_waitcnt lgkmcnt(0)
	v_xor_b32_e32 v21, 1, v18
.LBB65_18:
	s_or_b64 exec, exec, s[6:7]
	v_bfe_u32 v18, v3, 1, 1
	v_lshl_add_u32 v14, v14, 3, v13
	v_cmp_eq_u32_e64 s[4:5], v21, v18
	s_and_saveexec_b64 s[6:7], s[4:5]
	s_cbranch_execz .LBB65_20
; %bb.19:
	ds_read2_b64 v[22:25], v14 offset1:2
	ds_read_u8 v21, v12 offset:2
	ds_read_u8 v26, v12
	ds_write_b16 v11, v20
	ds_write_b16 v11, v19 offset:4
	s_waitcnt lgkmcnt(4)
	ds_write2_b64 v14, v[24:25], v[22:23] offset1:2
	s_waitcnt lgkmcnt(4)
	ds_write_b8 v12, v21
	s_waitcnt lgkmcnt(4)
	ds_write_b8 v12, v26 offset:2
.LBB65_20:
	s_or_b64 exec, exec, s[6:7]
	s_waitcnt lgkmcnt(0)
	s_barrier
	ds_read_b32 v19, v1
                                        ; implicit-def: $sgpr16
	s_waitcnt lgkmcnt(0)
	v_and_b32_e32 v20, 0xffff0000, v19
	v_lshlrev_b32_e32 v21, 16, v19
	v_cmp_u_f32_e64 s[4:5], v21, v21
	v_cmp_o_f32_e64 s[6:7], v20, v20
	s_and_b64 s[6:7], s[4:5], s[6:7]
	v_cmp_lt_f32_e64 s[4:5], v20, v21
	s_or_b64 s[4:5], s[6:7], s[4:5]
	s_xor_b64 s[6:7], s[4:5], -1
	s_and_saveexec_b64 s[12:13], s[4:5]
	s_cbranch_execnz .LBB65_87
; %bb.21:
	s_or_b64 exec, exec, s[12:13]
	v_mov_b32_e32 v20, s16
	s_and_saveexec_b64 s[4:5], s[6:7]
	s_cbranch_execnz .LBB65_88
.LBB65_22:
	s_or_b64 exec, exec, s[4:5]
	v_cmp_eq_u32_e64 s[4:5], v20, v18
	s_and_saveexec_b64 s[6:7], s[4:5]
	s_cbranch_execz .LBB65_24
.LBB65_23:
	v_add_u32_e32 v24, v8, v10
	ds_read_b128 v[20:23], v24
	ds_read_u16 v25, v0
	v_alignbit_b32 v18, v19, v19, 16
	ds_write_b32 v1, v18
	s_mov_b32 s4, 0xc0c0001
	s_waitcnt lgkmcnt(2)
	v_mov_b32_e32 v18, v22
	v_mov_b32_e32 v19, v23
	ds_write_b128 v24, v[18:21]
	s_waitcnt lgkmcnt(2)
	v_perm_b32 v18, 0, v25, s4
	ds_write_b16 v0, v18
.LBB65_24:
	s_or_b64 exec, exec, s[6:7]
	v_and_b32_e32 v18, 3, v3
	v_sub_u32_e32 v20, v17, v18
	v_lshl_add_u32 v18, v20, 1, v16
	s_waitcnt lgkmcnt(0)
	s_barrier
	ds_read_u16 v23, v18 offset:8
	ds_read_u16 v22, v18
	s_mov_b32 s16, 1
	s_waitcnt lgkmcnt(1)
	v_lshlrev_b32_e32 v19, 16, v23
	s_waitcnt lgkmcnt(0)
	v_lshlrev_b32_e32 v21, 16, v22
	v_cmp_u_f32_e64 s[4:5], v21, v21
	v_cmp_o_f32_e64 s[6:7], v19, v19
	s_and_b64 s[6:7], s[4:5], s[6:7]
	v_cmp_lt_f32_e64 s[4:5], v19, v21
	s_or_b64 s[4:5], s[6:7], s[4:5]
	s_xor_b64 s[6:7], s[4:5], -1
	v_add_u32_e32 v19, v15, v20
	s_and_saveexec_b64 s[12:13], s[4:5]
	s_cbranch_execz .LBB65_26
; %bb.25:
	ds_read_u8 v21, v19
	s_andn2_b64 s[6:7], s[6:7], exec
	s_waitcnt lgkmcnt(0)
	v_and_b32_e32 v21, 1, v21
	v_cmp_eq_u32_e64 s[4:5], 1, v21
	s_xor_b64 s[4:5], s[4:5], -1
	s_and_b64 s[4:5], s[4:5], exec
	s_or_b64 s[6:7], s[6:7], s[4:5]
.LBB65_26:
	s_or_b64 exec, exec, s[12:13]
	v_mov_b32_e32 v24, s16
	s_and_saveexec_b64 s[4:5], s[6:7]
	s_cbranch_execz .LBB65_28
; %bb.27:
	ds_read_u8 v21, v19 offset:4
	s_waitcnt lgkmcnt(0)
	v_xor_b32_e32 v24, 1, v21
.LBB65_28:
	s_or_b64 exec, exec, s[4:5]
	v_bfe_u32 v21, v3, 2, 1
	v_lshl_add_u32 v20, v20, 3, v13
	v_cmp_eq_u32_e64 s[4:5], v24, v21
	s_and_saveexec_b64 s[6:7], s[4:5]
	s_cbranch_execz .LBB65_30
; %bb.29:
	ds_read2_b64 v[24:27], v20 offset1:4
	ds_read_u8 v28, v19 offset:4
	ds_read_u8 v29, v19
	ds_write_b16 v18, v23
	ds_write_b16 v18, v22 offset:8
	s_waitcnt lgkmcnt(4)
	ds_write2_b64 v20, v[26:27], v[24:25] offset1:4
	s_waitcnt lgkmcnt(4)
	ds_write_b8 v19, v28
	s_waitcnt lgkmcnt(4)
	ds_write_b8 v19, v29 offset:4
.LBB65_30:
	s_or_b64 exec, exec, s[6:7]
	s_waitcnt lgkmcnt(0)
	s_barrier
	ds_read_u16 v23, v11 offset:4
	ds_read_u16 v22, v11
                                        ; implicit-def: $sgpr16
	s_waitcnt lgkmcnt(1)
	v_lshlrev_b32_e32 v24, 16, v23
	s_waitcnt lgkmcnt(0)
	v_lshlrev_b32_e32 v25, 16, v22
	v_cmp_u_f32_e64 s[4:5], v25, v25
	v_cmp_o_f32_e64 s[6:7], v24, v24
	s_and_b64 s[6:7], s[4:5], s[6:7]
	v_cmp_lt_f32_e64 s[4:5], v24, v25
	s_or_b64 s[4:5], s[6:7], s[4:5]
	s_xor_b64 s[6:7], s[4:5], -1
	s_and_saveexec_b64 s[12:13], s[4:5]
	s_cbranch_execnz .LBB65_89
; %bb.31:
	s_or_b64 exec, exec, s[12:13]
	v_mov_b32_e32 v24, s16
	s_and_saveexec_b64 s[4:5], s[6:7]
	s_cbranch_execnz .LBB65_90
.LBB65_32:
	s_or_b64 exec, exec, s[4:5]
	v_cmp_eq_u32_e64 s[4:5], v24, v21
	s_and_saveexec_b64 s[6:7], s[4:5]
	s_cbranch_execz .LBB65_34
.LBB65_33:
	ds_read2_b64 v[24:27], v14 offset1:2
	ds_read_u8 v28, v12 offset:2
	ds_read_u8 v29, v12
	ds_write_b16 v11, v23
	ds_write_b16 v11, v22 offset:4
	s_waitcnt lgkmcnt(4)
	ds_write2_b64 v14, v[26:27], v[24:25] offset1:2
	s_waitcnt lgkmcnt(4)
	ds_write_b8 v12, v28
	s_waitcnt lgkmcnt(4)
	ds_write_b8 v12, v29 offset:2
.LBB65_34:
	s_or_b64 exec, exec, s[6:7]
	s_waitcnt lgkmcnt(0)
	s_barrier
	ds_read_b32 v22, v1
                                        ; implicit-def: $sgpr16
	s_waitcnt lgkmcnt(0)
	v_and_b32_e32 v23, 0xffff0000, v22
	v_lshlrev_b32_e32 v24, 16, v22
	v_cmp_u_f32_e64 s[4:5], v24, v24
	v_cmp_o_f32_e64 s[6:7], v23, v23
	s_and_b64 s[6:7], s[4:5], s[6:7]
	v_cmp_lt_f32_e64 s[4:5], v23, v24
	s_or_b64 s[4:5], s[6:7], s[4:5]
	s_xor_b64 s[6:7], s[4:5], -1
	s_and_saveexec_b64 s[12:13], s[4:5]
	s_cbranch_execnz .LBB65_91
; %bb.35:
	s_or_b64 exec, exec, s[12:13]
	v_mov_b32_e32 v23, s16
	s_and_saveexec_b64 s[4:5], s[6:7]
	s_cbranch_execnz .LBB65_92
.LBB65_36:
	s_or_b64 exec, exec, s[4:5]
	v_cmp_eq_u32_e64 s[4:5], v23, v21
	s_and_saveexec_b64 s[6:7], s[4:5]
	s_cbranch_execz .LBB65_38
.LBB65_37:
	v_add_u32_e32 v21, v8, v10
	ds_read_b128 v[24:27], v21
	ds_read_u16 v28, v0
	v_alignbit_b32 v22, v22, v22, 16
	ds_write_b32 v1, v22
	s_mov_b32 s4, 0xc0c0001
	s_waitcnt lgkmcnt(2)
	v_mov_b32_e32 v22, v26
	v_mov_b32_e32 v23, v27
	ds_write_b128 v21, v[22:25]
	s_waitcnt lgkmcnt(2)
	v_perm_b32 v21, 0, v28, s4
	ds_write_b16 v0, v21
.LBB65_38:
	s_or_b64 exec, exec, s[6:7]
	v_and_b32_e32 v21, 7, v3
	v_sub_u32_e32 v23, v17, v21
	v_lshl_add_u32 v21, v23, 1, v16
	s_waitcnt lgkmcnt(0)
	s_barrier
	ds_read_u16 v26, v21 offset:16
	ds_read_u16 v25, v21
	s_mov_b32 s16, 1
	s_waitcnt lgkmcnt(1)
	v_lshlrev_b32_e32 v22, 16, v26
	s_waitcnt lgkmcnt(0)
	v_lshlrev_b32_e32 v24, 16, v25
	v_cmp_u_f32_e64 s[4:5], v24, v24
	v_cmp_o_f32_e64 s[6:7], v22, v22
	s_and_b64 s[6:7], s[4:5], s[6:7]
	v_cmp_lt_f32_e64 s[4:5], v22, v24
	s_or_b64 s[4:5], s[6:7], s[4:5]
	s_xor_b64 s[6:7], s[4:5], -1
	v_add_u32_e32 v22, v15, v23
	s_and_saveexec_b64 s[12:13], s[4:5]
	s_cbranch_execz .LBB65_40
; %bb.39:
	ds_read_u8 v24, v22
	s_andn2_b64 s[6:7], s[6:7], exec
	s_waitcnt lgkmcnt(0)
	v_and_b32_e32 v24, 1, v24
	v_cmp_eq_u32_e64 s[4:5], 1, v24
	s_xor_b64 s[4:5], s[4:5], -1
	s_and_b64 s[4:5], s[4:5], exec
	s_or_b64 s[6:7], s[6:7], s[4:5]
.LBB65_40:
	s_or_b64 exec, exec, s[12:13]
	v_mov_b32_e32 v27, s16
	s_and_saveexec_b64 s[4:5], s[6:7]
	s_cbranch_execz .LBB65_42
; %bb.41:
	ds_read_u8 v24, v22 offset:8
	s_waitcnt lgkmcnt(0)
	v_xor_b32_e32 v27, 1, v24
.LBB65_42:
	s_or_b64 exec, exec, s[4:5]
	v_bfe_u32 v24, v3, 3, 1
	v_lshl_add_u32 v23, v23, 3, v13
	v_cmp_eq_u32_e64 s[4:5], v27, v24
	s_and_saveexec_b64 s[6:7], s[4:5]
	s_cbranch_execz .LBB65_44
; %bb.43:
	ds_read2_b64 v[28:31], v23 offset1:8
	ds_read_u8 v27, v22 offset:8
	ds_read_u8 v32, v22
	ds_write_b16 v21, v26
	ds_write_b16 v21, v25 offset:16
	s_waitcnt lgkmcnt(4)
	ds_write2_b64 v23, v[30:31], v[28:29] offset1:8
	s_waitcnt lgkmcnt(4)
	ds_write_b8 v22, v27
	s_waitcnt lgkmcnt(4)
	ds_write_b8 v22, v32 offset:8
.LBB65_44:
	s_or_b64 exec, exec, s[6:7]
	s_waitcnt lgkmcnt(0)
	s_barrier
	ds_read_u16 v26, v18 offset:8
	ds_read_u16 v25, v18
                                        ; implicit-def: $sgpr16
	s_waitcnt lgkmcnt(1)
	v_lshlrev_b32_e32 v27, 16, v26
	s_waitcnt lgkmcnt(0)
	v_lshlrev_b32_e32 v28, 16, v25
	v_cmp_u_f32_e64 s[4:5], v28, v28
	v_cmp_o_f32_e64 s[6:7], v27, v27
	s_and_b64 s[6:7], s[4:5], s[6:7]
	v_cmp_lt_f32_e64 s[4:5], v27, v28
	s_or_b64 s[4:5], s[6:7], s[4:5]
	s_xor_b64 s[6:7], s[4:5], -1
	s_and_saveexec_b64 s[12:13], s[4:5]
	s_cbranch_execnz .LBB65_93
; %bb.45:
	s_or_b64 exec, exec, s[12:13]
	v_mov_b32_e32 v27, s16
	s_and_saveexec_b64 s[4:5], s[6:7]
	s_cbranch_execnz .LBB65_94
.LBB65_46:
	s_or_b64 exec, exec, s[4:5]
	v_cmp_eq_u32_e64 s[4:5], v27, v24
	s_and_saveexec_b64 s[6:7], s[4:5]
	s_cbranch_execz .LBB65_48
.LBB65_47:
	ds_read2_b64 v[28:31], v20 offset1:4
	ds_read_u8 v27, v19 offset:4
	ds_read_u8 v32, v19
	ds_write_b16 v18, v26
	ds_write_b16 v18, v25 offset:8
	s_waitcnt lgkmcnt(4)
	ds_write2_b64 v20, v[30:31], v[28:29] offset1:4
	s_waitcnt lgkmcnt(4)
	ds_write_b8 v19, v27
	s_waitcnt lgkmcnt(4)
	ds_write_b8 v19, v32 offset:4
.LBB65_48:
	s_or_b64 exec, exec, s[6:7]
	s_waitcnt lgkmcnt(0)
	s_barrier
	ds_read_u16 v26, v11 offset:4
	ds_read_u16 v25, v11
                                        ; implicit-def: $sgpr16
	s_waitcnt lgkmcnt(1)
	v_lshlrev_b32_e32 v27, 16, v26
	s_waitcnt lgkmcnt(0)
	v_lshlrev_b32_e32 v28, 16, v25
	v_cmp_u_f32_e64 s[4:5], v28, v28
	v_cmp_o_f32_e64 s[6:7], v27, v27
	s_and_b64 s[6:7], s[4:5], s[6:7]
	v_cmp_lt_f32_e64 s[4:5], v27, v28
	s_or_b64 s[4:5], s[6:7], s[4:5]
	s_xor_b64 s[6:7], s[4:5], -1
	s_and_saveexec_b64 s[12:13], s[4:5]
	s_cbranch_execnz .LBB65_95
; %bb.49:
	s_or_b64 exec, exec, s[12:13]
	v_mov_b32_e32 v27, s16
	s_and_saveexec_b64 s[4:5], s[6:7]
	s_cbranch_execnz .LBB65_96
.LBB65_50:
	s_or_b64 exec, exec, s[4:5]
	v_cmp_eq_u32_e64 s[4:5], v27, v24
	s_and_saveexec_b64 s[6:7], s[4:5]
	s_cbranch_execz .LBB65_52
.LBB65_51:
	ds_read2_b64 v[28:31], v14 offset1:2
	ds_read_u8 v27, v12 offset:2
	ds_read_u8 v32, v12
	ds_write_b16 v11, v26
	ds_write_b16 v11, v25 offset:4
	s_waitcnt lgkmcnt(4)
	ds_write2_b64 v14, v[30:31], v[28:29] offset1:2
	s_waitcnt lgkmcnt(4)
	ds_write_b8 v12, v27
	s_waitcnt lgkmcnt(4)
	ds_write_b8 v12, v32 offset:2
.LBB65_52:
	s_or_b64 exec, exec, s[6:7]
	s_waitcnt lgkmcnt(0)
	s_barrier
	ds_read_b32 v25, v1
                                        ; implicit-def: $sgpr16
	s_waitcnt lgkmcnt(0)
	v_and_b32_e32 v26, 0xffff0000, v25
	v_lshlrev_b32_e32 v27, 16, v25
	v_cmp_u_f32_e64 s[4:5], v27, v27
	v_cmp_o_f32_e64 s[6:7], v26, v26
	s_and_b64 s[6:7], s[4:5], s[6:7]
	v_cmp_lt_f32_e64 s[4:5], v26, v27
	s_or_b64 s[4:5], s[6:7], s[4:5]
	s_xor_b64 s[6:7], s[4:5], -1
	s_and_saveexec_b64 s[12:13], s[4:5]
	s_cbranch_execnz .LBB65_97
; %bb.53:
	s_or_b64 exec, exec, s[12:13]
	v_mov_b32_e32 v26, s16
	s_and_saveexec_b64 s[4:5], s[6:7]
	s_cbranch_execnz .LBB65_98
.LBB65_54:
	s_or_b64 exec, exec, s[4:5]
	v_cmp_eq_u32_e64 s[4:5], v26, v24
	s_and_saveexec_b64 s[6:7], s[4:5]
	s_cbranch_execz .LBB65_56
.LBB65_55:
	v_add_u32_e32 v30, v8, v10
	ds_read_b128 v[26:29], v30
	ds_read_u16 v31, v0
	v_alignbit_b32 v24, v25, v25, 16
	ds_write_b32 v1, v24
	s_mov_b32 s4, 0xc0c0001
	s_waitcnt lgkmcnt(2)
	v_mov_b32_e32 v24, v28
	v_mov_b32_e32 v25, v29
	ds_write_b128 v30, v[24:27]
	s_waitcnt lgkmcnt(2)
	v_perm_b32 v24, 0, v31, s4
	ds_write_b16 v0, v24
.LBB65_56:
	s_or_b64 exec, exec, s[6:7]
	v_and_b32_e32 v24, 15, v3
	v_sub_u32_e32 v25, v17, v24
	v_lshl_add_u32 v16, v25, 1, v16
	s_waitcnt lgkmcnt(0)
	s_barrier
	ds_read_u16 v24, v16 offset:32
	ds_read_u16 v17, v16
	v_add_u32_e32 v15, v15, v25
	s_waitcnt lgkmcnt(1)
	v_lshlrev_b32_e32 v26, 16, v24
	s_waitcnt lgkmcnt(0)
	v_lshlrev_b32_e32 v27, 16, v17
	v_cmp_u_f32_e64 s[4:5], v27, v27
	v_cmp_o_f32_e64 s[6:7], v26, v26
	s_and_b64 s[6:7], s[4:5], s[6:7]
	v_cmp_lt_f32_e64 s[4:5], v26, v27
	s_or_b64 s[4:5], s[6:7], s[4:5]
	s_xor_b64 s[12:13], s[4:5], -1
	s_and_saveexec_b64 s[6:7], s[4:5]
	s_cbranch_execz .LBB65_58
; %bb.57:
	ds_read_u8 v26, v15
	s_andn2_b64 s[12:13], s[12:13], exec
	s_waitcnt lgkmcnt(0)
	v_and_b32_e32 v26, 1, v26
	v_cmp_eq_u32_e64 s[4:5], 1, v26
	s_xor_b64 s[4:5], s[4:5], -1
	s_and_b64 s[4:5], s[4:5], exec
	s_or_b64 s[12:13], s[12:13], s[4:5]
.LBB65_58:
	s_or_b64 exec, exec, s[6:7]
	s_and_saveexec_b64 s[6:7], s[12:13]
	s_cbranch_execz .LBB65_61
; %bb.59:
	ds_read_u8 v26, v15 offset:16
	s_waitcnt lgkmcnt(0)
	v_cmp_ne_u16_e64 s[4:5], 0, v26
	s_and_b64 exec, exec, s[4:5]
	s_cbranch_execz .LBB65_61
; %bb.60:
	v_lshl_add_u32 v13, v25, 3, v13
	ds_read2_b64 v[28:31], v13 offset1:16
	ds_read_u8 v25, v15
	ds_write_b16 v16, v24
	ds_write_b16 v16, v17 offset:32
	ds_write_b8 v15, v26
	s_waitcnt lgkmcnt(4)
	ds_write2_b64 v13, v[30:31], v[28:29] offset1:16
	s_waitcnt lgkmcnt(4)
	ds_write_b8 v15, v25 offset:16
.LBB65_61:
	s_or_b64 exec, exec, s[6:7]
	s_waitcnt lgkmcnt(0)
	s_barrier
	ds_read_u16 v15, v21 offset:16
	ds_read_u16 v13, v21
	s_waitcnt lgkmcnt(1)
	v_lshlrev_b32_e32 v16, 16, v15
	s_waitcnt lgkmcnt(0)
	v_lshlrev_b32_e32 v17, 16, v13
	v_cmp_u_f32_e64 s[4:5], v17, v17
	v_cmp_o_f32_e64 s[6:7], v16, v16
	s_and_b64 s[6:7], s[4:5], s[6:7]
	v_cmp_lt_f32_e64 s[4:5], v16, v17
	s_or_b64 s[4:5], s[6:7], s[4:5]
	s_xor_b64 s[12:13], s[4:5], -1
	s_and_saveexec_b64 s[6:7], s[4:5]
	s_cbranch_execz .LBB65_63
; %bb.62:
	ds_read_u8 v16, v22
	s_andn2_b64 s[12:13], s[12:13], exec
	s_waitcnt lgkmcnt(0)
	v_and_b32_e32 v16, 1, v16
	v_cmp_eq_u32_e64 s[4:5], 1, v16
	s_xor_b64 s[4:5], s[4:5], -1
	s_and_b64 s[4:5], s[4:5], exec
	s_or_b64 s[12:13], s[12:13], s[4:5]
.LBB65_63:
	s_or_b64 exec, exec, s[6:7]
	s_and_saveexec_b64 s[6:7], s[12:13]
	s_cbranch_execz .LBB65_66
; %bb.64:
	ds_read_u8 v16, v22 offset:8
	s_waitcnt lgkmcnt(0)
	v_cmp_ne_u16_e64 s[4:5], 0, v16
	s_and_b64 exec, exec, s[4:5]
	s_cbranch_execz .LBB65_66
; %bb.65:
	ds_read2_b64 v[24:27], v23 offset1:8
	ds_read_u8 v17, v22
	ds_write_b16 v21, v15
	ds_write_b16 v21, v13 offset:16
	ds_write_b8 v22, v16
	s_waitcnt lgkmcnt(4)
	ds_write2_b64 v23, v[26:27], v[24:25] offset1:8
	s_waitcnt lgkmcnt(4)
	ds_write_b8 v22, v17 offset:8
.LBB65_66:
	s_or_b64 exec, exec, s[6:7]
	s_waitcnt lgkmcnt(0)
	s_barrier
	ds_read_u16 v15, v18 offset:8
	ds_read_u16 v13, v18
	s_waitcnt lgkmcnt(1)
	v_lshlrev_b32_e32 v16, 16, v15
	s_waitcnt lgkmcnt(0)
	v_lshlrev_b32_e32 v17, 16, v13
	v_cmp_u_f32_e64 s[4:5], v17, v17
	v_cmp_o_f32_e64 s[6:7], v16, v16
	s_and_b64 s[6:7], s[4:5], s[6:7]
	v_cmp_lt_f32_e64 s[4:5], v16, v17
	s_or_b64 s[4:5], s[6:7], s[4:5]
	s_xor_b64 s[12:13], s[4:5], -1
	s_and_saveexec_b64 s[6:7], s[4:5]
	s_cbranch_execz .LBB65_68
; %bb.67:
	ds_read_u8 v16, v19
	s_andn2_b64 s[12:13], s[12:13], exec
	s_waitcnt lgkmcnt(0)
	v_and_b32_e32 v16, 1, v16
	v_cmp_eq_u32_e64 s[4:5], 1, v16
	s_xor_b64 s[4:5], s[4:5], -1
	s_and_b64 s[4:5], s[4:5], exec
	s_or_b64 s[12:13], s[12:13], s[4:5]
.LBB65_68:
	s_or_b64 exec, exec, s[6:7]
	s_and_saveexec_b64 s[6:7], s[12:13]
	s_cbranch_execz .LBB65_71
; %bb.69:
	ds_read_u8 v16, v19 offset:4
	s_waitcnt lgkmcnt(0)
	v_cmp_ne_u16_e64 s[4:5], 0, v16
	s_and_b64 exec, exec, s[4:5]
	s_cbranch_execz .LBB65_71
; %bb.70:
	ds_read2_b64 v[22:25], v20 offset1:4
	ds_read_u8 v17, v19
	ds_write_b16 v18, v15
	ds_write_b16 v18, v13 offset:8
	ds_write_b8 v19, v16
	s_waitcnt lgkmcnt(4)
	ds_write2_b64 v20, v[24:25], v[22:23] offset1:4
	s_waitcnt lgkmcnt(4)
	ds_write_b8 v19, v17 offset:4
.LBB65_71:
	;; [unrolled: 47-line block ×3, first 2 shown]
	s_or_b64 exec, exec, s[6:7]
	s_waitcnt lgkmcnt(0)
	s_barrier
	ds_read_b32 v11, v1
	s_waitcnt lgkmcnt(0)
	v_and_b32_e32 v12, 0xffff0000, v11
	v_lshlrev_b32_e32 v13, 16, v11
	v_cmp_u_f32_e64 s[4:5], v13, v13
	v_cmp_o_f32_e64 s[6:7], v12, v12
	s_and_b64 s[6:7], s[4:5], s[6:7]
	v_cmp_lt_f32_e64 s[4:5], v12, v13
	s_or_b64 s[4:5], s[6:7], s[4:5]
	s_xor_b64 s[12:13], s[4:5], -1
	s_and_saveexec_b64 s[6:7], s[4:5]
	s_cbranch_execz .LBB65_78
; %bb.77:
	ds_read_u8 v12, v0
	s_andn2_b64 s[12:13], s[12:13], exec
	s_waitcnt lgkmcnt(0)
	v_and_b32_e32 v12, 1, v12
	v_cmp_eq_u32_e64 s[4:5], 1, v12
	s_xor_b64 s[4:5], s[4:5], -1
	s_and_b64 s[4:5], s[4:5], exec
	s_or_b64 s[12:13], s[12:13], s[4:5]
.LBB65_78:
	s_or_b64 exec, exec, s[6:7]
	s_and_saveexec_b64 s[6:7], s[12:13]
	s_cbranch_execz .LBB65_81
; %bb.79:
	ds_read_u8 v12, v0 offset:1
	s_waitcnt lgkmcnt(0)
	v_cmp_ne_u16_e64 s[4:5], 0, v12
	s_and_b64 exec, exec, s[4:5]
	s_cbranch_execz .LBB65_81
; %bb.80:
	v_add_u32_e32 v10, v8, v10
	v_alignbit_b32 v11, v11, v11, 16
	ds_read_b128 v[14:17], v10
	ds_write_b32 v1, v11
	ds_read_u8 v1, v0
	s_waitcnt lgkmcnt(2)
	v_mov_b32_e32 v18, v14
	v_mov_b32_e32 v19, v15
	s_waitcnt lgkmcnt(0)
	v_lshlrev_b16_e32 v1, 8, v1
	v_or_b32_e32 v1, v12, v1
	ds_write_b128 v10, v[16:19]
	ds_write_b16 v0, v1
.LBB65_81:
	s_or_b64 exec, exec, s[6:7]
	s_waitcnt lgkmcnt(0)
	s_barrier
	s_and_saveexec_b64 s[4:5], vcc
	s_cbranch_execz .LBB65_86
; %bb.82:
	s_and_saveexec_b64 s[4:5], s[0:1]
	s_cbranch_execz .LBB65_84
; %bb.83:
	v_mad_u64_u32 v[0:1], s[0:1], v3, s14, v[4:5]
	ds_read_u16 v12, v9
	v_mov_b32_e32 v1, 0
	v_lshlrev_b64 v[10:11], 1, v[0:1]
	v_mov_b32_e32 v0, s9
	v_add_co_u32_e32 v10, vcc, s8, v10
	v_addc_co_u32_e32 v11, vcc, v0, v11, vcc
	ds_read_b64 v[8:9], v8
	s_waitcnt lgkmcnt(1)
	global_store_short v[10:11], v12, off
	v_mad_u64_u32 v[10:11], s[0:1], v3, s15, v[2:3]
	v_mov_b32_e32 v11, v1
	v_lshlrev_b64 v[0:1], 3, v[10:11]
	v_mov_b32_e32 v3, s11
	v_add_co_u32_e32 v0, vcc, s10, v0
	v_addc_co_u32_e32 v1, vcc, v3, v1, vcc
	s_waitcnt lgkmcnt(0)
	global_store_dwordx2 v[0:1], v[8:9], off
.LBB65_84:
	s_or_b64 exec, exec, s[4:5]
	s_and_b64 exec, exec, s[2:3]
	s_cbranch_execz .LBB65_86
; %bb.85:
	v_mad_u64_u32 v[0:1], s[0:1], v5, s14, v[4:5]
	ds_read_u16 v3, v7
	v_mov_b32_e32 v1, 0
	v_lshlrev_b64 v[8:9], 1, v[0:1]
	v_mov_b32_e32 v0, s9
	v_add_co_u32_e32 v8, vcc, s8, v8
	v_addc_co_u32_e32 v9, vcc, v0, v9, vcc
	ds_read_b64 v[6:7], v6
	s_waitcnt lgkmcnt(1)
	global_store_short v[8:9], v3, off
	v_mad_u64_u32 v[2:3], s[0:1], v5, s15, v[2:3]
	v_mov_b32_e32 v3, v1
	v_lshlrev_b64 v[0:1], 3, v[2:3]
	v_mov_b32_e32 v2, s11
	v_add_co_u32_e32 v0, vcc, s10, v0
	v_addc_co_u32_e32 v1, vcc, v2, v1, vcc
	s_waitcnt lgkmcnt(0)
	global_store_dwordx2 v[0:1], v[6:7], off
.LBB65_86:
	s_endpgm
.LBB65_87:
	ds_read_u8 v20, v0
	s_andn2_b64 s[6:7], s[6:7], exec
	s_mov_b32 s16, 1
	s_waitcnt lgkmcnt(0)
	v_and_b32_e32 v20, 1, v20
	v_cmp_eq_u32_e64 s[4:5], 1, v20
	s_xor_b64 s[4:5], s[4:5], -1
	s_and_b64 s[4:5], s[4:5], exec
	s_or_b64 s[6:7], s[6:7], s[4:5]
	s_or_b64 exec, exec, s[12:13]
	v_mov_b32_e32 v20, s16
	s_and_saveexec_b64 s[4:5], s[6:7]
	s_cbranch_execz .LBB65_22
.LBB65_88:
	ds_read_u8 v20, v0 offset:1
	s_waitcnt lgkmcnt(0)
	v_xor_b32_e32 v20, 1, v20
	s_or_b64 exec, exec, s[4:5]
	v_cmp_eq_u32_e64 s[4:5], v20, v18
	s_and_saveexec_b64 s[6:7], s[4:5]
	s_cbranch_execnz .LBB65_23
	s_branch .LBB65_24
.LBB65_89:
	ds_read_u8 v24, v12
	s_andn2_b64 s[6:7], s[6:7], exec
	s_mov_b32 s16, 1
	s_waitcnt lgkmcnt(0)
	v_and_b32_e32 v24, 1, v24
	v_cmp_eq_u32_e64 s[4:5], 1, v24
	s_xor_b64 s[4:5], s[4:5], -1
	s_and_b64 s[4:5], s[4:5], exec
	s_or_b64 s[6:7], s[6:7], s[4:5]
	s_or_b64 exec, exec, s[12:13]
	v_mov_b32_e32 v24, s16
	s_and_saveexec_b64 s[4:5], s[6:7]
	s_cbranch_execz .LBB65_32
.LBB65_90:
	ds_read_u8 v24, v12 offset:2
	s_waitcnt lgkmcnt(0)
	v_xor_b32_e32 v24, 1, v24
	s_or_b64 exec, exec, s[4:5]
	v_cmp_eq_u32_e64 s[4:5], v24, v21
	s_and_saveexec_b64 s[6:7], s[4:5]
	s_cbranch_execnz .LBB65_33
	s_branch .LBB65_34
.LBB65_91:
	ds_read_u8 v23, v0
	s_andn2_b64 s[6:7], s[6:7], exec
	s_mov_b32 s16, 1
	s_waitcnt lgkmcnt(0)
	v_and_b32_e32 v23, 1, v23
	v_cmp_eq_u32_e64 s[4:5], 1, v23
	s_xor_b64 s[4:5], s[4:5], -1
	s_and_b64 s[4:5], s[4:5], exec
	s_or_b64 s[6:7], s[6:7], s[4:5]
	s_or_b64 exec, exec, s[12:13]
	v_mov_b32_e32 v23, s16
	s_and_saveexec_b64 s[4:5], s[6:7]
	s_cbranch_execz .LBB65_36
.LBB65_92:
	ds_read_u8 v23, v0 offset:1
	s_waitcnt lgkmcnt(0)
	v_xor_b32_e32 v23, 1, v23
	s_or_b64 exec, exec, s[4:5]
	v_cmp_eq_u32_e64 s[4:5], v23, v21
	s_and_saveexec_b64 s[6:7], s[4:5]
	s_cbranch_execnz .LBB65_37
	s_branch .LBB65_38
.LBB65_93:
	ds_read_u8 v27, v19
	s_andn2_b64 s[6:7], s[6:7], exec
	s_mov_b32 s16, 1
	s_waitcnt lgkmcnt(0)
	v_and_b32_e32 v27, 1, v27
	v_cmp_eq_u32_e64 s[4:5], 1, v27
	s_xor_b64 s[4:5], s[4:5], -1
	s_and_b64 s[4:5], s[4:5], exec
	s_or_b64 s[6:7], s[6:7], s[4:5]
	s_or_b64 exec, exec, s[12:13]
	v_mov_b32_e32 v27, s16
	s_and_saveexec_b64 s[4:5], s[6:7]
	s_cbranch_execz .LBB65_46
.LBB65_94:
	ds_read_u8 v27, v19 offset:4
	s_waitcnt lgkmcnt(0)
	v_xor_b32_e32 v27, 1, v27
	s_or_b64 exec, exec, s[4:5]
	v_cmp_eq_u32_e64 s[4:5], v27, v24
	s_and_saveexec_b64 s[6:7], s[4:5]
	s_cbranch_execnz .LBB65_47
	s_branch .LBB65_48
.LBB65_95:
	ds_read_u8 v27, v12
	s_andn2_b64 s[6:7], s[6:7], exec
	s_mov_b32 s16, 1
	s_waitcnt lgkmcnt(0)
	v_and_b32_e32 v27, 1, v27
	v_cmp_eq_u32_e64 s[4:5], 1, v27
	s_xor_b64 s[4:5], s[4:5], -1
	s_and_b64 s[4:5], s[4:5], exec
	s_or_b64 s[6:7], s[6:7], s[4:5]
	s_or_b64 exec, exec, s[12:13]
	v_mov_b32_e32 v27, s16
	s_and_saveexec_b64 s[4:5], s[6:7]
	s_cbranch_execz .LBB65_50
.LBB65_96:
	ds_read_u8 v27, v12 offset:2
	s_waitcnt lgkmcnt(0)
	v_xor_b32_e32 v27, 1, v27
	s_or_b64 exec, exec, s[4:5]
	v_cmp_eq_u32_e64 s[4:5], v27, v24
	s_and_saveexec_b64 s[6:7], s[4:5]
	s_cbranch_execnz .LBB65_51
	s_branch .LBB65_52
.LBB65_97:
	ds_read_u8 v26, v0
	s_andn2_b64 s[6:7], s[6:7], exec
	s_mov_b32 s16, 1
	s_waitcnt lgkmcnt(0)
	v_and_b32_e32 v26, 1, v26
	v_cmp_eq_u32_e64 s[4:5], 1, v26
	s_xor_b64 s[4:5], s[4:5], -1
	s_and_b64 s[4:5], s[4:5], exec
	s_or_b64 s[6:7], s[6:7], s[4:5]
	s_or_b64 exec, exec, s[12:13]
	v_mov_b32_e32 v26, s16
	s_and_saveexec_b64 s[4:5], s[6:7]
	s_cbranch_execz .LBB65_54
.LBB65_98:
	ds_read_u8 v26, v0 offset:1
	s_waitcnt lgkmcnt(0)
	v_xor_b32_e32 v26, 1, v26
	s_or_b64 exec, exec, s[4:5]
	v_cmp_eq_u32_e64 s[4:5], v26, v24
	s_and_saveexec_b64 s[6:7], s[4:5]
	s_cbranch_execnz .LBB65_55
	s_branch .LBB65_56
	.section	.rodata,"a",@progbits
	.p2align	6, 0x0
	.amdhsa_kernel _ZN2at6native20bitonicSortKVInPlaceILin2ELin1ELi16ELi16EN3c108BFloat16ElNS0_4GTOpIS3_Lb1EEEjEEvNS_4cuda6detail10TensorInfoIT3_T6_EESA_SA_SA_NS8_IT4_SA_EESA_T5_
		.amdhsa_group_segment_fixed_size 5632
		.amdhsa_private_segment_fixed_size 0
		.amdhsa_kernarg_size 712
		.amdhsa_user_sgpr_count 6
		.amdhsa_user_sgpr_private_segment_buffer 1
		.amdhsa_user_sgpr_dispatch_ptr 0
		.amdhsa_user_sgpr_queue_ptr 0
		.amdhsa_user_sgpr_kernarg_segment_ptr 1
		.amdhsa_user_sgpr_dispatch_id 0
		.amdhsa_user_sgpr_flat_scratch_init 0
		.amdhsa_user_sgpr_kernarg_preload_length 0
		.amdhsa_user_sgpr_kernarg_preload_offset 0
		.amdhsa_user_sgpr_private_segment_size 0
		.amdhsa_uses_dynamic_stack 0
		.amdhsa_system_sgpr_private_segment_wavefront_offset 0
		.amdhsa_system_sgpr_workgroup_id_x 1
		.amdhsa_system_sgpr_workgroup_id_y 1
		.amdhsa_system_sgpr_workgroup_id_z 1
		.amdhsa_system_sgpr_workgroup_info 0
		.amdhsa_system_vgpr_workitem_id 1
		.amdhsa_next_free_vgpr 33
		.amdhsa_next_free_sgpr 18
		.amdhsa_accum_offset 36
		.amdhsa_reserve_vcc 1
		.amdhsa_reserve_flat_scratch 0
		.amdhsa_float_round_mode_32 0
		.amdhsa_float_round_mode_16_64 0
		.amdhsa_float_denorm_mode_32 3
		.amdhsa_float_denorm_mode_16_64 3
		.amdhsa_dx10_clamp 1
		.amdhsa_ieee_mode 1
		.amdhsa_fp16_overflow 0
		.amdhsa_tg_split 0
		.amdhsa_exception_fp_ieee_invalid_op 0
		.amdhsa_exception_fp_denorm_src 0
		.amdhsa_exception_fp_ieee_div_zero 0
		.amdhsa_exception_fp_ieee_overflow 0
		.amdhsa_exception_fp_ieee_underflow 0
		.amdhsa_exception_fp_ieee_inexact 0
		.amdhsa_exception_int_div_zero 0
	.end_amdhsa_kernel
	.section	.text._ZN2at6native20bitonicSortKVInPlaceILin2ELin1ELi16ELi16EN3c108BFloat16ElNS0_4GTOpIS3_Lb1EEEjEEvNS_4cuda6detail10TensorInfoIT3_T6_EESA_SA_SA_NS8_IT4_SA_EESA_T5_,"axG",@progbits,_ZN2at6native20bitonicSortKVInPlaceILin2ELin1ELi16ELi16EN3c108BFloat16ElNS0_4GTOpIS3_Lb1EEEjEEvNS_4cuda6detail10TensorInfoIT3_T6_EESA_SA_SA_NS8_IT4_SA_EESA_T5_,comdat
.Lfunc_end65:
	.size	_ZN2at6native20bitonicSortKVInPlaceILin2ELin1ELi16ELi16EN3c108BFloat16ElNS0_4GTOpIS3_Lb1EEEjEEvNS_4cuda6detail10TensorInfoIT3_T6_EESA_SA_SA_NS8_IT4_SA_EESA_T5_, .Lfunc_end65-_ZN2at6native20bitonicSortKVInPlaceILin2ELin1ELi16ELi16EN3c108BFloat16ElNS0_4GTOpIS3_Lb1EEEjEEvNS_4cuda6detail10TensorInfoIT3_T6_EESA_SA_SA_NS8_IT4_SA_EESA_T5_
                                        ; -- End function
	.section	.AMDGPU.csdata,"",@progbits
; Kernel info:
; codeLenInByte = 5236
; NumSgprs: 22
; NumVgprs: 33
; NumAgprs: 0
; TotalNumVgprs: 33
; ScratchSize: 0
; MemoryBound: 0
; FloatMode: 240
; IeeeMode: 1
; LDSByteSize: 5632 bytes/workgroup (compile time only)
; SGPRBlocks: 2
; VGPRBlocks: 4
; NumSGPRsForWavesPerEU: 22
; NumVGPRsForWavesPerEU: 33
; AccumOffset: 36
; Occupancy: 8
; WaveLimiterHint : 1
; COMPUTE_PGM_RSRC2:SCRATCH_EN: 0
; COMPUTE_PGM_RSRC2:USER_SGPR: 6
; COMPUTE_PGM_RSRC2:TRAP_HANDLER: 0
; COMPUTE_PGM_RSRC2:TGID_X_EN: 1
; COMPUTE_PGM_RSRC2:TGID_Y_EN: 1
; COMPUTE_PGM_RSRC2:TGID_Z_EN: 1
; COMPUTE_PGM_RSRC2:TIDIG_COMP_CNT: 1
; COMPUTE_PGM_RSRC3_GFX90A:ACCUM_OFFSET: 8
; COMPUTE_PGM_RSRC3_GFX90A:TG_SPLIT: 0
	.section	.text._ZN2at6native20bitonicSortKVInPlaceILi2ELin1ELi16ELi16EN3c108BFloat16ElNS0_4LTOpIS3_Lb1EEEjEEvNS_4cuda6detail10TensorInfoIT3_T6_EESA_SA_SA_NS8_IT4_SA_EESA_T5_,"axG",@progbits,_ZN2at6native20bitonicSortKVInPlaceILi2ELin1ELi16ELi16EN3c108BFloat16ElNS0_4LTOpIS3_Lb1EEEjEEvNS_4cuda6detail10TensorInfoIT3_T6_EESA_SA_SA_NS8_IT4_SA_EESA_T5_,comdat
	.protected	_ZN2at6native20bitonicSortKVInPlaceILi2ELin1ELi16ELi16EN3c108BFloat16ElNS0_4LTOpIS3_Lb1EEEjEEvNS_4cuda6detail10TensorInfoIT3_T6_EESA_SA_SA_NS8_IT4_SA_EESA_T5_ ; -- Begin function _ZN2at6native20bitonicSortKVInPlaceILi2ELin1ELi16ELi16EN3c108BFloat16ElNS0_4LTOpIS3_Lb1EEEjEEvNS_4cuda6detail10TensorInfoIT3_T6_EESA_SA_SA_NS8_IT4_SA_EESA_T5_
	.globl	_ZN2at6native20bitonicSortKVInPlaceILi2ELin1ELi16ELi16EN3c108BFloat16ElNS0_4LTOpIS3_Lb1EEEjEEvNS_4cuda6detail10TensorInfoIT3_T6_EESA_SA_SA_NS8_IT4_SA_EESA_T5_
	.p2align	8
	.type	_ZN2at6native20bitonicSortKVInPlaceILi2ELin1ELi16ELi16EN3c108BFloat16ElNS0_4LTOpIS3_Lb1EEEjEEvNS_4cuda6detail10TensorInfoIT3_T6_EESA_SA_SA_NS8_IT4_SA_EESA_T5_,@function
_ZN2at6native20bitonicSortKVInPlaceILi2ELin1ELi16ELi16EN3c108BFloat16ElNS0_4LTOpIS3_Lb1EEEjEEvNS_4cuda6detail10TensorInfoIT3_T6_EESA_SA_SA_NS8_IT4_SA_EESA_T5_: ; @_ZN2at6native20bitonicSortKVInPlaceILi2ELin1ELi16ELi16EN3c108BFloat16ElNS0_4LTOpIS3_Lb1EEEjEEvNS_4cuda6detail10TensorInfoIT3_T6_EESA_SA_SA_NS8_IT4_SA_EESA_T5_
; %bb.0:
	s_load_dwordx2 s[0:1], s[4:5], 0x1c8
	s_load_dwordx4 s[12:15], s[4:5], 0xd8
	s_load_dword s9, s[4:5], 0x1d4
	s_add_u32 s2, s4, 0x1c8
	s_addc_u32 s3, s5, 0
	s_waitcnt lgkmcnt(0)
	s_mul_i32 s1, s1, s8
	s_add_i32 s1, s1, s7
	s_mul_i32 s0, s1, s0
	s_add_i32 s0, s0, s6
	s_lshr_b32 s1, s9, 16
	s_mul_i32 s0, s0, s1
	s_cmp_ge_u32 s0, s12
	s_cbranch_scc1 .LBB66_86
; %bb.1:
	s_load_dword s15, s[4:5], 0xc
	s_load_dwordx2 s[6:7], s[4:5], 0x6c
	s_load_dword s17, s[4:5], 0x1b8
	s_add_u32 s10, s4, 0xe8
	v_bfe_u32 v8, v0, 10, 10
	s_waitcnt lgkmcnt(0)
	v_cvt_f32_u32_e32 v1, s15
	s_load_dwordx2 s[8:9], s[4:5], 0x0
	s_addc_u32 s11, s5, 0
	s_mov_b32 s1, 0
	v_rcp_iflag_f32_e32 v1, v1
	v_mov_b32_e32 v2, 0
	v_mul_f32_e32 v1, 0x4f7ffffe, v1
	v_cvt_u32_f32_e32 v3, v1
	v_add_u32_e32 v1, s0, v8
	s_sub_i32 s0, 0, s15
	s_cmp_lt_i32 s17, 2
	v_mul_lo_u32 v4, s0, v3
	v_mul_hi_u32 v4, v3, v4
	v_add_u32_e32 v3, v3, v4
	v_mad_u64_u32 v[4:5], s[18:19], v1, v3, 0
	v_mov_b32_e32 v6, v1
	s_cbranch_scc1 .LBB66_4
; %bb.2:
	s_add_i32 s0, s17, -1
	s_add_i32 s16, s17, 1
	s_lshl_b64 s[0:1], s[0:1], 2
	s_add_u32 s0, s0, s10
	s_addc_u32 s1, s1, s11
	s_add_u32 s0, s0, 8
	s_addc_u32 s1, s1, 0
	v_mov_b32_e32 v2, 0
	v_mov_b32_e32 v6, v1
.LBB66_3:                               ; =>This Inner Loop Header: Depth=1
	s_load_dword s17, s[0:1], 0x0
	s_load_dword s18, s[0:1], 0x64
	v_mov_b32_e32 v3, v6
	s_add_i32 s16, s16, -1
	s_waitcnt lgkmcnt(0)
	v_cvt_f32_u32_e32 v4, s17
	s_sub_i32 s19, 0, s17
	s_add_u32 s0, s0, -4
	s_addc_u32 s1, s1, -1
	v_rcp_iflag_f32_e32 v4, v4
	s_cmp_gt_u32 s16, 2
	v_mul_f32_e32 v4, 0x4f7ffffe, v4
	v_cvt_u32_f32_e32 v4, v4
	v_mul_lo_u32 v6, s19, v4
	v_mul_hi_u32 v6, v4, v6
	v_add_u32_e32 v4, v4, v6
	v_mul_hi_u32 v4, v3, v4
	v_mul_lo_u32 v6, v4, s17
	v_sub_u32_e32 v6, v3, v6
	v_add_u32_e32 v7, 1, v4
	v_cmp_le_u32_e32 vcc, s17, v6
	v_cndmask_b32_e32 v4, v4, v7, vcc
	v_subrev_u32_e32 v7, s17, v6
	v_cndmask_b32_e32 v6, v6, v7, vcc
	v_add_u32_e32 v7, 1, v4
	v_cmp_le_u32_e32 vcc, s17, v6
	v_cndmask_b32_e32 v6, v4, v7, vcc
	v_mul_lo_u32 v4, v6, s17
	v_sub_u32_e32 v3, v3, v4
	v_mad_u64_u32 v[2:3], s[18:19], s18, v3, v[2:3]
	s_cbranch_scc1 .LBB66_3
.LBB66_4:
	v_mul_lo_u32 v3, v5, s15
	v_sub_u32_e32 v3, v1, v3
	v_add_u32_e32 v4, 1, v5
	v_cmp_le_u32_e64 s[0:1], s15, v3
	v_cndmask_b32_e64 v4, v5, v4, s[0:1]
	v_subrev_u32_e32 v5, s15, v3
	v_cndmask_b32_e64 v3, v3, v5, s[0:1]
	v_add_u32_e32 v5, 1, v4
	v_cmp_le_u32_e64 s[0:1], s15, v3
	v_cndmask_b32_e64 v3, v4, v5, s[0:1]
	v_mul_lo_u32 v4, v3, s15
	v_cmp_gt_u32_e32 vcc, s12, v1
	v_sub_u32_e32 v1, v1, v4
	v_mul_lo_u32 v4, v1, s7
	s_load_dword s15, s[4:5], 0x1c0
	s_load_dword s7, s[10:11], 0x6c
	;; [unrolled: 1-line block ×3, first 2 shown]
	v_mad_u64_u32 v[4:5], s[0:1], v3, s6, v[4:5]
	s_load_dwordx2 s[10:11], s[10:11], 0x0
	s_waitcnt lgkmcnt(0)
	v_mad_u64_u32 v[2:3], s[0:1], s7, v6, v[2:3]
	v_and_b32_e32 v3, 0x3ff, v0
	v_cmp_gt_u32_e64 s[0:1], s13, v3
	v_pk_mov_b32 v[0:1], 0, 0
	s_and_b64 s[4:5], vcc, s[0:1]
	v_mov_b32_e32 v10, 0
	v_mov_b32_e32 v5, 0
	v_pk_mov_b32 v[6:7], v[0:1], v[0:1] op_sel:[0,1]
	s_and_saveexec_b64 s[6:7], s[4:5]
	s_cbranch_execz .LBB66_6
; %bb.5:
	v_mad_u64_u32 v[6:7], s[2:3], v3, s14, v[4:5]
	v_mov_b32_e32 v7, 0
	v_lshlrev_b64 v[12:13], 1, v[6:7]
	v_mov_b32_e32 v5, s9
	v_add_co_u32_e64 v12, s[2:3], s8, v12
	v_addc_co_u32_e64 v13, s[2:3], v5, v13, s[2:3]
	global_load_ushort v5, v[12:13], off
	v_mad_u64_u32 v[12:13], s[2:3], v3, s15, v[2:3]
	v_mov_b32_e32 v13, v7
	v_lshlrev_b64 v[6:7], 3, v[12:13]
	v_mov_b32_e32 v9, s11
	v_add_co_u32_e64 v6, s[2:3], s10, v6
	v_addc_co_u32_e64 v7, s[2:3], v9, v7, s[2:3]
	global_load_dwordx2 v[6:7], v[6:7], off
.LBB66_6:
	s_or_b64 exec, exec, s[6:7]
	v_mov_b32_e32 v9, 0x1000
	v_lshl_add_u32 v16, v8, 6, v9
	v_mov_b32_e32 v9, 0x1400
	v_lshl_add_u32 v15, v8, 5, v9
	v_lshl_add_u32 v9, v3, 1, v16
	s_and_b32 s16, 0xffff, s12
	v_cndmask_b32_e64 v11, 0, 1, s[4:5]
	s_waitcnt vmcnt(1)
	ds_write_b16 v9, v5
	v_add_u32_e32 v5, v15, v3
	ds_write_b8 v5, v11
	v_add_u32_e32 v5, s16, v3
	v_lshlrev_b32_e32 v13, 8, v8
	v_cmp_gt_u32_e64 s[2:3], s13, v5
	v_lshl_add_u32 v8, v3, 3, v13
	s_and_b64 s[6:7], vcc, s[2:3]
	s_waitcnt vmcnt(0)
	ds_write_b64 v8, v[6:7]
	s_and_saveexec_b64 s[12:13], s[6:7]
	s_cbranch_execz .LBB66_8
; %bb.7:
	v_mad_u64_u32 v[0:1], s[4:5], v5, s14, v[4:5]
	v_mov_b32_e32 v1, 0
	v_lshlrev_b64 v[6:7], 1, v[0:1]
	v_mov_b32_e32 v0, s9
	v_add_co_u32_e64 v6, s[4:5], s8, v6
	v_addc_co_u32_e64 v7, s[4:5], v0, v7, s[4:5]
	global_load_ushort v10, v[6:7], off
	v_mad_u64_u32 v[6:7], s[4:5], v5, s15, v[2:3]
	v_mov_b32_e32 v7, v1
	v_lshlrev_b64 v[0:1], 3, v[6:7]
	v_mov_b32_e32 v6, s11
	v_add_co_u32_e64 v0, s[4:5], s10, v0
	v_addc_co_u32_e64 v1, s[4:5], v6, v1, s[4:5]
	global_load_dwordx2 v[0:1], v[0:1], off
.LBB66_8:
	s_or_b64 exec, exec, s[12:13]
	v_lshl_add_u32 v6, s16, 3, v8
	v_lshlrev_b32_e32 v17, 1, v3
	v_cndmask_b32_e64 v11, 0, 1, s[6:7]
	v_lshl_add_u32 v7, s16, 1, v9
	s_waitcnt vmcnt(0)
	ds_write_b64 v6, v[0:1]
	v_add_u32_e32 v0, v15, v5
	v_add_u32_e32 v1, v9, v17
	ds_write_b16 v7, v10
	ds_write_b8 v0, v11
	s_waitcnt lgkmcnt(0)
	s_barrier
	ds_read_b32 v11, v1
	s_mov_b32 s16, 1
	s_waitcnt lgkmcnt(0)
	v_lshlrev_b32_e32 v0, 16, v11
	v_and_b32_e32 v10, 0xffff0000, v11
	v_cmp_u_f32_e64 s[4:5], v10, v10
	v_cmp_o_f32_e64 s[6:7], v0, v0
	s_and_b64 s[6:7], s[4:5], s[6:7]
	v_cmp_lt_f32_e64 s[4:5], v0, v10
	s_or_b64 s[4:5], s[6:7], s[4:5]
	s_xor_b64 s[6:7], s[4:5], -1
	v_add_u32_e32 v0, v15, v17
	s_and_saveexec_b64 s[12:13], s[4:5]
	s_xor_b64 s[12:13], exec, s[12:13]
	s_cbranch_execz .LBB66_10
; %bb.9:
	ds_read_u8 v10, v0
	s_andn2_b64 s[6:7], s[6:7], exec
	s_waitcnt lgkmcnt(0)
	v_and_b32_e32 v10, 1, v10
	v_cmp_eq_u32_e64 s[4:5], 1, v10
	s_xor_b64 s[4:5], s[4:5], -1
	s_and_b64 s[4:5], s[4:5], exec
	s_or_b64 s[6:7], s[6:7], s[4:5]
.LBB66_10:
	s_or_b64 exec, exec, s[12:13]
	v_mov_b32_e32 v14, s16
	s_and_saveexec_b64 s[4:5], s[6:7]
	s_cbranch_execz .LBB66_12
; %bb.11:
	ds_read_u8 v10, v0 offset:1
	s_waitcnt lgkmcnt(0)
	v_xor_b32_e32 v14, 1, v10
.LBB66_12:
	s_or_b64 exec, exec, s[4:5]
	v_and_b32_e32 v12, 1, v3
	v_lshlrev_b32_e32 v10, 3, v3
	v_cmp_eq_u32_e64 s[4:5], v14, v12
	s_and_saveexec_b64 s[6:7], s[4:5]
	s_cbranch_execz .LBB66_14
; %bb.13:
	v_add_u32_e32 v14, v8, v10
	v_alignbit_b32 v11, v11, v11, 16
	ds_read_b128 v[18:21], v14
	ds_write_b32 v1, v11
	ds_read_u16 v11, v0
	s_mov_b32 s4, 0xc0c0001
	s_waitcnt lgkmcnt(2)
	v_mov_b32_e32 v22, v18
	v_mov_b32_e32 v23, v19
	s_waitcnt lgkmcnt(0)
	v_perm_b32 v11, 0, v11, s4
	ds_write_b128 v14, v[20:23]
	ds_write_b16 v0, v11
.LBB66_14:
	s_or_b64 exec, exec, s[6:7]
	v_sub_u32_e32 v14, v17, v12
	v_lshl_add_u32 v11, v14, 1, v16
	s_waitcnt lgkmcnt(0)
	s_barrier
	ds_read_u16 v19, v11
	ds_read_u16 v20, v11 offset:4
                                        ; implicit-def: $sgpr12
	s_waitcnt lgkmcnt(1)
	v_lshlrev_b32_e32 v12, 16, v19
	s_waitcnt lgkmcnt(0)
	v_lshlrev_b32_e32 v18, 16, v20
	v_cmp_u_f32_e64 s[4:5], v18, v18
	v_cmp_o_f32_e64 s[6:7], v12, v12
	s_and_b64 s[6:7], s[4:5], s[6:7]
	v_cmp_lt_f32_e64 s[4:5], v12, v18
	s_or_b64 s[6:7], s[6:7], s[4:5]
	s_mov_b64 s[4:5], -1
	v_add_u32_e32 v12, v15, v14
	s_and_saveexec_b64 s[16:17], s[6:7]
	s_xor_b64 s[6:7], exec, s[16:17]
	s_cbranch_execz .LBB66_16
; %bb.15:
	ds_read_u8 v18, v12
	s_mov_b32 s12, 1
	s_waitcnt lgkmcnt(0)
	v_and_b32_e32 v18, 1, v18
	v_cmp_eq_u32_e64 s[4:5], 1, v18
	s_xor_b64 s[4:5], s[4:5], -1
	s_orn2_b64 s[4:5], s[4:5], exec
.LBB66_16:
	s_or_b64 exec, exec, s[6:7]
	v_mov_b32_e32 v21, s12
	s_and_saveexec_b64 s[6:7], s[4:5]
	s_cbranch_execz .LBB66_18
; %bb.17:
	ds_read_u8 v18, v12 offset:2
	s_waitcnt lgkmcnt(0)
	v_xor_b32_e32 v21, 1, v18
.LBB66_18:
	s_or_b64 exec, exec, s[6:7]
	v_bfe_u32 v18, v3, 1, 1
	v_lshl_add_u32 v14, v14, 3, v13
	v_cmp_eq_u32_e64 s[4:5], v21, v18
	s_and_saveexec_b64 s[6:7], s[4:5]
	s_cbranch_execz .LBB66_20
; %bb.19:
	ds_read2_b64 v[22:25], v14 offset1:2
	ds_read_u8 v21, v12 offset:2
	ds_read_u8 v26, v12
	ds_write_b16 v11, v20
	ds_write_b16 v11, v19 offset:4
	s_waitcnt lgkmcnt(4)
	ds_write2_b64 v14, v[24:25], v[22:23] offset1:2
	s_waitcnt lgkmcnt(4)
	ds_write_b8 v12, v21
	s_waitcnt lgkmcnt(4)
	ds_write_b8 v12, v26 offset:2
.LBB66_20:
	s_or_b64 exec, exec, s[6:7]
	s_waitcnt lgkmcnt(0)
	s_barrier
	ds_read_b32 v19, v1
                                        ; implicit-def: $sgpr16
	s_waitcnt lgkmcnt(0)
	v_lshlrev_b32_e32 v20, 16, v19
	v_and_b32_e32 v21, 0xffff0000, v19
	v_cmp_u_f32_e64 s[4:5], v21, v21
	v_cmp_o_f32_e64 s[6:7], v20, v20
	s_and_b64 s[6:7], s[4:5], s[6:7]
	v_cmp_lt_f32_e64 s[4:5], v20, v21
	s_or_b64 s[4:5], s[6:7], s[4:5]
	s_xor_b64 s[6:7], s[4:5], -1
	s_and_saveexec_b64 s[12:13], s[4:5]
	s_cbranch_execnz .LBB66_87
; %bb.21:
	s_or_b64 exec, exec, s[12:13]
	v_mov_b32_e32 v20, s16
	s_and_saveexec_b64 s[4:5], s[6:7]
	s_cbranch_execnz .LBB66_88
.LBB66_22:
	s_or_b64 exec, exec, s[4:5]
	v_cmp_eq_u32_e64 s[4:5], v20, v18
	s_and_saveexec_b64 s[6:7], s[4:5]
	s_cbranch_execz .LBB66_24
.LBB66_23:
	v_add_u32_e32 v24, v8, v10
	ds_read_b128 v[20:23], v24
	ds_read_u16 v25, v0
	v_alignbit_b32 v18, v19, v19, 16
	ds_write_b32 v1, v18
	s_mov_b32 s4, 0xc0c0001
	s_waitcnt lgkmcnt(2)
	v_mov_b32_e32 v18, v22
	v_mov_b32_e32 v19, v23
	ds_write_b128 v24, v[18:21]
	s_waitcnt lgkmcnt(2)
	v_perm_b32 v18, 0, v25, s4
	ds_write_b16 v0, v18
.LBB66_24:
	s_or_b64 exec, exec, s[6:7]
	v_and_b32_e32 v18, 3, v3
	v_sub_u32_e32 v20, v17, v18
	v_lshl_add_u32 v18, v20, 1, v16
	s_waitcnt lgkmcnt(0)
	s_barrier
	ds_read_u16 v22, v18
	ds_read_u16 v23, v18 offset:8
	s_mov_b32 s16, 1
	s_waitcnt lgkmcnt(1)
	v_lshlrev_b32_e32 v19, 16, v22
	s_waitcnt lgkmcnt(0)
	v_lshlrev_b32_e32 v21, 16, v23
	v_cmp_u_f32_e64 s[4:5], v21, v21
	v_cmp_o_f32_e64 s[6:7], v19, v19
	s_and_b64 s[6:7], s[4:5], s[6:7]
	v_cmp_lt_f32_e64 s[4:5], v19, v21
	s_or_b64 s[4:5], s[6:7], s[4:5]
	s_xor_b64 s[6:7], s[4:5], -1
	v_add_u32_e32 v19, v15, v20
	s_and_saveexec_b64 s[12:13], s[4:5]
	s_cbranch_execz .LBB66_26
; %bb.25:
	ds_read_u8 v21, v19
	s_andn2_b64 s[6:7], s[6:7], exec
	s_waitcnt lgkmcnt(0)
	v_and_b32_e32 v21, 1, v21
	v_cmp_eq_u32_e64 s[4:5], 1, v21
	s_xor_b64 s[4:5], s[4:5], -1
	s_and_b64 s[4:5], s[4:5], exec
	s_or_b64 s[6:7], s[6:7], s[4:5]
.LBB66_26:
	s_or_b64 exec, exec, s[12:13]
	v_mov_b32_e32 v24, s16
	s_and_saveexec_b64 s[4:5], s[6:7]
	s_cbranch_execz .LBB66_28
; %bb.27:
	ds_read_u8 v21, v19 offset:4
	s_waitcnt lgkmcnt(0)
	v_xor_b32_e32 v24, 1, v21
.LBB66_28:
	s_or_b64 exec, exec, s[4:5]
	v_bfe_u32 v21, v3, 2, 1
	v_lshl_add_u32 v20, v20, 3, v13
	v_cmp_eq_u32_e64 s[4:5], v24, v21
	s_and_saveexec_b64 s[6:7], s[4:5]
	s_cbranch_execz .LBB66_30
; %bb.29:
	ds_read2_b64 v[24:27], v20 offset1:4
	ds_read_u8 v28, v19 offset:4
	ds_read_u8 v29, v19
	ds_write_b16 v18, v23
	ds_write_b16 v18, v22 offset:8
	s_waitcnt lgkmcnt(4)
	ds_write2_b64 v20, v[26:27], v[24:25] offset1:4
	s_waitcnt lgkmcnt(4)
	ds_write_b8 v19, v28
	s_waitcnt lgkmcnt(4)
	ds_write_b8 v19, v29 offset:4
.LBB66_30:
	s_or_b64 exec, exec, s[6:7]
	s_waitcnt lgkmcnt(0)
	s_barrier
	ds_read_u16 v22, v11
	ds_read_u16 v23, v11 offset:4
                                        ; implicit-def: $sgpr16
	s_waitcnt lgkmcnt(1)
	v_lshlrev_b32_e32 v24, 16, v22
	s_waitcnt lgkmcnt(0)
	v_lshlrev_b32_e32 v25, 16, v23
	v_cmp_u_f32_e64 s[4:5], v25, v25
	v_cmp_o_f32_e64 s[6:7], v24, v24
	s_and_b64 s[6:7], s[4:5], s[6:7]
	v_cmp_lt_f32_e64 s[4:5], v24, v25
	s_or_b64 s[4:5], s[6:7], s[4:5]
	s_xor_b64 s[6:7], s[4:5], -1
	s_and_saveexec_b64 s[12:13], s[4:5]
	s_cbranch_execnz .LBB66_89
; %bb.31:
	s_or_b64 exec, exec, s[12:13]
	v_mov_b32_e32 v24, s16
	s_and_saveexec_b64 s[4:5], s[6:7]
	s_cbranch_execnz .LBB66_90
.LBB66_32:
	s_or_b64 exec, exec, s[4:5]
	v_cmp_eq_u32_e64 s[4:5], v24, v21
	s_and_saveexec_b64 s[6:7], s[4:5]
	s_cbranch_execz .LBB66_34
.LBB66_33:
	ds_read2_b64 v[24:27], v14 offset1:2
	ds_read_u8 v28, v12 offset:2
	ds_read_u8 v29, v12
	ds_write_b16 v11, v23
	ds_write_b16 v11, v22 offset:4
	s_waitcnt lgkmcnt(4)
	ds_write2_b64 v14, v[26:27], v[24:25] offset1:2
	s_waitcnt lgkmcnt(4)
	ds_write_b8 v12, v28
	s_waitcnt lgkmcnt(4)
	ds_write_b8 v12, v29 offset:2
.LBB66_34:
	s_or_b64 exec, exec, s[6:7]
	s_waitcnt lgkmcnt(0)
	s_barrier
	ds_read_b32 v22, v1
                                        ; implicit-def: $sgpr16
	s_waitcnt lgkmcnt(0)
	v_lshlrev_b32_e32 v23, 16, v22
	v_and_b32_e32 v24, 0xffff0000, v22
	v_cmp_u_f32_e64 s[4:5], v24, v24
	v_cmp_o_f32_e64 s[6:7], v23, v23
	s_and_b64 s[6:7], s[4:5], s[6:7]
	v_cmp_lt_f32_e64 s[4:5], v23, v24
	s_or_b64 s[4:5], s[6:7], s[4:5]
	s_xor_b64 s[6:7], s[4:5], -1
	s_and_saveexec_b64 s[12:13], s[4:5]
	s_cbranch_execnz .LBB66_91
; %bb.35:
	s_or_b64 exec, exec, s[12:13]
	v_mov_b32_e32 v23, s16
	s_and_saveexec_b64 s[4:5], s[6:7]
	s_cbranch_execnz .LBB66_92
.LBB66_36:
	s_or_b64 exec, exec, s[4:5]
	v_cmp_eq_u32_e64 s[4:5], v23, v21
	s_and_saveexec_b64 s[6:7], s[4:5]
	s_cbranch_execz .LBB66_38
.LBB66_37:
	v_add_u32_e32 v21, v8, v10
	ds_read_b128 v[24:27], v21
	ds_read_u16 v28, v0
	v_alignbit_b32 v22, v22, v22, 16
	ds_write_b32 v1, v22
	s_mov_b32 s4, 0xc0c0001
	s_waitcnt lgkmcnt(2)
	v_mov_b32_e32 v22, v26
	v_mov_b32_e32 v23, v27
	ds_write_b128 v21, v[22:25]
	s_waitcnt lgkmcnt(2)
	v_perm_b32 v21, 0, v28, s4
	ds_write_b16 v0, v21
.LBB66_38:
	s_or_b64 exec, exec, s[6:7]
	v_and_b32_e32 v21, 7, v3
	v_sub_u32_e32 v23, v17, v21
	v_lshl_add_u32 v21, v23, 1, v16
	s_waitcnt lgkmcnt(0)
	s_barrier
	ds_read_u16 v25, v21
	ds_read_u16 v26, v21 offset:16
	s_mov_b32 s16, 1
	s_waitcnt lgkmcnt(1)
	v_lshlrev_b32_e32 v22, 16, v25
	s_waitcnt lgkmcnt(0)
	v_lshlrev_b32_e32 v24, 16, v26
	v_cmp_u_f32_e64 s[4:5], v24, v24
	v_cmp_o_f32_e64 s[6:7], v22, v22
	s_and_b64 s[6:7], s[4:5], s[6:7]
	v_cmp_lt_f32_e64 s[4:5], v22, v24
	s_or_b64 s[4:5], s[6:7], s[4:5]
	s_xor_b64 s[6:7], s[4:5], -1
	v_add_u32_e32 v22, v15, v23
	s_and_saveexec_b64 s[12:13], s[4:5]
	s_cbranch_execz .LBB66_40
; %bb.39:
	ds_read_u8 v24, v22
	s_andn2_b64 s[6:7], s[6:7], exec
	s_waitcnt lgkmcnt(0)
	v_and_b32_e32 v24, 1, v24
	v_cmp_eq_u32_e64 s[4:5], 1, v24
	s_xor_b64 s[4:5], s[4:5], -1
	s_and_b64 s[4:5], s[4:5], exec
	s_or_b64 s[6:7], s[6:7], s[4:5]
.LBB66_40:
	s_or_b64 exec, exec, s[12:13]
	v_mov_b32_e32 v27, s16
	s_and_saveexec_b64 s[4:5], s[6:7]
	s_cbranch_execz .LBB66_42
; %bb.41:
	ds_read_u8 v24, v22 offset:8
	s_waitcnt lgkmcnt(0)
	v_xor_b32_e32 v27, 1, v24
.LBB66_42:
	s_or_b64 exec, exec, s[4:5]
	v_bfe_u32 v24, v3, 3, 1
	v_lshl_add_u32 v23, v23, 3, v13
	v_cmp_eq_u32_e64 s[4:5], v27, v24
	s_and_saveexec_b64 s[6:7], s[4:5]
	s_cbranch_execz .LBB66_44
; %bb.43:
	ds_read2_b64 v[28:31], v23 offset1:8
	ds_read_u8 v27, v22 offset:8
	ds_read_u8 v32, v22
	ds_write_b16 v21, v26
	ds_write_b16 v21, v25 offset:16
	s_waitcnt lgkmcnt(4)
	ds_write2_b64 v23, v[30:31], v[28:29] offset1:8
	s_waitcnt lgkmcnt(4)
	ds_write_b8 v22, v27
	s_waitcnt lgkmcnt(4)
	ds_write_b8 v22, v32 offset:8
.LBB66_44:
	s_or_b64 exec, exec, s[6:7]
	s_waitcnt lgkmcnt(0)
	s_barrier
	ds_read_u16 v25, v18
	ds_read_u16 v26, v18 offset:8
                                        ; implicit-def: $sgpr16
	s_waitcnt lgkmcnt(1)
	v_lshlrev_b32_e32 v27, 16, v25
	s_waitcnt lgkmcnt(0)
	v_lshlrev_b32_e32 v28, 16, v26
	v_cmp_u_f32_e64 s[4:5], v28, v28
	v_cmp_o_f32_e64 s[6:7], v27, v27
	s_and_b64 s[6:7], s[4:5], s[6:7]
	v_cmp_lt_f32_e64 s[4:5], v27, v28
	s_or_b64 s[4:5], s[6:7], s[4:5]
	s_xor_b64 s[6:7], s[4:5], -1
	s_and_saveexec_b64 s[12:13], s[4:5]
	s_cbranch_execnz .LBB66_93
; %bb.45:
	s_or_b64 exec, exec, s[12:13]
	v_mov_b32_e32 v27, s16
	s_and_saveexec_b64 s[4:5], s[6:7]
	s_cbranch_execnz .LBB66_94
.LBB66_46:
	s_or_b64 exec, exec, s[4:5]
	v_cmp_eq_u32_e64 s[4:5], v27, v24
	s_and_saveexec_b64 s[6:7], s[4:5]
	s_cbranch_execz .LBB66_48
.LBB66_47:
	ds_read2_b64 v[28:31], v20 offset1:4
	ds_read_u8 v27, v19 offset:4
	ds_read_u8 v32, v19
	ds_write_b16 v18, v26
	ds_write_b16 v18, v25 offset:8
	s_waitcnt lgkmcnt(4)
	ds_write2_b64 v20, v[30:31], v[28:29] offset1:4
	s_waitcnt lgkmcnt(4)
	ds_write_b8 v19, v27
	s_waitcnt lgkmcnt(4)
	ds_write_b8 v19, v32 offset:4
.LBB66_48:
	s_or_b64 exec, exec, s[6:7]
	s_waitcnt lgkmcnt(0)
	s_barrier
	ds_read_u16 v25, v11
	ds_read_u16 v26, v11 offset:4
                                        ; implicit-def: $sgpr16
	s_waitcnt lgkmcnt(1)
	v_lshlrev_b32_e32 v27, 16, v25
	s_waitcnt lgkmcnt(0)
	v_lshlrev_b32_e32 v28, 16, v26
	v_cmp_u_f32_e64 s[4:5], v28, v28
	v_cmp_o_f32_e64 s[6:7], v27, v27
	s_and_b64 s[6:7], s[4:5], s[6:7]
	v_cmp_lt_f32_e64 s[4:5], v27, v28
	s_or_b64 s[4:5], s[6:7], s[4:5]
	s_xor_b64 s[6:7], s[4:5], -1
	s_and_saveexec_b64 s[12:13], s[4:5]
	s_cbranch_execnz .LBB66_95
; %bb.49:
	s_or_b64 exec, exec, s[12:13]
	v_mov_b32_e32 v27, s16
	s_and_saveexec_b64 s[4:5], s[6:7]
	s_cbranch_execnz .LBB66_96
.LBB66_50:
	s_or_b64 exec, exec, s[4:5]
	v_cmp_eq_u32_e64 s[4:5], v27, v24
	s_and_saveexec_b64 s[6:7], s[4:5]
	s_cbranch_execz .LBB66_52
.LBB66_51:
	ds_read2_b64 v[28:31], v14 offset1:2
	ds_read_u8 v27, v12 offset:2
	ds_read_u8 v32, v12
	ds_write_b16 v11, v26
	ds_write_b16 v11, v25 offset:4
	s_waitcnt lgkmcnt(4)
	ds_write2_b64 v14, v[30:31], v[28:29] offset1:2
	s_waitcnt lgkmcnt(4)
	ds_write_b8 v12, v27
	s_waitcnt lgkmcnt(4)
	ds_write_b8 v12, v32 offset:2
.LBB66_52:
	s_or_b64 exec, exec, s[6:7]
	s_waitcnt lgkmcnt(0)
	s_barrier
	ds_read_b32 v25, v1
                                        ; implicit-def: $sgpr16
	s_waitcnt lgkmcnt(0)
	v_lshlrev_b32_e32 v26, 16, v25
	v_and_b32_e32 v27, 0xffff0000, v25
	v_cmp_u_f32_e64 s[4:5], v27, v27
	v_cmp_o_f32_e64 s[6:7], v26, v26
	s_and_b64 s[6:7], s[4:5], s[6:7]
	v_cmp_lt_f32_e64 s[4:5], v26, v27
	s_or_b64 s[4:5], s[6:7], s[4:5]
	s_xor_b64 s[6:7], s[4:5], -1
	s_and_saveexec_b64 s[12:13], s[4:5]
	s_cbranch_execnz .LBB66_97
; %bb.53:
	s_or_b64 exec, exec, s[12:13]
	v_mov_b32_e32 v26, s16
	s_and_saveexec_b64 s[4:5], s[6:7]
	s_cbranch_execnz .LBB66_98
.LBB66_54:
	s_or_b64 exec, exec, s[4:5]
	v_cmp_eq_u32_e64 s[4:5], v26, v24
	s_and_saveexec_b64 s[6:7], s[4:5]
	s_cbranch_execz .LBB66_56
.LBB66_55:
	v_add_u32_e32 v30, v8, v10
	ds_read_b128 v[26:29], v30
	ds_read_u16 v31, v0
	v_alignbit_b32 v24, v25, v25, 16
	ds_write_b32 v1, v24
	s_mov_b32 s4, 0xc0c0001
	s_waitcnt lgkmcnt(2)
	v_mov_b32_e32 v24, v28
	v_mov_b32_e32 v25, v29
	ds_write_b128 v30, v[24:27]
	s_waitcnt lgkmcnt(2)
	v_perm_b32 v24, 0, v31, s4
	ds_write_b16 v0, v24
.LBB66_56:
	s_or_b64 exec, exec, s[6:7]
	v_and_b32_e32 v24, 15, v3
	v_sub_u32_e32 v25, v17, v24
	v_lshl_add_u32 v16, v25, 1, v16
	s_waitcnt lgkmcnt(0)
	s_barrier
	ds_read_u16 v17, v16
	ds_read_u16 v24, v16 offset:32
	v_add_u32_e32 v15, v15, v25
	s_waitcnt lgkmcnt(1)
	v_lshlrev_b32_e32 v26, 16, v17
	s_waitcnt lgkmcnt(0)
	v_lshlrev_b32_e32 v27, 16, v24
	v_cmp_u_f32_e64 s[4:5], v27, v27
	v_cmp_o_f32_e64 s[6:7], v26, v26
	s_and_b64 s[6:7], s[4:5], s[6:7]
	v_cmp_lt_f32_e64 s[4:5], v26, v27
	s_or_b64 s[4:5], s[6:7], s[4:5]
	s_xor_b64 s[12:13], s[4:5], -1
	s_and_saveexec_b64 s[6:7], s[4:5]
	s_cbranch_execz .LBB66_58
; %bb.57:
	ds_read_u8 v26, v15
	s_andn2_b64 s[12:13], s[12:13], exec
	s_waitcnt lgkmcnt(0)
	v_and_b32_e32 v26, 1, v26
	v_cmp_eq_u32_e64 s[4:5], 1, v26
	s_xor_b64 s[4:5], s[4:5], -1
	s_and_b64 s[4:5], s[4:5], exec
	s_or_b64 s[12:13], s[12:13], s[4:5]
.LBB66_58:
	s_or_b64 exec, exec, s[6:7]
	s_and_saveexec_b64 s[6:7], s[12:13]
	s_cbranch_execz .LBB66_61
; %bb.59:
	ds_read_u8 v26, v15 offset:16
	s_waitcnt lgkmcnt(0)
	v_cmp_ne_u16_e64 s[4:5], 0, v26
	s_and_b64 exec, exec, s[4:5]
	s_cbranch_execz .LBB66_61
; %bb.60:
	v_lshl_add_u32 v13, v25, 3, v13
	ds_read2_b64 v[28:31], v13 offset1:16
	ds_read_u8 v25, v15
	ds_write_b16 v16, v24
	ds_write_b16 v16, v17 offset:32
	ds_write_b8 v15, v26
	s_waitcnt lgkmcnt(4)
	ds_write2_b64 v13, v[30:31], v[28:29] offset1:16
	s_waitcnt lgkmcnt(4)
	ds_write_b8 v15, v25 offset:16
.LBB66_61:
	s_or_b64 exec, exec, s[6:7]
	s_waitcnt lgkmcnt(0)
	s_barrier
	ds_read_u16 v13, v21
	ds_read_u16 v15, v21 offset:16
	s_waitcnt lgkmcnt(1)
	v_lshlrev_b32_e32 v16, 16, v13
	s_waitcnt lgkmcnt(0)
	v_lshlrev_b32_e32 v17, 16, v15
	v_cmp_u_f32_e64 s[4:5], v17, v17
	v_cmp_o_f32_e64 s[6:7], v16, v16
	s_and_b64 s[6:7], s[4:5], s[6:7]
	v_cmp_lt_f32_e64 s[4:5], v16, v17
	s_or_b64 s[4:5], s[6:7], s[4:5]
	s_xor_b64 s[12:13], s[4:5], -1
	s_and_saveexec_b64 s[6:7], s[4:5]
	s_cbranch_execz .LBB66_63
; %bb.62:
	ds_read_u8 v16, v22
	s_andn2_b64 s[12:13], s[12:13], exec
	s_waitcnt lgkmcnt(0)
	v_and_b32_e32 v16, 1, v16
	v_cmp_eq_u32_e64 s[4:5], 1, v16
	s_xor_b64 s[4:5], s[4:5], -1
	s_and_b64 s[4:5], s[4:5], exec
	s_or_b64 s[12:13], s[12:13], s[4:5]
.LBB66_63:
	s_or_b64 exec, exec, s[6:7]
	s_and_saveexec_b64 s[6:7], s[12:13]
	s_cbranch_execz .LBB66_66
; %bb.64:
	ds_read_u8 v16, v22 offset:8
	s_waitcnt lgkmcnt(0)
	v_cmp_ne_u16_e64 s[4:5], 0, v16
	s_and_b64 exec, exec, s[4:5]
	s_cbranch_execz .LBB66_66
; %bb.65:
	ds_read2_b64 v[24:27], v23 offset1:8
	ds_read_u8 v17, v22
	ds_write_b16 v21, v15
	ds_write_b16 v21, v13 offset:16
	ds_write_b8 v22, v16
	s_waitcnt lgkmcnt(4)
	ds_write2_b64 v23, v[26:27], v[24:25] offset1:8
	s_waitcnt lgkmcnt(4)
	ds_write_b8 v22, v17 offset:8
.LBB66_66:
	s_or_b64 exec, exec, s[6:7]
	s_waitcnt lgkmcnt(0)
	s_barrier
	ds_read_u16 v13, v18
	ds_read_u16 v15, v18 offset:8
	s_waitcnt lgkmcnt(1)
	v_lshlrev_b32_e32 v16, 16, v13
	s_waitcnt lgkmcnt(0)
	v_lshlrev_b32_e32 v17, 16, v15
	v_cmp_u_f32_e64 s[4:5], v17, v17
	v_cmp_o_f32_e64 s[6:7], v16, v16
	s_and_b64 s[6:7], s[4:5], s[6:7]
	v_cmp_lt_f32_e64 s[4:5], v16, v17
	s_or_b64 s[4:5], s[6:7], s[4:5]
	s_xor_b64 s[12:13], s[4:5], -1
	s_and_saveexec_b64 s[6:7], s[4:5]
	s_cbranch_execz .LBB66_68
; %bb.67:
	ds_read_u8 v16, v19
	s_andn2_b64 s[12:13], s[12:13], exec
	s_waitcnt lgkmcnt(0)
	v_and_b32_e32 v16, 1, v16
	v_cmp_eq_u32_e64 s[4:5], 1, v16
	s_xor_b64 s[4:5], s[4:5], -1
	s_and_b64 s[4:5], s[4:5], exec
	s_or_b64 s[12:13], s[12:13], s[4:5]
.LBB66_68:
	s_or_b64 exec, exec, s[6:7]
	s_and_saveexec_b64 s[6:7], s[12:13]
	s_cbranch_execz .LBB66_71
; %bb.69:
	ds_read_u8 v16, v19 offset:4
	s_waitcnt lgkmcnt(0)
	v_cmp_ne_u16_e64 s[4:5], 0, v16
	s_and_b64 exec, exec, s[4:5]
	s_cbranch_execz .LBB66_71
; %bb.70:
	ds_read2_b64 v[22:25], v20 offset1:4
	ds_read_u8 v17, v19
	ds_write_b16 v18, v15
	ds_write_b16 v18, v13 offset:8
	ds_write_b8 v19, v16
	s_waitcnt lgkmcnt(4)
	ds_write2_b64 v20, v[24:25], v[22:23] offset1:4
	s_waitcnt lgkmcnt(4)
	ds_write_b8 v19, v17 offset:4
.LBB66_71:
	;; [unrolled: 47-line block ×3, first 2 shown]
	s_or_b64 exec, exec, s[6:7]
	s_waitcnt lgkmcnt(0)
	s_barrier
	ds_read_b32 v11, v1
	s_waitcnt lgkmcnt(0)
	v_lshlrev_b32_e32 v12, 16, v11
	v_and_b32_e32 v13, 0xffff0000, v11
	v_cmp_u_f32_e64 s[4:5], v13, v13
	v_cmp_o_f32_e64 s[6:7], v12, v12
	s_and_b64 s[6:7], s[4:5], s[6:7]
	v_cmp_lt_f32_e64 s[4:5], v12, v13
	s_or_b64 s[4:5], s[6:7], s[4:5]
	s_xor_b64 s[12:13], s[4:5], -1
	s_and_saveexec_b64 s[6:7], s[4:5]
	s_cbranch_execz .LBB66_78
; %bb.77:
	ds_read_u8 v12, v0
	s_andn2_b64 s[12:13], s[12:13], exec
	s_waitcnt lgkmcnt(0)
	v_and_b32_e32 v12, 1, v12
	v_cmp_eq_u32_e64 s[4:5], 1, v12
	s_xor_b64 s[4:5], s[4:5], -1
	s_and_b64 s[4:5], s[4:5], exec
	s_or_b64 s[12:13], s[12:13], s[4:5]
.LBB66_78:
	s_or_b64 exec, exec, s[6:7]
	s_and_saveexec_b64 s[6:7], s[12:13]
	s_cbranch_execz .LBB66_81
; %bb.79:
	ds_read_u8 v12, v0 offset:1
	s_waitcnt lgkmcnt(0)
	v_cmp_ne_u16_e64 s[4:5], 0, v12
	s_and_b64 exec, exec, s[4:5]
	s_cbranch_execz .LBB66_81
; %bb.80:
	v_add_u32_e32 v10, v8, v10
	v_alignbit_b32 v11, v11, v11, 16
	ds_read_b128 v[14:17], v10
	ds_write_b32 v1, v11
	ds_read_u8 v1, v0
	s_waitcnt lgkmcnt(2)
	v_mov_b32_e32 v18, v14
	v_mov_b32_e32 v19, v15
	s_waitcnt lgkmcnt(0)
	v_lshlrev_b16_e32 v1, 8, v1
	v_or_b32_e32 v1, v12, v1
	ds_write_b128 v10, v[16:19]
	ds_write_b16 v0, v1
.LBB66_81:
	s_or_b64 exec, exec, s[6:7]
	s_waitcnt lgkmcnt(0)
	s_barrier
	s_and_saveexec_b64 s[4:5], vcc
	s_cbranch_execz .LBB66_86
; %bb.82:
	s_and_saveexec_b64 s[4:5], s[0:1]
	s_cbranch_execz .LBB66_84
; %bb.83:
	v_mad_u64_u32 v[0:1], s[0:1], v3, s14, v[4:5]
	ds_read_u16 v12, v9
	v_mov_b32_e32 v1, 0
	v_lshlrev_b64 v[10:11], 1, v[0:1]
	v_mov_b32_e32 v0, s9
	v_add_co_u32_e32 v10, vcc, s8, v10
	v_addc_co_u32_e32 v11, vcc, v0, v11, vcc
	ds_read_b64 v[8:9], v8
	s_waitcnt lgkmcnt(1)
	global_store_short v[10:11], v12, off
	v_mad_u64_u32 v[10:11], s[0:1], v3, s15, v[2:3]
	v_mov_b32_e32 v11, v1
	v_lshlrev_b64 v[0:1], 3, v[10:11]
	v_mov_b32_e32 v3, s11
	v_add_co_u32_e32 v0, vcc, s10, v0
	v_addc_co_u32_e32 v1, vcc, v3, v1, vcc
	s_waitcnt lgkmcnt(0)
	global_store_dwordx2 v[0:1], v[8:9], off
.LBB66_84:
	s_or_b64 exec, exec, s[4:5]
	s_and_b64 exec, exec, s[2:3]
	s_cbranch_execz .LBB66_86
; %bb.85:
	v_mad_u64_u32 v[0:1], s[0:1], v5, s14, v[4:5]
	ds_read_u16 v3, v7
	v_mov_b32_e32 v1, 0
	v_lshlrev_b64 v[8:9], 1, v[0:1]
	v_mov_b32_e32 v0, s9
	v_add_co_u32_e32 v8, vcc, s8, v8
	v_addc_co_u32_e32 v9, vcc, v0, v9, vcc
	ds_read_b64 v[6:7], v6
	s_waitcnt lgkmcnt(1)
	global_store_short v[8:9], v3, off
	v_mad_u64_u32 v[2:3], s[0:1], v5, s15, v[2:3]
	v_mov_b32_e32 v3, v1
	v_lshlrev_b64 v[0:1], 3, v[2:3]
	v_mov_b32_e32 v2, s11
	v_add_co_u32_e32 v0, vcc, s10, v0
	v_addc_co_u32_e32 v1, vcc, v2, v1, vcc
	s_waitcnt lgkmcnt(0)
	global_store_dwordx2 v[0:1], v[6:7], off
.LBB66_86:
	s_endpgm
.LBB66_87:
	ds_read_u8 v20, v0
	s_andn2_b64 s[6:7], s[6:7], exec
	s_mov_b32 s16, 1
	s_waitcnt lgkmcnt(0)
	v_and_b32_e32 v20, 1, v20
	v_cmp_eq_u32_e64 s[4:5], 1, v20
	s_xor_b64 s[4:5], s[4:5], -1
	s_and_b64 s[4:5], s[4:5], exec
	s_or_b64 s[6:7], s[6:7], s[4:5]
	s_or_b64 exec, exec, s[12:13]
	v_mov_b32_e32 v20, s16
	s_and_saveexec_b64 s[4:5], s[6:7]
	s_cbranch_execz .LBB66_22
.LBB66_88:
	ds_read_u8 v20, v0 offset:1
	s_waitcnt lgkmcnt(0)
	v_xor_b32_e32 v20, 1, v20
	s_or_b64 exec, exec, s[4:5]
	v_cmp_eq_u32_e64 s[4:5], v20, v18
	s_and_saveexec_b64 s[6:7], s[4:5]
	s_cbranch_execnz .LBB66_23
	s_branch .LBB66_24
.LBB66_89:
	ds_read_u8 v24, v12
	s_andn2_b64 s[6:7], s[6:7], exec
	s_mov_b32 s16, 1
	s_waitcnt lgkmcnt(0)
	v_and_b32_e32 v24, 1, v24
	v_cmp_eq_u32_e64 s[4:5], 1, v24
	s_xor_b64 s[4:5], s[4:5], -1
	s_and_b64 s[4:5], s[4:5], exec
	s_or_b64 s[6:7], s[6:7], s[4:5]
	s_or_b64 exec, exec, s[12:13]
	v_mov_b32_e32 v24, s16
	s_and_saveexec_b64 s[4:5], s[6:7]
	s_cbranch_execz .LBB66_32
.LBB66_90:
	ds_read_u8 v24, v12 offset:2
	s_waitcnt lgkmcnt(0)
	v_xor_b32_e32 v24, 1, v24
	s_or_b64 exec, exec, s[4:5]
	v_cmp_eq_u32_e64 s[4:5], v24, v21
	s_and_saveexec_b64 s[6:7], s[4:5]
	s_cbranch_execnz .LBB66_33
	s_branch .LBB66_34
.LBB66_91:
	ds_read_u8 v23, v0
	s_andn2_b64 s[6:7], s[6:7], exec
	s_mov_b32 s16, 1
	s_waitcnt lgkmcnt(0)
	v_and_b32_e32 v23, 1, v23
	v_cmp_eq_u32_e64 s[4:5], 1, v23
	s_xor_b64 s[4:5], s[4:5], -1
	s_and_b64 s[4:5], s[4:5], exec
	s_or_b64 s[6:7], s[6:7], s[4:5]
	s_or_b64 exec, exec, s[12:13]
	v_mov_b32_e32 v23, s16
	s_and_saveexec_b64 s[4:5], s[6:7]
	s_cbranch_execz .LBB66_36
.LBB66_92:
	ds_read_u8 v23, v0 offset:1
	s_waitcnt lgkmcnt(0)
	v_xor_b32_e32 v23, 1, v23
	s_or_b64 exec, exec, s[4:5]
	v_cmp_eq_u32_e64 s[4:5], v23, v21
	s_and_saveexec_b64 s[6:7], s[4:5]
	s_cbranch_execnz .LBB66_37
	s_branch .LBB66_38
.LBB66_93:
	ds_read_u8 v27, v19
	s_andn2_b64 s[6:7], s[6:7], exec
	s_mov_b32 s16, 1
	s_waitcnt lgkmcnt(0)
	v_and_b32_e32 v27, 1, v27
	v_cmp_eq_u32_e64 s[4:5], 1, v27
	s_xor_b64 s[4:5], s[4:5], -1
	s_and_b64 s[4:5], s[4:5], exec
	s_or_b64 s[6:7], s[6:7], s[4:5]
	s_or_b64 exec, exec, s[12:13]
	v_mov_b32_e32 v27, s16
	s_and_saveexec_b64 s[4:5], s[6:7]
	s_cbranch_execz .LBB66_46
.LBB66_94:
	ds_read_u8 v27, v19 offset:4
	s_waitcnt lgkmcnt(0)
	v_xor_b32_e32 v27, 1, v27
	s_or_b64 exec, exec, s[4:5]
	v_cmp_eq_u32_e64 s[4:5], v27, v24
	s_and_saveexec_b64 s[6:7], s[4:5]
	s_cbranch_execnz .LBB66_47
	s_branch .LBB66_48
.LBB66_95:
	ds_read_u8 v27, v12
	s_andn2_b64 s[6:7], s[6:7], exec
	s_mov_b32 s16, 1
	s_waitcnt lgkmcnt(0)
	v_and_b32_e32 v27, 1, v27
	v_cmp_eq_u32_e64 s[4:5], 1, v27
	s_xor_b64 s[4:5], s[4:5], -1
	s_and_b64 s[4:5], s[4:5], exec
	s_or_b64 s[6:7], s[6:7], s[4:5]
	s_or_b64 exec, exec, s[12:13]
	v_mov_b32_e32 v27, s16
	s_and_saveexec_b64 s[4:5], s[6:7]
	s_cbranch_execz .LBB66_50
.LBB66_96:
	ds_read_u8 v27, v12 offset:2
	s_waitcnt lgkmcnt(0)
	v_xor_b32_e32 v27, 1, v27
	s_or_b64 exec, exec, s[4:5]
	v_cmp_eq_u32_e64 s[4:5], v27, v24
	s_and_saveexec_b64 s[6:7], s[4:5]
	s_cbranch_execnz .LBB66_51
	s_branch .LBB66_52
.LBB66_97:
	ds_read_u8 v26, v0
	s_andn2_b64 s[6:7], s[6:7], exec
	s_mov_b32 s16, 1
	s_waitcnt lgkmcnt(0)
	v_and_b32_e32 v26, 1, v26
	v_cmp_eq_u32_e64 s[4:5], 1, v26
	s_xor_b64 s[4:5], s[4:5], -1
	s_and_b64 s[4:5], s[4:5], exec
	s_or_b64 s[6:7], s[6:7], s[4:5]
	s_or_b64 exec, exec, s[12:13]
	v_mov_b32_e32 v26, s16
	s_and_saveexec_b64 s[4:5], s[6:7]
	s_cbranch_execz .LBB66_54
.LBB66_98:
	ds_read_u8 v26, v0 offset:1
	s_waitcnt lgkmcnt(0)
	v_xor_b32_e32 v26, 1, v26
	s_or_b64 exec, exec, s[4:5]
	v_cmp_eq_u32_e64 s[4:5], v26, v24
	s_and_saveexec_b64 s[6:7], s[4:5]
	s_cbranch_execnz .LBB66_55
	s_branch .LBB66_56
	.section	.rodata,"a",@progbits
	.p2align	6, 0x0
	.amdhsa_kernel _ZN2at6native20bitonicSortKVInPlaceILi2ELin1ELi16ELi16EN3c108BFloat16ElNS0_4LTOpIS3_Lb1EEEjEEvNS_4cuda6detail10TensorInfoIT3_T6_EESA_SA_SA_NS8_IT4_SA_EESA_T5_
		.amdhsa_group_segment_fixed_size 5632
		.amdhsa_private_segment_fixed_size 0
		.amdhsa_kernarg_size 712
		.amdhsa_user_sgpr_count 6
		.amdhsa_user_sgpr_private_segment_buffer 1
		.amdhsa_user_sgpr_dispatch_ptr 0
		.amdhsa_user_sgpr_queue_ptr 0
		.amdhsa_user_sgpr_kernarg_segment_ptr 1
		.amdhsa_user_sgpr_dispatch_id 0
		.amdhsa_user_sgpr_flat_scratch_init 0
		.amdhsa_user_sgpr_kernarg_preload_length 0
		.amdhsa_user_sgpr_kernarg_preload_offset 0
		.amdhsa_user_sgpr_private_segment_size 0
		.amdhsa_uses_dynamic_stack 0
		.amdhsa_system_sgpr_private_segment_wavefront_offset 0
		.amdhsa_system_sgpr_workgroup_id_x 1
		.amdhsa_system_sgpr_workgroup_id_y 1
		.amdhsa_system_sgpr_workgroup_id_z 1
		.amdhsa_system_sgpr_workgroup_info 0
		.amdhsa_system_vgpr_workitem_id 1
		.amdhsa_next_free_vgpr 33
		.amdhsa_next_free_sgpr 20
		.amdhsa_accum_offset 36
		.amdhsa_reserve_vcc 1
		.amdhsa_reserve_flat_scratch 0
		.amdhsa_float_round_mode_32 0
		.amdhsa_float_round_mode_16_64 0
		.amdhsa_float_denorm_mode_32 3
		.amdhsa_float_denorm_mode_16_64 3
		.amdhsa_dx10_clamp 1
		.amdhsa_ieee_mode 1
		.amdhsa_fp16_overflow 0
		.amdhsa_tg_split 0
		.amdhsa_exception_fp_ieee_invalid_op 0
		.amdhsa_exception_fp_denorm_src 0
		.amdhsa_exception_fp_ieee_div_zero 0
		.amdhsa_exception_fp_ieee_overflow 0
		.amdhsa_exception_fp_ieee_underflow 0
		.amdhsa_exception_fp_ieee_inexact 0
		.amdhsa_exception_int_div_zero 0
	.end_amdhsa_kernel
	.section	.text._ZN2at6native20bitonicSortKVInPlaceILi2ELin1ELi16ELi16EN3c108BFloat16ElNS0_4LTOpIS3_Lb1EEEjEEvNS_4cuda6detail10TensorInfoIT3_T6_EESA_SA_SA_NS8_IT4_SA_EESA_T5_,"axG",@progbits,_ZN2at6native20bitonicSortKVInPlaceILi2ELin1ELi16ELi16EN3c108BFloat16ElNS0_4LTOpIS3_Lb1EEEjEEvNS_4cuda6detail10TensorInfoIT3_T6_EESA_SA_SA_NS8_IT4_SA_EESA_T5_,comdat
.Lfunc_end66:
	.size	_ZN2at6native20bitonicSortKVInPlaceILi2ELin1ELi16ELi16EN3c108BFloat16ElNS0_4LTOpIS3_Lb1EEEjEEvNS_4cuda6detail10TensorInfoIT3_T6_EESA_SA_SA_NS8_IT4_SA_EESA_T5_, .Lfunc_end66-_ZN2at6native20bitonicSortKVInPlaceILi2ELin1ELi16ELi16EN3c108BFloat16ElNS0_4LTOpIS3_Lb1EEEjEEvNS_4cuda6detail10TensorInfoIT3_T6_EESA_SA_SA_NS8_IT4_SA_EESA_T5_
                                        ; -- End function
	.section	.AMDGPU.csdata,"",@progbits
; Kernel info:
; codeLenInByte = 5380
; NumSgprs: 24
; NumVgprs: 33
; NumAgprs: 0
; TotalNumVgprs: 33
; ScratchSize: 0
; MemoryBound: 0
; FloatMode: 240
; IeeeMode: 1
; LDSByteSize: 5632 bytes/workgroup (compile time only)
; SGPRBlocks: 2
; VGPRBlocks: 4
; NumSGPRsForWavesPerEU: 24
; NumVGPRsForWavesPerEU: 33
; AccumOffset: 36
; Occupancy: 8
; WaveLimiterHint : 1
; COMPUTE_PGM_RSRC2:SCRATCH_EN: 0
; COMPUTE_PGM_RSRC2:USER_SGPR: 6
; COMPUTE_PGM_RSRC2:TRAP_HANDLER: 0
; COMPUTE_PGM_RSRC2:TGID_X_EN: 1
; COMPUTE_PGM_RSRC2:TGID_Y_EN: 1
; COMPUTE_PGM_RSRC2:TGID_Z_EN: 1
; COMPUTE_PGM_RSRC2:TIDIG_COMP_CNT: 1
; COMPUTE_PGM_RSRC3_GFX90A:ACCUM_OFFSET: 8
; COMPUTE_PGM_RSRC3_GFX90A:TG_SPLIT: 0
	.section	.text._ZN2at6native20bitonicSortKVInPlaceILi2ELin1ELi16ELi16EN3c108BFloat16ElNS0_4GTOpIS3_Lb1EEEjEEvNS_4cuda6detail10TensorInfoIT3_T6_EESA_SA_SA_NS8_IT4_SA_EESA_T5_,"axG",@progbits,_ZN2at6native20bitonicSortKVInPlaceILi2ELin1ELi16ELi16EN3c108BFloat16ElNS0_4GTOpIS3_Lb1EEEjEEvNS_4cuda6detail10TensorInfoIT3_T6_EESA_SA_SA_NS8_IT4_SA_EESA_T5_,comdat
	.protected	_ZN2at6native20bitonicSortKVInPlaceILi2ELin1ELi16ELi16EN3c108BFloat16ElNS0_4GTOpIS3_Lb1EEEjEEvNS_4cuda6detail10TensorInfoIT3_T6_EESA_SA_SA_NS8_IT4_SA_EESA_T5_ ; -- Begin function _ZN2at6native20bitonicSortKVInPlaceILi2ELin1ELi16ELi16EN3c108BFloat16ElNS0_4GTOpIS3_Lb1EEEjEEvNS_4cuda6detail10TensorInfoIT3_T6_EESA_SA_SA_NS8_IT4_SA_EESA_T5_
	.globl	_ZN2at6native20bitonicSortKVInPlaceILi2ELin1ELi16ELi16EN3c108BFloat16ElNS0_4GTOpIS3_Lb1EEEjEEvNS_4cuda6detail10TensorInfoIT3_T6_EESA_SA_SA_NS8_IT4_SA_EESA_T5_
	.p2align	8
	.type	_ZN2at6native20bitonicSortKVInPlaceILi2ELin1ELi16ELi16EN3c108BFloat16ElNS0_4GTOpIS3_Lb1EEEjEEvNS_4cuda6detail10TensorInfoIT3_T6_EESA_SA_SA_NS8_IT4_SA_EESA_T5_,@function
_ZN2at6native20bitonicSortKVInPlaceILi2ELin1ELi16ELi16EN3c108BFloat16ElNS0_4GTOpIS3_Lb1EEEjEEvNS_4cuda6detail10TensorInfoIT3_T6_EESA_SA_SA_NS8_IT4_SA_EESA_T5_: ; @_ZN2at6native20bitonicSortKVInPlaceILi2ELin1ELi16ELi16EN3c108BFloat16ElNS0_4GTOpIS3_Lb1EEEjEEvNS_4cuda6detail10TensorInfoIT3_T6_EESA_SA_SA_NS8_IT4_SA_EESA_T5_
; %bb.0:
	s_load_dwordx2 s[0:1], s[4:5], 0x1c8
	s_load_dwordx4 s[12:15], s[4:5], 0xd8
	s_load_dword s9, s[4:5], 0x1d4
	s_add_u32 s2, s4, 0x1c8
	s_addc_u32 s3, s5, 0
	s_waitcnt lgkmcnt(0)
	s_mul_i32 s1, s1, s8
	s_add_i32 s1, s1, s7
	s_mul_i32 s0, s1, s0
	s_add_i32 s0, s0, s6
	s_lshr_b32 s1, s9, 16
	s_mul_i32 s0, s0, s1
	s_cmp_ge_u32 s0, s12
	s_cbranch_scc1 .LBB67_86
; %bb.1:
	s_load_dword s15, s[4:5], 0xc
	s_load_dwordx2 s[6:7], s[4:5], 0x6c
	s_load_dword s17, s[4:5], 0x1b8
	s_add_u32 s10, s4, 0xe8
	v_bfe_u32 v8, v0, 10, 10
	s_waitcnt lgkmcnt(0)
	v_cvt_f32_u32_e32 v1, s15
	s_load_dwordx2 s[8:9], s[4:5], 0x0
	s_addc_u32 s11, s5, 0
	s_mov_b32 s1, 0
	v_rcp_iflag_f32_e32 v1, v1
	v_mov_b32_e32 v2, 0
	v_mul_f32_e32 v1, 0x4f7ffffe, v1
	v_cvt_u32_f32_e32 v3, v1
	v_add_u32_e32 v1, s0, v8
	s_sub_i32 s0, 0, s15
	s_cmp_lt_i32 s17, 2
	v_mul_lo_u32 v4, s0, v3
	v_mul_hi_u32 v4, v3, v4
	v_add_u32_e32 v3, v3, v4
	v_mad_u64_u32 v[4:5], s[18:19], v1, v3, 0
	v_mov_b32_e32 v6, v1
	s_cbranch_scc1 .LBB67_4
; %bb.2:
	s_add_i32 s0, s17, -1
	s_add_i32 s16, s17, 1
	s_lshl_b64 s[0:1], s[0:1], 2
	s_add_u32 s0, s0, s10
	s_addc_u32 s1, s1, s11
	s_add_u32 s0, s0, 8
	s_addc_u32 s1, s1, 0
	v_mov_b32_e32 v2, 0
	v_mov_b32_e32 v6, v1
.LBB67_3:                               ; =>This Inner Loop Header: Depth=1
	s_load_dword s17, s[0:1], 0x0
	s_load_dword s18, s[0:1], 0x64
	v_mov_b32_e32 v3, v6
	s_add_i32 s16, s16, -1
	s_waitcnt lgkmcnt(0)
	v_cvt_f32_u32_e32 v4, s17
	s_sub_i32 s19, 0, s17
	s_add_u32 s0, s0, -4
	s_addc_u32 s1, s1, -1
	v_rcp_iflag_f32_e32 v4, v4
	s_cmp_gt_u32 s16, 2
	v_mul_f32_e32 v4, 0x4f7ffffe, v4
	v_cvt_u32_f32_e32 v4, v4
	v_mul_lo_u32 v6, s19, v4
	v_mul_hi_u32 v6, v4, v6
	v_add_u32_e32 v4, v4, v6
	v_mul_hi_u32 v4, v3, v4
	v_mul_lo_u32 v6, v4, s17
	v_sub_u32_e32 v6, v3, v6
	v_add_u32_e32 v7, 1, v4
	v_cmp_le_u32_e32 vcc, s17, v6
	v_cndmask_b32_e32 v4, v4, v7, vcc
	v_subrev_u32_e32 v7, s17, v6
	v_cndmask_b32_e32 v6, v6, v7, vcc
	v_add_u32_e32 v7, 1, v4
	v_cmp_le_u32_e32 vcc, s17, v6
	v_cndmask_b32_e32 v6, v4, v7, vcc
	v_mul_lo_u32 v4, v6, s17
	v_sub_u32_e32 v3, v3, v4
	v_mad_u64_u32 v[2:3], s[18:19], s18, v3, v[2:3]
	s_cbranch_scc1 .LBB67_3
.LBB67_4:
	v_mul_lo_u32 v3, v5, s15
	v_sub_u32_e32 v3, v1, v3
	v_add_u32_e32 v4, 1, v5
	v_cmp_le_u32_e64 s[0:1], s15, v3
	v_cndmask_b32_e64 v4, v5, v4, s[0:1]
	v_subrev_u32_e32 v5, s15, v3
	v_cndmask_b32_e64 v3, v3, v5, s[0:1]
	v_add_u32_e32 v5, 1, v4
	v_cmp_le_u32_e64 s[0:1], s15, v3
	v_cndmask_b32_e64 v3, v4, v5, s[0:1]
	v_mul_lo_u32 v4, v3, s15
	v_cmp_gt_u32_e32 vcc, s12, v1
	v_sub_u32_e32 v1, v1, v4
	v_mul_lo_u32 v4, v1, s7
	s_load_dword s15, s[4:5], 0x1c0
	s_load_dword s7, s[10:11], 0x6c
	;; [unrolled: 1-line block ×3, first 2 shown]
	v_mad_u64_u32 v[4:5], s[0:1], v3, s6, v[4:5]
	s_load_dwordx2 s[10:11], s[10:11], 0x0
	s_waitcnt lgkmcnt(0)
	v_mad_u64_u32 v[2:3], s[0:1], s7, v6, v[2:3]
	v_and_b32_e32 v3, 0x3ff, v0
	v_cmp_gt_u32_e64 s[0:1], s13, v3
	v_pk_mov_b32 v[0:1], 0, 0
	s_and_b64 s[4:5], vcc, s[0:1]
	v_mov_b32_e32 v10, 0
	v_mov_b32_e32 v5, 0
	v_pk_mov_b32 v[6:7], v[0:1], v[0:1] op_sel:[0,1]
	s_and_saveexec_b64 s[6:7], s[4:5]
	s_cbranch_execz .LBB67_6
; %bb.5:
	v_mad_u64_u32 v[6:7], s[2:3], v3, s14, v[4:5]
	v_mov_b32_e32 v7, 0
	v_lshlrev_b64 v[12:13], 1, v[6:7]
	v_mov_b32_e32 v5, s9
	v_add_co_u32_e64 v12, s[2:3], s8, v12
	v_addc_co_u32_e64 v13, s[2:3], v5, v13, s[2:3]
	global_load_ushort v5, v[12:13], off
	v_mad_u64_u32 v[12:13], s[2:3], v3, s15, v[2:3]
	v_mov_b32_e32 v13, v7
	v_lshlrev_b64 v[6:7], 3, v[12:13]
	v_mov_b32_e32 v9, s11
	v_add_co_u32_e64 v6, s[2:3], s10, v6
	v_addc_co_u32_e64 v7, s[2:3], v9, v7, s[2:3]
	global_load_dwordx2 v[6:7], v[6:7], off
.LBB67_6:
	s_or_b64 exec, exec, s[6:7]
	v_mov_b32_e32 v9, 0x1000
	v_lshl_add_u32 v16, v8, 6, v9
	v_mov_b32_e32 v9, 0x1400
	v_lshl_add_u32 v15, v8, 5, v9
	v_lshl_add_u32 v9, v3, 1, v16
	s_and_b32 s16, 0xffff, s12
	v_cndmask_b32_e64 v11, 0, 1, s[4:5]
	s_waitcnt vmcnt(1)
	ds_write_b16 v9, v5
	v_add_u32_e32 v5, v15, v3
	ds_write_b8 v5, v11
	v_add_u32_e32 v5, s16, v3
	v_lshlrev_b32_e32 v13, 8, v8
	v_cmp_gt_u32_e64 s[2:3], s13, v5
	v_lshl_add_u32 v8, v3, 3, v13
	s_and_b64 s[6:7], vcc, s[2:3]
	s_waitcnt vmcnt(0)
	ds_write_b64 v8, v[6:7]
	s_and_saveexec_b64 s[12:13], s[6:7]
	s_cbranch_execz .LBB67_8
; %bb.7:
	v_mad_u64_u32 v[0:1], s[4:5], v5, s14, v[4:5]
	v_mov_b32_e32 v1, 0
	v_lshlrev_b64 v[6:7], 1, v[0:1]
	v_mov_b32_e32 v0, s9
	v_add_co_u32_e64 v6, s[4:5], s8, v6
	v_addc_co_u32_e64 v7, s[4:5], v0, v7, s[4:5]
	global_load_ushort v10, v[6:7], off
	v_mad_u64_u32 v[6:7], s[4:5], v5, s15, v[2:3]
	v_mov_b32_e32 v7, v1
	v_lshlrev_b64 v[0:1], 3, v[6:7]
	v_mov_b32_e32 v6, s11
	v_add_co_u32_e64 v0, s[4:5], s10, v0
	v_addc_co_u32_e64 v1, s[4:5], v6, v1, s[4:5]
	global_load_dwordx2 v[0:1], v[0:1], off
.LBB67_8:
	s_or_b64 exec, exec, s[12:13]
	v_lshl_add_u32 v6, s16, 3, v8
	v_lshlrev_b32_e32 v17, 1, v3
	v_cndmask_b32_e64 v11, 0, 1, s[6:7]
	v_lshl_add_u32 v7, s16, 1, v9
	s_waitcnt vmcnt(0)
	ds_write_b64 v6, v[0:1]
	v_add_u32_e32 v0, v15, v5
	v_add_u32_e32 v1, v9, v17
	ds_write_b16 v7, v10
	ds_write_b8 v0, v11
	s_waitcnt lgkmcnt(0)
	s_barrier
	ds_read_b32 v11, v1
	s_mov_b32 s16, 1
	s_waitcnt lgkmcnt(0)
	v_and_b32_e32 v0, 0xffff0000, v11
	v_lshlrev_b32_e32 v10, 16, v11
	v_cmp_u_f32_e64 s[4:5], v10, v10
	v_cmp_o_f32_e64 s[6:7], v0, v0
	s_and_b64 s[6:7], s[4:5], s[6:7]
	v_cmp_lt_f32_e64 s[4:5], v0, v10
	s_or_b64 s[4:5], s[6:7], s[4:5]
	s_xor_b64 s[6:7], s[4:5], -1
	v_add_u32_e32 v0, v15, v17
	s_and_saveexec_b64 s[12:13], s[4:5]
	s_xor_b64 s[12:13], exec, s[12:13]
	s_cbranch_execz .LBB67_10
; %bb.9:
	ds_read_u8 v10, v0
	s_andn2_b64 s[6:7], s[6:7], exec
	s_waitcnt lgkmcnt(0)
	v_and_b32_e32 v10, 1, v10
	v_cmp_eq_u32_e64 s[4:5], 1, v10
	s_xor_b64 s[4:5], s[4:5], -1
	s_and_b64 s[4:5], s[4:5], exec
	s_or_b64 s[6:7], s[6:7], s[4:5]
.LBB67_10:
	s_or_b64 exec, exec, s[12:13]
	v_mov_b32_e32 v14, s16
	s_and_saveexec_b64 s[4:5], s[6:7]
	s_cbranch_execz .LBB67_12
; %bb.11:
	ds_read_u8 v10, v0 offset:1
	s_waitcnt lgkmcnt(0)
	v_xor_b32_e32 v14, 1, v10
.LBB67_12:
	s_or_b64 exec, exec, s[4:5]
	v_and_b32_e32 v12, 1, v3
	v_lshlrev_b32_e32 v10, 3, v3
	v_cmp_eq_u32_e64 s[4:5], v14, v12
	s_and_saveexec_b64 s[6:7], s[4:5]
	s_cbranch_execz .LBB67_14
; %bb.13:
	v_add_u32_e32 v14, v8, v10
	v_alignbit_b32 v11, v11, v11, 16
	ds_read_b128 v[18:21], v14
	ds_write_b32 v1, v11
	ds_read_u16 v11, v0
	s_mov_b32 s4, 0xc0c0001
	s_waitcnt lgkmcnt(2)
	v_mov_b32_e32 v22, v18
	v_mov_b32_e32 v23, v19
	s_waitcnt lgkmcnt(0)
	v_perm_b32 v11, 0, v11, s4
	ds_write_b128 v14, v[20:23]
	ds_write_b16 v0, v11
.LBB67_14:
	s_or_b64 exec, exec, s[6:7]
	v_sub_u32_e32 v14, v17, v12
	v_lshl_add_u32 v11, v14, 1, v16
	s_waitcnt lgkmcnt(0)
	s_barrier
	ds_read_u16 v20, v11 offset:4
	ds_read_u16 v19, v11
                                        ; implicit-def: $sgpr12
	s_waitcnt lgkmcnt(1)
	v_lshlrev_b32_e32 v12, 16, v20
	s_waitcnt lgkmcnt(0)
	v_lshlrev_b32_e32 v18, 16, v19
	v_cmp_u_f32_e64 s[4:5], v18, v18
	v_cmp_o_f32_e64 s[6:7], v12, v12
	s_and_b64 s[6:7], s[4:5], s[6:7]
	v_cmp_lt_f32_e64 s[4:5], v12, v18
	s_or_b64 s[6:7], s[6:7], s[4:5]
	s_mov_b64 s[4:5], -1
	v_add_u32_e32 v12, v15, v14
	s_and_saveexec_b64 s[16:17], s[6:7]
	s_xor_b64 s[6:7], exec, s[16:17]
	s_cbranch_execz .LBB67_16
; %bb.15:
	ds_read_u8 v18, v12
	s_mov_b32 s12, 1
	s_waitcnt lgkmcnt(0)
	v_and_b32_e32 v18, 1, v18
	v_cmp_eq_u32_e64 s[4:5], 1, v18
	s_xor_b64 s[4:5], s[4:5], -1
	s_orn2_b64 s[4:5], s[4:5], exec
.LBB67_16:
	s_or_b64 exec, exec, s[6:7]
	v_mov_b32_e32 v21, s12
	s_and_saveexec_b64 s[6:7], s[4:5]
	s_cbranch_execz .LBB67_18
; %bb.17:
	ds_read_u8 v18, v12 offset:2
	s_waitcnt lgkmcnt(0)
	v_xor_b32_e32 v21, 1, v18
.LBB67_18:
	s_or_b64 exec, exec, s[6:7]
	v_bfe_u32 v18, v3, 1, 1
	v_lshl_add_u32 v14, v14, 3, v13
	v_cmp_eq_u32_e64 s[4:5], v21, v18
	s_and_saveexec_b64 s[6:7], s[4:5]
	s_cbranch_execz .LBB67_20
; %bb.19:
	ds_read2_b64 v[22:25], v14 offset1:2
	ds_read_u8 v21, v12 offset:2
	ds_read_u8 v26, v12
	ds_write_b16 v11, v20
	ds_write_b16 v11, v19 offset:4
	s_waitcnt lgkmcnt(4)
	ds_write2_b64 v14, v[24:25], v[22:23] offset1:2
	s_waitcnt lgkmcnt(4)
	ds_write_b8 v12, v21
	s_waitcnt lgkmcnt(4)
	ds_write_b8 v12, v26 offset:2
.LBB67_20:
	s_or_b64 exec, exec, s[6:7]
	s_waitcnt lgkmcnt(0)
	s_barrier
	ds_read_b32 v19, v1
                                        ; implicit-def: $sgpr16
	s_waitcnt lgkmcnt(0)
	v_and_b32_e32 v20, 0xffff0000, v19
	v_lshlrev_b32_e32 v21, 16, v19
	v_cmp_u_f32_e64 s[4:5], v21, v21
	v_cmp_o_f32_e64 s[6:7], v20, v20
	s_and_b64 s[6:7], s[4:5], s[6:7]
	v_cmp_lt_f32_e64 s[4:5], v20, v21
	s_or_b64 s[4:5], s[6:7], s[4:5]
	s_xor_b64 s[6:7], s[4:5], -1
	s_and_saveexec_b64 s[12:13], s[4:5]
	s_cbranch_execnz .LBB67_87
; %bb.21:
	s_or_b64 exec, exec, s[12:13]
	v_mov_b32_e32 v20, s16
	s_and_saveexec_b64 s[4:5], s[6:7]
	s_cbranch_execnz .LBB67_88
.LBB67_22:
	s_or_b64 exec, exec, s[4:5]
	v_cmp_eq_u32_e64 s[4:5], v20, v18
	s_and_saveexec_b64 s[6:7], s[4:5]
	s_cbranch_execz .LBB67_24
.LBB67_23:
	v_add_u32_e32 v24, v8, v10
	ds_read_b128 v[20:23], v24
	ds_read_u16 v25, v0
	v_alignbit_b32 v18, v19, v19, 16
	ds_write_b32 v1, v18
	s_mov_b32 s4, 0xc0c0001
	s_waitcnt lgkmcnt(2)
	v_mov_b32_e32 v18, v22
	v_mov_b32_e32 v19, v23
	ds_write_b128 v24, v[18:21]
	s_waitcnt lgkmcnt(2)
	v_perm_b32 v18, 0, v25, s4
	ds_write_b16 v0, v18
.LBB67_24:
	s_or_b64 exec, exec, s[6:7]
	v_and_b32_e32 v18, 3, v3
	v_sub_u32_e32 v20, v17, v18
	v_lshl_add_u32 v18, v20, 1, v16
	s_waitcnt lgkmcnt(0)
	s_barrier
	ds_read_u16 v23, v18 offset:8
	ds_read_u16 v22, v18
	s_mov_b32 s16, 1
	s_waitcnt lgkmcnt(1)
	v_lshlrev_b32_e32 v19, 16, v23
	s_waitcnt lgkmcnt(0)
	v_lshlrev_b32_e32 v21, 16, v22
	v_cmp_u_f32_e64 s[4:5], v21, v21
	v_cmp_o_f32_e64 s[6:7], v19, v19
	s_and_b64 s[6:7], s[4:5], s[6:7]
	v_cmp_lt_f32_e64 s[4:5], v19, v21
	s_or_b64 s[4:5], s[6:7], s[4:5]
	s_xor_b64 s[6:7], s[4:5], -1
	v_add_u32_e32 v19, v15, v20
	s_and_saveexec_b64 s[12:13], s[4:5]
	s_cbranch_execz .LBB67_26
; %bb.25:
	ds_read_u8 v21, v19
	s_andn2_b64 s[6:7], s[6:7], exec
	s_waitcnt lgkmcnt(0)
	v_and_b32_e32 v21, 1, v21
	v_cmp_eq_u32_e64 s[4:5], 1, v21
	s_xor_b64 s[4:5], s[4:5], -1
	s_and_b64 s[4:5], s[4:5], exec
	s_or_b64 s[6:7], s[6:7], s[4:5]
.LBB67_26:
	s_or_b64 exec, exec, s[12:13]
	v_mov_b32_e32 v24, s16
	s_and_saveexec_b64 s[4:5], s[6:7]
	s_cbranch_execz .LBB67_28
; %bb.27:
	ds_read_u8 v21, v19 offset:4
	s_waitcnt lgkmcnt(0)
	v_xor_b32_e32 v24, 1, v21
.LBB67_28:
	s_or_b64 exec, exec, s[4:5]
	v_bfe_u32 v21, v3, 2, 1
	v_lshl_add_u32 v20, v20, 3, v13
	v_cmp_eq_u32_e64 s[4:5], v24, v21
	s_and_saveexec_b64 s[6:7], s[4:5]
	s_cbranch_execz .LBB67_30
; %bb.29:
	ds_read2_b64 v[24:27], v20 offset1:4
	ds_read_u8 v28, v19 offset:4
	ds_read_u8 v29, v19
	ds_write_b16 v18, v23
	ds_write_b16 v18, v22 offset:8
	s_waitcnt lgkmcnt(4)
	ds_write2_b64 v20, v[26:27], v[24:25] offset1:4
	s_waitcnt lgkmcnt(4)
	ds_write_b8 v19, v28
	s_waitcnt lgkmcnt(4)
	ds_write_b8 v19, v29 offset:4
.LBB67_30:
	s_or_b64 exec, exec, s[6:7]
	s_waitcnt lgkmcnt(0)
	s_barrier
	ds_read_u16 v23, v11 offset:4
	ds_read_u16 v22, v11
                                        ; implicit-def: $sgpr16
	s_waitcnt lgkmcnt(1)
	v_lshlrev_b32_e32 v24, 16, v23
	s_waitcnt lgkmcnt(0)
	v_lshlrev_b32_e32 v25, 16, v22
	v_cmp_u_f32_e64 s[4:5], v25, v25
	v_cmp_o_f32_e64 s[6:7], v24, v24
	s_and_b64 s[6:7], s[4:5], s[6:7]
	v_cmp_lt_f32_e64 s[4:5], v24, v25
	s_or_b64 s[4:5], s[6:7], s[4:5]
	s_xor_b64 s[6:7], s[4:5], -1
	s_and_saveexec_b64 s[12:13], s[4:5]
	s_cbranch_execnz .LBB67_89
; %bb.31:
	s_or_b64 exec, exec, s[12:13]
	v_mov_b32_e32 v24, s16
	s_and_saveexec_b64 s[4:5], s[6:7]
	s_cbranch_execnz .LBB67_90
.LBB67_32:
	s_or_b64 exec, exec, s[4:5]
	v_cmp_eq_u32_e64 s[4:5], v24, v21
	s_and_saveexec_b64 s[6:7], s[4:5]
	s_cbranch_execz .LBB67_34
.LBB67_33:
	ds_read2_b64 v[24:27], v14 offset1:2
	ds_read_u8 v28, v12 offset:2
	ds_read_u8 v29, v12
	ds_write_b16 v11, v23
	ds_write_b16 v11, v22 offset:4
	s_waitcnt lgkmcnt(4)
	ds_write2_b64 v14, v[26:27], v[24:25] offset1:2
	s_waitcnt lgkmcnt(4)
	ds_write_b8 v12, v28
	s_waitcnt lgkmcnt(4)
	ds_write_b8 v12, v29 offset:2
.LBB67_34:
	s_or_b64 exec, exec, s[6:7]
	s_waitcnt lgkmcnt(0)
	s_barrier
	ds_read_b32 v22, v1
                                        ; implicit-def: $sgpr16
	s_waitcnt lgkmcnt(0)
	v_and_b32_e32 v23, 0xffff0000, v22
	v_lshlrev_b32_e32 v24, 16, v22
	v_cmp_u_f32_e64 s[4:5], v24, v24
	v_cmp_o_f32_e64 s[6:7], v23, v23
	s_and_b64 s[6:7], s[4:5], s[6:7]
	v_cmp_lt_f32_e64 s[4:5], v23, v24
	s_or_b64 s[4:5], s[6:7], s[4:5]
	s_xor_b64 s[6:7], s[4:5], -1
	s_and_saveexec_b64 s[12:13], s[4:5]
	s_cbranch_execnz .LBB67_91
; %bb.35:
	s_or_b64 exec, exec, s[12:13]
	v_mov_b32_e32 v23, s16
	s_and_saveexec_b64 s[4:5], s[6:7]
	s_cbranch_execnz .LBB67_92
.LBB67_36:
	s_or_b64 exec, exec, s[4:5]
	v_cmp_eq_u32_e64 s[4:5], v23, v21
	s_and_saveexec_b64 s[6:7], s[4:5]
	s_cbranch_execz .LBB67_38
.LBB67_37:
	v_add_u32_e32 v21, v8, v10
	ds_read_b128 v[24:27], v21
	ds_read_u16 v28, v0
	v_alignbit_b32 v22, v22, v22, 16
	ds_write_b32 v1, v22
	s_mov_b32 s4, 0xc0c0001
	s_waitcnt lgkmcnt(2)
	v_mov_b32_e32 v22, v26
	v_mov_b32_e32 v23, v27
	ds_write_b128 v21, v[22:25]
	s_waitcnt lgkmcnt(2)
	v_perm_b32 v21, 0, v28, s4
	ds_write_b16 v0, v21
.LBB67_38:
	s_or_b64 exec, exec, s[6:7]
	v_and_b32_e32 v21, 7, v3
	v_sub_u32_e32 v23, v17, v21
	v_lshl_add_u32 v21, v23, 1, v16
	s_waitcnt lgkmcnt(0)
	s_barrier
	ds_read_u16 v26, v21 offset:16
	ds_read_u16 v25, v21
	s_mov_b32 s16, 1
	s_waitcnt lgkmcnt(1)
	v_lshlrev_b32_e32 v22, 16, v26
	s_waitcnt lgkmcnt(0)
	v_lshlrev_b32_e32 v24, 16, v25
	v_cmp_u_f32_e64 s[4:5], v24, v24
	v_cmp_o_f32_e64 s[6:7], v22, v22
	s_and_b64 s[6:7], s[4:5], s[6:7]
	v_cmp_lt_f32_e64 s[4:5], v22, v24
	s_or_b64 s[4:5], s[6:7], s[4:5]
	s_xor_b64 s[6:7], s[4:5], -1
	v_add_u32_e32 v22, v15, v23
	s_and_saveexec_b64 s[12:13], s[4:5]
	s_cbranch_execz .LBB67_40
; %bb.39:
	ds_read_u8 v24, v22
	s_andn2_b64 s[6:7], s[6:7], exec
	s_waitcnt lgkmcnt(0)
	v_and_b32_e32 v24, 1, v24
	v_cmp_eq_u32_e64 s[4:5], 1, v24
	s_xor_b64 s[4:5], s[4:5], -1
	s_and_b64 s[4:5], s[4:5], exec
	s_or_b64 s[6:7], s[6:7], s[4:5]
.LBB67_40:
	s_or_b64 exec, exec, s[12:13]
	v_mov_b32_e32 v27, s16
	s_and_saveexec_b64 s[4:5], s[6:7]
	s_cbranch_execz .LBB67_42
; %bb.41:
	ds_read_u8 v24, v22 offset:8
	s_waitcnt lgkmcnt(0)
	v_xor_b32_e32 v27, 1, v24
.LBB67_42:
	s_or_b64 exec, exec, s[4:5]
	v_bfe_u32 v24, v3, 3, 1
	v_lshl_add_u32 v23, v23, 3, v13
	v_cmp_eq_u32_e64 s[4:5], v27, v24
	s_and_saveexec_b64 s[6:7], s[4:5]
	s_cbranch_execz .LBB67_44
; %bb.43:
	ds_read2_b64 v[28:31], v23 offset1:8
	ds_read_u8 v27, v22 offset:8
	ds_read_u8 v32, v22
	ds_write_b16 v21, v26
	ds_write_b16 v21, v25 offset:16
	s_waitcnt lgkmcnt(4)
	ds_write2_b64 v23, v[30:31], v[28:29] offset1:8
	s_waitcnt lgkmcnt(4)
	ds_write_b8 v22, v27
	s_waitcnt lgkmcnt(4)
	ds_write_b8 v22, v32 offset:8
.LBB67_44:
	s_or_b64 exec, exec, s[6:7]
	s_waitcnt lgkmcnt(0)
	s_barrier
	ds_read_u16 v26, v18 offset:8
	ds_read_u16 v25, v18
                                        ; implicit-def: $sgpr16
	s_waitcnt lgkmcnt(1)
	v_lshlrev_b32_e32 v27, 16, v26
	s_waitcnt lgkmcnt(0)
	v_lshlrev_b32_e32 v28, 16, v25
	v_cmp_u_f32_e64 s[4:5], v28, v28
	v_cmp_o_f32_e64 s[6:7], v27, v27
	s_and_b64 s[6:7], s[4:5], s[6:7]
	v_cmp_lt_f32_e64 s[4:5], v27, v28
	s_or_b64 s[4:5], s[6:7], s[4:5]
	s_xor_b64 s[6:7], s[4:5], -1
	s_and_saveexec_b64 s[12:13], s[4:5]
	s_cbranch_execnz .LBB67_93
; %bb.45:
	s_or_b64 exec, exec, s[12:13]
	v_mov_b32_e32 v27, s16
	s_and_saveexec_b64 s[4:5], s[6:7]
	s_cbranch_execnz .LBB67_94
.LBB67_46:
	s_or_b64 exec, exec, s[4:5]
	v_cmp_eq_u32_e64 s[4:5], v27, v24
	s_and_saveexec_b64 s[6:7], s[4:5]
	s_cbranch_execz .LBB67_48
.LBB67_47:
	ds_read2_b64 v[28:31], v20 offset1:4
	ds_read_u8 v27, v19 offset:4
	ds_read_u8 v32, v19
	ds_write_b16 v18, v26
	ds_write_b16 v18, v25 offset:8
	s_waitcnt lgkmcnt(4)
	ds_write2_b64 v20, v[30:31], v[28:29] offset1:4
	s_waitcnt lgkmcnt(4)
	ds_write_b8 v19, v27
	s_waitcnt lgkmcnt(4)
	ds_write_b8 v19, v32 offset:4
.LBB67_48:
	s_or_b64 exec, exec, s[6:7]
	s_waitcnt lgkmcnt(0)
	s_barrier
	ds_read_u16 v26, v11 offset:4
	ds_read_u16 v25, v11
                                        ; implicit-def: $sgpr16
	s_waitcnt lgkmcnt(1)
	v_lshlrev_b32_e32 v27, 16, v26
	s_waitcnt lgkmcnt(0)
	v_lshlrev_b32_e32 v28, 16, v25
	v_cmp_u_f32_e64 s[4:5], v28, v28
	v_cmp_o_f32_e64 s[6:7], v27, v27
	s_and_b64 s[6:7], s[4:5], s[6:7]
	v_cmp_lt_f32_e64 s[4:5], v27, v28
	s_or_b64 s[4:5], s[6:7], s[4:5]
	s_xor_b64 s[6:7], s[4:5], -1
	s_and_saveexec_b64 s[12:13], s[4:5]
	s_cbranch_execnz .LBB67_95
; %bb.49:
	s_or_b64 exec, exec, s[12:13]
	v_mov_b32_e32 v27, s16
	s_and_saveexec_b64 s[4:5], s[6:7]
	s_cbranch_execnz .LBB67_96
.LBB67_50:
	s_or_b64 exec, exec, s[4:5]
	v_cmp_eq_u32_e64 s[4:5], v27, v24
	s_and_saveexec_b64 s[6:7], s[4:5]
	s_cbranch_execz .LBB67_52
.LBB67_51:
	ds_read2_b64 v[28:31], v14 offset1:2
	ds_read_u8 v27, v12 offset:2
	ds_read_u8 v32, v12
	ds_write_b16 v11, v26
	ds_write_b16 v11, v25 offset:4
	s_waitcnt lgkmcnt(4)
	ds_write2_b64 v14, v[30:31], v[28:29] offset1:2
	s_waitcnt lgkmcnt(4)
	ds_write_b8 v12, v27
	s_waitcnt lgkmcnt(4)
	ds_write_b8 v12, v32 offset:2
.LBB67_52:
	s_or_b64 exec, exec, s[6:7]
	s_waitcnt lgkmcnt(0)
	s_barrier
	ds_read_b32 v25, v1
                                        ; implicit-def: $sgpr16
	s_waitcnt lgkmcnt(0)
	v_and_b32_e32 v26, 0xffff0000, v25
	v_lshlrev_b32_e32 v27, 16, v25
	v_cmp_u_f32_e64 s[4:5], v27, v27
	v_cmp_o_f32_e64 s[6:7], v26, v26
	s_and_b64 s[6:7], s[4:5], s[6:7]
	v_cmp_lt_f32_e64 s[4:5], v26, v27
	s_or_b64 s[4:5], s[6:7], s[4:5]
	s_xor_b64 s[6:7], s[4:5], -1
	s_and_saveexec_b64 s[12:13], s[4:5]
	s_cbranch_execnz .LBB67_97
; %bb.53:
	s_or_b64 exec, exec, s[12:13]
	v_mov_b32_e32 v26, s16
	s_and_saveexec_b64 s[4:5], s[6:7]
	s_cbranch_execnz .LBB67_98
.LBB67_54:
	s_or_b64 exec, exec, s[4:5]
	v_cmp_eq_u32_e64 s[4:5], v26, v24
	s_and_saveexec_b64 s[6:7], s[4:5]
	s_cbranch_execz .LBB67_56
.LBB67_55:
	v_add_u32_e32 v30, v8, v10
	ds_read_b128 v[26:29], v30
	ds_read_u16 v31, v0
	v_alignbit_b32 v24, v25, v25, 16
	ds_write_b32 v1, v24
	s_mov_b32 s4, 0xc0c0001
	s_waitcnt lgkmcnt(2)
	v_mov_b32_e32 v24, v28
	v_mov_b32_e32 v25, v29
	ds_write_b128 v30, v[24:27]
	s_waitcnt lgkmcnt(2)
	v_perm_b32 v24, 0, v31, s4
	ds_write_b16 v0, v24
.LBB67_56:
	s_or_b64 exec, exec, s[6:7]
	v_and_b32_e32 v24, 15, v3
	v_sub_u32_e32 v25, v17, v24
	v_lshl_add_u32 v16, v25, 1, v16
	s_waitcnt lgkmcnt(0)
	s_barrier
	ds_read_u16 v24, v16 offset:32
	ds_read_u16 v17, v16
	v_add_u32_e32 v15, v15, v25
	s_waitcnt lgkmcnt(1)
	v_lshlrev_b32_e32 v26, 16, v24
	s_waitcnt lgkmcnt(0)
	v_lshlrev_b32_e32 v27, 16, v17
	v_cmp_u_f32_e64 s[4:5], v27, v27
	v_cmp_o_f32_e64 s[6:7], v26, v26
	s_and_b64 s[6:7], s[4:5], s[6:7]
	v_cmp_lt_f32_e64 s[4:5], v26, v27
	s_or_b64 s[4:5], s[6:7], s[4:5]
	s_xor_b64 s[12:13], s[4:5], -1
	s_and_saveexec_b64 s[6:7], s[4:5]
	s_cbranch_execz .LBB67_58
; %bb.57:
	ds_read_u8 v26, v15
	s_andn2_b64 s[12:13], s[12:13], exec
	s_waitcnt lgkmcnt(0)
	v_and_b32_e32 v26, 1, v26
	v_cmp_eq_u32_e64 s[4:5], 1, v26
	s_xor_b64 s[4:5], s[4:5], -1
	s_and_b64 s[4:5], s[4:5], exec
	s_or_b64 s[12:13], s[12:13], s[4:5]
.LBB67_58:
	s_or_b64 exec, exec, s[6:7]
	s_and_saveexec_b64 s[6:7], s[12:13]
	s_cbranch_execz .LBB67_61
; %bb.59:
	ds_read_u8 v26, v15 offset:16
	s_waitcnt lgkmcnt(0)
	v_cmp_ne_u16_e64 s[4:5], 0, v26
	s_and_b64 exec, exec, s[4:5]
	s_cbranch_execz .LBB67_61
; %bb.60:
	v_lshl_add_u32 v13, v25, 3, v13
	ds_read2_b64 v[28:31], v13 offset1:16
	ds_read_u8 v25, v15
	ds_write_b16 v16, v24
	ds_write_b16 v16, v17 offset:32
	ds_write_b8 v15, v26
	s_waitcnt lgkmcnt(4)
	ds_write2_b64 v13, v[30:31], v[28:29] offset1:16
	s_waitcnt lgkmcnt(4)
	ds_write_b8 v15, v25 offset:16
.LBB67_61:
	s_or_b64 exec, exec, s[6:7]
	s_waitcnt lgkmcnt(0)
	s_barrier
	ds_read_u16 v15, v21 offset:16
	ds_read_u16 v13, v21
	s_waitcnt lgkmcnt(1)
	v_lshlrev_b32_e32 v16, 16, v15
	s_waitcnt lgkmcnt(0)
	v_lshlrev_b32_e32 v17, 16, v13
	v_cmp_u_f32_e64 s[4:5], v17, v17
	v_cmp_o_f32_e64 s[6:7], v16, v16
	s_and_b64 s[6:7], s[4:5], s[6:7]
	v_cmp_lt_f32_e64 s[4:5], v16, v17
	s_or_b64 s[4:5], s[6:7], s[4:5]
	s_xor_b64 s[12:13], s[4:5], -1
	s_and_saveexec_b64 s[6:7], s[4:5]
	s_cbranch_execz .LBB67_63
; %bb.62:
	ds_read_u8 v16, v22
	s_andn2_b64 s[12:13], s[12:13], exec
	s_waitcnt lgkmcnt(0)
	v_and_b32_e32 v16, 1, v16
	v_cmp_eq_u32_e64 s[4:5], 1, v16
	s_xor_b64 s[4:5], s[4:5], -1
	s_and_b64 s[4:5], s[4:5], exec
	s_or_b64 s[12:13], s[12:13], s[4:5]
.LBB67_63:
	s_or_b64 exec, exec, s[6:7]
	s_and_saveexec_b64 s[6:7], s[12:13]
	s_cbranch_execz .LBB67_66
; %bb.64:
	ds_read_u8 v16, v22 offset:8
	s_waitcnt lgkmcnt(0)
	v_cmp_ne_u16_e64 s[4:5], 0, v16
	s_and_b64 exec, exec, s[4:5]
	s_cbranch_execz .LBB67_66
; %bb.65:
	ds_read2_b64 v[24:27], v23 offset1:8
	ds_read_u8 v17, v22
	ds_write_b16 v21, v15
	ds_write_b16 v21, v13 offset:16
	ds_write_b8 v22, v16
	s_waitcnt lgkmcnt(4)
	ds_write2_b64 v23, v[26:27], v[24:25] offset1:8
	s_waitcnt lgkmcnt(4)
	ds_write_b8 v22, v17 offset:8
.LBB67_66:
	s_or_b64 exec, exec, s[6:7]
	s_waitcnt lgkmcnt(0)
	s_barrier
	ds_read_u16 v15, v18 offset:8
	ds_read_u16 v13, v18
	s_waitcnt lgkmcnt(1)
	v_lshlrev_b32_e32 v16, 16, v15
	s_waitcnt lgkmcnt(0)
	v_lshlrev_b32_e32 v17, 16, v13
	v_cmp_u_f32_e64 s[4:5], v17, v17
	v_cmp_o_f32_e64 s[6:7], v16, v16
	s_and_b64 s[6:7], s[4:5], s[6:7]
	v_cmp_lt_f32_e64 s[4:5], v16, v17
	s_or_b64 s[4:5], s[6:7], s[4:5]
	s_xor_b64 s[12:13], s[4:5], -1
	s_and_saveexec_b64 s[6:7], s[4:5]
	s_cbranch_execz .LBB67_68
; %bb.67:
	ds_read_u8 v16, v19
	s_andn2_b64 s[12:13], s[12:13], exec
	s_waitcnt lgkmcnt(0)
	v_and_b32_e32 v16, 1, v16
	v_cmp_eq_u32_e64 s[4:5], 1, v16
	s_xor_b64 s[4:5], s[4:5], -1
	s_and_b64 s[4:5], s[4:5], exec
	s_or_b64 s[12:13], s[12:13], s[4:5]
.LBB67_68:
	s_or_b64 exec, exec, s[6:7]
	s_and_saveexec_b64 s[6:7], s[12:13]
	s_cbranch_execz .LBB67_71
; %bb.69:
	ds_read_u8 v16, v19 offset:4
	s_waitcnt lgkmcnt(0)
	v_cmp_ne_u16_e64 s[4:5], 0, v16
	s_and_b64 exec, exec, s[4:5]
	s_cbranch_execz .LBB67_71
; %bb.70:
	ds_read2_b64 v[22:25], v20 offset1:4
	ds_read_u8 v17, v19
	ds_write_b16 v18, v15
	ds_write_b16 v18, v13 offset:8
	ds_write_b8 v19, v16
	s_waitcnt lgkmcnt(4)
	ds_write2_b64 v20, v[24:25], v[22:23] offset1:4
	s_waitcnt lgkmcnt(4)
	ds_write_b8 v19, v17 offset:4
.LBB67_71:
	;; [unrolled: 47-line block ×3, first 2 shown]
	s_or_b64 exec, exec, s[6:7]
	s_waitcnt lgkmcnt(0)
	s_barrier
	ds_read_b32 v11, v1
	s_waitcnt lgkmcnt(0)
	v_and_b32_e32 v12, 0xffff0000, v11
	v_lshlrev_b32_e32 v13, 16, v11
	v_cmp_u_f32_e64 s[4:5], v13, v13
	v_cmp_o_f32_e64 s[6:7], v12, v12
	s_and_b64 s[6:7], s[4:5], s[6:7]
	v_cmp_lt_f32_e64 s[4:5], v12, v13
	s_or_b64 s[4:5], s[6:7], s[4:5]
	s_xor_b64 s[12:13], s[4:5], -1
	s_and_saveexec_b64 s[6:7], s[4:5]
	s_cbranch_execz .LBB67_78
; %bb.77:
	ds_read_u8 v12, v0
	s_andn2_b64 s[12:13], s[12:13], exec
	s_waitcnt lgkmcnt(0)
	v_and_b32_e32 v12, 1, v12
	v_cmp_eq_u32_e64 s[4:5], 1, v12
	s_xor_b64 s[4:5], s[4:5], -1
	s_and_b64 s[4:5], s[4:5], exec
	s_or_b64 s[12:13], s[12:13], s[4:5]
.LBB67_78:
	s_or_b64 exec, exec, s[6:7]
	s_and_saveexec_b64 s[6:7], s[12:13]
	s_cbranch_execz .LBB67_81
; %bb.79:
	ds_read_u8 v12, v0 offset:1
	s_waitcnt lgkmcnt(0)
	v_cmp_ne_u16_e64 s[4:5], 0, v12
	s_and_b64 exec, exec, s[4:5]
	s_cbranch_execz .LBB67_81
; %bb.80:
	v_add_u32_e32 v10, v8, v10
	v_alignbit_b32 v11, v11, v11, 16
	ds_read_b128 v[14:17], v10
	ds_write_b32 v1, v11
	ds_read_u8 v1, v0
	s_waitcnt lgkmcnt(2)
	v_mov_b32_e32 v18, v14
	v_mov_b32_e32 v19, v15
	s_waitcnt lgkmcnt(0)
	v_lshlrev_b16_e32 v1, 8, v1
	v_or_b32_e32 v1, v12, v1
	ds_write_b128 v10, v[16:19]
	ds_write_b16 v0, v1
.LBB67_81:
	s_or_b64 exec, exec, s[6:7]
	s_waitcnt lgkmcnt(0)
	s_barrier
	s_and_saveexec_b64 s[4:5], vcc
	s_cbranch_execz .LBB67_86
; %bb.82:
	s_and_saveexec_b64 s[4:5], s[0:1]
	s_cbranch_execz .LBB67_84
; %bb.83:
	v_mad_u64_u32 v[0:1], s[0:1], v3, s14, v[4:5]
	ds_read_u16 v12, v9
	v_mov_b32_e32 v1, 0
	v_lshlrev_b64 v[10:11], 1, v[0:1]
	v_mov_b32_e32 v0, s9
	v_add_co_u32_e32 v10, vcc, s8, v10
	v_addc_co_u32_e32 v11, vcc, v0, v11, vcc
	ds_read_b64 v[8:9], v8
	s_waitcnt lgkmcnt(1)
	global_store_short v[10:11], v12, off
	v_mad_u64_u32 v[10:11], s[0:1], v3, s15, v[2:3]
	v_mov_b32_e32 v11, v1
	v_lshlrev_b64 v[0:1], 3, v[10:11]
	v_mov_b32_e32 v3, s11
	v_add_co_u32_e32 v0, vcc, s10, v0
	v_addc_co_u32_e32 v1, vcc, v3, v1, vcc
	s_waitcnt lgkmcnt(0)
	global_store_dwordx2 v[0:1], v[8:9], off
.LBB67_84:
	s_or_b64 exec, exec, s[4:5]
	s_and_b64 exec, exec, s[2:3]
	s_cbranch_execz .LBB67_86
; %bb.85:
	v_mad_u64_u32 v[0:1], s[0:1], v5, s14, v[4:5]
	ds_read_u16 v3, v7
	v_mov_b32_e32 v1, 0
	v_lshlrev_b64 v[8:9], 1, v[0:1]
	v_mov_b32_e32 v0, s9
	v_add_co_u32_e32 v8, vcc, s8, v8
	v_addc_co_u32_e32 v9, vcc, v0, v9, vcc
	ds_read_b64 v[6:7], v6
	s_waitcnt lgkmcnt(1)
	global_store_short v[8:9], v3, off
	v_mad_u64_u32 v[2:3], s[0:1], v5, s15, v[2:3]
	v_mov_b32_e32 v3, v1
	v_lshlrev_b64 v[0:1], 3, v[2:3]
	v_mov_b32_e32 v2, s11
	v_add_co_u32_e32 v0, vcc, s10, v0
	v_addc_co_u32_e32 v1, vcc, v2, v1, vcc
	s_waitcnt lgkmcnt(0)
	global_store_dwordx2 v[0:1], v[6:7], off
.LBB67_86:
	s_endpgm
.LBB67_87:
	ds_read_u8 v20, v0
	s_andn2_b64 s[6:7], s[6:7], exec
	s_mov_b32 s16, 1
	s_waitcnt lgkmcnt(0)
	v_and_b32_e32 v20, 1, v20
	v_cmp_eq_u32_e64 s[4:5], 1, v20
	s_xor_b64 s[4:5], s[4:5], -1
	s_and_b64 s[4:5], s[4:5], exec
	s_or_b64 s[6:7], s[6:7], s[4:5]
	s_or_b64 exec, exec, s[12:13]
	v_mov_b32_e32 v20, s16
	s_and_saveexec_b64 s[4:5], s[6:7]
	s_cbranch_execz .LBB67_22
.LBB67_88:
	ds_read_u8 v20, v0 offset:1
	s_waitcnt lgkmcnt(0)
	v_xor_b32_e32 v20, 1, v20
	s_or_b64 exec, exec, s[4:5]
	v_cmp_eq_u32_e64 s[4:5], v20, v18
	s_and_saveexec_b64 s[6:7], s[4:5]
	s_cbranch_execnz .LBB67_23
	s_branch .LBB67_24
.LBB67_89:
	ds_read_u8 v24, v12
	s_andn2_b64 s[6:7], s[6:7], exec
	s_mov_b32 s16, 1
	s_waitcnt lgkmcnt(0)
	v_and_b32_e32 v24, 1, v24
	v_cmp_eq_u32_e64 s[4:5], 1, v24
	s_xor_b64 s[4:5], s[4:5], -1
	s_and_b64 s[4:5], s[4:5], exec
	s_or_b64 s[6:7], s[6:7], s[4:5]
	s_or_b64 exec, exec, s[12:13]
	v_mov_b32_e32 v24, s16
	s_and_saveexec_b64 s[4:5], s[6:7]
	s_cbranch_execz .LBB67_32
.LBB67_90:
	ds_read_u8 v24, v12 offset:2
	s_waitcnt lgkmcnt(0)
	v_xor_b32_e32 v24, 1, v24
	s_or_b64 exec, exec, s[4:5]
	v_cmp_eq_u32_e64 s[4:5], v24, v21
	s_and_saveexec_b64 s[6:7], s[4:5]
	s_cbranch_execnz .LBB67_33
	s_branch .LBB67_34
.LBB67_91:
	ds_read_u8 v23, v0
	s_andn2_b64 s[6:7], s[6:7], exec
	s_mov_b32 s16, 1
	s_waitcnt lgkmcnt(0)
	v_and_b32_e32 v23, 1, v23
	v_cmp_eq_u32_e64 s[4:5], 1, v23
	s_xor_b64 s[4:5], s[4:5], -1
	s_and_b64 s[4:5], s[4:5], exec
	s_or_b64 s[6:7], s[6:7], s[4:5]
	s_or_b64 exec, exec, s[12:13]
	v_mov_b32_e32 v23, s16
	s_and_saveexec_b64 s[4:5], s[6:7]
	s_cbranch_execz .LBB67_36
.LBB67_92:
	ds_read_u8 v23, v0 offset:1
	s_waitcnt lgkmcnt(0)
	v_xor_b32_e32 v23, 1, v23
	s_or_b64 exec, exec, s[4:5]
	v_cmp_eq_u32_e64 s[4:5], v23, v21
	s_and_saveexec_b64 s[6:7], s[4:5]
	s_cbranch_execnz .LBB67_37
	s_branch .LBB67_38
.LBB67_93:
	ds_read_u8 v27, v19
	s_andn2_b64 s[6:7], s[6:7], exec
	s_mov_b32 s16, 1
	s_waitcnt lgkmcnt(0)
	v_and_b32_e32 v27, 1, v27
	v_cmp_eq_u32_e64 s[4:5], 1, v27
	s_xor_b64 s[4:5], s[4:5], -1
	s_and_b64 s[4:5], s[4:5], exec
	s_or_b64 s[6:7], s[6:7], s[4:5]
	s_or_b64 exec, exec, s[12:13]
	v_mov_b32_e32 v27, s16
	s_and_saveexec_b64 s[4:5], s[6:7]
	s_cbranch_execz .LBB67_46
.LBB67_94:
	ds_read_u8 v27, v19 offset:4
	s_waitcnt lgkmcnt(0)
	v_xor_b32_e32 v27, 1, v27
	s_or_b64 exec, exec, s[4:5]
	v_cmp_eq_u32_e64 s[4:5], v27, v24
	s_and_saveexec_b64 s[6:7], s[4:5]
	s_cbranch_execnz .LBB67_47
	s_branch .LBB67_48
.LBB67_95:
	ds_read_u8 v27, v12
	s_andn2_b64 s[6:7], s[6:7], exec
	s_mov_b32 s16, 1
	s_waitcnt lgkmcnt(0)
	v_and_b32_e32 v27, 1, v27
	v_cmp_eq_u32_e64 s[4:5], 1, v27
	s_xor_b64 s[4:5], s[4:5], -1
	s_and_b64 s[4:5], s[4:5], exec
	s_or_b64 s[6:7], s[6:7], s[4:5]
	s_or_b64 exec, exec, s[12:13]
	v_mov_b32_e32 v27, s16
	s_and_saveexec_b64 s[4:5], s[6:7]
	s_cbranch_execz .LBB67_50
.LBB67_96:
	ds_read_u8 v27, v12 offset:2
	s_waitcnt lgkmcnt(0)
	v_xor_b32_e32 v27, 1, v27
	s_or_b64 exec, exec, s[4:5]
	v_cmp_eq_u32_e64 s[4:5], v27, v24
	s_and_saveexec_b64 s[6:7], s[4:5]
	s_cbranch_execnz .LBB67_51
	s_branch .LBB67_52
.LBB67_97:
	ds_read_u8 v26, v0
	s_andn2_b64 s[6:7], s[6:7], exec
	s_mov_b32 s16, 1
	s_waitcnt lgkmcnt(0)
	v_and_b32_e32 v26, 1, v26
	v_cmp_eq_u32_e64 s[4:5], 1, v26
	s_xor_b64 s[4:5], s[4:5], -1
	s_and_b64 s[4:5], s[4:5], exec
	s_or_b64 s[6:7], s[6:7], s[4:5]
	s_or_b64 exec, exec, s[12:13]
	v_mov_b32_e32 v26, s16
	s_and_saveexec_b64 s[4:5], s[6:7]
	s_cbranch_execz .LBB67_54
.LBB67_98:
	ds_read_u8 v26, v0 offset:1
	s_waitcnt lgkmcnt(0)
	v_xor_b32_e32 v26, 1, v26
	s_or_b64 exec, exec, s[4:5]
	v_cmp_eq_u32_e64 s[4:5], v26, v24
	s_and_saveexec_b64 s[6:7], s[4:5]
	s_cbranch_execnz .LBB67_55
	s_branch .LBB67_56
	.section	.rodata,"a",@progbits
	.p2align	6, 0x0
	.amdhsa_kernel _ZN2at6native20bitonicSortKVInPlaceILi2ELin1ELi16ELi16EN3c108BFloat16ElNS0_4GTOpIS3_Lb1EEEjEEvNS_4cuda6detail10TensorInfoIT3_T6_EESA_SA_SA_NS8_IT4_SA_EESA_T5_
		.amdhsa_group_segment_fixed_size 5632
		.amdhsa_private_segment_fixed_size 0
		.amdhsa_kernarg_size 712
		.amdhsa_user_sgpr_count 6
		.amdhsa_user_sgpr_private_segment_buffer 1
		.amdhsa_user_sgpr_dispatch_ptr 0
		.amdhsa_user_sgpr_queue_ptr 0
		.amdhsa_user_sgpr_kernarg_segment_ptr 1
		.amdhsa_user_sgpr_dispatch_id 0
		.amdhsa_user_sgpr_flat_scratch_init 0
		.amdhsa_user_sgpr_kernarg_preload_length 0
		.amdhsa_user_sgpr_kernarg_preload_offset 0
		.amdhsa_user_sgpr_private_segment_size 0
		.amdhsa_uses_dynamic_stack 0
		.amdhsa_system_sgpr_private_segment_wavefront_offset 0
		.amdhsa_system_sgpr_workgroup_id_x 1
		.amdhsa_system_sgpr_workgroup_id_y 1
		.amdhsa_system_sgpr_workgroup_id_z 1
		.amdhsa_system_sgpr_workgroup_info 0
		.amdhsa_system_vgpr_workitem_id 1
		.amdhsa_next_free_vgpr 33
		.amdhsa_next_free_sgpr 20
		.amdhsa_accum_offset 36
		.amdhsa_reserve_vcc 1
		.amdhsa_reserve_flat_scratch 0
		.amdhsa_float_round_mode_32 0
		.amdhsa_float_round_mode_16_64 0
		.amdhsa_float_denorm_mode_32 3
		.amdhsa_float_denorm_mode_16_64 3
		.amdhsa_dx10_clamp 1
		.amdhsa_ieee_mode 1
		.amdhsa_fp16_overflow 0
		.amdhsa_tg_split 0
		.amdhsa_exception_fp_ieee_invalid_op 0
		.amdhsa_exception_fp_denorm_src 0
		.amdhsa_exception_fp_ieee_div_zero 0
		.amdhsa_exception_fp_ieee_overflow 0
		.amdhsa_exception_fp_ieee_underflow 0
		.amdhsa_exception_fp_ieee_inexact 0
		.amdhsa_exception_int_div_zero 0
	.end_amdhsa_kernel
	.section	.text._ZN2at6native20bitonicSortKVInPlaceILi2ELin1ELi16ELi16EN3c108BFloat16ElNS0_4GTOpIS3_Lb1EEEjEEvNS_4cuda6detail10TensorInfoIT3_T6_EESA_SA_SA_NS8_IT4_SA_EESA_T5_,"axG",@progbits,_ZN2at6native20bitonicSortKVInPlaceILi2ELin1ELi16ELi16EN3c108BFloat16ElNS0_4GTOpIS3_Lb1EEEjEEvNS_4cuda6detail10TensorInfoIT3_T6_EESA_SA_SA_NS8_IT4_SA_EESA_T5_,comdat
.Lfunc_end67:
	.size	_ZN2at6native20bitonicSortKVInPlaceILi2ELin1ELi16ELi16EN3c108BFloat16ElNS0_4GTOpIS3_Lb1EEEjEEvNS_4cuda6detail10TensorInfoIT3_T6_EESA_SA_SA_NS8_IT4_SA_EESA_T5_, .Lfunc_end67-_ZN2at6native20bitonicSortKVInPlaceILi2ELin1ELi16ELi16EN3c108BFloat16ElNS0_4GTOpIS3_Lb1EEEjEEvNS_4cuda6detail10TensorInfoIT3_T6_EESA_SA_SA_NS8_IT4_SA_EESA_T5_
                                        ; -- End function
	.section	.AMDGPU.csdata,"",@progbits
; Kernel info:
; codeLenInByte = 5380
; NumSgprs: 24
; NumVgprs: 33
; NumAgprs: 0
; TotalNumVgprs: 33
; ScratchSize: 0
; MemoryBound: 0
; FloatMode: 240
; IeeeMode: 1
; LDSByteSize: 5632 bytes/workgroup (compile time only)
; SGPRBlocks: 2
; VGPRBlocks: 4
; NumSGPRsForWavesPerEU: 24
; NumVGPRsForWavesPerEU: 33
; AccumOffset: 36
; Occupancy: 8
; WaveLimiterHint : 1
; COMPUTE_PGM_RSRC2:SCRATCH_EN: 0
; COMPUTE_PGM_RSRC2:USER_SGPR: 6
; COMPUTE_PGM_RSRC2:TRAP_HANDLER: 0
; COMPUTE_PGM_RSRC2:TGID_X_EN: 1
; COMPUTE_PGM_RSRC2:TGID_Y_EN: 1
; COMPUTE_PGM_RSRC2:TGID_Z_EN: 1
; COMPUTE_PGM_RSRC2:TIDIG_COMP_CNT: 1
; COMPUTE_PGM_RSRC3_GFX90A:ACCUM_OFFSET: 8
; COMPUTE_PGM_RSRC3_GFX90A:TG_SPLIT: 0
	.section	.text._ZN2at6native20bitonicSortKVInPlaceILin1ELin1ELi16ELi16EN3c108BFloat16ElNS0_4LTOpIS3_Lb1EEEjEEvNS_4cuda6detail10TensorInfoIT3_T6_EESA_SA_SA_NS8_IT4_SA_EESA_T5_,"axG",@progbits,_ZN2at6native20bitonicSortKVInPlaceILin1ELin1ELi16ELi16EN3c108BFloat16ElNS0_4LTOpIS3_Lb1EEEjEEvNS_4cuda6detail10TensorInfoIT3_T6_EESA_SA_SA_NS8_IT4_SA_EESA_T5_,comdat
	.protected	_ZN2at6native20bitonicSortKVInPlaceILin1ELin1ELi16ELi16EN3c108BFloat16ElNS0_4LTOpIS3_Lb1EEEjEEvNS_4cuda6detail10TensorInfoIT3_T6_EESA_SA_SA_NS8_IT4_SA_EESA_T5_ ; -- Begin function _ZN2at6native20bitonicSortKVInPlaceILin1ELin1ELi16ELi16EN3c108BFloat16ElNS0_4LTOpIS3_Lb1EEEjEEvNS_4cuda6detail10TensorInfoIT3_T6_EESA_SA_SA_NS8_IT4_SA_EESA_T5_
	.globl	_ZN2at6native20bitonicSortKVInPlaceILin1ELin1ELi16ELi16EN3c108BFloat16ElNS0_4LTOpIS3_Lb1EEEjEEvNS_4cuda6detail10TensorInfoIT3_T6_EESA_SA_SA_NS8_IT4_SA_EESA_T5_
	.p2align	8
	.type	_ZN2at6native20bitonicSortKVInPlaceILin1ELin1ELi16ELi16EN3c108BFloat16ElNS0_4LTOpIS3_Lb1EEEjEEvNS_4cuda6detail10TensorInfoIT3_T6_EESA_SA_SA_NS8_IT4_SA_EESA_T5_,@function
_ZN2at6native20bitonicSortKVInPlaceILin1ELin1ELi16ELi16EN3c108BFloat16ElNS0_4LTOpIS3_Lb1EEEjEEvNS_4cuda6detail10TensorInfoIT3_T6_EESA_SA_SA_NS8_IT4_SA_EESA_T5_: ; @_ZN2at6native20bitonicSortKVInPlaceILin1ELin1ELi16ELi16EN3c108BFloat16ElNS0_4LTOpIS3_Lb1EEEjEEvNS_4cuda6detail10TensorInfoIT3_T6_EESA_SA_SA_NS8_IT4_SA_EESA_T5_
; %bb.0:
	s_load_dwordx2 s[2:3], s[4:5], 0x1c8
	s_load_dwordx4 s[12:15], s[4:5], 0xd8
	s_load_dword s9, s[4:5], 0x1d4
	s_add_u32 s0, s4, 0x1c8
	s_addc_u32 s1, s5, 0
	s_waitcnt lgkmcnt(0)
	s_mul_i32 s3, s3, s8
	s_add_i32 s3, s3, s7
	s_mul_i32 s2, s3, s2
	s_add_i32 s3, s2, s6
	s_lshr_b32 s2, s9, 16
	s_mul_i32 s3, s3, s2
	s_cmp_ge_u32 s3, s12
	s_cbranch_scc1 .LBB68_89
; %bb.1:
	s_load_dword s2, s[4:5], 0xd0
	v_bfe_u32 v8, v0, 10, 10
	v_add_u32_e32 v1, s3, v8
	v_mov_b32_e32 v2, 0
	v_mov_b32_e32 v4, v1
	s_waitcnt lgkmcnt(0)
	s_cmp_lt_i32 s2, 2
	s_cbranch_scc1 .LBB68_4
; %bb.2:
	s_add_i32 s6, s2, 1
	s_add_i32 s2, s2, -1
	s_mov_b32 s3, 0
	s_lshl_b64 s[2:3], s[2:3], 2
	s_add_u32 s2, s2, s4
	s_addc_u32 s3, s3, s5
	s_add_u32 s2, s2, 8
	s_addc_u32 s3, s3, 0
	v_mov_b32_e32 v2, 0
	v_mov_b32_e32 v4, v1
.LBB68_3:                               ; =>This Inner Loop Header: Depth=1
	s_load_dword s7, s[2:3], 0x0
	s_load_dword s8, s[2:3], 0x64
	v_mov_b32_e32 v3, v4
	s_add_i32 s6, s6, -1
	s_waitcnt lgkmcnt(0)
	v_cvt_f32_u32_e32 v4, s7
	s_sub_i32 s9, 0, s7
	s_add_u32 s2, s2, -4
	s_addc_u32 s3, s3, -1
	v_rcp_iflag_f32_e32 v4, v4
	s_cmp_gt_u32 s6, 2
	v_mul_f32_e32 v4, 0x4f7ffffe, v4
	v_cvt_u32_f32_e32 v4, v4
	v_mul_lo_u32 v5, s9, v4
	v_mul_hi_u32 v5, v4, v5
	v_add_u32_e32 v4, v4, v5
	v_mul_hi_u32 v4, v3, v4
	v_mul_lo_u32 v5, v4, s7
	v_sub_u32_e32 v5, v3, v5
	v_add_u32_e32 v6, 1, v4
	v_cmp_le_u32_e32 vcc, s7, v5
	v_cndmask_b32_e32 v4, v4, v6, vcc
	v_subrev_u32_e32 v6, s7, v5
	v_cndmask_b32_e32 v5, v5, v6, vcc
	v_add_u32_e32 v6, 1, v4
	v_cmp_le_u32_e32 vcc, s7, v5
	v_cndmask_b32_e32 v4, v4, v6, vcc
	v_mul_lo_u32 v5, v4, s7
	v_sub_u32_e32 v3, v3, v5
	v_mad_u64_u32 v[2:3], s[8:9], s8, v3, v[2:3]
	s_cbranch_scc1 .LBB68_3
.LBB68_4:
	s_load_dword s2, s[4:5], 0x1b8
	v_mov_b32_e32 v6, 0
	v_mov_b32_e32 v3, v1
	s_waitcnt lgkmcnt(0)
	s_cmp_lt_i32 s2, 2
	s_cbranch_scc1 .LBB68_7
; %bb.5:
	s_add_i32 s6, s2, 1
	s_add_i32 s2, s2, -1
	s_mov_b32 s3, 0
	s_lshl_b64 s[2:3], s[2:3], 2
	s_add_u32 s2, s2, s4
	s_addc_u32 s3, s3, s5
	s_add_u32 s2, s2, 0xf0
	s_addc_u32 s3, s3, 0
	v_mov_b32_e32 v6, 0
	v_mov_b32_e32 v3, v1
.LBB68_6:                               ; =>This Inner Loop Header: Depth=1
	s_load_dword s7, s[2:3], 0x0
	s_load_dword s8, s[2:3], 0x64
	v_mov_b32_e32 v5, v3
	s_add_i32 s6, s6, -1
	s_waitcnt lgkmcnt(0)
	v_cvt_f32_u32_e32 v3, s7
	s_sub_i32 s9, 0, s7
	s_add_u32 s2, s2, -4
	s_addc_u32 s3, s3, -1
	v_rcp_iflag_f32_e32 v3, v3
	s_cmp_gt_u32 s6, 2
	v_mul_f32_e32 v3, 0x4f7ffffe, v3
	v_cvt_u32_f32_e32 v3, v3
	v_mul_lo_u32 v7, s9, v3
	v_mul_hi_u32 v7, v3, v7
	v_add_u32_e32 v3, v3, v7
	v_mul_hi_u32 v3, v5, v3
	v_mul_lo_u32 v7, v3, s7
	v_sub_u32_e32 v7, v5, v7
	v_add_u32_e32 v9, 1, v3
	v_cmp_le_u32_e32 vcc, s7, v7
	v_cndmask_b32_e32 v3, v3, v9, vcc
	v_subrev_u32_e32 v9, s7, v7
	v_cndmask_b32_e32 v7, v7, v9, vcc
	v_add_u32_e32 v9, 1, v3
	v_cmp_le_u32_e32 vcc, s7, v7
	v_cndmask_b32_e32 v3, v3, v9, vcc
	v_mul_lo_u32 v7, v3, s7
	v_sub_u32_e32 v5, v5, v7
	v_mad_u64_u32 v[6:7], s[8:9], s8, v5, v[6:7]
	s_cbranch_scc1 .LBB68_6
.LBB68_7:
	s_load_dword s2, s[4:5], 0x6c
	v_cmp_gt_u32_e32 vcc, s12, v1
	v_mov_b32_e32 v10, 0
	s_waitcnt lgkmcnt(0)
	v_mad_u64_u32 v[4:5], s[2:3], s2, v4, v[2:3]
	s_load_dword s15, s[4:5], 0x1c0
	s_load_dword s2, s[4:5], 0x154
	s_load_dwordx2 s[10:11], s[4:5], 0x0
	s_load_dwordx2 s[8:9], s[4:5], 0xe8
	s_load_dword s12, s[0:1], 0xc
	v_mov_b32_e32 v5, 0
	s_waitcnt lgkmcnt(0)
	v_mad_u64_u32 v[2:3], s[2:3], s2, v3, v[6:7]
	v_and_b32_e32 v3, 0x3ff, v0
	v_cmp_gt_u32_e64 s[0:1], s13, v3
	v_pk_mov_b32 v[0:1], 0, 0
	s_and_b64 s[4:5], vcc, s[0:1]
	v_pk_mov_b32 v[6:7], v[0:1], v[0:1] op_sel:[0,1]
	s_and_saveexec_b64 s[6:7], s[4:5]
	s_cbranch_execz .LBB68_9
; %bb.8:
	v_mad_u64_u32 v[6:7], s[2:3], v3, s14, v[4:5]
	v_mov_b32_e32 v7, 0
	v_lshlrev_b64 v[12:13], 1, v[6:7]
	v_mov_b32_e32 v5, s11
	v_add_co_u32_e64 v12, s[2:3], s10, v12
	v_addc_co_u32_e64 v13, s[2:3], v5, v13, s[2:3]
	global_load_ushort v5, v[12:13], off
	v_mad_u64_u32 v[12:13], s[2:3], v3, s15, v[2:3]
	v_mov_b32_e32 v13, v7
	v_lshlrev_b64 v[6:7], 3, v[12:13]
	v_mov_b32_e32 v9, s9
	v_add_co_u32_e64 v6, s[2:3], s8, v6
	v_addc_co_u32_e64 v7, s[2:3], v9, v7, s[2:3]
	global_load_dwordx2 v[6:7], v[6:7], off
.LBB68_9:
	s_or_b64 exec, exec, s[6:7]
	v_mov_b32_e32 v9, 0x1000
	v_lshl_add_u32 v16, v8, 6, v9
	v_mov_b32_e32 v9, 0x1400
	v_lshl_add_u32 v15, v8, 5, v9
	v_lshl_add_u32 v9, v3, 1, v16
	s_and_b32 s16, 0xffff, s12
	v_cndmask_b32_e64 v11, 0, 1, s[4:5]
	s_waitcnt vmcnt(1)
	ds_write_b16 v9, v5
	v_add_u32_e32 v5, v15, v3
	ds_write_b8 v5, v11
	v_add_u32_e32 v5, s16, v3
	v_lshlrev_b32_e32 v13, 8, v8
	v_cmp_gt_u32_e64 s[2:3], s13, v5
	v_lshl_add_u32 v8, v3, 3, v13
	s_and_b64 s[6:7], vcc, s[2:3]
	s_waitcnt vmcnt(0)
	ds_write_b64 v8, v[6:7]
	s_and_saveexec_b64 s[12:13], s[6:7]
	s_cbranch_execz .LBB68_11
; %bb.10:
	v_mad_u64_u32 v[0:1], s[4:5], v5, s14, v[4:5]
	v_mov_b32_e32 v1, 0
	v_lshlrev_b64 v[6:7], 1, v[0:1]
	v_mov_b32_e32 v0, s11
	v_add_co_u32_e64 v6, s[4:5], s10, v6
	v_addc_co_u32_e64 v7, s[4:5], v0, v7, s[4:5]
	global_load_ushort v10, v[6:7], off
	v_mad_u64_u32 v[6:7], s[4:5], v5, s15, v[2:3]
	v_mov_b32_e32 v7, v1
	v_lshlrev_b64 v[0:1], 3, v[6:7]
	v_mov_b32_e32 v6, s9
	v_add_co_u32_e64 v0, s[4:5], s8, v0
	v_addc_co_u32_e64 v1, s[4:5], v6, v1, s[4:5]
	global_load_dwordx2 v[0:1], v[0:1], off
.LBB68_11:
	s_or_b64 exec, exec, s[12:13]
	v_lshl_add_u32 v6, s16, 3, v8
	v_lshlrev_b32_e32 v17, 1, v3
	v_cndmask_b32_e64 v11, 0, 1, s[6:7]
	v_lshl_add_u32 v7, s16, 1, v9
	s_waitcnt vmcnt(0)
	ds_write_b64 v6, v[0:1]
	v_add_u32_e32 v0, v15, v5
	v_add_u32_e32 v1, v9, v17
	ds_write_b16 v7, v10
	ds_write_b8 v0, v11
	s_waitcnt lgkmcnt(0)
	s_barrier
	ds_read_b32 v11, v1
                                        ; implicit-def: $sgpr16
	s_waitcnt lgkmcnt(0)
	v_lshlrev_b32_e32 v0, 16, v11
	v_and_b32_e32 v10, 0xffff0000, v11
	v_cmp_u_f32_e64 s[4:5], v10, v10
	v_cmp_o_f32_e64 s[6:7], v0, v0
	s_and_b64 s[6:7], s[4:5], s[6:7]
	v_cmp_lt_f32_e64 s[4:5], v0, v10
	s_or_b64 s[4:5], s[6:7], s[4:5]
	s_xor_b64 s[6:7], s[4:5], -1
	v_add_u32_e32 v0, v15, v17
	s_and_saveexec_b64 s[12:13], s[4:5]
	s_xor_b64 s[12:13], exec, s[12:13]
	s_cbranch_execz .LBB68_13
; %bb.12:
	ds_read_u8 v10, v0
	s_andn2_b64 s[6:7], s[6:7], exec
	s_mov_b32 s16, 1
	s_waitcnt lgkmcnt(0)
	v_and_b32_e32 v10, 1, v10
	v_cmp_eq_u32_e64 s[4:5], 1, v10
	s_xor_b64 s[4:5], s[4:5], -1
	s_and_b64 s[4:5], s[4:5], exec
	s_or_b64 s[6:7], s[6:7], s[4:5]
.LBB68_13:
	s_or_b64 exec, exec, s[12:13]
	v_mov_b32_e32 v14, s16
	s_and_saveexec_b64 s[4:5], s[6:7]
	s_cbranch_execz .LBB68_15
; %bb.14:
	ds_read_u8 v10, v0 offset:1
	s_waitcnt lgkmcnt(0)
	v_xor_b32_e32 v14, 1, v10
.LBB68_15:
	s_or_b64 exec, exec, s[4:5]
	v_and_b32_e32 v12, 1, v3
	v_lshlrev_b32_e32 v10, 3, v3
	v_cmp_eq_u32_e64 s[4:5], v14, v12
	s_and_saveexec_b64 s[6:7], s[4:5]
	s_cbranch_execz .LBB68_17
; %bb.16:
	v_add_u32_e32 v14, v8, v10
	v_alignbit_b32 v11, v11, v11, 16
	ds_read_b128 v[18:21], v14
	ds_write_b32 v1, v11
	ds_read_u16 v11, v0
	s_mov_b32 s4, 0xc0c0001
	s_waitcnt lgkmcnt(2)
	v_mov_b32_e32 v22, v18
	v_mov_b32_e32 v23, v19
	s_waitcnt lgkmcnt(0)
	v_perm_b32 v11, 0, v11, s4
	ds_write_b128 v14, v[20:23]
	ds_write_b16 v0, v11
.LBB68_17:
	s_or_b64 exec, exec, s[6:7]
	v_sub_u32_e32 v14, v17, v12
	v_lshl_add_u32 v11, v14, 1, v16
	s_waitcnt lgkmcnt(0)
	s_barrier
	ds_read_u16 v19, v11
	ds_read_u16 v20, v11 offset:4
                                        ; implicit-def: $sgpr12
	s_waitcnt lgkmcnt(1)
	v_lshlrev_b32_e32 v12, 16, v19
	s_waitcnt lgkmcnt(0)
	v_lshlrev_b32_e32 v18, 16, v20
	v_cmp_u_f32_e64 s[4:5], v18, v18
	v_cmp_o_f32_e64 s[6:7], v12, v12
	s_and_b64 s[6:7], s[4:5], s[6:7]
	v_cmp_lt_f32_e64 s[4:5], v12, v18
	s_or_b64 s[6:7], s[6:7], s[4:5]
	s_mov_b64 s[4:5], -1
	v_add_u32_e32 v12, v15, v14
	s_and_saveexec_b64 s[16:17], s[6:7]
	s_xor_b64 s[6:7], exec, s[16:17]
	s_cbranch_execz .LBB68_19
; %bb.18:
	ds_read_u8 v18, v12
	s_mov_b32 s12, 1
	s_waitcnt lgkmcnt(0)
	v_and_b32_e32 v18, 1, v18
	v_cmp_eq_u32_e64 s[4:5], 1, v18
	s_xor_b64 s[4:5], s[4:5], -1
	s_orn2_b64 s[4:5], s[4:5], exec
.LBB68_19:
	s_or_b64 exec, exec, s[6:7]
	v_mov_b32_e32 v21, s12
	s_and_saveexec_b64 s[6:7], s[4:5]
	s_cbranch_execz .LBB68_21
; %bb.20:
	ds_read_u8 v18, v12 offset:2
	s_waitcnt lgkmcnt(0)
	v_xor_b32_e32 v21, 1, v18
.LBB68_21:
	s_or_b64 exec, exec, s[6:7]
	v_bfe_u32 v18, v3, 1, 1
	v_lshl_add_u32 v14, v14, 3, v13
	v_cmp_eq_u32_e64 s[4:5], v21, v18
	s_and_saveexec_b64 s[6:7], s[4:5]
	s_cbranch_execz .LBB68_23
; %bb.22:
	ds_read2_b64 v[22:25], v14 offset1:2
	ds_read_u8 v21, v12 offset:2
	ds_read_u8 v26, v12
	ds_write_b16 v11, v20
	ds_write_b16 v11, v19 offset:4
	s_waitcnt lgkmcnt(4)
	ds_write2_b64 v14, v[24:25], v[22:23] offset1:2
	s_waitcnt lgkmcnt(4)
	ds_write_b8 v12, v21
	s_waitcnt lgkmcnt(4)
	ds_write_b8 v12, v26 offset:2
.LBB68_23:
	s_or_b64 exec, exec, s[6:7]
	s_waitcnt lgkmcnt(0)
	s_barrier
	ds_read_b32 v19, v1
                                        ; implicit-def: $sgpr16
	s_waitcnt lgkmcnt(0)
	v_lshlrev_b32_e32 v20, 16, v19
	v_and_b32_e32 v21, 0xffff0000, v19
	v_cmp_u_f32_e64 s[4:5], v21, v21
	v_cmp_o_f32_e64 s[6:7], v20, v20
	s_and_b64 s[6:7], s[4:5], s[6:7]
	v_cmp_lt_f32_e64 s[4:5], v20, v21
	s_or_b64 s[4:5], s[6:7], s[4:5]
	s_xor_b64 s[6:7], s[4:5], -1
	s_and_saveexec_b64 s[12:13], s[4:5]
	s_cbranch_execnz .LBB68_90
; %bb.24:
	s_or_b64 exec, exec, s[12:13]
	v_mov_b32_e32 v20, s16
	s_and_saveexec_b64 s[4:5], s[6:7]
	s_cbranch_execnz .LBB68_91
.LBB68_25:
	s_or_b64 exec, exec, s[4:5]
	v_cmp_eq_u32_e64 s[4:5], v20, v18
	s_and_saveexec_b64 s[6:7], s[4:5]
	s_cbranch_execz .LBB68_27
.LBB68_26:
	v_add_u32_e32 v24, v8, v10
	ds_read_b128 v[20:23], v24
	ds_read_u16 v25, v0
	v_alignbit_b32 v18, v19, v19, 16
	ds_write_b32 v1, v18
	s_mov_b32 s4, 0xc0c0001
	s_waitcnt lgkmcnt(2)
	v_mov_b32_e32 v18, v22
	v_mov_b32_e32 v19, v23
	ds_write_b128 v24, v[18:21]
	s_waitcnt lgkmcnt(2)
	v_perm_b32 v18, 0, v25, s4
	ds_write_b16 v0, v18
.LBB68_27:
	s_or_b64 exec, exec, s[6:7]
	v_and_b32_e32 v18, 3, v3
	v_sub_u32_e32 v20, v17, v18
	v_lshl_add_u32 v18, v20, 1, v16
	s_waitcnt lgkmcnt(0)
	s_barrier
	ds_read_u16 v22, v18
	ds_read_u16 v23, v18 offset:8
	s_mov_b32 s16, 1
	s_waitcnt lgkmcnt(1)
	v_lshlrev_b32_e32 v19, 16, v22
	s_waitcnt lgkmcnt(0)
	v_lshlrev_b32_e32 v21, 16, v23
	v_cmp_u_f32_e64 s[4:5], v21, v21
	v_cmp_o_f32_e64 s[6:7], v19, v19
	s_and_b64 s[6:7], s[4:5], s[6:7]
	v_cmp_lt_f32_e64 s[4:5], v19, v21
	s_or_b64 s[4:5], s[6:7], s[4:5]
	s_xor_b64 s[6:7], s[4:5], -1
	v_add_u32_e32 v19, v15, v20
	s_and_saveexec_b64 s[12:13], s[4:5]
	s_cbranch_execz .LBB68_29
; %bb.28:
	ds_read_u8 v21, v19
	s_andn2_b64 s[6:7], s[6:7], exec
	s_waitcnt lgkmcnt(0)
	v_and_b32_e32 v21, 1, v21
	v_cmp_eq_u32_e64 s[4:5], 1, v21
	s_xor_b64 s[4:5], s[4:5], -1
	s_and_b64 s[4:5], s[4:5], exec
	s_or_b64 s[6:7], s[6:7], s[4:5]
.LBB68_29:
	s_or_b64 exec, exec, s[12:13]
	v_mov_b32_e32 v24, s16
	s_and_saveexec_b64 s[4:5], s[6:7]
	s_cbranch_execz .LBB68_31
; %bb.30:
	ds_read_u8 v21, v19 offset:4
	s_waitcnt lgkmcnt(0)
	v_xor_b32_e32 v24, 1, v21
.LBB68_31:
	s_or_b64 exec, exec, s[4:5]
	v_bfe_u32 v21, v3, 2, 1
	v_lshl_add_u32 v20, v20, 3, v13
	v_cmp_eq_u32_e64 s[4:5], v24, v21
	s_and_saveexec_b64 s[6:7], s[4:5]
	s_cbranch_execz .LBB68_33
; %bb.32:
	ds_read2_b64 v[24:27], v20 offset1:4
	ds_read_u8 v28, v19 offset:4
	ds_read_u8 v29, v19
	ds_write_b16 v18, v23
	ds_write_b16 v18, v22 offset:8
	s_waitcnt lgkmcnt(4)
	ds_write2_b64 v20, v[26:27], v[24:25] offset1:4
	s_waitcnt lgkmcnt(4)
	ds_write_b8 v19, v28
	s_waitcnt lgkmcnt(4)
	ds_write_b8 v19, v29 offset:4
.LBB68_33:
	s_or_b64 exec, exec, s[6:7]
	s_waitcnt lgkmcnt(0)
	s_barrier
	ds_read_u16 v22, v11
	ds_read_u16 v23, v11 offset:4
                                        ; implicit-def: $sgpr16
	s_waitcnt lgkmcnt(1)
	v_lshlrev_b32_e32 v24, 16, v22
	s_waitcnt lgkmcnt(0)
	v_lshlrev_b32_e32 v25, 16, v23
	v_cmp_u_f32_e64 s[4:5], v25, v25
	v_cmp_o_f32_e64 s[6:7], v24, v24
	s_and_b64 s[6:7], s[4:5], s[6:7]
	v_cmp_lt_f32_e64 s[4:5], v24, v25
	s_or_b64 s[4:5], s[6:7], s[4:5]
	s_xor_b64 s[6:7], s[4:5], -1
	s_and_saveexec_b64 s[12:13], s[4:5]
	s_cbranch_execnz .LBB68_92
; %bb.34:
	s_or_b64 exec, exec, s[12:13]
	v_mov_b32_e32 v24, s16
	s_and_saveexec_b64 s[4:5], s[6:7]
	s_cbranch_execnz .LBB68_93
.LBB68_35:
	s_or_b64 exec, exec, s[4:5]
	v_cmp_eq_u32_e64 s[4:5], v24, v21
	s_and_saveexec_b64 s[6:7], s[4:5]
	s_cbranch_execz .LBB68_37
.LBB68_36:
	ds_read2_b64 v[24:27], v14 offset1:2
	ds_read_u8 v28, v12 offset:2
	ds_read_u8 v29, v12
	ds_write_b16 v11, v23
	ds_write_b16 v11, v22 offset:4
	s_waitcnt lgkmcnt(4)
	ds_write2_b64 v14, v[26:27], v[24:25] offset1:2
	s_waitcnt lgkmcnt(4)
	ds_write_b8 v12, v28
	s_waitcnt lgkmcnt(4)
	ds_write_b8 v12, v29 offset:2
.LBB68_37:
	s_or_b64 exec, exec, s[6:7]
	s_waitcnt lgkmcnt(0)
	s_barrier
	ds_read_b32 v22, v1
                                        ; implicit-def: $sgpr16
	s_waitcnt lgkmcnt(0)
	v_lshlrev_b32_e32 v23, 16, v22
	v_and_b32_e32 v24, 0xffff0000, v22
	v_cmp_u_f32_e64 s[4:5], v24, v24
	v_cmp_o_f32_e64 s[6:7], v23, v23
	s_and_b64 s[6:7], s[4:5], s[6:7]
	v_cmp_lt_f32_e64 s[4:5], v23, v24
	s_or_b64 s[4:5], s[6:7], s[4:5]
	s_xor_b64 s[6:7], s[4:5], -1
	s_and_saveexec_b64 s[12:13], s[4:5]
	s_cbranch_execnz .LBB68_94
; %bb.38:
	s_or_b64 exec, exec, s[12:13]
	v_mov_b32_e32 v23, s16
	s_and_saveexec_b64 s[4:5], s[6:7]
	s_cbranch_execnz .LBB68_95
.LBB68_39:
	s_or_b64 exec, exec, s[4:5]
	v_cmp_eq_u32_e64 s[4:5], v23, v21
	s_and_saveexec_b64 s[6:7], s[4:5]
	s_cbranch_execz .LBB68_41
.LBB68_40:
	v_add_u32_e32 v21, v8, v10
	ds_read_b128 v[24:27], v21
	ds_read_u16 v28, v0
	v_alignbit_b32 v22, v22, v22, 16
	ds_write_b32 v1, v22
	s_mov_b32 s4, 0xc0c0001
	s_waitcnt lgkmcnt(2)
	v_mov_b32_e32 v22, v26
	v_mov_b32_e32 v23, v27
	ds_write_b128 v21, v[22:25]
	s_waitcnt lgkmcnt(2)
	v_perm_b32 v21, 0, v28, s4
	ds_write_b16 v0, v21
.LBB68_41:
	s_or_b64 exec, exec, s[6:7]
	v_and_b32_e32 v21, 7, v3
	v_sub_u32_e32 v23, v17, v21
	v_lshl_add_u32 v21, v23, 1, v16
	s_waitcnt lgkmcnt(0)
	s_barrier
	ds_read_u16 v25, v21
	ds_read_u16 v26, v21 offset:16
	s_mov_b32 s16, 1
	s_waitcnt lgkmcnt(1)
	v_lshlrev_b32_e32 v22, 16, v25
	s_waitcnt lgkmcnt(0)
	v_lshlrev_b32_e32 v24, 16, v26
	v_cmp_u_f32_e64 s[4:5], v24, v24
	v_cmp_o_f32_e64 s[6:7], v22, v22
	s_and_b64 s[6:7], s[4:5], s[6:7]
	v_cmp_lt_f32_e64 s[4:5], v22, v24
	s_or_b64 s[4:5], s[6:7], s[4:5]
	s_xor_b64 s[6:7], s[4:5], -1
	v_add_u32_e32 v22, v15, v23
	s_and_saveexec_b64 s[12:13], s[4:5]
	s_cbranch_execz .LBB68_43
; %bb.42:
	ds_read_u8 v24, v22
	s_andn2_b64 s[6:7], s[6:7], exec
	s_waitcnt lgkmcnt(0)
	v_and_b32_e32 v24, 1, v24
	v_cmp_eq_u32_e64 s[4:5], 1, v24
	s_xor_b64 s[4:5], s[4:5], -1
	s_and_b64 s[4:5], s[4:5], exec
	s_or_b64 s[6:7], s[6:7], s[4:5]
.LBB68_43:
	s_or_b64 exec, exec, s[12:13]
	v_mov_b32_e32 v27, s16
	s_and_saveexec_b64 s[4:5], s[6:7]
	s_cbranch_execz .LBB68_45
; %bb.44:
	ds_read_u8 v24, v22 offset:8
	s_waitcnt lgkmcnt(0)
	v_xor_b32_e32 v27, 1, v24
.LBB68_45:
	s_or_b64 exec, exec, s[4:5]
	v_bfe_u32 v24, v3, 3, 1
	v_lshl_add_u32 v23, v23, 3, v13
	v_cmp_eq_u32_e64 s[4:5], v27, v24
	s_and_saveexec_b64 s[6:7], s[4:5]
	s_cbranch_execz .LBB68_47
; %bb.46:
	ds_read2_b64 v[28:31], v23 offset1:8
	ds_read_u8 v27, v22 offset:8
	ds_read_u8 v32, v22
	ds_write_b16 v21, v26
	ds_write_b16 v21, v25 offset:16
	s_waitcnt lgkmcnt(4)
	ds_write2_b64 v23, v[30:31], v[28:29] offset1:8
	s_waitcnt lgkmcnt(4)
	ds_write_b8 v22, v27
	s_waitcnt lgkmcnt(4)
	ds_write_b8 v22, v32 offset:8
.LBB68_47:
	s_or_b64 exec, exec, s[6:7]
	s_waitcnt lgkmcnt(0)
	s_barrier
	ds_read_u16 v25, v18
	ds_read_u16 v26, v18 offset:8
                                        ; implicit-def: $sgpr16
	s_waitcnt lgkmcnt(1)
	v_lshlrev_b32_e32 v27, 16, v25
	s_waitcnt lgkmcnt(0)
	v_lshlrev_b32_e32 v28, 16, v26
	v_cmp_u_f32_e64 s[4:5], v28, v28
	v_cmp_o_f32_e64 s[6:7], v27, v27
	s_and_b64 s[6:7], s[4:5], s[6:7]
	v_cmp_lt_f32_e64 s[4:5], v27, v28
	s_or_b64 s[4:5], s[6:7], s[4:5]
	s_xor_b64 s[6:7], s[4:5], -1
	s_and_saveexec_b64 s[12:13], s[4:5]
	s_cbranch_execnz .LBB68_96
; %bb.48:
	s_or_b64 exec, exec, s[12:13]
	v_mov_b32_e32 v27, s16
	s_and_saveexec_b64 s[4:5], s[6:7]
	s_cbranch_execnz .LBB68_97
.LBB68_49:
	s_or_b64 exec, exec, s[4:5]
	v_cmp_eq_u32_e64 s[4:5], v27, v24
	s_and_saveexec_b64 s[6:7], s[4:5]
	s_cbranch_execz .LBB68_51
.LBB68_50:
	ds_read2_b64 v[28:31], v20 offset1:4
	ds_read_u8 v27, v19 offset:4
	ds_read_u8 v32, v19
	ds_write_b16 v18, v26
	ds_write_b16 v18, v25 offset:8
	s_waitcnt lgkmcnt(4)
	ds_write2_b64 v20, v[30:31], v[28:29] offset1:4
	s_waitcnt lgkmcnt(4)
	ds_write_b8 v19, v27
	s_waitcnt lgkmcnt(4)
	ds_write_b8 v19, v32 offset:4
.LBB68_51:
	s_or_b64 exec, exec, s[6:7]
	s_waitcnt lgkmcnt(0)
	s_barrier
	ds_read_u16 v25, v11
	ds_read_u16 v26, v11 offset:4
                                        ; implicit-def: $sgpr16
	s_waitcnt lgkmcnt(1)
	v_lshlrev_b32_e32 v27, 16, v25
	s_waitcnt lgkmcnt(0)
	v_lshlrev_b32_e32 v28, 16, v26
	v_cmp_u_f32_e64 s[4:5], v28, v28
	v_cmp_o_f32_e64 s[6:7], v27, v27
	s_and_b64 s[6:7], s[4:5], s[6:7]
	v_cmp_lt_f32_e64 s[4:5], v27, v28
	s_or_b64 s[4:5], s[6:7], s[4:5]
	s_xor_b64 s[6:7], s[4:5], -1
	s_and_saveexec_b64 s[12:13], s[4:5]
	s_cbranch_execnz .LBB68_98
; %bb.52:
	s_or_b64 exec, exec, s[12:13]
	v_mov_b32_e32 v27, s16
	s_and_saveexec_b64 s[4:5], s[6:7]
	s_cbranch_execnz .LBB68_99
.LBB68_53:
	s_or_b64 exec, exec, s[4:5]
	v_cmp_eq_u32_e64 s[4:5], v27, v24
	s_and_saveexec_b64 s[6:7], s[4:5]
	s_cbranch_execz .LBB68_55
.LBB68_54:
	ds_read2_b64 v[28:31], v14 offset1:2
	ds_read_u8 v27, v12 offset:2
	ds_read_u8 v32, v12
	ds_write_b16 v11, v26
	ds_write_b16 v11, v25 offset:4
	s_waitcnt lgkmcnt(4)
	ds_write2_b64 v14, v[30:31], v[28:29] offset1:2
	s_waitcnt lgkmcnt(4)
	ds_write_b8 v12, v27
	s_waitcnt lgkmcnt(4)
	ds_write_b8 v12, v32 offset:2
.LBB68_55:
	s_or_b64 exec, exec, s[6:7]
	s_waitcnt lgkmcnt(0)
	s_barrier
	ds_read_b32 v25, v1
                                        ; implicit-def: $sgpr16
	s_waitcnt lgkmcnt(0)
	v_lshlrev_b32_e32 v26, 16, v25
	v_and_b32_e32 v27, 0xffff0000, v25
	v_cmp_u_f32_e64 s[4:5], v27, v27
	v_cmp_o_f32_e64 s[6:7], v26, v26
	s_and_b64 s[6:7], s[4:5], s[6:7]
	v_cmp_lt_f32_e64 s[4:5], v26, v27
	s_or_b64 s[4:5], s[6:7], s[4:5]
	s_xor_b64 s[6:7], s[4:5], -1
	s_and_saveexec_b64 s[12:13], s[4:5]
	s_cbranch_execnz .LBB68_100
; %bb.56:
	s_or_b64 exec, exec, s[12:13]
	v_mov_b32_e32 v26, s16
	s_and_saveexec_b64 s[4:5], s[6:7]
	s_cbranch_execnz .LBB68_101
.LBB68_57:
	s_or_b64 exec, exec, s[4:5]
	v_cmp_eq_u32_e64 s[4:5], v26, v24
	s_and_saveexec_b64 s[6:7], s[4:5]
	s_cbranch_execz .LBB68_59
.LBB68_58:
	v_add_u32_e32 v30, v8, v10
	ds_read_b128 v[26:29], v30
	ds_read_u16 v31, v0
	v_alignbit_b32 v24, v25, v25, 16
	ds_write_b32 v1, v24
	s_mov_b32 s4, 0xc0c0001
	s_waitcnt lgkmcnt(2)
	v_mov_b32_e32 v24, v28
	v_mov_b32_e32 v25, v29
	ds_write_b128 v30, v[24:27]
	s_waitcnt lgkmcnt(2)
	v_perm_b32 v24, 0, v31, s4
	ds_write_b16 v0, v24
.LBB68_59:
	s_or_b64 exec, exec, s[6:7]
	v_and_b32_e32 v24, 15, v3
	v_sub_u32_e32 v25, v17, v24
	v_lshl_add_u32 v16, v25, 1, v16
	s_waitcnt lgkmcnt(0)
	s_barrier
	ds_read_u16 v17, v16
	ds_read_u16 v24, v16 offset:32
	v_add_u32_e32 v15, v15, v25
	s_waitcnt lgkmcnt(1)
	v_lshlrev_b32_e32 v26, 16, v17
	s_waitcnt lgkmcnt(0)
	v_lshlrev_b32_e32 v27, 16, v24
	v_cmp_u_f32_e64 s[4:5], v27, v27
	v_cmp_o_f32_e64 s[6:7], v26, v26
	s_and_b64 s[6:7], s[4:5], s[6:7]
	v_cmp_lt_f32_e64 s[4:5], v26, v27
	s_or_b64 s[4:5], s[6:7], s[4:5]
	s_xor_b64 s[12:13], s[4:5], -1
	s_and_saveexec_b64 s[6:7], s[4:5]
	s_cbranch_execz .LBB68_61
; %bb.60:
	ds_read_u8 v26, v15
	s_andn2_b64 s[12:13], s[12:13], exec
	s_waitcnt lgkmcnt(0)
	v_and_b32_e32 v26, 1, v26
	v_cmp_eq_u32_e64 s[4:5], 1, v26
	s_xor_b64 s[4:5], s[4:5], -1
	s_and_b64 s[4:5], s[4:5], exec
	s_or_b64 s[12:13], s[12:13], s[4:5]
.LBB68_61:
	s_or_b64 exec, exec, s[6:7]
	s_and_saveexec_b64 s[6:7], s[12:13]
	s_cbranch_execz .LBB68_64
; %bb.62:
	ds_read_u8 v26, v15 offset:16
	s_waitcnt lgkmcnt(0)
	v_cmp_ne_u16_e64 s[4:5], 0, v26
	s_and_b64 exec, exec, s[4:5]
	s_cbranch_execz .LBB68_64
; %bb.63:
	v_lshl_add_u32 v13, v25, 3, v13
	ds_read2_b64 v[28:31], v13 offset1:16
	ds_read_u8 v25, v15
	ds_write_b16 v16, v24
	ds_write_b16 v16, v17 offset:32
	ds_write_b8 v15, v26
	s_waitcnt lgkmcnt(4)
	ds_write2_b64 v13, v[30:31], v[28:29] offset1:16
	s_waitcnt lgkmcnt(4)
	ds_write_b8 v15, v25 offset:16
.LBB68_64:
	s_or_b64 exec, exec, s[6:7]
	s_waitcnt lgkmcnt(0)
	s_barrier
	ds_read_u16 v13, v21
	ds_read_u16 v15, v21 offset:16
	s_waitcnt lgkmcnt(1)
	v_lshlrev_b32_e32 v16, 16, v13
	s_waitcnt lgkmcnt(0)
	v_lshlrev_b32_e32 v17, 16, v15
	v_cmp_u_f32_e64 s[4:5], v17, v17
	v_cmp_o_f32_e64 s[6:7], v16, v16
	s_and_b64 s[6:7], s[4:5], s[6:7]
	v_cmp_lt_f32_e64 s[4:5], v16, v17
	s_or_b64 s[4:5], s[6:7], s[4:5]
	s_xor_b64 s[12:13], s[4:5], -1
	s_and_saveexec_b64 s[6:7], s[4:5]
	s_cbranch_execz .LBB68_66
; %bb.65:
	ds_read_u8 v16, v22
	s_andn2_b64 s[12:13], s[12:13], exec
	s_waitcnt lgkmcnt(0)
	v_and_b32_e32 v16, 1, v16
	v_cmp_eq_u32_e64 s[4:5], 1, v16
	s_xor_b64 s[4:5], s[4:5], -1
	s_and_b64 s[4:5], s[4:5], exec
	s_or_b64 s[12:13], s[12:13], s[4:5]
.LBB68_66:
	s_or_b64 exec, exec, s[6:7]
	s_and_saveexec_b64 s[6:7], s[12:13]
	s_cbranch_execz .LBB68_69
; %bb.67:
	ds_read_u8 v16, v22 offset:8
	s_waitcnt lgkmcnt(0)
	v_cmp_ne_u16_e64 s[4:5], 0, v16
	s_and_b64 exec, exec, s[4:5]
	s_cbranch_execz .LBB68_69
; %bb.68:
	ds_read2_b64 v[24:27], v23 offset1:8
	ds_read_u8 v17, v22
	ds_write_b16 v21, v15
	ds_write_b16 v21, v13 offset:16
	ds_write_b8 v22, v16
	s_waitcnt lgkmcnt(4)
	ds_write2_b64 v23, v[26:27], v[24:25] offset1:8
	s_waitcnt lgkmcnt(4)
	ds_write_b8 v22, v17 offset:8
.LBB68_69:
	s_or_b64 exec, exec, s[6:7]
	s_waitcnt lgkmcnt(0)
	s_barrier
	ds_read_u16 v13, v18
	ds_read_u16 v15, v18 offset:8
	s_waitcnt lgkmcnt(1)
	v_lshlrev_b32_e32 v16, 16, v13
	s_waitcnt lgkmcnt(0)
	v_lshlrev_b32_e32 v17, 16, v15
	v_cmp_u_f32_e64 s[4:5], v17, v17
	v_cmp_o_f32_e64 s[6:7], v16, v16
	s_and_b64 s[6:7], s[4:5], s[6:7]
	v_cmp_lt_f32_e64 s[4:5], v16, v17
	s_or_b64 s[4:5], s[6:7], s[4:5]
	s_xor_b64 s[12:13], s[4:5], -1
	s_and_saveexec_b64 s[6:7], s[4:5]
	s_cbranch_execz .LBB68_71
; %bb.70:
	ds_read_u8 v16, v19
	s_andn2_b64 s[12:13], s[12:13], exec
	s_waitcnt lgkmcnt(0)
	v_and_b32_e32 v16, 1, v16
	v_cmp_eq_u32_e64 s[4:5], 1, v16
	s_xor_b64 s[4:5], s[4:5], -1
	s_and_b64 s[4:5], s[4:5], exec
	s_or_b64 s[12:13], s[12:13], s[4:5]
.LBB68_71:
	s_or_b64 exec, exec, s[6:7]
	s_and_saveexec_b64 s[6:7], s[12:13]
	s_cbranch_execz .LBB68_74
; %bb.72:
	ds_read_u8 v16, v19 offset:4
	s_waitcnt lgkmcnt(0)
	v_cmp_ne_u16_e64 s[4:5], 0, v16
	s_and_b64 exec, exec, s[4:5]
	s_cbranch_execz .LBB68_74
; %bb.73:
	ds_read2_b64 v[22:25], v20 offset1:4
	ds_read_u8 v17, v19
	ds_write_b16 v18, v15
	ds_write_b16 v18, v13 offset:8
	ds_write_b8 v19, v16
	s_waitcnt lgkmcnt(4)
	ds_write2_b64 v20, v[24:25], v[22:23] offset1:4
	s_waitcnt lgkmcnt(4)
	ds_write_b8 v19, v17 offset:4
.LBB68_74:
	;; [unrolled: 47-line block ×3, first 2 shown]
	s_or_b64 exec, exec, s[6:7]
	s_waitcnt lgkmcnt(0)
	s_barrier
	ds_read_b32 v11, v1
	s_waitcnt lgkmcnt(0)
	v_lshlrev_b32_e32 v12, 16, v11
	v_and_b32_e32 v13, 0xffff0000, v11
	v_cmp_u_f32_e64 s[4:5], v13, v13
	v_cmp_o_f32_e64 s[6:7], v12, v12
	s_and_b64 s[6:7], s[4:5], s[6:7]
	v_cmp_lt_f32_e64 s[4:5], v12, v13
	s_or_b64 s[4:5], s[6:7], s[4:5]
	s_xor_b64 s[12:13], s[4:5], -1
	s_and_saveexec_b64 s[6:7], s[4:5]
	s_cbranch_execz .LBB68_81
; %bb.80:
	ds_read_u8 v12, v0
	s_andn2_b64 s[12:13], s[12:13], exec
	s_waitcnt lgkmcnt(0)
	v_and_b32_e32 v12, 1, v12
	v_cmp_eq_u32_e64 s[4:5], 1, v12
	s_xor_b64 s[4:5], s[4:5], -1
	s_and_b64 s[4:5], s[4:5], exec
	s_or_b64 s[12:13], s[12:13], s[4:5]
.LBB68_81:
	s_or_b64 exec, exec, s[6:7]
	s_and_saveexec_b64 s[6:7], s[12:13]
	s_cbranch_execz .LBB68_84
; %bb.82:
	ds_read_u8 v12, v0 offset:1
	s_waitcnt lgkmcnt(0)
	v_cmp_ne_u16_e64 s[4:5], 0, v12
	s_and_b64 exec, exec, s[4:5]
	s_cbranch_execz .LBB68_84
; %bb.83:
	v_add_u32_e32 v10, v8, v10
	v_alignbit_b32 v11, v11, v11, 16
	ds_read_b128 v[14:17], v10
	ds_write_b32 v1, v11
	ds_read_u8 v1, v0
	s_waitcnt lgkmcnt(2)
	v_mov_b32_e32 v18, v14
	v_mov_b32_e32 v19, v15
	s_waitcnt lgkmcnt(0)
	v_lshlrev_b16_e32 v1, 8, v1
	v_or_b32_e32 v1, v12, v1
	ds_write_b128 v10, v[16:19]
	ds_write_b16 v0, v1
.LBB68_84:
	s_or_b64 exec, exec, s[6:7]
	s_waitcnt lgkmcnt(0)
	s_barrier
	s_and_saveexec_b64 s[4:5], vcc
	s_cbranch_execz .LBB68_89
; %bb.85:
	s_and_saveexec_b64 s[4:5], s[0:1]
	s_cbranch_execz .LBB68_87
; %bb.86:
	v_mad_u64_u32 v[0:1], s[0:1], v3, s14, v[4:5]
	ds_read_u16 v12, v9
	v_mov_b32_e32 v1, 0
	v_lshlrev_b64 v[10:11], 1, v[0:1]
	v_mov_b32_e32 v0, s11
	v_add_co_u32_e32 v10, vcc, s10, v10
	v_addc_co_u32_e32 v11, vcc, v0, v11, vcc
	ds_read_b64 v[8:9], v8
	s_waitcnt lgkmcnt(1)
	global_store_short v[10:11], v12, off
	v_mad_u64_u32 v[10:11], s[0:1], v3, s15, v[2:3]
	v_mov_b32_e32 v11, v1
	v_lshlrev_b64 v[0:1], 3, v[10:11]
	v_mov_b32_e32 v3, s9
	v_add_co_u32_e32 v0, vcc, s8, v0
	v_addc_co_u32_e32 v1, vcc, v3, v1, vcc
	s_waitcnt lgkmcnt(0)
	global_store_dwordx2 v[0:1], v[8:9], off
.LBB68_87:
	s_or_b64 exec, exec, s[4:5]
	s_and_b64 exec, exec, s[2:3]
	s_cbranch_execz .LBB68_89
; %bb.88:
	v_mad_u64_u32 v[0:1], s[0:1], v5, s14, v[4:5]
	ds_read_u16 v3, v7
	v_mov_b32_e32 v1, 0
	v_lshlrev_b64 v[8:9], 1, v[0:1]
	v_mov_b32_e32 v0, s11
	v_add_co_u32_e32 v8, vcc, s10, v8
	v_addc_co_u32_e32 v9, vcc, v0, v9, vcc
	ds_read_b64 v[6:7], v6
	s_waitcnt lgkmcnt(1)
	global_store_short v[8:9], v3, off
	v_mad_u64_u32 v[2:3], s[0:1], v5, s15, v[2:3]
	v_mov_b32_e32 v3, v1
	v_lshlrev_b64 v[0:1], 3, v[2:3]
	v_mov_b32_e32 v2, s9
	v_add_co_u32_e32 v0, vcc, s8, v0
	v_addc_co_u32_e32 v1, vcc, v2, v1, vcc
	s_waitcnt lgkmcnt(0)
	global_store_dwordx2 v[0:1], v[6:7], off
.LBB68_89:
	s_endpgm
.LBB68_90:
	ds_read_u8 v20, v0
	s_andn2_b64 s[6:7], s[6:7], exec
	s_mov_b32 s16, 1
	s_waitcnt lgkmcnt(0)
	v_and_b32_e32 v20, 1, v20
	v_cmp_eq_u32_e64 s[4:5], 1, v20
	s_xor_b64 s[4:5], s[4:5], -1
	s_and_b64 s[4:5], s[4:5], exec
	s_or_b64 s[6:7], s[6:7], s[4:5]
	s_or_b64 exec, exec, s[12:13]
	v_mov_b32_e32 v20, s16
	s_and_saveexec_b64 s[4:5], s[6:7]
	s_cbranch_execz .LBB68_25
.LBB68_91:
	ds_read_u8 v20, v0 offset:1
	s_waitcnt lgkmcnt(0)
	v_xor_b32_e32 v20, 1, v20
	s_or_b64 exec, exec, s[4:5]
	v_cmp_eq_u32_e64 s[4:5], v20, v18
	s_and_saveexec_b64 s[6:7], s[4:5]
	s_cbranch_execnz .LBB68_26
	s_branch .LBB68_27
.LBB68_92:
	ds_read_u8 v24, v12
	s_andn2_b64 s[6:7], s[6:7], exec
	s_mov_b32 s16, 1
	s_waitcnt lgkmcnt(0)
	v_and_b32_e32 v24, 1, v24
	v_cmp_eq_u32_e64 s[4:5], 1, v24
	s_xor_b64 s[4:5], s[4:5], -1
	s_and_b64 s[4:5], s[4:5], exec
	s_or_b64 s[6:7], s[6:7], s[4:5]
	s_or_b64 exec, exec, s[12:13]
	v_mov_b32_e32 v24, s16
	s_and_saveexec_b64 s[4:5], s[6:7]
	s_cbranch_execz .LBB68_35
.LBB68_93:
	ds_read_u8 v24, v12 offset:2
	s_waitcnt lgkmcnt(0)
	v_xor_b32_e32 v24, 1, v24
	s_or_b64 exec, exec, s[4:5]
	v_cmp_eq_u32_e64 s[4:5], v24, v21
	s_and_saveexec_b64 s[6:7], s[4:5]
	s_cbranch_execnz .LBB68_36
	s_branch .LBB68_37
.LBB68_94:
	ds_read_u8 v23, v0
	s_andn2_b64 s[6:7], s[6:7], exec
	s_mov_b32 s16, 1
	s_waitcnt lgkmcnt(0)
	v_and_b32_e32 v23, 1, v23
	v_cmp_eq_u32_e64 s[4:5], 1, v23
	s_xor_b64 s[4:5], s[4:5], -1
	s_and_b64 s[4:5], s[4:5], exec
	s_or_b64 s[6:7], s[6:7], s[4:5]
	s_or_b64 exec, exec, s[12:13]
	v_mov_b32_e32 v23, s16
	s_and_saveexec_b64 s[4:5], s[6:7]
	s_cbranch_execz .LBB68_39
.LBB68_95:
	ds_read_u8 v23, v0 offset:1
	s_waitcnt lgkmcnt(0)
	v_xor_b32_e32 v23, 1, v23
	s_or_b64 exec, exec, s[4:5]
	v_cmp_eq_u32_e64 s[4:5], v23, v21
	s_and_saveexec_b64 s[6:7], s[4:5]
	s_cbranch_execnz .LBB68_40
	s_branch .LBB68_41
.LBB68_96:
	ds_read_u8 v27, v19
	s_andn2_b64 s[6:7], s[6:7], exec
	s_mov_b32 s16, 1
	s_waitcnt lgkmcnt(0)
	v_and_b32_e32 v27, 1, v27
	v_cmp_eq_u32_e64 s[4:5], 1, v27
	s_xor_b64 s[4:5], s[4:5], -1
	s_and_b64 s[4:5], s[4:5], exec
	s_or_b64 s[6:7], s[6:7], s[4:5]
	s_or_b64 exec, exec, s[12:13]
	v_mov_b32_e32 v27, s16
	s_and_saveexec_b64 s[4:5], s[6:7]
	s_cbranch_execz .LBB68_49
.LBB68_97:
	ds_read_u8 v27, v19 offset:4
	s_waitcnt lgkmcnt(0)
	v_xor_b32_e32 v27, 1, v27
	s_or_b64 exec, exec, s[4:5]
	v_cmp_eq_u32_e64 s[4:5], v27, v24
	s_and_saveexec_b64 s[6:7], s[4:5]
	s_cbranch_execnz .LBB68_50
	s_branch .LBB68_51
.LBB68_98:
	ds_read_u8 v27, v12
	s_andn2_b64 s[6:7], s[6:7], exec
	s_mov_b32 s16, 1
	s_waitcnt lgkmcnt(0)
	v_and_b32_e32 v27, 1, v27
	v_cmp_eq_u32_e64 s[4:5], 1, v27
	s_xor_b64 s[4:5], s[4:5], -1
	s_and_b64 s[4:5], s[4:5], exec
	s_or_b64 s[6:7], s[6:7], s[4:5]
	s_or_b64 exec, exec, s[12:13]
	v_mov_b32_e32 v27, s16
	s_and_saveexec_b64 s[4:5], s[6:7]
	s_cbranch_execz .LBB68_53
.LBB68_99:
	ds_read_u8 v27, v12 offset:2
	s_waitcnt lgkmcnt(0)
	v_xor_b32_e32 v27, 1, v27
	s_or_b64 exec, exec, s[4:5]
	v_cmp_eq_u32_e64 s[4:5], v27, v24
	s_and_saveexec_b64 s[6:7], s[4:5]
	s_cbranch_execnz .LBB68_54
	s_branch .LBB68_55
.LBB68_100:
	ds_read_u8 v26, v0
	s_andn2_b64 s[6:7], s[6:7], exec
	s_mov_b32 s16, 1
	s_waitcnt lgkmcnt(0)
	v_and_b32_e32 v26, 1, v26
	v_cmp_eq_u32_e64 s[4:5], 1, v26
	s_xor_b64 s[4:5], s[4:5], -1
	s_and_b64 s[4:5], s[4:5], exec
	s_or_b64 s[6:7], s[6:7], s[4:5]
	s_or_b64 exec, exec, s[12:13]
	v_mov_b32_e32 v26, s16
	s_and_saveexec_b64 s[4:5], s[6:7]
	s_cbranch_execz .LBB68_57
.LBB68_101:
	ds_read_u8 v26, v0 offset:1
	s_waitcnt lgkmcnt(0)
	v_xor_b32_e32 v26, 1, v26
	s_or_b64 exec, exec, s[4:5]
	v_cmp_eq_u32_e64 s[4:5], v26, v24
	s_and_saveexec_b64 s[6:7], s[4:5]
	s_cbranch_execnz .LBB68_58
	s_branch .LBB68_59
	.section	.rodata,"a",@progbits
	.p2align	6, 0x0
	.amdhsa_kernel _ZN2at6native20bitonicSortKVInPlaceILin1ELin1ELi16ELi16EN3c108BFloat16ElNS0_4LTOpIS3_Lb1EEEjEEvNS_4cuda6detail10TensorInfoIT3_T6_EESA_SA_SA_NS8_IT4_SA_EESA_T5_
		.amdhsa_group_segment_fixed_size 5632
		.amdhsa_private_segment_fixed_size 0
		.amdhsa_kernarg_size 712
		.amdhsa_user_sgpr_count 6
		.amdhsa_user_sgpr_private_segment_buffer 1
		.amdhsa_user_sgpr_dispatch_ptr 0
		.amdhsa_user_sgpr_queue_ptr 0
		.amdhsa_user_sgpr_kernarg_segment_ptr 1
		.amdhsa_user_sgpr_dispatch_id 0
		.amdhsa_user_sgpr_flat_scratch_init 0
		.amdhsa_user_sgpr_kernarg_preload_length 0
		.amdhsa_user_sgpr_kernarg_preload_offset 0
		.amdhsa_user_sgpr_private_segment_size 0
		.amdhsa_uses_dynamic_stack 0
		.amdhsa_system_sgpr_private_segment_wavefront_offset 0
		.amdhsa_system_sgpr_workgroup_id_x 1
		.amdhsa_system_sgpr_workgroup_id_y 1
		.amdhsa_system_sgpr_workgroup_id_z 1
		.amdhsa_system_sgpr_workgroup_info 0
		.amdhsa_system_vgpr_workitem_id 1
		.amdhsa_next_free_vgpr 33
		.amdhsa_next_free_sgpr 18
		.amdhsa_accum_offset 36
		.amdhsa_reserve_vcc 1
		.amdhsa_reserve_flat_scratch 0
		.amdhsa_float_round_mode_32 0
		.amdhsa_float_round_mode_16_64 0
		.amdhsa_float_denorm_mode_32 3
		.amdhsa_float_denorm_mode_16_64 3
		.amdhsa_dx10_clamp 1
		.amdhsa_ieee_mode 1
		.amdhsa_fp16_overflow 0
		.amdhsa_tg_split 0
		.amdhsa_exception_fp_ieee_invalid_op 0
		.amdhsa_exception_fp_denorm_src 0
		.amdhsa_exception_fp_ieee_div_zero 0
		.amdhsa_exception_fp_ieee_overflow 0
		.amdhsa_exception_fp_ieee_underflow 0
		.amdhsa_exception_fp_ieee_inexact 0
		.amdhsa_exception_int_div_zero 0
	.end_amdhsa_kernel
	.section	.text._ZN2at6native20bitonicSortKVInPlaceILin1ELin1ELi16ELi16EN3c108BFloat16ElNS0_4LTOpIS3_Lb1EEEjEEvNS_4cuda6detail10TensorInfoIT3_T6_EESA_SA_SA_NS8_IT4_SA_EESA_T5_,"axG",@progbits,_ZN2at6native20bitonicSortKVInPlaceILin1ELin1ELi16ELi16EN3c108BFloat16ElNS0_4LTOpIS3_Lb1EEEjEEvNS_4cuda6detail10TensorInfoIT3_T6_EESA_SA_SA_NS8_IT4_SA_EESA_T5_,comdat
.Lfunc_end68:
	.size	_ZN2at6native20bitonicSortKVInPlaceILin1ELin1ELi16ELi16EN3c108BFloat16ElNS0_4LTOpIS3_Lb1EEEjEEvNS_4cuda6detail10TensorInfoIT3_T6_EESA_SA_SA_NS8_IT4_SA_EESA_T5_, .Lfunc_end68-_ZN2at6native20bitonicSortKVInPlaceILin1ELin1ELi16ELi16EN3c108BFloat16ElNS0_4LTOpIS3_Lb1EEEjEEvNS_4cuda6detail10TensorInfoIT3_T6_EESA_SA_SA_NS8_IT4_SA_EESA_T5_
                                        ; -- End function
	.section	.AMDGPU.csdata,"",@progbits
; Kernel info:
; codeLenInByte = 5460
; NumSgprs: 22
; NumVgprs: 33
; NumAgprs: 0
; TotalNumVgprs: 33
; ScratchSize: 0
; MemoryBound: 0
; FloatMode: 240
; IeeeMode: 1
; LDSByteSize: 5632 bytes/workgroup (compile time only)
; SGPRBlocks: 2
; VGPRBlocks: 4
; NumSGPRsForWavesPerEU: 22
; NumVGPRsForWavesPerEU: 33
; AccumOffset: 36
; Occupancy: 8
; WaveLimiterHint : 1
; COMPUTE_PGM_RSRC2:SCRATCH_EN: 0
; COMPUTE_PGM_RSRC2:USER_SGPR: 6
; COMPUTE_PGM_RSRC2:TRAP_HANDLER: 0
; COMPUTE_PGM_RSRC2:TGID_X_EN: 1
; COMPUTE_PGM_RSRC2:TGID_Y_EN: 1
; COMPUTE_PGM_RSRC2:TGID_Z_EN: 1
; COMPUTE_PGM_RSRC2:TIDIG_COMP_CNT: 1
; COMPUTE_PGM_RSRC3_GFX90A:ACCUM_OFFSET: 8
; COMPUTE_PGM_RSRC3_GFX90A:TG_SPLIT: 0
	.section	.text._ZN2at6native20bitonicSortKVInPlaceILin1ELin1ELi16ELi16EN3c108BFloat16ElNS0_4GTOpIS3_Lb1EEEjEEvNS_4cuda6detail10TensorInfoIT3_T6_EESA_SA_SA_NS8_IT4_SA_EESA_T5_,"axG",@progbits,_ZN2at6native20bitonicSortKVInPlaceILin1ELin1ELi16ELi16EN3c108BFloat16ElNS0_4GTOpIS3_Lb1EEEjEEvNS_4cuda6detail10TensorInfoIT3_T6_EESA_SA_SA_NS8_IT4_SA_EESA_T5_,comdat
	.protected	_ZN2at6native20bitonicSortKVInPlaceILin1ELin1ELi16ELi16EN3c108BFloat16ElNS0_4GTOpIS3_Lb1EEEjEEvNS_4cuda6detail10TensorInfoIT3_T6_EESA_SA_SA_NS8_IT4_SA_EESA_T5_ ; -- Begin function _ZN2at6native20bitonicSortKVInPlaceILin1ELin1ELi16ELi16EN3c108BFloat16ElNS0_4GTOpIS3_Lb1EEEjEEvNS_4cuda6detail10TensorInfoIT3_T6_EESA_SA_SA_NS8_IT4_SA_EESA_T5_
	.globl	_ZN2at6native20bitonicSortKVInPlaceILin1ELin1ELi16ELi16EN3c108BFloat16ElNS0_4GTOpIS3_Lb1EEEjEEvNS_4cuda6detail10TensorInfoIT3_T6_EESA_SA_SA_NS8_IT4_SA_EESA_T5_
	.p2align	8
	.type	_ZN2at6native20bitonicSortKVInPlaceILin1ELin1ELi16ELi16EN3c108BFloat16ElNS0_4GTOpIS3_Lb1EEEjEEvNS_4cuda6detail10TensorInfoIT3_T6_EESA_SA_SA_NS8_IT4_SA_EESA_T5_,@function
_ZN2at6native20bitonicSortKVInPlaceILin1ELin1ELi16ELi16EN3c108BFloat16ElNS0_4GTOpIS3_Lb1EEEjEEvNS_4cuda6detail10TensorInfoIT3_T6_EESA_SA_SA_NS8_IT4_SA_EESA_T5_: ; @_ZN2at6native20bitonicSortKVInPlaceILin1ELin1ELi16ELi16EN3c108BFloat16ElNS0_4GTOpIS3_Lb1EEEjEEvNS_4cuda6detail10TensorInfoIT3_T6_EESA_SA_SA_NS8_IT4_SA_EESA_T5_
; %bb.0:
	s_load_dwordx2 s[2:3], s[4:5], 0x1c8
	s_load_dwordx4 s[12:15], s[4:5], 0xd8
	s_load_dword s9, s[4:5], 0x1d4
	s_add_u32 s0, s4, 0x1c8
	s_addc_u32 s1, s5, 0
	s_waitcnt lgkmcnt(0)
	s_mul_i32 s3, s3, s8
	s_add_i32 s3, s3, s7
	s_mul_i32 s2, s3, s2
	s_add_i32 s3, s2, s6
	s_lshr_b32 s2, s9, 16
	s_mul_i32 s3, s3, s2
	s_cmp_ge_u32 s3, s12
	s_cbranch_scc1 .LBB69_89
; %bb.1:
	s_load_dword s2, s[4:5], 0xd0
	v_bfe_u32 v8, v0, 10, 10
	v_add_u32_e32 v1, s3, v8
	v_mov_b32_e32 v2, 0
	v_mov_b32_e32 v4, v1
	s_waitcnt lgkmcnt(0)
	s_cmp_lt_i32 s2, 2
	s_cbranch_scc1 .LBB69_4
; %bb.2:
	s_add_i32 s6, s2, 1
	s_add_i32 s2, s2, -1
	s_mov_b32 s3, 0
	s_lshl_b64 s[2:3], s[2:3], 2
	s_add_u32 s2, s2, s4
	s_addc_u32 s3, s3, s5
	s_add_u32 s2, s2, 8
	s_addc_u32 s3, s3, 0
	v_mov_b32_e32 v2, 0
	v_mov_b32_e32 v4, v1
.LBB69_3:                               ; =>This Inner Loop Header: Depth=1
	s_load_dword s7, s[2:3], 0x0
	s_load_dword s8, s[2:3], 0x64
	v_mov_b32_e32 v3, v4
	s_add_i32 s6, s6, -1
	s_waitcnt lgkmcnt(0)
	v_cvt_f32_u32_e32 v4, s7
	s_sub_i32 s9, 0, s7
	s_add_u32 s2, s2, -4
	s_addc_u32 s3, s3, -1
	v_rcp_iflag_f32_e32 v4, v4
	s_cmp_gt_u32 s6, 2
	v_mul_f32_e32 v4, 0x4f7ffffe, v4
	v_cvt_u32_f32_e32 v4, v4
	v_mul_lo_u32 v5, s9, v4
	v_mul_hi_u32 v5, v4, v5
	v_add_u32_e32 v4, v4, v5
	v_mul_hi_u32 v4, v3, v4
	v_mul_lo_u32 v5, v4, s7
	v_sub_u32_e32 v5, v3, v5
	v_add_u32_e32 v6, 1, v4
	v_cmp_le_u32_e32 vcc, s7, v5
	v_cndmask_b32_e32 v4, v4, v6, vcc
	v_subrev_u32_e32 v6, s7, v5
	v_cndmask_b32_e32 v5, v5, v6, vcc
	v_add_u32_e32 v6, 1, v4
	v_cmp_le_u32_e32 vcc, s7, v5
	v_cndmask_b32_e32 v4, v4, v6, vcc
	v_mul_lo_u32 v5, v4, s7
	v_sub_u32_e32 v3, v3, v5
	v_mad_u64_u32 v[2:3], s[8:9], s8, v3, v[2:3]
	s_cbranch_scc1 .LBB69_3
.LBB69_4:
	s_load_dword s2, s[4:5], 0x1b8
	v_mov_b32_e32 v6, 0
	v_mov_b32_e32 v3, v1
	s_waitcnt lgkmcnt(0)
	s_cmp_lt_i32 s2, 2
	s_cbranch_scc1 .LBB69_7
; %bb.5:
	s_add_i32 s6, s2, 1
	s_add_i32 s2, s2, -1
	s_mov_b32 s3, 0
	s_lshl_b64 s[2:3], s[2:3], 2
	s_add_u32 s2, s2, s4
	s_addc_u32 s3, s3, s5
	s_add_u32 s2, s2, 0xf0
	s_addc_u32 s3, s3, 0
	v_mov_b32_e32 v6, 0
	v_mov_b32_e32 v3, v1
.LBB69_6:                               ; =>This Inner Loop Header: Depth=1
	s_load_dword s7, s[2:3], 0x0
	s_load_dword s8, s[2:3], 0x64
	v_mov_b32_e32 v5, v3
	s_add_i32 s6, s6, -1
	s_waitcnt lgkmcnt(0)
	v_cvt_f32_u32_e32 v3, s7
	s_sub_i32 s9, 0, s7
	s_add_u32 s2, s2, -4
	s_addc_u32 s3, s3, -1
	v_rcp_iflag_f32_e32 v3, v3
	s_cmp_gt_u32 s6, 2
	v_mul_f32_e32 v3, 0x4f7ffffe, v3
	v_cvt_u32_f32_e32 v3, v3
	v_mul_lo_u32 v7, s9, v3
	v_mul_hi_u32 v7, v3, v7
	v_add_u32_e32 v3, v3, v7
	v_mul_hi_u32 v3, v5, v3
	v_mul_lo_u32 v7, v3, s7
	v_sub_u32_e32 v7, v5, v7
	v_add_u32_e32 v9, 1, v3
	v_cmp_le_u32_e32 vcc, s7, v7
	v_cndmask_b32_e32 v3, v3, v9, vcc
	v_subrev_u32_e32 v9, s7, v7
	v_cndmask_b32_e32 v7, v7, v9, vcc
	v_add_u32_e32 v9, 1, v3
	v_cmp_le_u32_e32 vcc, s7, v7
	v_cndmask_b32_e32 v3, v3, v9, vcc
	v_mul_lo_u32 v7, v3, s7
	v_sub_u32_e32 v5, v5, v7
	v_mad_u64_u32 v[6:7], s[8:9], s8, v5, v[6:7]
	s_cbranch_scc1 .LBB69_6
.LBB69_7:
	s_load_dword s2, s[4:5], 0x6c
	v_cmp_gt_u32_e32 vcc, s12, v1
	v_mov_b32_e32 v10, 0
	s_waitcnt lgkmcnt(0)
	v_mad_u64_u32 v[4:5], s[2:3], s2, v4, v[2:3]
	s_load_dword s15, s[4:5], 0x1c0
	s_load_dword s2, s[4:5], 0x154
	s_load_dwordx2 s[10:11], s[4:5], 0x0
	s_load_dwordx2 s[8:9], s[4:5], 0xe8
	s_load_dword s12, s[0:1], 0xc
	v_mov_b32_e32 v5, 0
	s_waitcnt lgkmcnt(0)
	v_mad_u64_u32 v[2:3], s[2:3], s2, v3, v[6:7]
	v_and_b32_e32 v3, 0x3ff, v0
	v_cmp_gt_u32_e64 s[0:1], s13, v3
	v_pk_mov_b32 v[0:1], 0, 0
	s_and_b64 s[4:5], vcc, s[0:1]
	v_pk_mov_b32 v[6:7], v[0:1], v[0:1] op_sel:[0,1]
	s_and_saveexec_b64 s[6:7], s[4:5]
	s_cbranch_execz .LBB69_9
; %bb.8:
	v_mad_u64_u32 v[6:7], s[2:3], v3, s14, v[4:5]
	v_mov_b32_e32 v7, 0
	v_lshlrev_b64 v[12:13], 1, v[6:7]
	v_mov_b32_e32 v5, s11
	v_add_co_u32_e64 v12, s[2:3], s10, v12
	v_addc_co_u32_e64 v13, s[2:3], v5, v13, s[2:3]
	global_load_ushort v5, v[12:13], off
	v_mad_u64_u32 v[12:13], s[2:3], v3, s15, v[2:3]
	v_mov_b32_e32 v13, v7
	v_lshlrev_b64 v[6:7], 3, v[12:13]
	v_mov_b32_e32 v9, s9
	v_add_co_u32_e64 v6, s[2:3], s8, v6
	v_addc_co_u32_e64 v7, s[2:3], v9, v7, s[2:3]
	global_load_dwordx2 v[6:7], v[6:7], off
.LBB69_9:
	s_or_b64 exec, exec, s[6:7]
	v_mov_b32_e32 v9, 0x1000
	v_lshl_add_u32 v16, v8, 6, v9
	v_mov_b32_e32 v9, 0x1400
	v_lshl_add_u32 v15, v8, 5, v9
	v_lshl_add_u32 v9, v3, 1, v16
	s_and_b32 s16, 0xffff, s12
	v_cndmask_b32_e64 v11, 0, 1, s[4:5]
	s_waitcnt vmcnt(1)
	ds_write_b16 v9, v5
	v_add_u32_e32 v5, v15, v3
	ds_write_b8 v5, v11
	v_add_u32_e32 v5, s16, v3
	v_lshlrev_b32_e32 v13, 8, v8
	v_cmp_gt_u32_e64 s[2:3], s13, v5
	v_lshl_add_u32 v8, v3, 3, v13
	s_and_b64 s[6:7], vcc, s[2:3]
	s_waitcnt vmcnt(0)
	ds_write_b64 v8, v[6:7]
	s_and_saveexec_b64 s[12:13], s[6:7]
	s_cbranch_execz .LBB69_11
; %bb.10:
	v_mad_u64_u32 v[0:1], s[4:5], v5, s14, v[4:5]
	v_mov_b32_e32 v1, 0
	v_lshlrev_b64 v[6:7], 1, v[0:1]
	v_mov_b32_e32 v0, s11
	v_add_co_u32_e64 v6, s[4:5], s10, v6
	v_addc_co_u32_e64 v7, s[4:5], v0, v7, s[4:5]
	global_load_ushort v10, v[6:7], off
	v_mad_u64_u32 v[6:7], s[4:5], v5, s15, v[2:3]
	v_mov_b32_e32 v7, v1
	v_lshlrev_b64 v[0:1], 3, v[6:7]
	v_mov_b32_e32 v6, s9
	v_add_co_u32_e64 v0, s[4:5], s8, v0
	v_addc_co_u32_e64 v1, s[4:5], v6, v1, s[4:5]
	global_load_dwordx2 v[0:1], v[0:1], off
.LBB69_11:
	s_or_b64 exec, exec, s[12:13]
	v_lshl_add_u32 v6, s16, 3, v8
	v_lshlrev_b32_e32 v17, 1, v3
	v_cndmask_b32_e64 v11, 0, 1, s[6:7]
	v_lshl_add_u32 v7, s16, 1, v9
	s_waitcnt vmcnt(0)
	ds_write_b64 v6, v[0:1]
	v_add_u32_e32 v0, v15, v5
	v_add_u32_e32 v1, v9, v17
	ds_write_b16 v7, v10
	ds_write_b8 v0, v11
	s_waitcnt lgkmcnt(0)
	s_barrier
	ds_read_b32 v11, v1
                                        ; implicit-def: $sgpr16
	s_waitcnt lgkmcnt(0)
	v_and_b32_e32 v0, 0xffff0000, v11
	v_lshlrev_b32_e32 v10, 16, v11
	v_cmp_u_f32_e64 s[4:5], v10, v10
	v_cmp_o_f32_e64 s[6:7], v0, v0
	s_and_b64 s[6:7], s[4:5], s[6:7]
	v_cmp_lt_f32_e64 s[4:5], v0, v10
	s_or_b64 s[4:5], s[6:7], s[4:5]
	s_xor_b64 s[6:7], s[4:5], -1
	v_add_u32_e32 v0, v15, v17
	s_and_saveexec_b64 s[12:13], s[4:5]
	s_xor_b64 s[12:13], exec, s[12:13]
	s_cbranch_execz .LBB69_13
; %bb.12:
	ds_read_u8 v10, v0
	s_andn2_b64 s[6:7], s[6:7], exec
	s_mov_b32 s16, 1
	s_waitcnt lgkmcnt(0)
	v_and_b32_e32 v10, 1, v10
	v_cmp_eq_u32_e64 s[4:5], 1, v10
	s_xor_b64 s[4:5], s[4:5], -1
	s_and_b64 s[4:5], s[4:5], exec
	s_or_b64 s[6:7], s[6:7], s[4:5]
.LBB69_13:
	s_or_b64 exec, exec, s[12:13]
	v_mov_b32_e32 v14, s16
	s_and_saveexec_b64 s[4:5], s[6:7]
	s_cbranch_execz .LBB69_15
; %bb.14:
	ds_read_u8 v10, v0 offset:1
	s_waitcnt lgkmcnt(0)
	v_xor_b32_e32 v14, 1, v10
.LBB69_15:
	s_or_b64 exec, exec, s[4:5]
	v_and_b32_e32 v12, 1, v3
	v_lshlrev_b32_e32 v10, 3, v3
	v_cmp_eq_u32_e64 s[4:5], v14, v12
	s_and_saveexec_b64 s[6:7], s[4:5]
	s_cbranch_execz .LBB69_17
; %bb.16:
	v_add_u32_e32 v14, v8, v10
	v_alignbit_b32 v11, v11, v11, 16
	ds_read_b128 v[18:21], v14
	ds_write_b32 v1, v11
	ds_read_u16 v11, v0
	s_mov_b32 s4, 0xc0c0001
	s_waitcnt lgkmcnt(2)
	v_mov_b32_e32 v22, v18
	v_mov_b32_e32 v23, v19
	s_waitcnt lgkmcnt(0)
	v_perm_b32 v11, 0, v11, s4
	ds_write_b128 v14, v[20:23]
	ds_write_b16 v0, v11
.LBB69_17:
	s_or_b64 exec, exec, s[6:7]
	v_sub_u32_e32 v14, v17, v12
	v_lshl_add_u32 v11, v14, 1, v16
	s_waitcnt lgkmcnt(0)
	s_barrier
	ds_read_u16 v20, v11 offset:4
	ds_read_u16 v19, v11
                                        ; implicit-def: $sgpr12
	s_waitcnt lgkmcnt(1)
	v_lshlrev_b32_e32 v12, 16, v20
	s_waitcnt lgkmcnt(0)
	v_lshlrev_b32_e32 v18, 16, v19
	v_cmp_u_f32_e64 s[4:5], v18, v18
	v_cmp_o_f32_e64 s[6:7], v12, v12
	s_and_b64 s[6:7], s[4:5], s[6:7]
	v_cmp_lt_f32_e64 s[4:5], v12, v18
	s_or_b64 s[6:7], s[6:7], s[4:5]
	s_mov_b64 s[4:5], -1
	v_add_u32_e32 v12, v15, v14
	s_and_saveexec_b64 s[16:17], s[6:7]
	s_xor_b64 s[6:7], exec, s[16:17]
	s_cbranch_execz .LBB69_19
; %bb.18:
	ds_read_u8 v18, v12
	s_mov_b32 s12, 1
	s_waitcnt lgkmcnt(0)
	v_and_b32_e32 v18, 1, v18
	v_cmp_eq_u32_e64 s[4:5], 1, v18
	s_xor_b64 s[4:5], s[4:5], -1
	s_orn2_b64 s[4:5], s[4:5], exec
.LBB69_19:
	s_or_b64 exec, exec, s[6:7]
	v_mov_b32_e32 v21, s12
	s_and_saveexec_b64 s[6:7], s[4:5]
	s_cbranch_execz .LBB69_21
; %bb.20:
	ds_read_u8 v18, v12 offset:2
	s_waitcnt lgkmcnt(0)
	v_xor_b32_e32 v21, 1, v18
.LBB69_21:
	s_or_b64 exec, exec, s[6:7]
	v_bfe_u32 v18, v3, 1, 1
	v_lshl_add_u32 v14, v14, 3, v13
	v_cmp_eq_u32_e64 s[4:5], v21, v18
	s_and_saveexec_b64 s[6:7], s[4:5]
	s_cbranch_execz .LBB69_23
; %bb.22:
	ds_read2_b64 v[22:25], v14 offset1:2
	ds_read_u8 v21, v12 offset:2
	ds_read_u8 v26, v12
	ds_write_b16 v11, v20
	ds_write_b16 v11, v19 offset:4
	s_waitcnt lgkmcnt(4)
	ds_write2_b64 v14, v[24:25], v[22:23] offset1:2
	s_waitcnt lgkmcnt(4)
	ds_write_b8 v12, v21
	s_waitcnt lgkmcnt(4)
	ds_write_b8 v12, v26 offset:2
.LBB69_23:
	s_or_b64 exec, exec, s[6:7]
	s_waitcnt lgkmcnt(0)
	s_barrier
	ds_read_b32 v19, v1
                                        ; implicit-def: $sgpr16
	s_waitcnt lgkmcnt(0)
	v_and_b32_e32 v20, 0xffff0000, v19
	v_lshlrev_b32_e32 v21, 16, v19
	v_cmp_u_f32_e64 s[4:5], v21, v21
	v_cmp_o_f32_e64 s[6:7], v20, v20
	s_and_b64 s[6:7], s[4:5], s[6:7]
	v_cmp_lt_f32_e64 s[4:5], v20, v21
	s_or_b64 s[4:5], s[6:7], s[4:5]
	s_xor_b64 s[6:7], s[4:5], -1
	s_and_saveexec_b64 s[12:13], s[4:5]
	s_cbranch_execnz .LBB69_90
; %bb.24:
	s_or_b64 exec, exec, s[12:13]
	v_mov_b32_e32 v20, s16
	s_and_saveexec_b64 s[4:5], s[6:7]
	s_cbranch_execnz .LBB69_91
.LBB69_25:
	s_or_b64 exec, exec, s[4:5]
	v_cmp_eq_u32_e64 s[4:5], v20, v18
	s_and_saveexec_b64 s[6:7], s[4:5]
	s_cbranch_execz .LBB69_27
.LBB69_26:
	v_add_u32_e32 v24, v8, v10
	ds_read_b128 v[20:23], v24
	ds_read_u16 v25, v0
	v_alignbit_b32 v18, v19, v19, 16
	ds_write_b32 v1, v18
	s_mov_b32 s4, 0xc0c0001
	s_waitcnt lgkmcnt(2)
	v_mov_b32_e32 v18, v22
	v_mov_b32_e32 v19, v23
	ds_write_b128 v24, v[18:21]
	s_waitcnt lgkmcnt(2)
	v_perm_b32 v18, 0, v25, s4
	ds_write_b16 v0, v18
.LBB69_27:
	s_or_b64 exec, exec, s[6:7]
	v_and_b32_e32 v18, 3, v3
	v_sub_u32_e32 v20, v17, v18
	v_lshl_add_u32 v18, v20, 1, v16
	s_waitcnt lgkmcnt(0)
	s_barrier
	ds_read_u16 v23, v18 offset:8
	ds_read_u16 v22, v18
	s_mov_b32 s16, 1
	s_waitcnt lgkmcnt(1)
	v_lshlrev_b32_e32 v19, 16, v23
	s_waitcnt lgkmcnt(0)
	v_lshlrev_b32_e32 v21, 16, v22
	v_cmp_u_f32_e64 s[4:5], v21, v21
	v_cmp_o_f32_e64 s[6:7], v19, v19
	s_and_b64 s[6:7], s[4:5], s[6:7]
	v_cmp_lt_f32_e64 s[4:5], v19, v21
	s_or_b64 s[4:5], s[6:7], s[4:5]
	s_xor_b64 s[6:7], s[4:5], -1
	v_add_u32_e32 v19, v15, v20
	s_and_saveexec_b64 s[12:13], s[4:5]
	s_cbranch_execz .LBB69_29
; %bb.28:
	ds_read_u8 v21, v19
	s_andn2_b64 s[6:7], s[6:7], exec
	s_waitcnt lgkmcnt(0)
	v_and_b32_e32 v21, 1, v21
	v_cmp_eq_u32_e64 s[4:5], 1, v21
	s_xor_b64 s[4:5], s[4:5], -1
	s_and_b64 s[4:5], s[4:5], exec
	s_or_b64 s[6:7], s[6:7], s[4:5]
.LBB69_29:
	s_or_b64 exec, exec, s[12:13]
	v_mov_b32_e32 v24, s16
	s_and_saveexec_b64 s[4:5], s[6:7]
	s_cbranch_execz .LBB69_31
; %bb.30:
	ds_read_u8 v21, v19 offset:4
	s_waitcnt lgkmcnt(0)
	v_xor_b32_e32 v24, 1, v21
.LBB69_31:
	s_or_b64 exec, exec, s[4:5]
	v_bfe_u32 v21, v3, 2, 1
	v_lshl_add_u32 v20, v20, 3, v13
	v_cmp_eq_u32_e64 s[4:5], v24, v21
	s_and_saveexec_b64 s[6:7], s[4:5]
	s_cbranch_execz .LBB69_33
; %bb.32:
	ds_read2_b64 v[24:27], v20 offset1:4
	ds_read_u8 v28, v19 offset:4
	ds_read_u8 v29, v19
	ds_write_b16 v18, v23
	ds_write_b16 v18, v22 offset:8
	s_waitcnt lgkmcnt(4)
	ds_write2_b64 v20, v[26:27], v[24:25] offset1:4
	s_waitcnt lgkmcnt(4)
	ds_write_b8 v19, v28
	s_waitcnt lgkmcnt(4)
	ds_write_b8 v19, v29 offset:4
.LBB69_33:
	s_or_b64 exec, exec, s[6:7]
	s_waitcnt lgkmcnt(0)
	s_barrier
	ds_read_u16 v23, v11 offset:4
	ds_read_u16 v22, v11
                                        ; implicit-def: $sgpr16
	s_waitcnt lgkmcnt(1)
	v_lshlrev_b32_e32 v24, 16, v23
	s_waitcnt lgkmcnt(0)
	v_lshlrev_b32_e32 v25, 16, v22
	v_cmp_u_f32_e64 s[4:5], v25, v25
	v_cmp_o_f32_e64 s[6:7], v24, v24
	s_and_b64 s[6:7], s[4:5], s[6:7]
	v_cmp_lt_f32_e64 s[4:5], v24, v25
	s_or_b64 s[4:5], s[6:7], s[4:5]
	s_xor_b64 s[6:7], s[4:5], -1
	s_and_saveexec_b64 s[12:13], s[4:5]
	s_cbranch_execnz .LBB69_92
; %bb.34:
	s_or_b64 exec, exec, s[12:13]
	v_mov_b32_e32 v24, s16
	s_and_saveexec_b64 s[4:5], s[6:7]
	s_cbranch_execnz .LBB69_93
.LBB69_35:
	s_or_b64 exec, exec, s[4:5]
	v_cmp_eq_u32_e64 s[4:5], v24, v21
	s_and_saveexec_b64 s[6:7], s[4:5]
	s_cbranch_execz .LBB69_37
.LBB69_36:
	ds_read2_b64 v[24:27], v14 offset1:2
	ds_read_u8 v28, v12 offset:2
	ds_read_u8 v29, v12
	ds_write_b16 v11, v23
	ds_write_b16 v11, v22 offset:4
	s_waitcnt lgkmcnt(4)
	ds_write2_b64 v14, v[26:27], v[24:25] offset1:2
	s_waitcnt lgkmcnt(4)
	ds_write_b8 v12, v28
	s_waitcnt lgkmcnt(4)
	ds_write_b8 v12, v29 offset:2
.LBB69_37:
	s_or_b64 exec, exec, s[6:7]
	s_waitcnt lgkmcnt(0)
	s_barrier
	ds_read_b32 v22, v1
                                        ; implicit-def: $sgpr16
	s_waitcnt lgkmcnt(0)
	v_and_b32_e32 v23, 0xffff0000, v22
	v_lshlrev_b32_e32 v24, 16, v22
	v_cmp_u_f32_e64 s[4:5], v24, v24
	v_cmp_o_f32_e64 s[6:7], v23, v23
	s_and_b64 s[6:7], s[4:5], s[6:7]
	v_cmp_lt_f32_e64 s[4:5], v23, v24
	s_or_b64 s[4:5], s[6:7], s[4:5]
	s_xor_b64 s[6:7], s[4:5], -1
	s_and_saveexec_b64 s[12:13], s[4:5]
	s_cbranch_execnz .LBB69_94
; %bb.38:
	s_or_b64 exec, exec, s[12:13]
	v_mov_b32_e32 v23, s16
	s_and_saveexec_b64 s[4:5], s[6:7]
	s_cbranch_execnz .LBB69_95
.LBB69_39:
	s_or_b64 exec, exec, s[4:5]
	v_cmp_eq_u32_e64 s[4:5], v23, v21
	s_and_saveexec_b64 s[6:7], s[4:5]
	s_cbranch_execz .LBB69_41
.LBB69_40:
	v_add_u32_e32 v21, v8, v10
	ds_read_b128 v[24:27], v21
	ds_read_u16 v28, v0
	v_alignbit_b32 v22, v22, v22, 16
	ds_write_b32 v1, v22
	s_mov_b32 s4, 0xc0c0001
	s_waitcnt lgkmcnt(2)
	v_mov_b32_e32 v22, v26
	v_mov_b32_e32 v23, v27
	ds_write_b128 v21, v[22:25]
	s_waitcnt lgkmcnt(2)
	v_perm_b32 v21, 0, v28, s4
	ds_write_b16 v0, v21
.LBB69_41:
	s_or_b64 exec, exec, s[6:7]
	v_and_b32_e32 v21, 7, v3
	v_sub_u32_e32 v23, v17, v21
	v_lshl_add_u32 v21, v23, 1, v16
	s_waitcnt lgkmcnt(0)
	s_barrier
	ds_read_u16 v26, v21 offset:16
	ds_read_u16 v25, v21
	s_mov_b32 s16, 1
	s_waitcnt lgkmcnt(1)
	v_lshlrev_b32_e32 v22, 16, v26
	s_waitcnt lgkmcnt(0)
	v_lshlrev_b32_e32 v24, 16, v25
	v_cmp_u_f32_e64 s[4:5], v24, v24
	v_cmp_o_f32_e64 s[6:7], v22, v22
	s_and_b64 s[6:7], s[4:5], s[6:7]
	v_cmp_lt_f32_e64 s[4:5], v22, v24
	s_or_b64 s[4:5], s[6:7], s[4:5]
	s_xor_b64 s[6:7], s[4:5], -1
	v_add_u32_e32 v22, v15, v23
	s_and_saveexec_b64 s[12:13], s[4:5]
	s_cbranch_execz .LBB69_43
; %bb.42:
	ds_read_u8 v24, v22
	s_andn2_b64 s[6:7], s[6:7], exec
	s_waitcnt lgkmcnt(0)
	v_and_b32_e32 v24, 1, v24
	v_cmp_eq_u32_e64 s[4:5], 1, v24
	s_xor_b64 s[4:5], s[4:5], -1
	s_and_b64 s[4:5], s[4:5], exec
	s_or_b64 s[6:7], s[6:7], s[4:5]
.LBB69_43:
	s_or_b64 exec, exec, s[12:13]
	v_mov_b32_e32 v27, s16
	s_and_saveexec_b64 s[4:5], s[6:7]
	s_cbranch_execz .LBB69_45
; %bb.44:
	ds_read_u8 v24, v22 offset:8
	s_waitcnt lgkmcnt(0)
	v_xor_b32_e32 v27, 1, v24
.LBB69_45:
	s_or_b64 exec, exec, s[4:5]
	v_bfe_u32 v24, v3, 3, 1
	v_lshl_add_u32 v23, v23, 3, v13
	v_cmp_eq_u32_e64 s[4:5], v27, v24
	s_and_saveexec_b64 s[6:7], s[4:5]
	s_cbranch_execz .LBB69_47
; %bb.46:
	ds_read2_b64 v[28:31], v23 offset1:8
	ds_read_u8 v27, v22 offset:8
	ds_read_u8 v32, v22
	ds_write_b16 v21, v26
	ds_write_b16 v21, v25 offset:16
	s_waitcnt lgkmcnt(4)
	ds_write2_b64 v23, v[30:31], v[28:29] offset1:8
	s_waitcnt lgkmcnt(4)
	ds_write_b8 v22, v27
	s_waitcnt lgkmcnt(4)
	ds_write_b8 v22, v32 offset:8
.LBB69_47:
	s_or_b64 exec, exec, s[6:7]
	s_waitcnt lgkmcnt(0)
	s_barrier
	ds_read_u16 v26, v18 offset:8
	ds_read_u16 v25, v18
                                        ; implicit-def: $sgpr16
	s_waitcnt lgkmcnt(1)
	v_lshlrev_b32_e32 v27, 16, v26
	s_waitcnt lgkmcnt(0)
	v_lshlrev_b32_e32 v28, 16, v25
	v_cmp_u_f32_e64 s[4:5], v28, v28
	v_cmp_o_f32_e64 s[6:7], v27, v27
	s_and_b64 s[6:7], s[4:5], s[6:7]
	v_cmp_lt_f32_e64 s[4:5], v27, v28
	s_or_b64 s[4:5], s[6:7], s[4:5]
	s_xor_b64 s[6:7], s[4:5], -1
	s_and_saveexec_b64 s[12:13], s[4:5]
	s_cbranch_execnz .LBB69_96
; %bb.48:
	s_or_b64 exec, exec, s[12:13]
	v_mov_b32_e32 v27, s16
	s_and_saveexec_b64 s[4:5], s[6:7]
	s_cbranch_execnz .LBB69_97
.LBB69_49:
	s_or_b64 exec, exec, s[4:5]
	v_cmp_eq_u32_e64 s[4:5], v27, v24
	s_and_saveexec_b64 s[6:7], s[4:5]
	s_cbranch_execz .LBB69_51
.LBB69_50:
	ds_read2_b64 v[28:31], v20 offset1:4
	ds_read_u8 v27, v19 offset:4
	ds_read_u8 v32, v19
	ds_write_b16 v18, v26
	ds_write_b16 v18, v25 offset:8
	s_waitcnt lgkmcnt(4)
	ds_write2_b64 v20, v[30:31], v[28:29] offset1:4
	s_waitcnt lgkmcnt(4)
	ds_write_b8 v19, v27
	s_waitcnt lgkmcnt(4)
	ds_write_b8 v19, v32 offset:4
.LBB69_51:
	s_or_b64 exec, exec, s[6:7]
	s_waitcnt lgkmcnt(0)
	s_barrier
	ds_read_u16 v26, v11 offset:4
	ds_read_u16 v25, v11
                                        ; implicit-def: $sgpr16
	s_waitcnt lgkmcnt(1)
	v_lshlrev_b32_e32 v27, 16, v26
	s_waitcnt lgkmcnt(0)
	v_lshlrev_b32_e32 v28, 16, v25
	v_cmp_u_f32_e64 s[4:5], v28, v28
	v_cmp_o_f32_e64 s[6:7], v27, v27
	s_and_b64 s[6:7], s[4:5], s[6:7]
	v_cmp_lt_f32_e64 s[4:5], v27, v28
	s_or_b64 s[4:5], s[6:7], s[4:5]
	s_xor_b64 s[6:7], s[4:5], -1
	s_and_saveexec_b64 s[12:13], s[4:5]
	s_cbranch_execnz .LBB69_98
; %bb.52:
	s_or_b64 exec, exec, s[12:13]
	v_mov_b32_e32 v27, s16
	s_and_saveexec_b64 s[4:5], s[6:7]
	s_cbranch_execnz .LBB69_99
.LBB69_53:
	s_or_b64 exec, exec, s[4:5]
	v_cmp_eq_u32_e64 s[4:5], v27, v24
	s_and_saveexec_b64 s[6:7], s[4:5]
	s_cbranch_execz .LBB69_55
.LBB69_54:
	ds_read2_b64 v[28:31], v14 offset1:2
	ds_read_u8 v27, v12 offset:2
	ds_read_u8 v32, v12
	ds_write_b16 v11, v26
	ds_write_b16 v11, v25 offset:4
	s_waitcnt lgkmcnt(4)
	ds_write2_b64 v14, v[30:31], v[28:29] offset1:2
	s_waitcnt lgkmcnt(4)
	ds_write_b8 v12, v27
	s_waitcnt lgkmcnt(4)
	ds_write_b8 v12, v32 offset:2
.LBB69_55:
	s_or_b64 exec, exec, s[6:7]
	s_waitcnt lgkmcnt(0)
	s_barrier
	ds_read_b32 v25, v1
                                        ; implicit-def: $sgpr16
	s_waitcnt lgkmcnt(0)
	v_and_b32_e32 v26, 0xffff0000, v25
	v_lshlrev_b32_e32 v27, 16, v25
	v_cmp_u_f32_e64 s[4:5], v27, v27
	v_cmp_o_f32_e64 s[6:7], v26, v26
	s_and_b64 s[6:7], s[4:5], s[6:7]
	v_cmp_lt_f32_e64 s[4:5], v26, v27
	s_or_b64 s[4:5], s[6:7], s[4:5]
	s_xor_b64 s[6:7], s[4:5], -1
	s_and_saveexec_b64 s[12:13], s[4:5]
	s_cbranch_execnz .LBB69_100
; %bb.56:
	s_or_b64 exec, exec, s[12:13]
	v_mov_b32_e32 v26, s16
	s_and_saveexec_b64 s[4:5], s[6:7]
	s_cbranch_execnz .LBB69_101
.LBB69_57:
	s_or_b64 exec, exec, s[4:5]
	v_cmp_eq_u32_e64 s[4:5], v26, v24
	s_and_saveexec_b64 s[6:7], s[4:5]
	s_cbranch_execz .LBB69_59
.LBB69_58:
	v_add_u32_e32 v30, v8, v10
	ds_read_b128 v[26:29], v30
	ds_read_u16 v31, v0
	v_alignbit_b32 v24, v25, v25, 16
	ds_write_b32 v1, v24
	s_mov_b32 s4, 0xc0c0001
	s_waitcnt lgkmcnt(2)
	v_mov_b32_e32 v24, v28
	v_mov_b32_e32 v25, v29
	ds_write_b128 v30, v[24:27]
	s_waitcnt lgkmcnt(2)
	v_perm_b32 v24, 0, v31, s4
	ds_write_b16 v0, v24
.LBB69_59:
	s_or_b64 exec, exec, s[6:7]
	v_and_b32_e32 v24, 15, v3
	v_sub_u32_e32 v25, v17, v24
	v_lshl_add_u32 v16, v25, 1, v16
	s_waitcnt lgkmcnt(0)
	s_barrier
	ds_read_u16 v24, v16 offset:32
	ds_read_u16 v17, v16
	v_add_u32_e32 v15, v15, v25
	s_waitcnt lgkmcnt(1)
	v_lshlrev_b32_e32 v26, 16, v24
	s_waitcnt lgkmcnt(0)
	v_lshlrev_b32_e32 v27, 16, v17
	v_cmp_u_f32_e64 s[4:5], v27, v27
	v_cmp_o_f32_e64 s[6:7], v26, v26
	s_and_b64 s[6:7], s[4:5], s[6:7]
	v_cmp_lt_f32_e64 s[4:5], v26, v27
	s_or_b64 s[4:5], s[6:7], s[4:5]
	s_xor_b64 s[12:13], s[4:5], -1
	s_and_saveexec_b64 s[6:7], s[4:5]
	s_cbranch_execz .LBB69_61
; %bb.60:
	ds_read_u8 v26, v15
	s_andn2_b64 s[12:13], s[12:13], exec
	s_waitcnt lgkmcnt(0)
	v_and_b32_e32 v26, 1, v26
	v_cmp_eq_u32_e64 s[4:5], 1, v26
	s_xor_b64 s[4:5], s[4:5], -1
	s_and_b64 s[4:5], s[4:5], exec
	s_or_b64 s[12:13], s[12:13], s[4:5]
.LBB69_61:
	s_or_b64 exec, exec, s[6:7]
	s_and_saveexec_b64 s[6:7], s[12:13]
	s_cbranch_execz .LBB69_64
; %bb.62:
	ds_read_u8 v26, v15 offset:16
	s_waitcnt lgkmcnt(0)
	v_cmp_ne_u16_e64 s[4:5], 0, v26
	s_and_b64 exec, exec, s[4:5]
	s_cbranch_execz .LBB69_64
; %bb.63:
	v_lshl_add_u32 v13, v25, 3, v13
	ds_read2_b64 v[28:31], v13 offset1:16
	ds_read_u8 v25, v15
	ds_write_b16 v16, v24
	ds_write_b16 v16, v17 offset:32
	ds_write_b8 v15, v26
	s_waitcnt lgkmcnt(4)
	ds_write2_b64 v13, v[30:31], v[28:29] offset1:16
	s_waitcnt lgkmcnt(4)
	ds_write_b8 v15, v25 offset:16
.LBB69_64:
	s_or_b64 exec, exec, s[6:7]
	s_waitcnt lgkmcnt(0)
	s_barrier
	ds_read_u16 v15, v21 offset:16
	ds_read_u16 v13, v21
	s_waitcnt lgkmcnt(1)
	v_lshlrev_b32_e32 v16, 16, v15
	s_waitcnt lgkmcnt(0)
	v_lshlrev_b32_e32 v17, 16, v13
	v_cmp_u_f32_e64 s[4:5], v17, v17
	v_cmp_o_f32_e64 s[6:7], v16, v16
	s_and_b64 s[6:7], s[4:5], s[6:7]
	v_cmp_lt_f32_e64 s[4:5], v16, v17
	s_or_b64 s[4:5], s[6:7], s[4:5]
	s_xor_b64 s[12:13], s[4:5], -1
	s_and_saveexec_b64 s[6:7], s[4:5]
	s_cbranch_execz .LBB69_66
; %bb.65:
	ds_read_u8 v16, v22
	s_andn2_b64 s[12:13], s[12:13], exec
	s_waitcnt lgkmcnt(0)
	v_and_b32_e32 v16, 1, v16
	v_cmp_eq_u32_e64 s[4:5], 1, v16
	s_xor_b64 s[4:5], s[4:5], -1
	s_and_b64 s[4:5], s[4:5], exec
	s_or_b64 s[12:13], s[12:13], s[4:5]
.LBB69_66:
	s_or_b64 exec, exec, s[6:7]
	s_and_saveexec_b64 s[6:7], s[12:13]
	s_cbranch_execz .LBB69_69
; %bb.67:
	ds_read_u8 v16, v22 offset:8
	s_waitcnt lgkmcnt(0)
	v_cmp_ne_u16_e64 s[4:5], 0, v16
	s_and_b64 exec, exec, s[4:5]
	s_cbranch_execz .LBB69_69
; %bb.68:
	ds_read2_b64 v[24:27], v23 offset1:8
	ds_read_u8 v17, v22
	ds_write_b16 v21, v15
	ds_write_b16 v21, v13 offset:16
	ds_write_b8 v22, v16
	s_waitcnt lgkmcnt(4)
	ds_write2_b64 v23, v[26:27], v[24:25] offset1:8
	s_waitcnt lgkmcnt(4)
	ds_write_b8 v22, v17 offset:8
.LBB69_69:
	s_or_b64 exec, exec, s[6:7]
	s_waitcnt lgkmcnt(0)
	s_barrier
	ds_read_u16 v15, v18 offset:8
	ds_read_u16 v13, v18
	s_waitcnt lgkmcnt(1)
	v_lshlrev_b32_e32 v16, 16, v15
	s_waitcnt lgkmcnt(0)
	v_lshlrev_b32_e32 v17, 16, v13
	v_cmp_u_f32_e64 s[4:5], v17, v17
	v_cmp_o_f32_e64 s[6:7], v16, v16
	s_and_b64 s[6:7], s[4:5], s[6:7]
	v_cmp_lt_f32_e64 s[4:5], v16, v17
	s_or_b64 s[4:5], s[6:7], s[4:5]
	s_xor_b64 s[12:13], s[4:5], -1
	s_and_saveexec_b64 s[6:7], s[4:5]
	s_cbranch_execz .LBB69_71
; %bb.70:
	ds_read_u8 v16, v19
	s_andn2_b64 s[12:13], s[12:13], exec
	s_waitcnt lgkmcnt(0)
	v_and_b32_e32 v16, 1, v16
	v_cmp_eq_u32_e64 s[4:5], 1, v16
	s_xor_b64 s[4:5], s[4:5], -1
	s_and_b64 s[4:5], s[4:5], exec
	s_or_b64 s[12:13], s[12:13], s[4:5]
.LBB69_71:
	s_or_b64 exec, exec, s[6:7]
	s_and_saveexec_b64 s[6:7], s[12:13]
	s_cbranch_execz .LBB69_74
; %bb.72:
	ds_read_u8 v16, v19 offset:4
	s_waitcnt lgkmcnt(0)
	v_cmp_ne_u16_e64 s[4:5], 0, v16
	s_and_b64 exec, exec, s[4:5]
	s_cbranch_execz .LBB69_74
; %bb.73:
	ds_read2_b64 v[22:25], v20 offset1:4
	ds_read_u8 v17, v19
	ds_write_b16 v18, v15
	ds_write_b16 v18, v13 offset:8
	ds_write_b8 v19, v16
	s_waitcnt lgkmcnt(4)
	ds_write2_b64 v20, v[24:25], v[22:23] offset1:4
	s_waitcnt lgkmcnt(4)
	ds_write_b8 v19, v17 offset:4
.LBB69_74:
	;; [unrolled: 47-line block ×3, first 2 shown]
	s_or_b64 exec, exec, s[6:7]
	s_waitcnt lgkmcnt(0)
	s_barrier
	ds_read_b32 v11, v1
	s_waitcnt lgkmcnt(0)
	v_and_b32_e32 v12, 0xffff0000, v11
	v_lshlrev_b32_e32 v13, 16, v11
	v_cmp_u_f32_e64 s[4:5], v13, v13
	v_cmp_o_f32_e64 s[6:7], v12, v12
	s_and_b64 s[6:7], s[4:5], s[6:7]
	v_cmp_lt_f32_e64 s[4:5], v12, v13
	s_or_b64 s[4:5], s[6:7], s[4:5]
	s_xor_b64 s[12:13], s[4:5], -1
	s_and_saveexec_b64 s[6:7], s[4:5]
	s_cbranch_execz .LBB69_81
; %bb.80:
	ds_read_u8 v12, v0
	s_andn2_b64 s[12:13], s[12:13], exec
	s_waitcnt lgkmcnt(0)
	v_and_b32_e32 v12, 1, v12
	v_cmp_eq_u32_e64 s[4:5], 1, v12
	s_xor_b64 s[4:5], s[4:5], -1
	s_and_b64 s[4:5], s[4:5], exec
	s_or_b64 s[12:13], s[12:13], s[4:5]
.LBB69_81:
	s_or_b64 exec, exec, s[6:7]
	s_and_saveexec_b64 s[6:7], s[12:13]
	s_cbranch_execz .LBB69_84
; %bb.82:
	ds_read_u8 v12, v0 offset:1
	s_waitcnt lgkmcnt(0)
	v_cmp_ne_u16_e64 s[4:5], 0, v12
	s_and_b64 exec, exec, s[4:5]
	s_cbranch_execz .LBB69_84
; %bb.83:
	v_add_u32_e32 v10, v8, v10
	v_alignbit_b32 v11, v11, v11, 16
	ds_read_b128 v[14:17], v10
	ds_write_b32 v1, v11
	ds_read_u8 v1, v0
	s_waitcnt lgkmcnt(2)
	v_mov_b32_e32 v18, v14
	v_mov_b32_e32 v19, v15
	s_waitcnt lgkmcnt(0)
	v_lshlrev_b16_e32 v1, 8, v1
	v_or_b32_e32 v1, v12, v1
	ds_write_b128 v10, v[16:19]
	ds_write_b16 v0, v1
.LBB69_84:
	s_or_b64 exec, exec, s[6:7]
	s_waitcnt lgkmcnt(0)
	s_barrier
	s_and_saveexec_b64 s[4:5], vcc
	s_cbranch_execz .LBB69_89
; %bb.85:
	s_and_saveexec_b64 s[4:5], s[0:1]
	s_cbranch_execz .LBB69_87
; %bb.86:
	v_mad_u64_u32 v[0:1], s[0:1], v3, s14, v[4:5]
	ds_read_u16 v12, v9
	v_mov_b32_e32 v1, 0
	v_lshlrev_b64 v[10:11], 1, v[0:1]
	v_mov_b32_e32 v0, s11
	v_add_co_u32_e32 v10, vcc, s10, v10
	v_addc_co_u32_e32 v11, vcc, v0, v11, vcc
	ds_read_b64 v[8:9], v8
	s_waitcnt lgkmcnt(1)
	global_store_short v[10:11], v12, off
	v_mad_u64_u32 v[10:11], s[0:1], v3, s15, v[2:3]
	v_mov_b32_e32 v11, v1
	v_lshlrev_b64 v[0:1], 3, v[10:11]
	v_mov_b32_e32 v3, s9
	v_add_co_u32_e32 v0, vcc, s8, v0
	v_addc_co_u32_e32 v1, vcc, v3, v1, vcc
	s_waitcnt lgkmcnt(0)
	global_store_dwordx2 v[0:1], v[8:9], off
.LBB69_87:
	s_or_b64 exec, exec, s[4:5]
	s_and_b64 exec, exec, s[2:3]
	s_cbranch_execz .LBB69_89
; %bb.88:
	v_mad_u64_u32 v[0:1], s[0:1], v5, s14, v[4:5]
	ds_read_u16 v3, v7
	v_mov_b32_e32 v1, 0
	v_lshlrev_b64 v[8:9], 1, v[0:1]
	v_mov_b32_e32 v0, s11
	v_add_co_u32_e32 v8, vcc, s10, v8
	v_addc_co_u32_e32 v9, vcc, v0, v9, vcc
	ds_read_b64 v[6:7], v6
	s_waitcnt lgkmcnt(1)
	global_store_short v[8:9], v3, off
	v_mad_u64_u32 v[2:3], s[0:1], v5, s15, v[2:3]
	v_mov_b32_e32 v3, v1
	v_lshlrev_b64 v[0:1], 3, v[2:3]
	v_mov_b32_e32 v2, s9
	v_add_co_u32_e32 v0, vcc, s8, v0
	v_addc_co_u32_e32 v1, vcc, v2, v1, vcc
	s_waitcnt lgkmcnt(0)
	global_store_dwordx2 v[0:1], v[6:7], off
.LBB69_89:
	s_endpgm
.LBB69_90:
	ds_read_u8 v20, v0
	s_andn2_b64 s[6:7], s[6:7], exec
	s_mov_b32 s16, 1
	s_waitcnt lgkmcnt(0)
	v_and_b32_e32 v20, 1, v20
	v_cmp_eq_u32_e64 s[4:5], 1, v20
	s_xor_b64 s[4:5], s[4:5], -1
	s_and_b64 s[4:5], s[4:5], exec
	s_or_b64 s[6:7], s[6:7], s[4:5]
	s_or_b64 exec, exec, s[12:13]
	v_mov_b32_e32 v20, s16
	s_and_saveexec_b64 s[4:5], s[6:7]
	s_cbranch_execz .LBB69_25
.LBB69_91:
	ds_read_u8 v20, v0 offset:1
	s_waitcnt lgkmcnt(0)
	v_xor_b32_e32 v20, 1, v20
	s_or_b64 exec, exec, s[4:5]
	v_cmp_eq_u32_e64 s[4:5], v20, v18
	s_and_saveexec_b64 s[6:7], s[4:5]
	s_cbranch_execnz .LBB69_26
	s_branch .LBB69_27
.LBB69_92:
	ds_read_u8 v24, v12
	s_andn2_b64 s[6:7], s[6:7], exec
	s_mov_b32 s16, 1
	s_waitcnt lgkmcnt(0)
	v_and_b32_e32 v24, 1, v24
	v_cmp_eq_u32_e64 s[4:5], 1, v24
	s_xor_b64 s[4:5], s[4:5], -1
	s_and_b64 s[4:5], s[4:5], exec
	s_or_b64 s[6:7], s[6:7], s[4:5]
	s_or_b64 exec, exec, s[12:13]
	v_mov_b32_e32 v24, s16
	s_and_saveexec_b64 s[4:5], s[6:7]
	s_cbranch_execz .LBB69_35
.LBB69_93:
	ds_read_u8 v24, v12 offset:2
	s_waitcnt lgkmcnt(0)
	v_xor_b32_e32 v24, 1, v24
	s_or_b64 exec, exec, s[4:5]
	v_cmp_eq_u32_e64 s[4:5], v24, v21
	s_and_saveexec_b64 s[6:7], s[4:5]
	s_cbranch_execnz .LBB69_36
	s_branch .LBB69_37
.LBB69_94:
	ds_read_u8 v23, v0
	s_andn2_b64 s[6:7], s[6:7], exec
	s_mov_b32 s16, 1
	s_waitcnt lgkmcnt(0)
	v_and_b32_e32 v23, 1, v23
	v_cmp_eq_u32_e64 s[4:5], 1, v23
	s_xor_b64 s[4:5], s[4:5], -1
	s_and_b64 s[4:5], s[4:5], exec
	s_or_b64 s[6:7], s[6:7], s[4:5]
	s_or_b64 exec, exec, s[12:13]
	v_mov_b32_e32 v23, s16
	s_and_saveexec_b64 s[4:5], s[6:7]
	s_cbranch_execz .LBB69_39
.LBB69_95:
	ds_read_u8 v23, v0 offset:1
	s_waitcnt lgkmcnt(0)
	v_xor_b32_e32 v23, 1, v23
	s_or_b64 exec, exec, s[4:5]
	v_cmp_eq_u32_e64 s[4:5], v23, v21
	s_and_saveexec_b64 s[6:7], s[4:5]
	s_cbranch_execnz .LBB69_40
	s_branch .LBB69_41
.LBB69_96:
	ds_read_u8 v27, v19
	s_andn2_b64 s[6:7], s[6:7], exec
	s_mov_b32 s16, 1
	s_waitcnt lgkmcnt(0)
	v_and_b32_e32 v27, 1, v27
	v_cmp_eq_u32_e64 s[4:5], 1, v27
	s_xor_b64 s[4:5], s[4:5], -1
	s_and_b64 s[4:5], s[4:5], exec
	s_or_b64 s[6:7], s[6:7], s[4:5]
	s_or_b64 exec, exec, s[12:13]
	v_mov_b32_e32 v27, s16
	s_and_saveexec_b64 s[4:5], s[6:7]
	s_cbranch_execz .LBB69_49
.LBB69_97:
	ds_read_u8 v27, v19 offset:4
	s_waitcnt lgkmcnt(0)
	v_xor_b32_e32 v27, 1, v27
	s_or_b64 exec, exec, s[4:5]
	v_cmp_eq_u32_e64 s[4:5], v27, v24
	s_and_saveexec_b64 s[6:7], s[4:5]
	s_cbranch_execnz .LBB69_50
	s_branch .LBB69_51
.LBB69_98:
	ds_read_u8 v27, v12
	s_andn2_b64 s[6:7], s[6:7], exec
	s_mov_b32 s16, 1
	s_waitcnt lgkmcnt(0)
	v_and_b32_e32 v27, 1, v27
	v_cmp_eq_u32_e64 s[4:5], 1, v27
	s_xor_b64 s[4:5], s[4:5], -1
	s_and_b64 s[4:5], s[4:5], exec
	s_or_b64 s[6:7], s[6:7], s[4:5]
	s_or_b64 exec, exec, s[12:13]
	v_mov_b32_e32 v27, s16
	s_and_saveexec_b64 s[4:5], s[6:7]
	s_cbranch_execz .LBB69_53
.LBB69_99:
	ds_read_u8 v27, v12 offset:2
	s_waitcnt lgkmcnt(0)
	v_xor_b32_e32 v27, 1, v27
	s_or_b64 exec, exec, s[4:5]
	v_cmp_eq_u32_e64 s[4:5], v27, v24
	s_and_saveexec_b64 s[6:7], s[4:5]
	s_cbranch_execnz .LBB69_54
	s_branch .LBB69_55
.LBB69_100:
	ds_read_u8 v26, v0
	s_andn2_b64 s[6:7], s[6:7], exec
	s_mov_b32 s16, 1
	s_waitcnt lgkmcnt(0)
	v_and_b32_e32 v26, 1, v26
	v_cmp_eq_u32_e64 s[4:5], 1, v26
	s_xor_b64 s[4:5], s[4:5], -1
	s_and_b64 s[4:5], s[4:5], exec
	s_or_b64 s[6:7], s[6:7], s[4:5]
	s_or_b64 exec, exec, s[12:13]
	v_mov_b32_e32 v26, s16
	s_and_saveexec_b64 s[4:5], s[6:7]
	s_cbranch_execz .LBB69_57
.LBB69_101:
	ds_read_u8 v26, v0 offset:1
	s_waitcnt lgkmcnt(0)
	v_xor_b32_e32 v26, 1, v26
	s_or_b64 exec, exec, s[4:5]
	v_cmp_eq_u32_e64 s[4:5], v26, v24
	s_and_saveexec_b64 s[6:7], s[4:5]
	s_cbranch_execnz .LBB69_58
	s_branch .LBB69_59
	.section	.rodata,"a",@progbits
	.p2align	6, 0x0
	.amdhsa_kernel _ZN2at6native20bitonicSortKVInPlaceILin1ELin1ELi16ELi16EN3c108BFloat16ElNS0_4GTOpIS3_Lb1EEEjEEvNS_4cuda6detail10TensorInfoIT3_T6_EESA_SA_SA_NS8_IT4_SA_EESA_T5_
		.amdhsa_group_segment_fixed_size 5632
		.amdhsa_private_segment_fixed_size 0
		.amdhsa_kernarg_size 712
		.amdhsa_user_sgpr_count 6
		.amdhsa_user_sgpr_private_segment_buffer 1
		.amdhsa_user_sgpr_dispatch_ptr 0
		.amdhsa_user_sgpr_queue_ptr 0
		.amdhsa_user_sgpr_kernarg_segment_ptr 1
		.amdhsa_user_sgpr_dispatch_id 0
		.amdhsa_user_sgpr_flat_scratch_init 0
		.amdhsa_user_sgpr_kernarg_preload_length 0
		.amdhsa_user_sgpr_kernarg_preload_offset 0
		.amdhsa_user_sgpr_private_segment_size 0
		.amdhsa_uses_dynamic_stack 0
		.amdhsa_system_sgpr_private_segment_wavefront_offset 0
		.amdhsa_system_sgpr_workgroup_id_x 1
		.amdhsa_system_sgpr_workgroup_id_y 1
		.amdhsa_system_sgpr_workgroup_id_z 1
		.amdhsa_system_sgpr_workgroup_info 0
		.amdhsa_system_vgpr_workitem_id 1
		.amdhsa_next_free_vgpr 33
		.amdhsa_next_free_sgpr 18
		.amdhsa_accum_offset 36
		.amdhsa_reserve_vcc 1
		.amdhsa_reserve_flat_scratch 0
		.amdhsa_float_round_mode_32 0
		.amdhsa_float_round_mode_16_64 0
		.amdhsa_float_denorm_mode_32 3
		.amdhsa_float_denorm_mode_16_64 3
		.amdhsa_dx10_clamp 1
		.amdhsa_ieee_mode 1
		.amdhsa_fp16_overflow 0
		.amdhsa_tg_split 0
		.amdhsa_exception_fp_ieee_invalid_op 0
		.amdhsa_exception_fp_denorm_src 0
		.amdhsa_exception_fp_ieee_div_zero 0
		.amdhsa_exception_fp_ieee_overflow 0
		.amdhsa_exception_fp_ieee_underflow 0
		.amdhsa_exception_fp_ieee_inexact 0
		.amdhsa_exception_int_div_zero 0
	.end_amdhsa_kernel
	.section	.text._ZN2at6native20bitonicSortKVInPlaceILin1ELin1ELi16ELi16EN3c108BFloat16ElNS0_4GTOpIS3_Lb1EEEjEEvNS_4cuda6detail10TensorInfoIT3_T6_EESA_SA_SA_NS8_IT4_SA_EESA_T5_,"axG",@progbits,_ZN2at6native20bitonicSortKVInPlaceILin1ELin1ELi16ELi16EN3c108BFloat16ElNS0_4GTOpIS3_Lb1EEEjEEvNS_4cuda6detail10TensorInfoIT3_T6_EESA_SA_SA_NS8_IT4_SA_EESA_T5_,comdat
.Lfunc_end69:
	.size	_ZN2at6native20bitonicSortKVInPlaceILin1ELin1ELi16ELi16EN3c108BFloat16ElNS0_4GTOpIS3_Lb1EEEjEEvNS_4cuda6detail10TensorInfoIT3_T6_EESA_SA_SA_NS8_IT4_SA_EESA_T5_, .Lfunc_end69-_ZN2at6native20bitonicSortKVInPlaceILin1ELin1ELi16ELi16EN3c108BFloat16ElNS0_4GTOpIS3_Lb1EEEjEEvNS_4cuda6detail10TensorInfoIT3_T6_EESA_SA_SA_NS8_IT4_SA_EESA_T5_
                                        ; -- End function
	.section	.AMDGPU.csdata,"",@progbits
; Kernel info:
; codeLenInByte = 5460
; NumSgprs: 22
; NumVgprs: 33
; NumAgprs: 0
; TotalNumVgprs: 33
; ScratchSize: 0
; MemoryBound: 0
; FloatMode: 240
; IeeeMode: 1
; LDSByteSize: 5632 bytes/workgroup (compile time only)
; SGPRBlocks: 2
; VGPRBlocks: 4
; NumSGPRsForWavesPerEU: 22
; NumVGPRsForWavesPerEU: 33
; AccumOffset: 36
; Occupancy: 8
; WaveLimiterHint : 1
; COMPUTE_PGM_RSRC2:SCRATCH_EN: 0
; COMPUTE_PGM_RSRC2:USER_SGPR: 6
; COMPUTE_PGM_RSRC2:TRAP_HANDLER: 0
; COMPUTE_PGM_RSRC2:TGID_X_EN: 1
; COMPUTE_PGM_RSRC2:TGID_Y_EN: 1
; COMPUTE_PGM_RSRC2:TGID_Z_EN: 1
; COMPUTE_PGM_RSRC2:TIDIG_COMP_CNT: 1
; COMPUTE_PGM_RSRC3_GFX90A:ACCUM_OFFSET: 8
; COMPUTE_PGM_RSRC3_GFX90A:TG_SPLIT: 0
	.section	.text._ZN2at6native20bitonicSortKVInPlaceILin1ELin1ELi16ELi16EN3c108BFloat16ElNS0_4LTOpIS3_Lb1EEEmEEvNS_4cuda6detail10TensorInfoIT3_T6_EESA_SA_SA_NS8_IT4_SA_EESA_T5_,"axG",@progbits,_ZN2at6native20bitonicSortKVInPlaceILin1ELin1ELi16ELi16EN3c108BFloat16ElNS0_4LTOpIS3_Lb1EEEmEEvNS_4cuda6detail10TensorInfoIT3_T6_EESA_SA_SA_NS8_IT4_SA_EESA_T5_,comdat
	.protected	_ZN2at6native20bitonicSortKVInPlaceILin1ELin1ELi16ELi16EN3c108BFloat16ElNS0_4LTOpIS3_Lb1EEEmEEvNS_4cuda6detail10TensorInfoIT3_T6_EESA_SA_SA_NS8_IT4_SA_EESA_T5_ ; -- Begin function _ZN2at6native20bitonicSortKVInPlaceILin1ELin1ELi16ELi16EN3c108BFloat16ElNS0_4LTOpIS3_Lb1EEEmEEvNS_4cuda6detail10TensorInfoIT3_T6_EESA_SA_SA_NS8_IT4_SA_EESA_T5_
	.globl	_ZN2at6native20bitonicSortKVInPlaceILin1ELin1ELi16ELi16EN3c108BFloat16ElNS0_4LTOpIS3_Lb1EEEmEEvNS_4cuda6detail10TensorInfoIT3_T6_EESA_SA_SA_NS8_IT4_SA_EESA_T5_
	.p2align	8
	.type	_ZN2at6native20bitonicSortKVInPlaceILin1ELin1ELi16ELi16EN3c108BFloat16ElNS0_4LTOpIS3_Lb1EEEmEEvNS_4cuda6detail10TensorInfoIT3_T6_EESA_SA_SA_NS8_IT4_SA_EESA_T5_,@function
_ZN2at6native20bitonicSortKVInPlaceILin1ELin1ELi16ELi16EN3c108BFloat16ElNS0_4LTOpIS3_Lb1EEEmEEvNS_4cuda6detail10TensorInfoIT3_T6_EESA_SA_SA_NS8_IT4_SA_EESA_T5_: ; @_ZN2at6native20bitonicSortKVInPlaceILin1ELin1ELi16ELi16EN3c108BFloat16ElNS0_4LTOpIS3_Lb1EEEmEEvNS_4cuda6detail10TensorInfoIT3_T6_EESA_SA_SA_NS8_IT4_SA_EESA_T5_
; %bb.0:
	s_load_dwordx2 s[0:1], s[4:5], 0x368
	s_load_dwordx4 s[12:15], s[4:5], 0x1a0
	s_load_dword s9, s[4:5], 0x374
	s_add_u32 s2, s4, 0x368
	s_addc_u32 s3, s5, 0
	s_waitcnt lgkmcnt(0)
	s_mul_i32 s1, s1, s8
	s_add_i32 s1, s1, s7
	s_mul_i32 s0, s1, s0
	s_add_i32 s0, s0, s6
	s_lshr_b32 s6, s9, 16
	s_mul_hi_u32 s1, s0, s6
	s_mul_i32 s0, s0, s6
	v_pk_mov_b32 v[2:3], s[12:13], s[12:13] op_sel:[0,1]
	v_cmp_ge_u64_e32 vcc, s[0:1], v[2:3]
	s_cbranch_vccnz .LBB70_99
; %bb.1:
	v_mov_b32_e32 v1, s1
	s_load_dwordx2 s[8:9], s[4:5], 0x1b0
	s_load_dword s1, s[4:5], 0x198
	v_bfe_u32 v16, v0, 10, 10
	v_add_co_u32_e32 v4, vcc, s0, v16
	v_addc_co_u32_e32 v5, vcc, 0, v1, vcc
	v_mov_b32_e32 v8, 0
	s_waitcnt lgkmcnt(0)
	s_cmp_lt_i32 s1, 2
	v_pk_mov_b32 v[2:3], 0, 0
	v_pk_mov_b32 v[6:7], v[4:5], v[4:5] op_sel:[0,1]
	s_cbranch_scc1 .LBB70_9
; %bb.2:
	s_add_i32 s18, s1, 1
	s_add_i32 s0, s1, -1
	s_mov_b32 s1, 0
	s_lshl_b64 s[0:1], s[0:1], 3
	s_add_u32 s0, s0, s4
	s_addc_u32 s1, s1, s5
	s_add_u32 s6, s0, 8
	s_addc_u32 s7, s1, 0
	v_pk_mov_b32 v[2:3], 0, 0
	v_pk_mov_b32 v[10:11], v[4:5], v[4:5] op_sel:[0,1]
.LBB70_3:                               ; =>This Inner Loop Header: Depth=1
	s_load_dwordx2 s[10:11], s[6:7], 0x0
                                        ; implicit-def: $vgpr6_vgpr7
	s_waitcnt lgkmcnt(0)
	v_or_b32_e32 v9, s11, v11
	v_cmp_ne_u64_e32 vcc, 0, v[8:9]
	s_and_saveexec_b64 s[0:1], vcc
	s_xor_b64 s[16:17], exec, s[0:1]
	s_cbranch_execz .LBB70_5
; %bb.4:                                ;   in Loop: Header=BB70_3 Depth=1
	v_cvt_f32_u32_e32 v1, s10
	v_cvt_f32_u32_e32 v6, s11
	s_sub_u32 s0, 0, s10
	s_subb_u32 s1, 0, s11
	v_mac_f32_e32 v1, 0x4f800000, v6
	v_rcp_f32_e32 v1, v1
	v_mul_f32_e32 v1, 0x5f7ffffc, v1
	v_mul_f32_e32 v6, 0x2f800000, v1
	v_trunc_f32_e32 v6, v6
	v_mac_f32_e32 v1, 0xcf800000, v6
	v_cvt_u32_f32_e32 v6, v6
	v_cvt_u32_f32_e32 v1, v1
	v_mul_lo_u32 v7, s0, v6
	v_mul_hi_u32 v12, s0, v1
	v_mul_lo_u32 v9, s1, v1
	v_add_u32_e32 v7, v12, v7
	v_mul_lo_u32 v13, s0, v1
	v_add_u32_e32 v7, v7, v9
	v_mul_hi_u32 v12, v1, v13
	v_mul_lo_u32 v14, v1, v7
	v_mul_hi_u32 v9, v1, v7
	v_add_co_u32_e32 v12, vcc, v12, v14
	v_addc_co_u32_e32 v9, vcc, 0, v9, vcc
	v_mul_hi_u32 v15, v6, v13
	v_mul_lo_u32 v13, v6, v13
	v_add_co_u32_e32 v12, vcc, v12, v13
	v_mul_hi_u32 v14, v6, v7
	v_addc_co_u32_e32 v9, vcc, v9, v15, vcc
	v_addc_co_u32_e32 v12, vcc, 0, v14, vcc
	v_mul_lo_u32 v7, v6, v7
	v_add_co_u32_e32 v7, vcc, v9, v7
	v_addc_co_u32_e32 v9, vcc, 0, v12, vcc
	v_add_co_u32_e32 v1, vcc, v1, v7
	v_addc_co_u32_e32 v6, vcc, v6, v9, vcc
	v_mul_lo_u32 v7, s0, v6
	v_mul_hi_u32 v9, s0, v1
	v_add_u32_e32 v7, v9, v7
	v_mul_lo_u32 v9, s1, v1
	v_add_u32_e32 v7, v7, v9
	v_mul_lo_u32 v12, s0, v1
	v_mul_hi_u32 v13, v6, v12
	v_mul_lo_u32 v14, v6, v12
	v_mul_lo_u32 v17, v1, v7
	v_mul_hi_u32 v12, v1, v12
	v_mul_hi_u32 v15, v1, v7
	v_add_co_u32_e32 v12, vcc, v12, v17
	v_addc_co_u32_e32 v15, vcc, 0, v15, vcc
	v_add_co_u32_e32 v12, vcc, v12, v14
	v_mul_hi_u32 v9, v6, v7
	v_addc_co_u32_e32 v12, vcc, v15, v13, vcc
	v_addc_co_u32_e32 v9, vcc, 0, v9, vcc
	v_mul_lo_u32 v7, v6, v7
	v_add_co_u32_e32 v7, vcc, v12, v7
	v_addc_co_u32_e32 v9, vcc, 0, v9, vcc
	v_add_co_u32_e32 v1, vcc, v1, v7
	v_addc_co_u32_e32 v9, vcc, v6, v9, vcc
	v_mad_u64_u32 v[6:7], s[0:1], v10, v9, 0
	v_mul_hi_u32 v12, v10, v1
	v_add_co_u32_e32 v14, vcc, v12, v6
	v_addc_co_u32_e32 v15, vcc, 0, v7, vcc
	v_mad_u64_u32 v[12:13], s[0:1], v11, v1, 0
	v_add_co_u32_e32 v1, vcc, v14, v12
	v_mad_u64_u32 v[6:7], s[0:1], v11, v9, 0
	v_addc_co_u32_e32 v1, vcc, v15, v13, vcc
	v_addc_co_u32_e32 v7, vcc, 0, v7, vcc
	v_add_co_u32_e32 v1, vcc, v1, v6
	v_addc_co_u32_e32 v9, vcc, 0, v7, vcc
	v_mul_lo_u32 v12, s11, v1
	v_mul_lo_u32 v13, s10, v9
	v_mad_u64_u32 v[6:7], s[0:1], s10, v1, 0
	v_add3_u32 v7, v7, v13, v12
	v_sub_u32_e32 v12, v11, v7
	v_mov_b32_e32 v13, s11
	v_sub_co_u32_e32 v6, vcc, v10, v6
	v_subb_co_u32_e64 v12, s[0:1], v12, v13, vcc
	v_subrev_co_u32_e64 v13, s[0:1], s10, v6
	v_subbrev_co_u32_e64 v12, s[0:1], 0, v12, s[0:1]
	v_cmp_le_u32_e64 s[0:1], s11, v12
	v_cndmask_b32_e64 v14, 0, -1, s[0:1]
	v_cmp_le_u32_e64 s[0:1], s10, v13
	v_cndmask_b32_e64 v13, 0, -1, s[0:1]
	v_cmp_eq_u32_e64 s[0:1], s11, v12
	v_cndmask_b32_e64 v12, v14, v13, s[0:1]
	v_add_co_u32_e64 v13, s[0:1], 2, v1
	v_addc_co_u32_e64 v14, s[0:1], 0, v9, s[0:1]
	v_add_co_u32_e64 v15, s[0:1], 1, v1
	v_addc_co_u32_e64 v17, s[0:1], 0, v9, s[0:1]
	v_subb_co_u32_e32 v7, vcc, v11, v7, vcc
	v_cmp_ne_u32_e64 s[0:1], 0, v12
	v_cmp_le_u32_e32 vcc, s11, v7
	v_cndmask_b32_e64 v12, v17, v14, s[0:1]
	v_cndmask_b32_e64 v14, 0, -1, vcc
	v_cmp_le_u32_e32 vcc, s10, v6
	v_cndmask_b32_e64 v6, 0, -1, vcc
	v_cmp_eq_u32_e32 vcc, s11, v7
	v_cndmask_b32_e32 v6, v14, v6, vcc
	v_cmp_ne_u32_e32 vcc, 0, v6
	v_cndmask_b32_e64 v6, v15, v13, s[0:1]
	v_cndmask_b32_e32 v7, v9, v12, vcc
	v_cndmask_b32_e32 v6, v1, v6, vcc
.LBB70_5:                               ;   in Loop: Header=BB70_3 Depth=1
	s_andn2_saveexec_b64 s[0:1], s[16:17]
	s_cbranch_execz .LBB70_7
; %bb.6:                                ;   in Loop: Header=BB70_3 Depth=1
	v_cvt_f32_u32_e32 v1, s10
	s_sub_i32 s16, 0, s10
	v_rcp_iflag_f32_e32 v1, v1
	v_mul_f32_e32 v1, 0x4f7ffffe, v1
	v_cvt_u32_f32_e32 v1, v1
	v_mul_lo_u32 v6, s16, v1
	v_mul_hi_u32 v6, v1, v6
	v_add_u32_e32 v1, v1, v6
	v_mul_hi_u32 v1, v10, v1
	v_mul_lo_u32 v6, v1, s10
	v_sub_u32_e32 v6, v10, v6
	v_add_u32_e32 v7, 1, v1
	v_subrev_u32_e32 v9, s10, v6
	v_cmp_le_u32_e32 vcc, s10, v6
	v_cndmask_b32_e32 v6, v6, v9, vcc
	v_cndmask_b32_e32 v1, v1, v7, vcc
	v_add_u32_e32 v7, 1, v1
	v_cmp_le_u32_e32 vcc, s10, v6
	v_cndmask_b32_e32 v6, v1, v7, vcc
	v_mov_b32_e32 v7, v8
.LBB70_7:                               ;   in Loop: Header=BB70_3 Depth=1
	s_or_b64 exec, exec, s[0:1]
	v_mad_u64_u32 v[12:13], s[0:1], v6, s10, 0
	s_load_dwordx2 s[0:1], s[6:7], 0xc8
	v_mul_lo_u32 v1, v7, s10
	v_mul_lo_u32 v9, v6, s11
	v_add3_u32 v1, v13, v9, v1
	v_sub_co_u32_e32 v9, vcc, v10, v12
	s_add_i32 s18, s18, -1
	v_subb_co_u32_e32 v1, vcc, v11, v1, vcc
	s_add_u32 s6, s6, -8
	s_waitcnt lgkmcnt(0)
	v_mul_lo_u32 v1, s0, v1
	v_mul_lo_u32 v10, s1, v9
	v_mad_u64_u32 v[2:3], s[0:1], s0, v9, v[2:3]
	s_addc_u32 s7, s7, -1
	s_cmp_gt_u32 s18, 2
	v_add3_u32 v3, v10, v3, v1
	s_cbranch_scc0 .LBB70_9
; %bb.8:                                ;   in Loop: Header=BB70_3 Depth=1
	v_pk_mov_b32 v[10:11], v[6:7], v[6:7] op_sel:[0,1]
	s_branch .LBB70_3
.LBB70_9:
	s_load_dword s0, s[4:5], 0x350
	s_load_dwordx2 s[6:7], s[4:5], 0xd0
	v_pk_mov_b32 v[8:9], 0, 0
	v_pk_mov_b32 v[14:15], v[4:5], v[4:5] op_sel:[0,1]
	s_waitcnt lgkmcnt(0)
	s_cmp_lt_i32 s0, 2
	s_cbranch_scc1 .LBB70_17
; %bb.10:
	s_add_i32 s20, s0, 1
	s_add_i32 s0, s0, -1
	s_mov_b32 s1, 0
	s_lshl_b64 s[0:1], s[0:1], 3
	s_add_u32 s0, s0, s4
	s_addc_u32 s1, s1, s5
	s_add_u32 s10, s0, 0x1c0
	s_addc_u32 s11, s1, 0
	v_pk_mov_b32 v[8:9], 0, 0
	v_mov_b32_e32 v10, 0
	v_pk_mov_b32 v[12:13], v[4:5], v[4:5] op_sel:[0,1]
.LBB70_11:                              ; =>This Inner Loop Header: Depth=1
	s_load_dwordx2 s[16:17], s[10:11], 0x0
                                        ; implicit-def: $vgpr14_vgpr15
	s_waitcnt lgkmcnt(0)
	v_or_b32_e32 v11, s17, v13
	v_cmp_ne_u64_e32 vcc, 0, v[10:11]
	s_and_saveexec_b64 s[0:1], vcc
	s_xor_b64 s[18:19], exec, s[0:1]
	s_cbranch_execz .LBB70_13
; %bb.12:                               ;   in Loop: Header=BB70_11 Depth=1
	v_cvt_f32_u32_e32 v1, s16
	v_cvt_f32_u32_e32 v11, s17
	s_sub_u32 s0, 0, s16
	s_subb_u32 s1, 0, s17
	v_mac_f32_e32 v1, 0x4f800000, v11
	v_rcp_f32_e32 v1, v1
	v_mul_f32_e32 v1, 0x5f7ffffc, v1
	v_mul_f32_e32 v11, 0x2f800000, v1
	v_trunc_f32_e32 v11, v11
	v_mac_f32_e32 v1, 0xcf800000, v11
	v_cvt_u32_f32_e32 v11, v11
	v_cvt_u32_f32_e32 v1, v1
	v_mul_lo_u32 v14, s0, v11
	v_mul_hi_u32 v17, s0, v1
	v_mul_lo_u32 v15, s1, v1
	v_add_u32_e32 v14, v17, v14
	v_mul_lo_u32 v18, s0, v1
	v_add_u32_e32 v14, v14, v15
	v_mul_hi_u32 v17, v1, v18
	v_mul_lo_u32 v19, v1, v14
	v_mul_hi_u32 v15, v1, v14
	v_add_co_u32_e32 v17, vcc, v17, v19
	v_addc_co_u32_e32 v15, vcc, 0, v15, vcc
	v_mul_hi_u32 v20, v11, v18
	v_mul_lo_u32 v18, v11, v18
	v_add_co_u32_e32 v17, vcc, v17, v18
	v_mul_hi_u32 v19, v11, v14
	v_addc_co_u32_e32 v15, vcc, v15, v20, vcc
	v_addc_co_u32_e32 v17, vcc, 0, v19, vcc
	v_mul_lo_u32 v14, v11, v14
	v_add_co_u32_e32 v14, vcc, v15, v14
	v_addc_co_u32_e32 v15, vcc, 0, v17, vcc
	v_add_co_u32_e32 v1, vcc, v1, v14
	v_addc_co_u32_e32 v11, vcc, v11, v15, vcc
	v_mul_lo_u32 v14, s0, v11
	v_mul_hi_u32 v15, s0, v1
	v_add_u32_e32 v14, v15, v14
	v_mul_lo_u32 v15, s1, v1
	v_add_u32_e32 v14, v14, v15
	v_mul_lo_u32 v17, s0, v1
	v_mul_hi_u32 v18, v11, v17
	v_mul_lo_u32 v19, v11, v17
	v_mul_lo_u32 v21, v1, v14
	v_mul_hi_u32 v17, v1, v17
	v_mul_hi_u32 v20, v1, v14
	v_add_co_u32_e32 v17, vcc, v17, v21
	v_addc_co_u32_e32 v20, vcc, 0, v20, vcc
	v_add_co_u32_e32 v17, vcc, v17, v19
	v_mul_hi_u32 v15, v11, v14
	v_addc_co_u32_e32 v17, vcc, v20, v18, vcc
	v_addc_co_u32_e32 v15, vcc, 0, v15, vcc
	v_mul_lo_u32 v14, v11, v14
	v_add_co_u32_e32 v14, vcc, v17, v14
	v_addc_co_u32_e32 v15, vcc, 0, v15, vcc
	v_add_co_u32_e32 v1, vcc, v1, v14
	v_addc_co_u32_e32 v11, vcc, v11, v15, vcc
	v_mad_u64_u32 v[14:15], s[0:1], v12, v11, 0
	v_mul_hi_u32 v17, v12, v1
	v_add_co_u32_e32 v17, vcc, v17, v14
	v_addc_co_u32_e32 v20, vcc, 0, v15, vcc
	v_mad_u64_u32 v[18:19], s[0:1], v13, v1, 0
	v_add_co_u32_e32 v1, vcc, v17, v18
	v_mad_u64_u32 v[14:15], s[0:1], v13, v11, 0
	v_addc_co_u32_e32 v1, vcc, v20, v19, vcc
	v_addc_co_u32_e32 v11, vcc, 0, v15, vcc
	v_add_co_u32_e32 v1, vcc, v1, v14
	v_addc_co_u32_e32 v11, vcc, 0, v11, vcc
	v_mul_lo_u32 v17, s17, v1
	v_mul_lo_u32 v18, s16, v11
	v_mad_u64_u32 v[14:15], s[0:1], s16, v1, 0
	v_add3_u32 v15, v15, v18, v17
	v_sub_u32_e32 v17, v13, v15
	v_mov_b32_e32 v18, s17
	v_sub_co_u32_e32 v14, vcc, v12, v14
	v_subb_co_u32_e64 v17, s[0:1], v17, v18, vcc
	v_subrev_co_u32_e64 v18, s[0:1], s16, v14
	v_subbrev_co_u32_e64 v17, s[0:1], 0, v17, s[0:1]
	v_cmp_le_u32_e64 s[0:1], s17, v17
	v_cndmask_b32_e64 v19, 0, -1, s[0:1]
	v_cmp_le_u32_e64 s[0:1], s16, v18
	v_cndmask_b32_e64 v18, 0, -1, s[0:1]
	v_cmp_eq_u32_e64 s[0:1], s17, v17
	v_cndmask_b32_e64 v17, v19, v18, s[0:1]
	v_add_co_u32_e64 v18, s[0:1], 2, v1
	v_addc_co_u32_e64 v19, s[0:1], 0, v11, s[0:1]
	v_add_co_u32_e64 v20, s[0:1], 1, v1
	v_addc_co_u32_e64 v21, s[0:1], 0, v11, s[0:1]
	v_subb_co_u32_e32 v15, vcc, v13, v15, vcc
	v_cmp_ne_u32_e64 s[0:1], 0, v17
	v_cmp_le_u32_e32 vcc, s17, v15
	v_cndmask_b32_e64 v17, v21, v19, s[0:1]
	v_cndmask_b32_e64 v19, 0, -1, vcc
	v_cmp_le_u32_e32 vcc, s16, v14
	v_cndmask_b32_e64 v14, 0, -1, vcc
	v_cmp_eq_u32_e32 vcc, s17, v15
	v_cndmask_b32_e32 v14, v19, v14, vcc
	v_cmp_ne_u32_e32 vcc, 0, v14
	v_cndmask_b32_e32 v15, v11, v17, vcc
	v_cndmask_b32_e64 v11, v20, v18, s[0:1]
	v_cndmask_b32_e32 v14, v1, v11, vcc
.LBB70_13:                              ;   in Loop: Header=BB70_11 Depth=1
	s_andn2_saveexec_b64 s[0:1], s[18:19]
	s_cbranch_execz .LBB70_15
; %bb.14:                               ;   in Loop: Header=BB70_11 Depth=1
	v_cvt_f32_u32_e32 v1, s16
	s_sub_i32 s18, 0, s16
	v_rcp_iflag_f32_e32 v1, v1
	v_mul_f32_e32 v1, 0x4f7ffffe, v1
	v_cvt_u32_f32_e32 v1, v1
	v_mul_lo_u32 v11, s18, v1
	v_mul_hi_u32 v11, v1, v11
	v_add_u32_e32 v1, v1, v11
	v_mul_hi_u32 v1, v12, v1
	v_mul_lo_u32 v11, v1, s16
	v_sub_u32_e32 v11, v12, v11
	v_add_u32_e32 v14, 1, v1
	v_subrev_u32_e32 v15, s16, v11
	v_cmp_le_u32_e32 vcc, s16, v11
	v_cndmask_b32_e32 v11, v11, v15, vcc
	v_cndmask_b32_e32 v1, v1, v14, vcc
	v_add_u32_e32 v14, 1, v1
	v_cmp_le_u32_e32 vcc, s16, v11
	v_cndmask_b32_e32 v14, v1, v14, vcc
	v_mov_b32_e32 v15, v10
.LBB70_15:                              ;   in Loop: Header=BB70_11 Depth=1
	s_or_b64 exec, exec, s[0:1]
	v_mad_u64_u32 v[18:19], s[0:1], v14, s16, 0
	s_load_dwordx2 s[0:1], s[10:11], 0xc8
	v_mul_lo_u32 v1, v15, s16
	v_mul_lo_u32 v11, v14, s17
	v_add3_u32 v1, v19, v11, v1
	v_sub_co_u32_e32 v11, vcc, v12, v18
	s_add_i32 s20, s20, -1
	v_subb_co_u32_e32 v1, vcc, v13, v1, vcc
	s_add_u32 s10, s10, -8
	s_waitcnt lgkmcnt(0)
	v_mul_lo_u32 v1, s0, v1
	v_mul_lo_u32 v12, s1, v11
	v_mad_u64_u32 v[8:9], s[0:1], s0, v11, v[8:9]
	s_addc_u32 s11, s11, -1
	s_cmp_gt_u32 s20, 2
	v_add3_u32 v9, v12, v9, v1
	s_cbranch_scc0 .LBB70_17
; %bb.16:                               ;   in Loop: Header=BB70_11 Depth=1
	v_pk_mov_b32 v[12:13], v[14:15], v[14:15] op_sel:[0,1]
	s_branch .LBB70_11
.LBB70_17:
	v_mul_lo_u32 v1, s7, v6
	v_mul_lo_u32 v10, s6, v7
	v_mad_u64_u32 v[6:7], s[0:1], s6, v6, 0
	s_load_dwordx2 s[10:11], s[4:5], 0x358
	s_load_dwordx2 s[0:1], s[4:5], 0x288
	;; [unrolled: 1-line block ×4, first 2 shown]
	v_add3_u32 v7, v7, v10, v1
	v_cmp_gt_u64_e32 vcc, s[12:13], v[4:5]
	v_lshlrev_b64 v[6:7], 1, v[6:7]
	s_waitcnt lgkmcnt(0)
	v_mul_lo_u32 v1, s1, v14
	v_mul_lo_u32 v10, s0, v15
	v_mad_u64_u32 v[4:5], s[0:1], s0, v14, 0
	v_add3_u32 v5, v5, v10, v1
	v_mov_b32_e32 v1, s7
	v_add_co_u32_e64 v6, s[0:1], s6, v6
	v_addc_co_u32_e64 v1, s[0:1], v1, v7, s[0:1]
	v_lshlrev_b64 v[2:3], 1, v[2:3]
	v_add_co_u32_e64 v10, s[0:1], v6, v2
	v_addc_co_u32_e64 v11, s[0:1], v1, v3, s[0:1]
	v_lshlrev_b64 v[2:3], 3, v[4:5]
	v_mov_b32_e32 v1, s17
	v_add_co_u32_e64 v4, s[0:1], s16, v2
	v_addc_co_u32_e64 v1, s[0:1], v1, v3, s[0:1]
	v_lshlrev_b64 v[2:3], 3, v[8:9]
	s_load_dword s12, s[2:3], 0xc
	v_add_co_u32_e64 v8, s[0:1], v4, v2
	v_addc_co_u32_e64 v9, s[0:1], v1, v3, s[0:1]
	v_mov_b32_e32 v1, 0
	v_and_b32_e32 v2, 0x3ff, v0
	v_mov_b32_e32 v3, v1
	v_cmp_gt_u64_e64 s[0:1], s[14:15], v[2:3]
	v_pk_mov_b32 v[4:5], 0, 0
	s_and_b64 s[4:5], vcc, s[0:1]
	v_mov_b32_e32 v0, 0
	v_pk_mov_b32 v[6:7], v[4:5], v[4:5] op_sel:[0,1]
	s_and_saveexec_b64 s[6:7], s[4:5]
	s_cbranch_execz .LBB70_19
; %bb.18:
	v_mad_u64_u32 v[6:7], s[2:3], v2, s8, 0
	v_mov_b32_e32 v0, v7
	v_mad_u64_u32 v[12:13], s[2:3], v2, s9, v[0:1]
	v_mov_b32_e32 v7, v12
	v_lshlrev_b64 v[6:7], 1, v[6:7]
	v_add_co_u32_e64 v6, s[2:3], v10, v6
	v_addc_co_u32_e64 v7, s[2:3], v11, v7, s[2:3]
	global_load_ushort v0, v[6:7], off
	v_mad_u64_u32 v[6:7], s[2:3], v2, s10, 0
	v_mov_b32_e32 v12, v7
	v_mad_u64_u32 v[12:13], s[2:3], v2, s11, v[12:13]
	v_mov_b32_e32 v7, v12
	v_lshlrev_b64 v[6:7], 3, v[6:7]
	v_add_co_u32_e64 v6, s[2:3], v8, v6
	v_addc_co_u32_e64 v7, s[2:3], v9, v7, s[2:3]
	global_load_dwordx2 v[6:7], v[6:7], off
.LBB70_19:
	s_or_b64 exec, exec, s[6:7]
	v_mov_b32_e32 v3, 0x1000
	v_lshl_add_u32 v18, v16, 6, v3
	v_mov_b32_e32 v3, 0x1400
	v_lshl_add_u32 v17, v16, 5, v3
	v_lshl_add_u32 v12, v2, 1, v18
	s_waitcnt lgkmcnt(0)
	s_and_b32 s16, 0xffff, s12
	v_cndmask_b32_e64 v13, 0, 1, s[4:5]
	s_waitcnt vmcnt(1)
	ds_write_b16 v12, v0
	v_add_u32_e32 v0, v17, v2
	ds_write_b8 v0, v13
	v_add_u32_e32 v0, s16, v2
	v_lshlrev_b32_e32 v15, 8, v16
	v_cmp_gt_u64_e64 s[2:3], s[14:15], v[0:1]
	v_lshl_add_u32 v3, v2, 3, v15
	s_and_b64 s[6:7], vcc, s[2:3]
	s_waitcnt vmcnt(0)
	ds_write_b64 v3, v[6:7]
	s_and_saveexec_b64 s[12:13], s[6:7]
	s_cbranch_execz .LBB70_21
; %bb.20:
	v_mad_u64_u32 v[4:5], s[4:5], v0, s8, 0
	v_mov_b32_e32 v6, v5
	v_mad_u64_u32 v[6:7], s[4:5], v0, s9, v[6:7]
	v_mov_b32_e32 v5, v6
	v_lshlrev_b64 v[4:5], 1, v[4:5]
	v_add_co_u32_e64 v4, s[4:5], v10, v4
	v_addc_co_u32_e64 v5, s[4:5], v11, v5, s[4:5]
	global_load_ushort v1, v[4:5], off
	v_mad_u64_u32 v[4:5], s[4:5], v0, s10, 0
	v_mov_b32_e32 v6, v5
	v_mad_u64_u32 v[6:7], s[4:5], v0, s11, v[6:7]
	v_mov_b32_e32 v5, v6
	v_lshlrev_b64 v[4:5], 3, v[4:5]
	v_add_co_u32_e64 v4, s[4:5], v8, v4
	v_addc_co_u32_e64 v5, s[4:5], v9, v5, s[4:5]
	global_load_dwordx2 v[4:5], v[4:5], off
.LBB70_21:
	s_or_b64 exec, exec, s[12:13]
	v_lshl_add_u32 v6, s16, 1, v12
	s_waitcnt vmcnt(1)
	ds_write_b16 v6, v1
	v_lshl_add_u32 v1, s16, 3, v3
	v_lshlrev_b32_e32 v19, 1, v2
	v_cndmask_b32_e64 v7, 0, 1, s[6:7]
	s_waitcnt vmcnt(0)
	ds_write_b64 v1, v[4:5]
	v_add_u32_e32 v4, v17, v0
	v_add_u32_e32 v5, v12, v19
	ds_write_b8 v4, v7
	s_waitcnt lgkmcnt(0)
	s_barrier
	ds_read_b32 v13, v5
	s_mov_b32 s14, 1
	s_waitcnt lgkmcnt(0)
	v_lshlrev_b32_e32 v4, 16, v13
	v_and_b32_e32 v7, 0xffff0000, v13
	v_cmp_u_f32_e64 s[4:5], v7, v7
	v_cmp_o_f32_e64 s[6:7], v4, v4
	s_and_b64 s[6:7], s[4:5], s[6:7]
	v_cmp_lt_f32_e64 s[4:5], v4, v7
	s_or_b64 s[4:5], s[6:7], s[4:5]
	s_xor_b64 s[6:7], s[4:5], -1
	v_add_u32_e32 v4, v17, v19
	s_and_saveexec_b64 s[12:13], s[4:5]
	s_xor_b64 s[12:13], exec, s[12:13]
	s_cbranch_execz .LBB70_23
; %bb.22:
	ds_read_u8 v7, v4
	s_andn2_b64 s[6:7], s[6:7], exec
	s_waitcnt lgkmcnt(0)
	v_and_b32_e32 v7, 1, v7
	v_cmp_eq_u32_e64 s[4:5], 1, v7
	s_xor_b64 s[4:5], s[4:5], -1
	s_and_b64 s[4:5], s[4:5], exec
	s_or_b64 s[6:7], s[6:7], s[4:5]
.LBB70_23:
	s_or_b64 exec, exec, s[12:13]
	v_mov_b32_e32 v16, s14
	s_and_saveexec_b64 s[4:5], s[6:7]
	s_cbranch_execz .LBB70_25
; %bb.24:
	ds_read_u8 v7, v4 offset:1
	s_waitcnt lgkmcnt(0)
	v_xor_b32_e32 v16, 1, v7
.LBB70_25:
	s_or_b64 exec, exec, s[4:5]
	v_and_b32_e32 v14, 1, v2
	v_lshlrev_b32_e32 v7, 3, v2
	v_cmp_eq_u32_e64 s[4:5], v16, v14
	s_and_saveexec_b64 s[6:7], s[4:5]
	s_cbranch_execz .LBB70_27
; %bb.26:
	v_add_u32_e32 v16, v3, v7
	v_alignbit_b32 v13, v13, v13, 16
	ds_read_b128 v[20:23], v16
	ds_write_b32 v5, v13
	ds_read_u16 v13, v4
	s_mov_b32 s4, 0xc0c0001
	s_waitcnt lgkmcnt(2)
	v_mov_b32_e32 v24, v20
	v_mov_b32_e32 v25, v21
	s_waitcnt lgkmcnt(0)
	v_perm_b32 v13, 0, v13, s4
	ds_write_b128 v16, v[22:25]
	ds_write_b16 v4, v13
.LBB70_27:
	s_or_b64 exec, exec, s[6:7]
	v_sub_u32_e32 v16, v19, v14
	v_lshl_add_u32 v13, v16, 1, v18
	s_waitcnt lgkmcnt(0)
	s_barrier
	ds_read_u16 v21, v13
	ds_read_u16 v22, v13 offset:4
                                        ; implicit-def: $sgpr12
	s_waitcnt lgkmcnt(1)
	v_lshlrev_b32_e32 v14, 16, v21
	s_waitcnt lgkmcnt(0)
	v_lshlrev_b32_e32 v20, 16, v22
	v_cmp_u_f32_e64 s[4:5], v20, v20
	v_cmp_o_f32_e64 s[6:7], v14, v14
	s_and_b64 s[6:7], s[4:5], s[6:7]
	v_cmp_lt_f32_e64 s[4:5], v14, v20
	s_or_b64 s[6:7], s[6:7], s[4:5]
	s_mov_b64 s[4:5], -1
	v_add_u32_e32 v14, v17, v16
	s_and_saveexec_b64 s[14:15], s[6:7]
	s_xor_b64 s[6:7], exec, s[14:15]
	s_cbranch_execz .LBB70_29
; %bb.28:
	ds_read_u8 v20, v14
	s_mov_b32 s12, 1
	s_waitcnt lgkmcnt(0)
	v_and_b32_e32 v20, 1, v20
	v_cmp_eq_u32_e64 s[4:5], 1, v20
	s_xor_b64 s[4:5], s[4:5], -1
	s_orn2_b64 s[4:5], s[4:5], exec
.LBB70_29:
	s_or_b64 exec, exec, s[6:7]
	v_mov_b32_e32 v23, s12
	s_and_saveexec_b64 s[6:7], s[4:5]
	s_cbranch_execz .LBB70_31
; %bb.30:
	ds_read_u8 v20, v14 offset:2
	s_waitcnt lgkmcnt(0)
	v_xor_b32_e32 v23, 1, v20
.LBB70_31:
	s_or_b64 exec, exec, s[6:7]
	v_bfe_u32 v20, v2, 1, 1
	v_lshl_add_u32 v16, v16, 3, v15
	v_cmp_eq_u32_e64 s[4:5], v23, v20
	s_and_saveexec_b64 s[6:7], s[4:5]
	s_cbranch_execz .LBB70_33
; %bb.32:
	ds_read2_b64 v[24:27], v16 offset1:2
	ds_read_u8 v23, v14 offset:2
	ds_read_u8 v28, v14
	ds_write_b16 v13, v22
	ds_write_b16 v13, v21 offset:4
	s_waitcnt lgkmcnt(4)
	ds_write2_b64 v16, v[26:27], v[24:25] offset1:2
	s_waitcnt lgkmcnt(4)
	ds_write_b8 v14, v23
	s_waitcnt lgkmcnt(4)
	ds_write_b8 v14, v28 offset:2
.LBB70_33:
	s_or_b64 exec, exec, s[6:7]
	s_waitcnt lgkmcnt(0)
	s_barrier
	ds_read_b32 v21, v5
                                        ; implicit-def: $sgpr14
	s_waitcnt lgkmcnt(0)
	v_lshlrev_b32_e32 v22, 16, v21
	v_and_b32_e32 v23, 0xffff0000, v21
	v_cmp_u_f32_e64 s[4:5], v23, v23
	v_cmp_o_f32_e64 s[6:7], v22, v22
	s_and_b64 s[6:7], s[4:5], s[6:7]
	v_cmp_lt_f32_e64 s[4:5], v22, v23
	s_or_b64 s[4:5], s[6:7], s[4:5]
	s_xor_b64 s[6:7], s[4:5], -1
	s_and_saveexec_b64 s[12:13], s[4:5]
	s_cbranch_execnz .LBB70_100
; %bb.34:
	s_or_b64 exec, exec, s[12:13]
	v_mov_b32_e32 v22, s14
	s_and_saveexec_b64 s[4:5], s[6:7]
	s_cbranch_execnz .LBB70_101
.LBB70_35:
	s_or_b64 exec, exec, s[4:5]
	v_cmp_eq_u32_e64 s[4:5], v22, v20
	s_and_saveexec_b64 s[6:7], s[4:5]
	s_cbranch_execz .LBB70_37
.LBB70_36:
	v_add_u32_e32 v26, v3, v7
	ds_read_b128 v[22:25], v26
	ds_read_u16 v27, v4
	v_alignbit_b32 v20, v21, v21, 16
	ds_write_b32 v5, v20
	s_mov_b32 s4, 0xc0c0001
	s_waitcnt lgkmcnt(2)
	v_mov_b32_e32 v20, v24
	v_mov_b32_e32 v21, v25
	ds_write_b128 v26, v[20:23]
	s_waitcnt lgkmcnt(2)
	v_perm_b32 v20, 0, v27, s4
	ds_write_b16 v4, v20
.LBB70_37:
	s_or_b64 exec, exec, s[6:7]
	v_and_b32_e32 v20, 3, v2
	v_sub_u32_e32 v22, v19, v20
	v_lshl_add_u32 v20, v22, 1, v18
	s_waitcnt lgkmcnt(0)
	s_barrier
	ds_read_u16 v24, v20
	ds_read_u16 v25, v20 offset:8
	s_mov_b32 s14, 1
	s_waitcnt lgkmcnt(1)
	v_lshlrev_b32_e32 v21, 16, v24
	s_waitcnt lgkmcnt(0)
	v_lshlrev_b32_e32 v23, 16, v25
	v_cmp_u_f32_e64 s[4:5], v23, v23
	v_cmp_o_f32_e64 s[6:7], v21, v21
	s_and_b64 s[6:7], s[4:5], s[6:7]
	v_cmp_lt_f32_e64 s[4:5], v21, v23
	s_or_b64 s[4:5], s[6:7], s[4:5]
	s_xor_b64 s[6:7], s[4:5], -1
	v_add_u32_e32 v21, v17, v22
	s_and_saveexec_b64 s[12:13], s[4:5]
	s_cbranch_execz .LBB70_39
; %bb.38:
	ds_read_u8 v23, v21
	s_andn2_b64 s[6:7], s[6:7], exec
	s_waitcnt lgkmcnt(0)
	v_and_b32_e32 v23, 1, v23
	v_cmp_eq_u32_e64 s[4:5], 1, v23
	s_xor_b64 s[4:5], s[4:5], -1
	s_and_b64 s[4:5], s[4:5], exec
	s_or_b64 s[6:7], s[6:7], s[4:5]
.LBB70_39:
	s_or_b64 exec, exec, s[12:13]
	v_mov_b32_e32 v26, s14
	s_and_saveexec_b64 s[4:5], s[6:7]
	s_cbranch_execz .LBB70_41
; %bb.40:
	ds_read_u8 v23, v21 offset:4
	s_waitcnt lgkmcnt(0)
	v_xor_b32_e32 v26, 1, v23
.LBB70_41:
	s_or_b64 exec, exec, s[4:5]
	v_bfe_u32 v23, v2, 2, 1
	v_lshl_add_u32 v22, v22, 3, v15
	v_cmp_eq_u32_e64 s[4:5], v26, v23
	s_and_saveexec_b64 s[6:7], s[4:5]
	s_cbranch_execz .LBB70_43
; %bb.42:
	ds_read2_b64 v[26:29], v22 offset1:4
	ds_read_u8 v30, v21 offset:4
	ds_read_u8 v31, v21
	ds_write_b16 v20, v25
	ds_write_b16 v20, v24 offset:8
	s_waitcnt lgkmcnt(4)
	ds_write2_b64 v22, v[28:29], v[26:27] offset1:4
	s_waitcnt lgkmcnt(4)
	ds_write_b8 v21, v30
	s_waitcnt lgkmcnt(4)
	ds_write_b8 v21, v31 offset:4
.LBB70_43:
	s_or_b64 exec, exec, s[6:7]
	s_waitcnt lgkmcnt(0)
	s_barrier
	ds_read_u16 v24, v13
	ds_read_u16 v25, v13 offset:4
                                        ; implicit-def: $sgpr14
	s_waitcnt lgkmcnt(1)
	v_lshlrev_b32_e32 v26, 16, v24
	s_waitcnt lgkmcnt(0)
	v_lshlrev_b32_e32 v27, 16, v25
	v_cmp_u_f32_e64 s[4:5], v27, v27
	v_cmp_o_f32_e64 s[6:7], v26, v26
	s_and_b64 s[6:7], s[4:5], s[6:7]
	v_cmp_lt_f32_e64 s[4:5], v26, v27
	s_or_b64 s[4:5], s[6:7], s[4:5]
	s_xor_b64 s[6:7], s[4:5], -1
	s_and_saveexec_b64 s[12:13], s[4:5]
	s_cbranch_execnz .LBB70_102
; %bb.44:
	s_or_b64 exec, exec, s[12:13]
	v_mov_b32_e32 v26, s14
	s_and_saveexec_b64 s[4:5], s[6:7]
	s_cbranch_execnz .LBB70_103
.LBB70_45:
	s_or_b64 exec, exec, s[4:5]
	v_cmp_eq_u32_e64 s[4:5], v26, v23
	s_and_saveexec_b64 s[6:7], s[4:5]
	s_cbranch_execz .LBB70_47
.LBB70_46:
	ds_read2_b64 v[26:29], v16 offset1:2
	ds_read_u8 v30, v14 offset:2
	ds_read_u8 v31, v14
	ds_write_b16 v13, v25
	ds_write_b16 v13, v24 offset:4
	s_waitcnt lgkmcnt(4)
	ds_write2_b64 v16, v[28:29], v[26:27] offset1:2
	s_waitcnt lgkmcnt(4)
	ds_write_b8 v14, v30
	s_waitcnt lgkmcnt(4)
	ds_write_b8 v14, v31 offset:2
.LBB70_47:
	s_or_b64 exec, exec, s[6:7]
	s_waitcnt lgkmcnt(0)
	s_barrier
	ds_read_b32 v24, v5
                                        ; implicit-def: $sgpr14
	s_waitcnt lgkmcnt(0)
	v_lshlrev_b32_e32 v25, 16, v24
	v_and_b32_e32 v26, 0xffff0000, v24
	v_cmp_u_f32_e64 s[4:5], v26, v26
	v_cmp_o_f32_e64 s[6:7], v25, v25
	s_and_b64 s[6:7], s[4:5], s[6:7]
	v_cmp_lt_f32_e64 s[4:5], v25, v26
	s_or_b64 s[4:5], s[6:7], s[4:5]
	s_xor_b64 s[6:7], s[4:5], -1
	s_and_saveexec_b64 s[12:13], s[4:5]
	s_cbranch_execnz .LBB70_104
; %bb.48:
	s_or_b64 exec, exec, s[12:13]
	v_mov_b32_e32 v25, s14
	s_and_saveexec_b64 s[4:5], s[6:7]
	s_cbranch_execnz .LBB70_105
.LBB70_49:
	s_or_b64 exec, exec, s[4:5]
	v_cmp_eq_u32_e64 s[4:5], v25, v23
	s_and_saveexec_b64 s[6:7], s[4:5]
	s_cbranch_execz .LBB70_51
.LBB70_50:
	v_add_u32_e32 v23, v3, v7
	ds_read_b128 v[26:29], v23
	ds_read_u16 v30, v4
	v_alignbit_b32 v24, v24, v24, 16
	ds_write_b32 v5, v24
	s_mov_b32 s4, 0xc0c0001
	s_waitcnt lgkmcnt(2)
	v_mov_b32_e32 v24, v28
	v_mov_b32_e32 v25, v29
	ds_write_b128 v23, v[24:27]
	s_waitcnt lgkmcnt(2)
	v_perm_b32 v23, 0, v30, s4
	ds_write_b16 v4, v23
.LBB70_51:
	s_or_b64 exec, exec, s[6:7]
	v_and_b32_e32 v23, 7, v2
	v_sub_u32_e32 v25, v19, v23
	v_lshl_add_u32 v23, v25, 1, v18
	s_waitcnt lgkmcnt(0)
	s_barrier
	ds_read_u16 v27, v23
	ds_read_u16 v28, v23 offset:16
	s_mov_b32 s14, 1
	s_waitcnt lgkmcnt(1)
	v_lshlrev_b32_e32 v24, 16, v27
	s_waitcnt lgkmcnt(0)
	v_lshlrev_b32_e32 v26, 16, v28
	v_cmp_u_f32_e64 s[4:5], v26, v26
	v_cmp_o_f32_e64 s[6:7], v24, v24
	s_and_b64 s[6:7], s[4:5], s[6:7]
	v_cmp_lt_f32_e64 s[4:5], v24, v26
	s_or_b64 s[4:5], s[6:7], s[4:5]
	s_xor_b64 s[6:7], s[4:5], -1
	v_add_u32_e32 v24, v17, v25
	s_and_saveexec_b64 s[12:13], s[4:5]
	s_cbranch_execz .LBB70_53
; %bb.52:
	ds_read_u8 v26, v24
	s_andn2_b64 s[6:7], s[6:7], exec
	s_waitcnt lgkmcnt(0)
	v_and_b32_e32 v26, 1, v26
	v_cmp_eq_u32_e64 s[4:5], 1, v26
	s_xor_b64 s[4:5], s[4:5], -1
	s_and_b64 s[4:5], s[4:5], exec
	s_or_b64 s[6:7], s[6:7], s[4:5]
.LBB70_53:
	s_or_b64 exec, exec, s[12:13]
	v_mov_b32_e32 v29, s14
	s_and_saveexec_b64 s[4:5], s[6:7]
	s_cbranch_execz .LBB70_55
; %bb.54:
	ds_read_u8 v26, v24 offset:8
	s_waitcnt lgkmcnt(0)
	v_xor_b32_e32 v29, 1, v26
.LBB70_55:
	s_or_b64 exec, exec, s[4:5]
	v_bfe_u32 v26, v2, 3, 1
	v_lshl_add_u32 v25, v25, 3, v15
	v_cmp_eq_u32_e64 s[4:5], v29, v26
	s_and_saveexec_b64 s[6:7], s[4:5]
	s_cbranch_execz .LBB70_57
; %bb.56:
	ds_read2_b64 v[30:33], v25 offset1:8
	ds_read_u8 v29, v24 offset:8
	ds_read_u8 v34, v24
	ds_write_b16 v23, v28
	ds_write_b16 v23, v27 offset:16
	s_waitcnt lgkmcnt(4)
	ds_write2_b64 v25, v[32:33], v[30:31] offset1:8
	s_waitcnt lgkmcnt(4)
	ds_write_b8 v24, v29
	s_waitcnt lgkmcnt(4)
	ds_write_b8 v24, v34 offset:8
.LBB70_57:
	s_or_b64 exec, exec, s[6:7]
	s_waitcnt lgkmcnt(0)
	s_barrier
	ds_read_u16 v27, v20
	ds_read_u16 v28, v20 offset:8
                                        ; implicit-def: $sgpr14
	s_waitcnt lgkmcnt(1)
	v_lshlrev_b32_e32 v29, 16, v27
	s_waitcnt lgkmcnt(0)
	v_lshlrev_b32_e32 v30, 16, v28
	v_cmp_u_f32_e64 s[4:5], v30, v30
	v_cmp_o_f32_e64 s[6:7], v29, v29
	s_and_b64 s[6:7], s[4:5], s[6:7]
	v_cmp_lt_f32_e64 s[4:5], v29, v30
	s_or_b64 s[4:5], s[6:7], s[4:5]
	s_xor_b64 s[6:7], s[4:5], -1
	s_and_saveexec_b64 s[12:13], s[4:5]
	s_cbranch_execnz .LBB70_106
; %bb.58:
	s_or_b64 exec, exec, s[12:13]
	v_mov_b32_e32 v29, s14
	s_and_saveexec_b64 s[4:5], s[6:7]
	s_cbranch_execnz .LBB70_107
.LBB70_59:
	s_or_b64 exec, exec, s[4:5]
	v_cmp_eq_u32_e64 s[4:5], v29, v26
	s_and_saveexec_b64 s[6:7], s[4:5]
	s_cbranch_execz .LBB70_61
.LBB70_60:
	ds_read2_b64 v[30:33], v22 offset1:4
	ds_read_u8 v29, v21 offset:4
	ds_read_u8 v34, v21
	ds_write_b16 v20, v28
	ds_write_b16 v20, v27 offset:8
	s_waitcnt lgkmcnt(4)
	ds_write2_b64 v22, v[32:33], v[30:31] offset1:4
	s_waitcnt lgkmcnt(4)
	ds_write_b8 v21, v29
	s_waitcnt lgkmcnt(4)
	ds_write_b8 v21, v34 offset:4
.LBB70_61:
	s_or_b64 exec, exec, s[6:7]
	s_waitcnt lgkmcnt(0)
	s_barrier
	ds_read_u16 v27, v13
	ds_read_u16 v28, v13 offset:4
                                        ; implicit-def: $sgpr14
	s_waitcnt lgkmcnt(1)
	v_lshlrev_b32_e32 v29, 16, v27
	s_waitcnt lgkmcnt(0)
	v_lshlrev_b32_e32 v30, 16, v28
	v_cmp_u_f32_e64 s[4:5], v30, v30
	v_cmp_o_f32_e64 s[6:7], v29, v29
	s_and_b64 s[6:7], s[4:5], s[6:7]
	v_cmp_lt_f32_e64 s[4:5], v29, v30
	s_or_b64 s[4:5], s[6:7], s[4:5]
	s_xor_b64 s[6:7], s[4:5], -1
	s_and_saveexec_b64 s[12:13], s[4:5]
	s_cbranch_execnz .LBB70_108
; %bb.62:
	s_or_b64 exec, exec, s[12:13]
	v_mov_b32_e32 v29, s14
	s_and_saveexec_b64 s[4:5], s[6:7]
	s_cbranch_execnz .LBB70_109
.LBB70_63:
	s_or_b64 exec, exec, s[4:5]
	v_cmp_eq_u32_e64 s[4:5], v29, v26
	s_and_saveexec_b64 s[6:7], s[4:5]
	s_cbranch_execz .LBB70_65
.LBB70_64:
	ds_read2_b64 v[30:33], v16 offset1:2
	ds_read_u8 v29, v14 offset:2
	ds_read_u8 v34, v14
	ds_write_b16 v13, v28
	ds_write_b16 v13, v27 offset:4
	s_waitcnt lgkmcnt(4)
	ds_write2_b64 v16, v[32:33], v[30:31] offset1:2
	s_waitcnt lgkmcnt(4)
	ds_write_b8 v14, v29
	s_waitcnt lgkmcnt(4)
	ds_write_b8 v14, v34 offset:2
.LBB70_65:
	s_or_b64 exec, exec, s[6:7]
	s_waitcnt lgkmcnt(0)
	s_barrier
	ds_read_b32 v27, v5
                                        ; implicit-def: $sgpr14
	s_waitcnt lgkmcnt(0)
	v_lshlrev_b32_e32 v28, 16, v27
	v_and_b32_e32 v29, 0xffff0000, v27
	v_cmp_u_f32_e64 s[4:5], v29, v29
	v_cmp_o_f32_e64 s[6:7], v28, v28
	s_and_b64 s[6:7], s[4:5], s[6:7]
	v_cmp_lt_f32_e64 s[4:5], v28, v29
	s_or_b64 s[4:5], s[6:7], s[4:5]
	s_xor_b64 s[6:7], s[4:5], -1
	s_and_saveexec_b64 s[12:13], s[4:5]
	s_cbranch_execnz .LBB70_110
; %bb.66:
	s_or_b64 exec, exec, s[12:13]
	v_mov_b32_e32 v28, s14
	s_and_saveexec_b64 s[4:5], s[6:7]
	s_cbranch_execnz .LBB70_111
.LBB70_67:
	s_or_b64 exec, exec, s[4:5]
	v_cmp_eq_u32_e64 s[4:5], v28, v26
	s_and_saveexec_b64 s[6:7], s[4:5]
	s_cbranch_execz .LBB70_69
.LBB70_68:
	v_add_u32_e32 v32, v3, v7
	ds_read_b128 v[28:31], v32
	ds_read_u16 v33, v4
	v_alignbit_b32 v26, v27, v27, 16
	ds_write_b32 v5, v26
	s_mov_b32 s4, 0xc0c0001
	s_waitcnt lgkmcnt(2)
	v_mov_b32_e32 v26, v30
	v_mov_b32_e32 v27, v31
	ds_write_b128 v32, v[26:29]
	s_waitcnt lgkmcnt(2)
	v_perm_b32 v26, 0, v33, s4
	ds_write_b16 v4, v26
.LBB70_69:
	s_or_b64 exec, exec, s[6:7]
	v_and_b32_e32 v26, 15, v2
	v_sub_u32_e32 v27, v19, v26
	v_lshl_add_u32 v18, v27, 1, v18
	s_waitcnt lgkmcnt(0)
	s_barrier
	ds_read_u16 v19, v18
	ds_read_u16 v26, v18 offset:32
	v_add_u32_e32 v17, v17, v27
	s_waitcnt lgkmcnt(1)
	v_lshlrev_b32_e32 v28, 16, v19
	s_waitcnt lgkmcnt(0)
	v_lshlrev_b32_e32 v29, 16, v26
	v_cmp_u_f32_e64 s[4:5], v29, v29
	v_cmp_o_f32_e64 s[6:7], v28, v28
	s_and_b64 s[6:7], s[4:5], s[6:7]
	v_cmp_lt_f32_e64 s[4:5], v28, v29
	s_or_b64 s[4:5], s[6:7], s[4:5]
	s_xor_b64 s[12:13], s[4:5], -1
	s_and_saveexec_b64 s[6:7], s[4:5]
	s_cbranch_execz .LBB70_71
; %bb.70:
	ds_read_u8 v28, v17
	s_andn2_b64 s[12:13], s[12:13], exec
	s_waitcnt lgkmcnt(0)
	v_and_b32_e32 v28, 1, v28
	v_cmp_eq_u32_e64 s[4:5], 1, v28
	s_xor_b64 s[4:5], s[4:5], -1
	s_and_b64 s[4:5], s[4:5], exec
	s_or_b64 s[12:13], s[12:13], s[4:5]
.LBB70_71:
	s_or_b64 exec, exec, s[6:7]
	s_and_saveexec_b64 s[6:7], s[12:13]
	s_cbranch_execz .LBB70_74
; %bb.72:
	ds_read_u8 v28, v17 offset:16
	s_waitcnt lgkmcnt(0)
	v_cmp_ne_u16_e64 s[4:5], 0, v28
	s_and_b64 exec, exec, s[4:5]
	s_cbranch_execz .LBB70_74
; %bb.73:
	v_lshl_add_u32 v15, v27, 3, v15
	ds_read2_b64 v[30:33], v15 offset1:16
	ds_read_u8 v27, v17
	ds_write_b16 v18, v26
	ds_write_b16 v18, v19 offset:32
	ds_write_b8 v17, v28
	s_waitcnt lgkmcnt(4)
	ds_write2_b64 v15, v[32:33], v[30:31] offset1:16
	s_waitcnt lgkmcnt(4)
	ds_write_b8 v17, v27 offset:16
.LBB70_74:
	s_or_b64 exec, exec, s[6:7]
	s_waitcnt lgkmcnt(0)
	s_barrier
	ds_read_u16 v15, v23
	ds_read_u16 v17, v23 offset:16
	s_waitcnt lgkmcnt(1)
	v_lshlrev_b32_e32 v18, 16, v15
	s_waitcnt lgkmcnt(0)
	v_lshlrev_b32_e32 v19, 16, v17
	v_cmp_u_f32_e64 s[4:5], v19, v19
	v_cmp_o_f32_e64 s[6:7], v18, v18
	s_and_b64 s[6:7], s[4:5], s[6:7]
	v_cmp_lt_f32_e64 s[4:5], v18, v19
	s_or_b64 s[4:5], s[6:7], s[4:5]
	s_xor_b64 s[12:13], s[4:5], -1
	s_and_saveexec_b64 s[6:7], s[4:5]
	s_cbranch_execz .LBB70_76
; %bb.75:
	ds_read_u8 v18, v24
	s_andn2_b64 s[12:13], s[12:13], exec
	s_waitcnt lgkmcnt(0)
	v_and_b32_e32 v18, 1, v18
	v_cmp_eq_u32_e64 s[4:5], 1, v18
	s_xor_b64 s[4:5], s[4:5], -1
	s_and_b64 s[4:5], s[4:5], exec
	s_or_b64 s[12:13], s[12:13], s[4:5]
.LBB70_76:
	s_or_b64 exec, exec, s[6:7]
	s_and_saveexec_b64 s[6:7], s[12:13]
	s_cbranch_execz .LBB70_79
; %bb.77:
	ds_read_u8 v18, v24 offset:8
	s_waitcnt lgkmcnt(0)
	v_cmp_ne_u16_e64 s[4:5], 0, v18
	s_and_b64 exec, exec, s[4:5]
	s_cbranch_execz .LBB70_79
; %bb.78:
	ds_read2_b64 v[26:29], v25 offset1:8
	ds_read_u8 v19, v24
	ds_write_b16 v23, v17
	ds_write_b16 v23, v15 offset:16
	ds_write_b8 v24, v18
	s_waitcnt lgkmcnt(4)
	ds_write2_b64 v25, v[28:29], v[26:27] offset1:8
	s_waitcnt lgkmcnt(4)
	ds_write_b8 v24, v19 offset:8
.LBB70_79:
	s_or_b64 exec, exec, s[6:7]
	s_waitcnt lgkmcnt(0)
	s_barrier
	ds_read_u16 v15, v20
	ds_read_u16 v17, v20 offset:8
	s_waitcnt lgkmcnt(1)
	v_lshlrev_b32_e32 v18, 16, v15
	s_waitcnt lgkmcnt(0)
	v_lshlrev_b32_e32 v19, 16, v17
	v_cmp_u_f32_e64 s[4:5], v19, v19
	v_cmp_o_f32_e64 s[6:7], v18, v18
	s_and_b64 s[6:7], s[4:5], s[6:7]
	v_cmp_lt_f32_e64 s[4:5], v18, v19
	s_or_b64 s[4:5], s[6:7], s[4:5]
	s_xor_b64 s[12:13], s[4:5], -1
	s_and_saveexec_b64 s[6:7], s[4:5]
	s_cbranch_execz .LBB70_81
; %bb.80:
	ds_read_u8 v18, v21
	s_andn2_b64 s[12:13], s[12:13], exec
	s_waitcnt lgkmcnt(0)
	v_and_b32_e32 v18, 1, v18
	v_cmp_eq_u32_e64 s[4:5], 1, v18
	s_xor_b64 s[4:5], s[4:5], -1
	s_and_b64 s[4:5], s[4:5], exec
	s_or_b64 s[12:13], s[12:13], s[4:5]
.LBB70_81:
	s_or_b64 exec, exec, s[6:7]
	s_and_saveexec_b64 s[6:7], s[12:13]
	s_cbranch_execz .LBB70_84
; %bb.82:
	ds_read_u8 v18, v21 offset:4
	s_waitcnt lgkmcnt(0)
	v_cmp_ne_u16_e64 s[4:5], 0, v18
	s_and_b64 exec, exec, s[4:5]
	s_cbranch_execz .LBB70_84
; %bb.83:
	ds_read2_b64 v[24:27], v22 offset1:4
	ds_read_u8 v19, v21
	ds_write_b16 v20, v17
	ds_write_b16 v20, v15 offset:8
	ds_write_b8 v21, v18
	s_waitcnt lgkmcnt(4)
	ds_write2_b64 v22, v[26:27], v[24:25] offset1:4
	s_waitcnt lgkmcnt(4)
	ds_write_b8 v21, v19 offset:4
.LBB70_84:
	;; [unrolled: 47-line block ×3, first 2 shown]
	s_or_b64 exec, exec, s[6:7]
	s_waitcnt lgkmcnt(0)
	s_barrier
	ds_read_b32 v13, v5
	s_waitcnt lgkmcnt(0)
	v_lshlrev_b32_e32 v14, 16, v13
	v_and_b32_e32 v15, 0xffff0000, v13
	v_cmp_u_f32_e64 s[4:5], v15, v15
	v_cmp_o_f32_e64 s[6:7], v14, v14
	s_and_b64 s[6:7], s[4:5], s[6:7]
	v_cmp_lt_f32_e64 s[4:5], v14, v15
	s_or_b64 s[4:5], s[6:7], s[4:5]
	s_xor_b64 s[12:13], s[4:5], -1
	s_and_saveexec_b64 s[6:7], s[4:5]
	s_cbranch_execz .LBB70_91
; %bb.90:
	ds_read_u8 v14, v4
	s_andn2_b64 s[12:13], s[12:13], exec
	s_waitcnt lgkmcnt(0)
	v_and_b32_e32 v14, 1, v14
	v_cmp_eq_u32_e64 s[4:5], 1, v14
	s_xor_b64 s[4:5], s[4:5], -1
	s_and_b64 s[4:5], s[4:5], exec
	s_or_b64 s[12:13], s[12:13], s[4:5]
.LBB70_91:
	s_or_b64 exec, exec, s[6:7]
	s_and_saveexec_b64 s[6:7], s[12:13]
	s_cbranch_execz .LBB70_94
; %bb.92:
	ds_read_u8 v14, v4 offset:1
	s_waitcnt lgkmcnt(0)
	v_cmp_ne_u16_e64 s[4:5], 0, v14
	s_and_b64 exec, exec, s[4:5]
	s_cbranch_execz .LBB70_94
; %bb.93:
	v_add_u32_e32 v7, v3, v7
	v_alignbit_b32 v13, v13, v13, 16
	ds_read_b128 v[16:19], v7
	ds_write_b32 v5, v13
	ds_read_u8 v5, v4
	s_waitcnt lgkmcnt(2)
	v_mov_b32_e32 v20, v16
	v_mov_b32_e32 v21, v17
	s_waitcnt lgkmcnt(0)
	v_lshlrev_b16_e32 v5, 8, v5
	v_or_b32_e32 v5, v14, v5
	ds_write_b128 v7, v[18:21]
	ds_write_b16 v4, v5
.LBB70_94:
	s_or_b64 exec, exec, s[6:7]
	s_waitcnt lgkmcnt(0)
	s_barrier
	s_and_saveexec_b64 s[4:5], vcc
	s_cbranch_execz .LBB70_99
; %bb.95:
	s_and_saveexec_b64 s[4:5], s[0:1]
	s_cbranch_execz .LBB70_97
; %bb.96:
	v_mad_u64_u32 v[4:5], s[0:1], v2, s8, 0
	v_mov_b32_e32 v14, v5
	v_mad_u64_u32 v[14:15], s[0:1], v2, s9, v[14:15]
	ds_read_u16 v7, v12
	v_mov_b32_e32 v5, v14
	v_lshlrev_b64 v[4:5], 1, v[4:5]
	v_add_co_u32_e32 v4, vcc, v10, v4
	v_addc_co_u32_e32 v5, vcc, v11, v5, vcc
	s_waitcnt lgkmcnt(0)
	global_store_short v[4:5], v7, off
	v_mad_u64_u32 v[4:5], s[0:1], v2, s10, 0
	v_mov_b32_e32 v14, v5
	ds_read_b64 v[12:13], v3
	v_mad_u64_u32 v[2:3], s[0:1], v2, s11, v[14:15]
	v_mov_b32_e32 v5, v2
	v_lshlrev_b64 v[2:3], 3, v[4:5]
	v_add_co_u32_e32 v2, vcc, v8, v2
	v_addc_co_u32_e32 v3, vcc, v9, v3, vcc
	s_waitcnt lgkmcnt(0)
	global_store_dwordx2 v[2:3], v[12:13], off
.LBB70_97:
	s_or_b64 exec, exec, s[4:5]
	s_and_b64 exec, exec, s[2:3]
	s_cbranch_execz .LBB70_99
; %bb.98:
	v_mad_u64_u32 v[2:3], s[0:1], v0, s8, 0
	v_mov_b32_e32 v4, v3
	v_mad_u64_u32 v[4:5], s[0:1], v0, s9, v[4:5]
	ds_read_u16 v6, v6
	v_mov_b32_e32 v3, v4
	ds_read_b64 v[4:5], v1
	v_lshlrev_b64 v[2:3], 1, v[2:3]
	v_add_co_u32_e32 v2, vcc, v10, v2
	v_addc_co_u32_e32 v3, vcc, v11, v3, vcc
	s_waitcnt lgkmcnt(1)
	global_store_short v[2:3], v6, off
	v_mad_u64_u32 v[2:3], s[0:1], v0, s10, 0
	v_mov_b32_e32 v6, v3
	v_mad_u64_u32 v[0:1], s[0:1], v0, s11, v[6:7]
	v_mov_b32_e32 v3, v0
	v_lshlrev_b64 v[0:1], 3, v[2:3]
	v_add_co_u32_e32 v0, vcc, v8, v0
	v_addc_co_u32_e32 v1, vcc, v9, v1, vcc
	s_waitcnt lgkmcnt(0)
	global_store_dwordx2 v[0:1], v[4:5], off
.LBB70_99:
	s_endpgm
.LBB70_100:
	ds_read_u8 v22, v4
	s_andn2_b64 s[6:7], s[6:7], exec
	s_mov_b32 s14, 1
	s_waitcnt lgkmcnt(0)
	v_and_b32_e32 v22, 1, v22
	v_cmp_eq_u32_e64 s[4:5], 1, v22
	s_xor_b64 s[4:5], s[4:5], -1
	s_and_b64 s[4:5], s[4:5], exec
	s_or_b64 s[6:7], s[6:7], s[4:5]
	s_or_b64 exec, exec, s[12:13]
	v_mov_b32_e32 v22, s14
	s_and_saveexec_b64 s[4:5], s[6:7]
	s_cbranch_execz .LBB70_35
.LBB70_101:
	ds_read_u8 v22, v4 offset:1
	s_waitcnt lgkmcnt(0)
	v_xor_b32_e32 v22, 1, v22
	s_or_b64 exec, exec, s[4:5]
	v_cmp_eq_u32_e64 s[4:5], v22, v20
	s_and_saveexec_b64 s[6:7], s[4:5]
	s_cbranch_execnz .LBB70_36
	s_branch .LBB70_37
.LBB70_102:
	ds_read_u8 v26, v14
	s_andn2_b64 s[6:7], s[6:7], exec
	s_mov_b32 s14, 1
	s_waitcnt lgkmcnt(0)
	v_and_b32_e32 v26, 1, v26
	v_cmp_eq_u32_e64 s[4:5], 1, v26
	s_xor_b64 s[4:5], s[4:5], -1
	s_and_b64 s[4:5], s[4:5], exec
	s_or_b64 s[6:7], s[6:7], s[4:5]
	s_or_b64 exec, exec, s[12:13]
	v_mov_b32_e32 v26, s14
	s_and_saveexec_b64 s[4:5], s[6:7]
	s_cbranch_execz .LBB70_45
.LBB70_103:
	ds_read_u8 v26, v14 offset:2
	s_waitcnt lgkmcnt(0)
	v_xor_b32_e32 v26, 1, v26
	s_or_b64 exec, exec, s[4:5]
	v_cmp_eq_u32_e64 s[4:5], v26, v23
	s_and_saveexec_b64 s[6:7], s[4:5]
	s_cbranch_execnz .LBB70_46
	s_branch .LBB70_47
.LBB70_104:
	ds_read_u8 v25, v4
	s_andn2_b64 s[6:7], s[6:7], exec
	s_mov_b32 s14, 1
	s_waitcnt lgkmcnt(0)
	v_and_b32_e32 v25, 1, v25
	v_cmp_eq_u32_e64 s[4:5], 1, v25
	s_xor_b64 s[4:5], s[4:5], -1
	s_and_b64 s[4:5], s[4:5], exec
	s_or_b64 s[6:7], s[6:7], s[4:5]
	s_or_b64 exec, exec, s[12:13]
	v_mov_b32_e32 v25, s14
	s_and_saveexec_b64 s[4:5], s[6:7]
	s_cbranch_execz .LBB70_49
.LBB70_105:
	ds_read_u8 v25, v4 offset:1
	s_waitcnt lgkmcnt(0)
	v_xor_b32_e32 v25, 1, v25
	s_or_b64 exec, exec, s[4:5]
	v_cmp_eq_u32_e64 s[4:5], v25, v23
	s_and_saveexec_b64 s[6:7], s[4:5]
	s_cbranch_execnz .LBB70_50
	s_branch .LBB70_51
.LBB70_106:
	ds_read_u8 v29, v21
	s_andn2_b64 s[6:7], s[6:7], exec
	s_mov_b32 s14, 1
	s_waitcnt lgkmcnt(0)
	v_and_b32_e32 v29, 1, v29
	v_cmp_eq_u32_e64 s[4:5], 1, v29
	s_xor_b64 s[4:5], s[4:5], -1
	s_and_b64 s[4:5], s[4:5], exec
	s_or_b64 s[6:7], s[6:7], s[4:5]
	s_or_b64 exec, exec, s[12:13]
	v_mov_b32_e32 v29, s14
	s_and_saveexec_b64 s[4:5], s[6:7]
	s_cbranch_execz .LBB70_59
.LBB70_107:
	ds_read_u8 v29, v21 offset:4
	s_waitcnt lgkmcnt(0)
	v_xor_b32_e32 v29, 1, v29
	s_or_b64 exec, exec, s[4:5]
	v_cmp_eq_u32_e64 s[4:5], v29, v26
	s_and_saveexec_b64 s[6:7], s[4:5]
	s_cbranch_execnz .LBB70_60
	s_branch .LBB70_61
.LBB70_108:
	ds_read_u8 v29, v14
	s_andn2_b64 s[6:7], s[6:7], exec
	s_mov_b32 s14, 1
	s_waitcnt lgkmcnt(0)
	v_and_b32_e32 v29, 1, v29
	v_cmp_eq_u32_e64 s[4:5], 1, v29
	s_xor_b64 s[4:5], s[4:5], -1
	s_and_b64 s[4:5], s[4:5], exec
	s_or_b64 s[6:7], s[6:7], s[4:5]
	s_or_b64 exec, exec, s[12:13]
	v_mov_b32_e32 v29, s14
	s_and_saveexec_b64 s[4:5], s[6:7]
	s_cbranch_execz .LBB70_63
.LBB70_109:
	ds_read_u8 v29, v14 offset:2
	s_waitcnt lgkmcnt(0)
	v_xor_b32_e32 v29, 1, v29
	s_or_b64 exec, exec, s[4:5]
	v_cmp_eq_u32_e64 s[4:5], v29, v26
	s_and_saveexec_b64 s[6:7], s[4:5]
	s_cbranch_execnz .LBB70_64
	s_branch .LBB70_65
.LBB70_110:
	ds_read_u8 v28, v4
	s_andn2_b64 s[6:7], s[6:7], exec
	s_mov_b32 s14, 1
	s_waitcnt lgkmcnt(0)
	v_and_b32_e32 v28, 1, v28
	v_cmp_eq_u32_e64 s[4:5], 1, v28
	s_xor_b64 s[4:5], s[4:5], -1
	s_and_b64 s[4:5], s[4:5], exec
	s_or_b64 s[6:7], s[6:7], s[4:5]
	s_or_b64 exec, exec, s[12:13]
	v_mov_b32_e32 v28, s14
	s_and_saveexec_b64 s[4:5], s[6:7]
	s_cbranch_execz .LBB70_67
.LBB70_111:
	ds_read_u8 v28, v4 offset:1
	s_waitcnt lgkmcnt(0)
	v_xor_b32_e32 v28, 1, v28
	s_or_b64 exec, exec, s[4:5]
	v_cmp_eq_u32_e64 s[4:5], v28, v26
	s_and_saveexec_b64 s[6:7], s[4:5]
	s_cbranch_execnz .LBB70_68
	s_branch .LBB70_69
	.section	.rodata,"a",@progbits
	.p2align	6, 0x0
	.amdhsa_kernel _ZN2at6native20bitonicSortKVInPlaceILin1ELin1ELi16ELi16EN3c108BFloat16ElNS0_4LTOpIS3_Lb1EEEmEEvNS_4cuda6detail10TensorInfoIT3_T6_EESA_SA_SA_NS8_IT4_SA_EESA_T5_
		.amdhsa_group_segment_fixed_size 5632
		.amdhsa_private_segment_fixed_size 0
		.amdhsa_kernarg_size 1128
		.amdhsa_user_sgpr_count 6
		.amdhsa_user_sgpr_private_segment_buffer 1
		.amdhsa_user_sgpr_dispatch_ptr 0
		.amdhsa_user_sgpr_queue_ptr 0
		.amdhsa_user_sgpr_kernarg_segment_ptr 1
		.amdhsa_user_sgpr_dispatch_id 0
		.amdhsa_user_sgpr_flat_scratch_init 0
		.amdhsa_user_sgpr_kernarg_preload_length 0
		.amdhsa_user_sgpr_kernarg_preload_offset 0
		.amdhsa_user_sgpr_private_segment_size 0
		.amdhsa_uses_dynamic_stack 0
		.amdhsa_system_sgpr_private_segment_wavefront_offset 0
		.amdhsa_system_sgpr_workgroup_id_x 1
		.amdhsa_system_sgpr_workgroup_id_y 1
		.amdhsa_system_sgpr_workgroup_id_z 1
		.amdhsa_system_sgpr_workgroup_info 0
		.amdhsa_system_vgpr_workitem_id 1
		.amdhsa_next_free_vgpr 35
		.amdhsa_next_free_sgpr 21
		.amdhsa_accum_offset 36
		.amdhsa_reserve_vcc 1
		.amdhsa_reserve_flat_scratch 0
		.amdhsa_float_round_mode_32 0
		.amdhsa_float_round_mode_16_64 0
		.amdhsa_float_denorm_mode_32 3
		.amdhsa_float_denorm_mode_16_64 3
		.amdhsa_dx10_clamp 1
		.amdhsa_ieee_mode 1
		.amdhsa_fp16_overflow 0
		.amdhsa_tg_split 0
		.amdhsa_exception_fp_ieee_invalid_op 0
		.amdhsa_exception_fp_denorm_src 0
		.amdhsa_exception_fp_ieee_div_zero 0
		.amdhsa_exception_fp_ieee_overflow 0
		.amdhsa_exception_fp_ieee_underflow 0
		.amdhsa_exception_fp_ieee_inexact 0
		.amdhsa_exception_int_div_zero 0
	.end_amdhsa_kernel
	.section	.text._ZN2at6native20bitonicSortKVInPlaceILin1ELin1ELi16ELi16EN3c108BFloat16ElNS0_4LTOpIS3_Lb1EEEmEEvNS_4cuda6detail10TensorInfoIT3_T6_EESA_SA_SA_NS8_IT4_SA_EESA_T5_,"axG",@progbits,_ZN2at6native20bitonicSortKVInPlaceILin1ELin1ELi16ELi16EN3c108BFloat16ElNS0_4LTOpIS3_Lb1EEEmEEvNS_4cuda6detail10TensorInfoIT3_T6_EESA_SA_SA_NS8_IT4_SA_EESA_T5_,comdat
.Lfunc_end70:
	.size	_ZN2at6native20bitonicSortKVInPlaceILin1ELin1ELi16ELi16EN3c108BFloat16ElNS0_4LTOpIS3_Lb1EEEmEEvNS_4cuda6detail10TensorInfoIT3_T6_EESA_SA_SA_NS8_IT4_SA_EESA_T5_, .Lfunc_end70-_ZN2at6native20bitonicSortKVInPlaceILin1ELin1ELi16ELi16EN3c108BFloat16ElNS0_4LTOpIS3_Lb1EEEmEEvNS_4cuda6detail10TensorInfoIT3_T6_EESA_SA_SA_NS8_IT4_SA_EESA_T5_
                                        ; -- End function
	.section	.AMDGPU.csdata,"",@progbits
; Kernel info:
; codeLenInByte = 7168
; NumSgprs: 25
; NumVgprs: 35
; NumAgprs: 0
; TotalNumVgprs: 35
; ScratchSize: 0
; MemoryBound: 0
; FloatMode: 240
; IeeeMode: 1
; LDSByteSize: 5632 bytes/workgroup (compile time only)
; SGPRBlocks: 3
; VGPRBlocks: 4
; NumSGPRsForWavesPerEU: 25
; NumVGPRsForWavesPerEU: 35
; AccumOffset: 36
; Occupancy: 8
; WaveLimiterHint : 1
; COMPUTE_PGM_RSRC2:SCRATCH_EN: 0
; COMPUTE_PGM_RSRC2:USER_SGPR: 6
; COMPUTE_PGM_RSRC2:TRAP_HANDLER: 0
; COMPUTE_PGM_RSRC2:TGID_X_EN: 1
; COMPUTE_PGM_RSRC2:TGID_Y_EN: 1
; COMPUTE_PGM_RSRC2:TGID_Z_EN: 1
; COMPUTE_PGM_RSRC2:TIDIG_COMP_CNT: 1
; COMPUTE_PGM_RSRC3_GFX90A:ACCUM_OFFSET: 8
; COMPUTE_PGM_RSRC3_GFX90A:TG_SPLIT: 0
	.section	.text._ZN2at6native20bitonicSortKVInPlaceILin1ELin1ELi16ELi16EN3c108BFloat16ElNS0_4GTOpIS3_Lb1EEEmEEvNS_4cuda6detail10TensorInfoIT3_T6_EESA_SA_SA_NS8_IT4_SA_EESA_T5_,"axG",@progbits,_ZN2at6native20bitonicSortKVInPlaceILin1ELin1ELi16ELi16EN3c108BFloat16ElNS0_4GTOpIS3_Lb1EEEmEEvNS_4cuda6detail10TensorInfoIT3_T6_EESA_SA_SA_NS8_IT4_SA_EESA_T5_,comdat
	.protected	_ZN2at6native20bitonicSortKVInPlaceILin1ELin1ELi16ELi16EN3c108BFloat16ElNS0_4GTOpIS3_Lb1EEEmEEvNS_4cuda6detail10TensorInfoIT3_T6_EESA_SA_SA_NS8_IT4_SA_EESA_T5_ ; -- Begin function _ZN2at6native20bitonicSortKVInPlaceILin1ELin1ELi16ELi16EN3c108BFloat16ElNS0_4GTOpIS3_Lb1EEEmEEvNS_4cuda6detail10TensorInfoIT3_T6_EESA_SA_SA_NS8_IT4_SA_EESA_T5_
	.globl	_ZN2at6native20bitonicSortKVInPlaceILin1ELin1ELi16ELi16EN3c108BFloat16ElNS0_4GTOpIS3_Lb1EEEmEEvNS_4cuda6detail10TensorInfoIT3_T6_EESA_SA_SA_NS8_IT4_SA_EESA_T5_
	.p2align	8
	.type	_ZN2at6native20bitonicSortKVInPlaceILin1ELin1ELi16ELi16EN3c108BFloat16ElNS0_4GTOpIS3_Lb1EEEmEEvNS_4cuda6detail10TensorInfoIT3_T6_EESA_SA_SA_NS8_IT4_SA_EESA_T5_,@function
_ZN2at6native20bitonicSortKVInPlaceILin1ELin1ELi16ELi16EN3c108BFloat16ElNS0_4GTOpIS3_Lb1EEEmEEvNS_4cuda6detail10TensorInfoIT3_T6_EESA_SA_SA_NS8_IT4_SA_EESA_T5_: ; @_ZN2at6native20bitonicSortKVInPlaceILin1ELin1ELi16ELi16EN3c108BFloat16ElNS0_4GTOpIS3_Lb1EEEmEEvNS_4cuda6detail10TensorInfoIT3_T6_EESA_SA_SA_NS8_IT4_SA_EESA_T5_
; %bb.0:
	s_load_dwordx2 s[0:1], s[4:5], 0x368
	s_load_dwordx4 s[12:15], s[4:5], 0x1a0
	s_load_dword s9, s[4:5], 0x374
	s_add_u32 s2, s4, 0x368
	s_addc_u32 s3, s5, 0
	s_waitcnt lgkmcnt(0)
	s_mul_i32 s1, s1, s8
	s_add_i32 s1, s1, s7
	s_mul_i32 s0, s1, s0
	s_add_i32 s0, s0, s6
	s_lshr_b32 s6, s9, 16
	s_mul_hi_u32 s1, s0, s6
	s_mul_i32 s0, s0, s6
	v_pk_mov_b32 v[2:3], s[12:13], s[12:13] op_sel:[0,1]
	v_cmp_ge_u64_e32 vcc, s[0:1], v[2:3]
	s_cbranch_vccnz .LBB71_99
; %bb.1:
	v_mov_b32_e32 v1, s1
	s_load_dwordx2 s[8:9], s[4:5], 0x1b0
	s_load_dword s1, s[4:5], 0x198
	v_bfe_u32 v16, v0, 10, 10
	v_add_co_u32_e32 v4, vcc, s0, v16
	v_addc_co_u32_e32 v5, vcc, 0, v1, vcc
	v_mov_b32_e32 v8, 0
	s_waitcnt lgkmcnt(0)
	s_cmp_lt_i32 s1, 2
	v_pk_mov_b32 v[2:3], 0, 0
	v_pk_mov_b32 v[6:7], v[4:5], v[4:5] op_sel:[0,1]
	s_cbranch_scc1 .LBB71_9
; %bb.2:
	s_add_i32 s18, s1, 1
	s_add_i32 s0, s1, -1
	s_mov_b32 s1, 0
	s_lshl_b64 s[0:1], s[0:1], 3
	s_add_u32 s0, s0, s4
	s_addc_u32 s1, s1, s5
	s_add_u32 s6, s0, 8
	s_addc_u32 s7, s1, 0
	v_pk_mov_b32 v[2:3], 0, 0
	v_pk_mov_b32 v[10:11], v[4:5], v[4:5] op_sel:[0,1]
.LBB71_3:                               ; =>This Inner Loop Header: Depth=1
	s_load_dwordx2 s[10:11], s[6:7], 0x0
                                        ; implicit-def: $vgpr6_vgpr7
	s_waitcnt lgkmcnt(0)
	v_or_b32_e32 v9, s11, v11
	v_cmp_ne_u64_e32 vcc, 0, v[8:9]
	s_and_saveexec_b64 s[0:1], vcc
	s_xor_b64 s[16:17], exec, s[0:1]
	s_cbranch_execz .LBB71_5
; %bb.4:                                ;   in Loop: Header=BB71_3 Depth=1
	v_cvt_f32_u32_e32 v1, s10
	v_cvt_f32_u32_e32 v6, s11
	s_sub_u32 s0, 0, s10
	s_subb_u32 s1, 0, s11
	v_mac_f32_e32 v1, 0x4f800000, v6
	v_rcp_f32_e32 v1, v1
	v_mul_f32_e32 v1, 0x5f7ffffc, v1
	v_mul_f32_e32 v6, 0x2f800000, v1
	v_trunc_f32_e32 v6, v6
	v_mac_f32_e32 v1, 0xcf800000, v6
	v_cvt_u32_f32_e32 v6, v6
	v_cvt_u32_f32_e32 v1, v1
	v_mul_lo_u32 v7, s0, v6
	v_mul_hi_u32 v12, s0, v1
	v_mul_lo_u32 v9, s1, v1
	v_add_u32_e32 v7, v12, v7
	v_mul_lo_u32 v13, s0, v1
	v_add_u32_e32 v7, v7, v9
	v_mul_hi_u32 v12, v1, v13
	v_mul_lo_u32 v14, v1, v7
	v_mul_hi_u32 v9, v1, v7
	v_add_co_u32_e32 v12, vcc, v12, v14
	v_addc_co_u32_e32 v9, vcc, 0, v9, vcc
	v_mul_hi_u32 v15, v6, v13
	v_mul_lo_u32 v13, v6, v13
	v_add_co_u32_e32 v12, vcc, v12, v13
	v_mul_hi_u32 v14, v6, v7
	v_addc_co_u32_e32 v9, vcc, v9, v15, vcc
	v_addc_co_u32_e32 v12, vcc, 0, v14, vcc
	v_mul_lo_u32 v7, v6, v7
	v_add_co_u32_e32 v7, vcc, v9, v7
	v_addc_co_u32_e32 v9, vcc, 0, v12, vcc
	v_add_co_u32_e32 v1, vcc, v1, v7
	v_addc_co_u32_e32 v6, vcc, v6, v9, vcc
	v_mul_lo_u32 v7, s0, v6
	v_mul_hi_u32 v9, s0, v1
	v_add_u32_e32 v7, v9, v7
	v_mul_lo_u32 v9, s1, v1
	v_add_u32_e32 v7, v7, v9
	v_mul_lo_u32 v12, s0, v1
	v_mul_hi_u32 v13, v6, v12
	v_mul_lo_u32 v14, v6, v12
	v_mul_lo_u32 v17, v1, v7
	v_mul_hi_u32 v12, v1, v12
	v_mul_hi_u32 v15, v1, v7
	v_add_co_u32_e32 v12, vcc, v12, v17
	v_addc_co_u32_e32 v15, vcc, 0, v15, vcc
	v_add_co_u32_e32 v12, vcc, v12, v14
	v_mul_hi_u32 v9, v6, v7
	v_addc_co_u32_e32 v12, vcc, v15, v13, vcc
	v_addc_co_u32_e32 v9, vcc, 0, v9, vcc
	v_mul_lo_u32 v7, v6, v7
	v_add_co_u32_e32 v7, vcc, v12, v7
	v_addc_co_u32_e32 v9, vcc, 0, v9, vcc
	v_add_co_u32_e32 v1, vcc, v1, v7
	v_addc_co_u32_e32 v9, vcc, v6, v9, vcc
	v_mad_u64_u32 v[6:7], s[0:1], v10, v9, 0
	v_mul_hi_u32 v12, v10, v1
	v_add_co_u32_e32 v14, vcc, v12, v6
	v_addc_co_u32_e32 v15, vcc, 0, v7, vcc
	v_mad_u64_u32 v[12:13], s[0:1], v11, v1, 0
	v_add_co_u32_e32 v1, vcc, v14, v12
	v_mad_u64_u32 v[6:7], s[0:1], v11, v9, 0
	v_addc_co_u32_e32 v1, vcc, v15, v13, vcc
	v_addc_co_u32_e32 v7, vcc, 0, v7, vcc
	v_add_co_u32_e32 v1, vcc, v1, v6
	v_addc_co_u32_e32 v9, vcc, 0, v7, vcc
	v_mul_lo_u32 v12, s11, v1
	v_mul_lo_u32 v13, s10, v9
	v_mad_u64_u32 v[6:7], s[0:1], s10, v1, 0
	v_add3_u32 v7, v7, v13, v12
	v_sub_u32_e32 v12, v11, v7
	v_mov_b32_e32 v13, s11
	v_sub_co_u32_e32 v6, vcc, v10, v6
	v_subb_co_u32_e64 v12, s[0:1], v12, v13, vcc
	v_subrev_co_u32_e64 v13, s[0:1], s10, v6
	v_subbrev_co_u32_e64 v12, s[0:1], 0, v12, s[0:1]
	v_cmp_le_u32_e64 s[0:1], s11, v12
	v_cndmask_b32_e64 v14, 0, -1, s[0:1]
	v_cmp_le_u32_e64 s[0:1], s10, v13
	v_cndmask_b32_e64 v13, 0, -1, s[0:1]
	v_cmp_eq_u32_e64 s[0:1], s11, v12
	v_cndmask_b32_e64 v12, v14, v13, s[0:1]
	v_add_co_u32_e64 v13, s[0:1], 2, v1
	v_addc_co_u32_e64 v14, s[0:1], 0, v9, s[0:1]
	v_add_co_u32_e64 v15, s[0:1], 1, v1
	v_addc_co_u32_e64 v17, s[0:1], 0, v9, s[0:1]
	v_subb_co_u32_e32 v7, vcc, v11, v7, vcc
	v_cmp_ne_u32_e64 s[0:1], 0, v12
	v_cmp_le_u32_e32 vcc, s11, v7
	v_cndmask_b32_e64 v12, v17, v14, s[0:1]
	v_cndmask_b32_e64 v14, 0, -1, vcc
	v_cmp_le_u32_e32 vcc, s10, v6
	v_cndmask_b32_e64 v6, 0, -1, vcc
	v_cmp_eq_u32_e32 vcc, s11, v7
	v_cndmask_b32_e32 v6, v14, v6, vcc
	v_cmp_ne_u32_e32 vcc, 0, v6
	v_cndmask_b32_e64 v6, v15, v13, s[0:1]
	v_cndmask_b32_e32 v7, v9, v12, vcc
	v_cndmask_b32_e32 v6, v1, v6, vcc
.LBB71_5:                               ;   in Loop: Header=BB71_3 Depth=1
	s_andn2_saveexec_b64 s[0:1], s[16:17]
	s_cbranch_execz .LBB71_7
; %bb.6:                                ;   in Loop: Header=BB71_3 Depth=1
	v_cvt_f32_u32_e32 v1, s10
	s_sub_i32 s16, 0, s10
	v_rcp_iflag_f32_e32 v1, v1
	v_mul_f32_e32 v1, 0x4f7ffffe, v1
	v_cvt_u32_f32_e32 v1, v1
	v_mul_lo_u32 v6, s16, v1
	v_mul_hi_u32 v6, v1, v6
	v_add_u32_e32 v1, v1, v6
	v_mul_hi_u32 v1, v10, v1
	v_mul_lo_u32 v6, v1, s10
	v_sub_u32_e32 v6, v10, v6
	v_add_u32_e32 v7, 1, v1
	v_subrev_u32_e32 v9, s10, v6
	v_cmp_le_u32_e32 vcc, s10, v6
	v_cndmask_b32_e32 v6, v6, v9, vcc
	v_cndmask_b32_e32 v1, v1, v7, vcc
	v_add_u32_e32 v7, 1, v1
	v_cmp_le_u32_e32 vcc, s10, v6
	v_cndmask_b32_e32 v6, v1, v7, vcc
	v_mov_b32_e32 v7, v8
.LBB71_7:                               ;   in Loop: Header=BB71_3 Depth=1
	s_or_b64 exec, exec, s[0:1]
	v_mad_u64_u32 v[12:13], s[0:1], v6, s10, 0
	s_load_dwordx2 s[0:1], s[6:7], 0xc8
	v_mul_lo_u32 v1, v7, s10
	v_mul_lo_u32 v9, v6, s11
	v_add3_u32 v1, v13, v9, v1
	v_sub_co_u32_e32 v9, vcc, v10, v12
	s_add_i32 s18, s18, -1
	v_subb_co_u32_e32 v1, vcc, v11, v1, vcc
	s_add_u32 s6, s6, -8
	s_waitcnt lgkmcnt(0)
	v_mul_lo_u32 v1, s0, v1
	v_mul_lo_u32 v10, s1, v9
	v_mad_u64_u32 v[2:3], s[0:1], s0, v9, v[2:3]
	s_addc_u32 s7, s7, -1
	s_cmp_gt_u32 s18, 2
	v_add3_u32 v3, v10, v3, v1
	s_cbranch_scc0 .LBB71_9
; %bb.8:                                ;   in Loop: Header=BB71_3 Depth=1
	v_pk_mov_b32 v[10:11], v[6:7], v[6:7] op_sel:[0,1]
	s_branch .LBB71_3
.LBB71_9:
	s_load_dword s0, s[4:5], 0x350
	s_load_dwordx2 s[6:7], s[4:5], 0xd0
	v_pk_mov_b32 v[8:9], 0, 0
	v_pk_mov_b32 v[14:15], v[4:5], v[4:5] op_sel:[0,1]
	s_waitcnt lgkmcnt(0)
	s_cmp_lt_i32 s0, 2
	s_cbranch_scc1 .LBB71_17
; %bb.10:
	s_add_i32 s20, s0, 1
	s_add_i32 s0, s0, -1
	s_mov_b32 s1, 0
	s_lshl_b64 s[0:1], s[0:1], 3
	s_add_u32 s0, s0, s4
	s_addc_u32 s1, s1, s5
	s_add_u32 s10, s0, 0x1c0
	s_addc_u32 s11, s1, 0
	v_pk_mov_b32 v[8:9], 0, 0
	v_mov_b32_e32 v10, 0
	v_pk_mov_b32 v[12:13], v[4:5], v[4:5] op_sel:[0,1]
.LBB71_11:                              ; =>This Inner Loop Header: Depth=1
	s_load_dwordx2 s[16:17], s[10:11], 0x0
                                        ; implicit-def: $vgpr14_vgpr15
	s_waitcnt lgkmcnt(0)
	v_or_b32_e32 v11, s17, v13
	v_cmp_ne_u64_e32 vcc, 0, v[10:11]
	s_and_saveexec_b64 s[0:1], vcc
	s_xor_b64 s[18:19], exec, s[0:1]
	s_cbranch_execz .LBB71_13
; %bb.12:                               ;   in Loop: Header=BB71_11 Depth=1
	v_cvt_f32_u32_e32 v1, s16
	v_cvt_f32_u32_e32 v11, s17
	s_sub_u32 s0, 0, s16
	s_subb_u32 s1, 0, s17
	v_mac_f32_e32 v1, 0x4f800000, v11
	v_rcp_f32_e32 v1, v1
	v_mul_f32_e32 v1, 0x5f7ffffc, v1
	v_mul_f32_e32 v11, 0x2f800000, v1
	v_trunc_f32_e32 v11, v11
	v_mac_f32_e32 v1, 0xcf800000, v11
	v_cvt_u32_f32_e32 v11, v11
	v_cvt_u32_f32_e32 v1, v1
	v_mul_lo_u32 v14, s0, v11
	v_mul_hi_u32 v17, s0, v1
	v_mul_lo_u32 v15, s1, v1
	v_add_u32_e32 v14, v17, v14
	v_mul_lo_u32 v18, s0, v1
	v_add_u32_e32 v14, v14, v15
	v_mul_hi_u32 v17, v1, v18
	v_mul_lo_u32 v19, v1, v14
	v_mul_hi_u32 v15, v1, v14
	v_add_co_u32_e32 v17, vcc, v17, v19
	v_addc_co_u32_e32 v15, vcc, 0, v15, vcc
	v_mul_hi_u32 v20, v11, v18
	v_mul_lo_u32 v18, v11, v18
	v_add_co_u32_e32 v17, vcc, v17, v18
	v_mul_hi_u32 v19, v11, v14
	v_addc_co_u32_e32 v15, vcc, v15, v20, vcc
	v_addc_co_u32_e32 v17, vcc, 0, v19, vcc
	v_mul_lo_u32 v14, v11, v14
	v_add_co_u32_e32 v14, vcc, v15, v14
	v_addc_co_u32_e32 v15, vcc, 0, v17, vcc
	v_add_co_u32_e32 v1, vcc, v1, v14
	v_addc_co_u32_e32 v11, vcc, v11, v15, vcc
	v_mul_lo_u32 v14, s0, v11
	v_mul_hi_u32 v15, s0, v1
	v_add_u32_e32 v14, v15, v14
	v_mul_lo_u32 v15, s1, v1
	v_add_u32_e32 v14, v14, v15
	v_mul_lo_u32 v17, s0, v1
	v_mul_hi_u32 v18, v11, v17
	v_mul_lo_u32 v19, v11, v17
	v_mul_lo_u32 v21, v1, v14
	v_mul_hi_u32 v17, v1, v17
	v_mul_hi_u32 v20, v1, v14
	v_add_co_u32_e32 v17, vcc, v17, v21
	v_addc_co_u32_e32 v20, vcc, 0, v20, vcc
	v_add_co_u32_e32 v17, vcc, v17, v19
	v_mul_hi_u32 v15, v11, v14
	v_addc_co_u32_e32 v17, vcc, v20, v18, vcc
	v_addc_co_u32_e32 v15, vcc, 0, v15, vcc
	v_mul_lo_u32 v14, v11, v14
	v_add_co_u32_e32 v14, vcc, v17, v14
	v_addc_co_u32_e32 v15, vcc, 0, v15, vcc
	v_add_co_u32_e32 v1, vcc, v1, v14
	v_addc_co_u32_e32 v11, vcc, v11, v15, vcc
	v_mad_u64_u32 v[14:15], s[0:1], v12, v11, 0
	v_mul_hi_u32 v17, v12, v1
	v_add_co_u32_e32 v17, vcc, v17, v14
	v_addc_co_u32_e32 v20, vcc, 0, v15, vcc
	v_mad_u64_u32 v[18:19], s[0:1], v13, v1, 0
	v_add_co_u32_e32 v1, vcc, v17, v18
	v_mad_u64_u32 v[14:15], s[0:1], v13, v11, 0
	v_addc_co_u32_e32 v1, vcc, v20, v19, vcc
	v_addc_co_u32_e32 v11, vcc, 0, v15, vcc
	v_add_co_u32_e32 v1, vcc, v1, v14
	v_addc_co_u32_e32 v11, vcc, 0, v11, vcc
	v_mul_lo_u32 v17, s17, v1
	v_mul_lo_u32 v18, s16, v11
	v_mad_u64_u32 v[14:15], s[0:1], s16, v1, 0
	v_add3_u32 v15, v15, v18, v17
	v_sub_u32_e32 v17, v13, v15
	v_mov_b32_e32 v18, s17
	v_sub_co_u32_e32 v14, vcc, v12, v14
	v_subb_co_u32_e64 v17, s[0:1], v17, v18, vcc
	v_subrev_co_u32_e64 v18, s[0:1], s16, v14
	v_subbrev_co_u32_e64 v17, s[0:1], 0, v17, s[0:1]
	v_cmp_le_u32_e64 s[0:1], s17, v17
	v_cndmask_b32_e64 v19, 0, -1, s[0:1]
	v_cmp_le_u32_e64 s[0:1], s16, v18
	v_cndmask_b32_e64 v18, 0, -1, s[0:1]
	v_cmp_eq_u32_e64 s[0:1], s17, v17
	v_cndmask_b32_e64 v17, v19, v18, s[0:1]
	v_add_co_u32_e64 v18, s[0:1], 2, v1
	v_addc_co_u32_e64 v19, s[0:1], 0, v11, s[0:1]
	v_add_co_u32_e64 v20, s[0:1], 1, v1
	v_addc_co_u32_e64 v21, s[0:1], 0, v11, s[0:1]
	v_subb_co_u32_e32 v15, vcc, v13, v15, vcc
	v_cmp_ne_u32_e64 s[0:1], 0, v17
	v_cmp_le_u32_e32 vcc, s17, v15
	v_cndmask_b32_e64 v17, v21, v19, s[0:1]
	v_cndmask_b32_e64 v19, 0, -1, vcc
	v_cmp_le_u32_e32 vcc, s16, v14
	v_cndmask_b32_e64 v14, 0, -1, vcc
	v_cmp_eq_u32_e32 vcc, s17, v15
	v_cndmask_b32_e32 v14, v19, v14, vcc
	v_cmp_ne_u32_e32 vcc, 0, v14
	v_cndmask_b32_e32 v15, v11, v17, vcc
	v_cndmask_b32_e64 v11, v20, v18, s[0:1]
	v_cndmask_b32_e32 v14, v1, v11, vcc
.LBB71_13:                              ;   in Loop: Header=BB71_11 Depth=1
	s_andn2_saveexec_b64 s[0:1], s[18:19]
	s_cbranch_execz .LBB71_15
; %bb.14:                               ;   in Loop: Header=BB71_11 Depth=1
	v_cvt_f32_u32_e32 v1, s16
	s_sub_i32 s18, 0, s16
	v_rcp_iflag_f32_e32 v1, v1
	v_mul_f32_e32 v1, 0x4f7ffffe, v1
	v_cvt_u32_f32_e32 v1, v1
	v_mul_lo_u32 v11, s18, v1
	v_mul_hi_u32 v11, v1, v11
	v_add_u32_e32 v1, v1, v11
	v_mul_hi_u32 v1, v12, v1
	v_mul_lo_u32 v11, v1, s16
	v_sub_u32_e32 v11, v12, v11
	v_add_u32_e32 v14, 1, v1
	v_subrev_u32_e32 v15, s16, v11
	v_cmp_le_u32_e32 vcc, s16, v11
	v_cndmask_b32_e32 v11, v11, v15, vcc
	v_cndmask_b32_e32 v1, v1, v14, vcc
	v_add_u32_e32 v14, 1, v1
	v_cmp_le_u32_e32 vcc, s16, v11
	v_cndmask_b32_e32 v14, v1, v14, vcc
	v_mov_b32_e32 v15, v10
.LBB71_15:                              ;   in Loop: Header=BB71_11 Depth=1
	s_or_b64 exec, exec, s[0:1]
	v_mad_u64_u32 v[18:19], s[0:1], v14, s16, 0
	s_load_dwordx2 s[0:1], s[10:11], 0xc8
	v_mul_lo_u32 v1, v15, s16
	v_mul_lo_u32 v11, v14, s17
	v_add3_u32 v1, v19, v11, v1
	v_sub_co_u32_e32 v11, vcc, v12, v18
	s_add_i32 s20, s20, -1
	v_subb_co_u32_e32 v1, vcc, v13, v1, vcc
	s_add_u32 s10, s10, -8
	s_waitcnt lgkmcnt(0)
	v_mul_lo_u32 v1, s0, v1
	v_mul_lo_u32 v12, s1, v11
	v_mad_u64_u32 v[8:9], s[0:1], s0, v11, v[8:9]
	s_addc_u32 s11, s11, -1
	s_cmp_gt_u32 s20, 2
	v_add3_u32 v9, v12, v9, v1
	s_cbranch_scc0 .LBB71_17
; %bb.16:                               ;   in Loop: Header=BB71_11 Depth=1
	v_pk_mov_b32 v[12:13], v[14:15], v[14:15] op_sel:[0,1]
	s_branch .LBB71_11
.LBB71_17:
	v_mul_lo_u32 v1, s7, v6
	v_mul_lo_u32 v10, s6, v7
	v_mad_u64_u32 v[6:7], s[0:1], s6, v6, 0
	s_load_dwordx2 s[10:11], s[4:5], 0x358
	s_load_dwordx2 s[0:1], s[4:5], 0x288
	;; [unrolled: 1-line block ×4, first 2 shown]
	v_add3_u32 v7, v7, v10, v1
	v_cmp_gt_u64_e32 vcc, s[12:13], v[4:5]
	v_lshlrev_b64 v[6:7], 1, v[6:7]
	s_waitcnt lgkmcnt(0)
	v_mul_lo_u32 v1, s1, v14
	v_mul_lo_u32 v10, s0, v15
	v_mad_u64_u32 v[4:5], s[0:1], s0, v14, 0
	v_add3_u32 v5, v5, v10, v1
	v_mov_b32_e32 v1, s7
	v_add_co_u32_e64 v6, s[0:1], s6, v6
	v_addc_co_u32_e64 v1, s[0:1], v1, v7, s[0:1]
	v_lshlrev_b64 v[2:3], 1, v[2:3]
	v_add_co_u32_e64 v10, s[0:1], v6, v2
	v_addc_co_u32_e64 v11, s[0:1], v1, v3, s[0:1]
	v_lshlrev_b64 v[2:3], 3, v[4:5]
	v_mov_b32_e32 v1, s17
	v_add_co_u32_e64 v4, s[0:1], s16, v2
	v_addc_co_u32_e64 v1, s[0:1], v1, v3, s[0:1]
	v_lshlrev_b64 v[2:3], 3, v[8:9]
	s_load_dword s12, s[2:3], 0xc
	v_add_co_u32_e64 v8, s[0:1], v4, v2
	v_addc_co_u32_e64 v9, s[0:1], v1, v3, s[0:1]
	v_mov_b32_e32 v1, 0
	v_and_b32_e32 v2, 0x3ff, v0
	v_mov_b32_e32 v3, v1
	v_cmp_gt_u64_e64 s[0:1], s[14:15], v[2:3]
	v_pk_mov_b32 v[4:5], 0, 0
	s_and_b64 s[4:5], vcc, s[0:1]
	v_mov_b32_e32 v0, 0
	v_pk_mov_b32 v[6:7], v[4:5], v[4:5] op_sel:[0,1]
	s_and_saveexec_b64 s[6:7], s[4:5]
	s_cbranch_execz .LBB71_19
; %bb.18:
	v_mad_u64_u32 v[6:7], s[2:3], v2, s8, 0
	v_mov_b32_e32 v0, v7
	v_mad_u64_u32 v[12:13], s[2:3], v2, s9, v[0:1]
	v_mov_b32_e32 v7, v12
	v_lshlrev_b64 v[6:7], 1, v[6:7]
	v_add_co_u32_e64 v6, s[2:3], v10, v6
	v_addc_co_u32_e64 v7, s[2:3], v11, v7, s[2:3]
	global_load_ushort v0, v[6:7], off
	v_mad_u64_u32 v[6:7], s[2:3], v2, s10, 0
	v_mov_b32_e32 v12, v7
	v_mad_u64_u32 v[12:13], s[2:3], v2, s11, v[12:13]
	v_mov_b32_e32 v7, v12
	v_lshlrev_b64 v[6:7], 3, v[6:7]
	v_add_co_u32_e64 v6, s[2:3], v8, v6
	v_addc_co_u32_e64 v7, s[2:3], v9, v7, s[2:3]
	global_load_dwordx2 v[6:7], v[6:7], off
.LBB71_19:
	s_or_b64 exec, exec, s[6:7]
	v_mov_b32_e32 v3, 0x1000
	v_lshl_add_u32 v18, v16, 6, v3
	v_mov_b32_e32 v3, 0x1400
	v_lshl_add_u32 v17, v16, 5, v3
	v_lshl_add_u32 v12, v2, 1, v18
	s_waitcnt lgkmcnt(0)
	s_and_b32 s16, 0xffff, s12
	v_cndmask_b32_e64 v13, 0, 1, s[4:5]
	s_waitcnt vmcnt(1)
	ds_write_b16 v12, v0
	v_add_u32_e32 v0, v17, v2
	ds_write_b8 v0, v13
	v_add_u32_e32 v0, s16, v2
	v_lshlrev_b32_e32 v15, 8, v16
	v_cmp_gt_u64_e64 s[2:3], s[14:15], v[0:1]
	v_lshl_add_u32 v3, v2, 3, v15
	s_and_b64 s[6:7], vcc, s[2:3]
	s_waitcnt vmcnt(0)
	ds_write_b64 v3, v[6:7]
	s_and_saveexec_b64 s[12:13], s[6:7]
	s_cbranch_execz .LBB71_21
; %bb.20:
	v_mad_u64_u32 v[4:5], s[4:5], v0, s8, 0
	v_mov_b32_e32 v6, v5
	v_mad_u64_u32 v[6:7], s[4:5], v0, s9, v[6:7]
	v_mov_b32_e32 v5, v6
	v_lshlrev_b64 v[4:5], 1, v[4:5]
	v_add_co_u32_e64 v4, s[4:5], v10, v4
	v_addc_co_u32_e64 v5, s[4:5], v11, v5, s[4:5]
	global_load_ushort v1, v[4:5], off
	v_mad_u64_u32 v[4:5], s[4:5], v0, s10, 0
	v_mov_b32_e32 v6, v5
	v_mad_u64_u32 v[6:7], s[4:5], v0, s11, v[6:7]
	v_mov_b32_e32 v5, v6
	v_lshlrev_b64 v[4:5], 3, v[4:5]
	v_add_co_u32_e64 v4, s[4:5], v8, v4
	v_addc_co_u32_e64 v5, s[4:5], v9, v5, s[4:5]
	global_load_dwordx2 v[4:5], v[4:5], off
.LBB71_21:
	s_or_b64 exec, exec, s[12:13]
	v_lshl_add_u32 v6, s16, 1, v12
	s_waitcnt vmcnt(1)
	ds_write_b16 v6, v1
	v_lshl_add_u32 v1, s16, 3, v3
	v_lshlrev_b32_e32 v19, 1, v2
	v_cndmask_b32_e64 v7, 0, 1, s[6:7]
	s_waitcnt vmcnt(0)
	ds_write_b64 v1, v[4:5]
	v_add_u32_e32 v4, v17, v0
	v_add_u32_e32 v5, v12, v19
	ds_write_b8 v4, v7
	s_waitcnt lgkmcnt(0)
	s_barrier
	ds_read_b32 v13, v5
	s_mov_b32 s14, 1
	s_waitcnt lgkmcnt(0)
	v_and_b32_e32 v4, 0xffff0000, v13
	v_lshlrev_b32_e32 v7, 16, v13
	v_cmp_u_f32_e64 s[4:5], v7, v7
	v_cmp_o_f32_e64 s[6:7], v4, v4
	s_and_b64 s[6:7], s[4:5], s[6:7]
	v_cmp_lt_f32_e64 s[4:5], v4, v7
	s_or_b64 s[4:5], s[6:7], s[4:5]
	s_xor_b64 s[6:7], s[4:5], -1
	v_add_u32_e32 v4, v17, v19
	s_and_saveexec_b64 s[12:13], s[4:5]
	s_xor_b64 s[12:13], exec, s[12:13]
	s_cbranch_execz .LBB71_23
; %bb.22:
	ds_read_u8 v7, v4
	s_andn2_b64 s[6:7], s[6:7], exec
	s_waitcnt lgkmcnt(0)
	v_and_b32_e32 v7, 1, v7
	v_cmp_eq_u32_e64 s[4:5], 1, v7
	s_xor_b64 s[4:5], s[4:5], -1
	s_and_b64 s[4:5], s[4:5], exec
	s_or_b64 s[6:7], s[6:7], s[4:5]
.LBB71_23:
	s_or_b64 exec, exec, s[12:13]
	v_mov_b32_e32 v16, s14
	s_and_saveexec_b64 s[4:5], s[6:7]
	s_cbranch_execz .LBB71_25
; %bb.24:
	ds_read_u8 v7, v4 offset:1
	s_waitcnt lgkmcnt(0)
	v_xor_b32_e32 v16, 1, v7
.LBB71_25:
	s_or_b64 exec, exec, s[4:5]
	v_and_b32_e32 v14, 1, v2
	v_lshlrev_b32_e32 v7, 3, v2
	v_cmp_eq_u32_e64 s[4:5], v16, v14
	s_and_saveexec_b64 s[6:7], s[4:5]
	s_cbranch_execz .LBB71_27
; %bb.26:
	v_add_u32_e32 v16, v3, v7
	v_alignbit_b32 v13, v13, v13, 16
	ds_read_b128 v[20:23], v16
	ds_write_b32 v5, v13
	ds_read_u16 v13, v4
	s_mov_b32 s4, 0xc0c0001
	s_waitcnt lgkmcnt(2)
	v_mov_b32_e32 v24, v20
	v_mov_b32_e32 v25, v21
	s_waitcnt lgkmcnt(0)
	v_perm_b32 v13, 0, v13, s4
	ds_write_b128 v16, v[22:25]
	ds_write_b16 v4, v13
.LBB71_27:
	s_or_b64 exec, exec, s[6:7]
	v_sub_u32_e32 v16, v19, v14
	v_lshl_add_u32 v13, v16, 1, v18
	s_waitcnt lgkmcnt(0)
	s_barrier
	ds_read_u16 v22, v13 offset:4
	ds_read_u16 v21, v13
                                        ; implicit-def: $sgpr12
	s_waitcnt lgkmcnt(1)
	v_lshlrev_b32_e32 v14, 16, v22
	s_waitcnt lgkmcnt(0)
	v_lshlrev_b32_e32 v20, 16, v21
	v_cmp_u_f32_e64 s[4:5], v20, v20
	v_cmp_o_f32_e64 s[6:7], v14, v14
	s_and_b64 s[6:7], s[4:5], s[6:7]
	v_cmp_lt_f32_e64 s[4:5], v14, v20
	s_or_b64 s[6:7], s[6:7], s[4:5]
	s_mov_b64 s[4:5], -1
	v_add_u32_e32 v14, v17, v16
	s_and_saveexec_b64 s[14:15], s[6:7]
	s_xor_b64 s[6:7], exec, s[14:15]
	s_cbranch_execz .LBB71_29
; %bb.28:
	ds_read_u8 v20, v14
	s_mov_b32 s12, 1
	s_waitcnt lgkmcnt(0)
	v_and_b32_e32 v20, 1, v20
	v_cmp_eq_u32_e64 s[4:5], 1, v20
	s_xor_b64 s[4:5], s[4:5], -1
	s_orn2_b64 s[4:5], s[4:5], exec
.LBB71_29:
	s_or_b64 exec, exec, s[6:7]
	v_mov_b32_e32 v23, s12
	s_and_saveexec_b64 s[6:7], s[4:5]
	s_cbranch_execz .LBB71_31
; %bb.30:
	ds_read_u8 v20, v14 offset:2
	s_waitcnt lgkmcnt(0)
	v_xor_b32_e32 v23, 1, v20
.LBB71_31:
	s_or_b64 exec, exec, s[6:7]
	v_bfe_u32 v20, v2, 1, 1
	v_lshl_add_u32 v16, v16, 3, v15
	v_cmp_eq_u32_e64 s[4:5], v23, v20
	s_and_saveexec_b64 s[6:7], s[4:5]
	s_cbranch_execz .LBB71_33
; %bb.32:
	ds_read2_b64 v[24:27], v16 offset1:2
	ds_read_u8 v23, v14 offset:2
	ds_read_u8 v28, v14
	ds_write_b16 v13, v22
	ds_write_b16 v13, v21 offset:4
	s_waitcnt lgkmcnt(4)
	ds_write2_b64 v16, v[26:27], v[24:25] offset1:2
	s_waitcnt lgkmcnt(4)
	ds_write_b8 v14, v23
	s_waitcnt lgkmcnt(4)
	ds_write_b8 v14, v28 offset:2
.LBB71_33:
	s_or_b64 exec, exec, s[6:7]
	s_waitcnt lgkmcnt(0)
	s_barrier
	ds_read_b32 v21, v5
                                        ; implicit-def: $sgpr14
	s_waitcnt lgkmcnt(0)
	v_and_b32_e32 v22, 0xffff0000, v21
	v_lshlrev_b32_e32 v23, 16, v21
	v_cmp_u_f32_e64 s[4:5], v23, v23
	v_cmp_o_f32_e64 s[6:7], v22, v22
	s_and_b64 s[6:7], s[4:5], s[6:7]
	v_cmp_lt_f32_e64 s[4:5], v22, v23
	s_or_b64 s[4:5], s[6:7], s[4:5]
	s_xor_b64 s[6:7], s[4:5], -1
	s_and_saveexec_b64 s[12:13], s[4:5]
	s_cbranch_execnz .LBB71_100
; %bb.34:
	s_or_b64 exec, exec, s[12:13]
	v_mov_b32_e32 v22, s14
	s_and_saveexec_b64 s[4:5], s[6:7]
	s_cbranch_execnz .LBB71_101
.LBB71_35:
	s_or_b64 exec, exec, s[4:5]
	v_cmp_eq_u32_e64 s[4:5], v22, v20
	s_and_saveexec_b64 s[6:7], s[4:5]
	s_cbranch_execz .LBB71_37
.LBB71_36:
	v_add_u32_e32 v26, v3, v7
	ds_read_b128 v[22:25], v26
	ds_read_u16 v27, v4
	v_alignbit_b32 v20, v21, v21, 16
	ds_write_b32 v5, v20
	s_mov_b32 s4, 0xc0c0001
	s_waitcnt lgkmcnt(2)
	v_mov_b32_e32 v20, v24
	v_mov_b32_e32 v21, v25
	ds_write_b128 v26, v[20:23]
	s_waitcnt lgkmcnt(2)
	v_perm_b32 v20, 0, v27, s4
	ds_write_b16 v4, v20
.LBB71_37:
	s_or_b64 exec, exec, s[6:7]
	v_and_b32_e32 v20, 3, v2
	v_sub_u32_e32 v22, v19, v20
	v_lshl_add_u32 v20, v22, 1, v18
	s_waitcnt lgkmcnt(0)
	s_barrier
	ds_read_u16 v25, v20 offset:8
	ds_read_u16 v24, v20
	s_mov_b32 s14, 1
	s_waitcnt lgkmcnt(1)
	v_lshlrev_b32_e32 v21, 16, v25
	s_waitcnt lgkmcnt(0)
	v_lshlrev_b32_e32 v23, 16, v24
	v_cmp_u_f32_e64 s[4:5], v23, v23
	v_cmp_o_f32_e64 s[6:7], v21, v21
	s_and_b64 s[6:7], s[4:5], s[6:7]
	v_cmp_lt_f32_e64 s[4:5], v21, v23
	s_or_b64 s[4:5], s[6:7], s[4:5]
	s_xor_b64 s[6:7], s[4:5], -1
	v_add_u32_e32 v21, v17, v22
	s_and_saveexec_b64 s[12:13], s[4:5]
	s_cbranch_execz .LBB71_39
; %bb.38:
	ds_read_u8 v23, v21
	s_andn2_b64 s[6:7], s[6:7], exec
	s_waitcnt lgkmcnt(0)
	v_and_b32_e32 v23, 1, v23
	v_cmp_eq_u32_e64 s[4:5], 1, v23
	s_xor_b64 s[4:5], s[4:5], -1
	s_and_b64 s[4:5], s[4:5], exec
	s_or_b64 s[6:7], s[6:7], s[4:5]
.LBB71_39:
	s_or_b64 exec, exec, s[12:13]
	v_mov_b32_e32 v26, s14
	s_and_saveexec_b64 s[4:5], s[6:7]
	s_cbranch_execz .LBB71_41
; %bb.40:
	ds_read_u8 v23, v21 offset:4
	s_waitcnt lgkmcnt(0)
	v_xor_b32_e32 v26, 1, v23
.LBB71_41:
	s_or_b64 exec, exec, s[4:5]
	v_bfe_u32 v23, v2, 2, 1
	v_lshl_add_u32 v22, v22, 3, v15
	v_cmp_eq_u32_e64 s[4:5], v26, v23
	s_and_saveexec_b64 s[6:7], s[4:5]
	s_cbranch_execz .LBB71_43
; %bb.42:
	ds_read2_b64 v[26:29], v22 offset1:4
	ds_read_u8 v30, v21 offset:4
	ds_read_u8 v31, v21
	ds_write_b16 v20, v25
	ds_write_b16 v20, v24 offset:8
	s_waitcnt lgkmcnt(4)
	ds_write2_b64 v22, v[28:29], v[26:27] offset1:4
	s_waitcnt lgkmcnt(4)
	ds_write_b8 v21, v30
	s_waitcnt lgkmcnt(4)
	ds_write_b8 v21, v31 offset:4
.LBB71_43:
	s_or_b64 exec, exec, s[6:7]
	s_waitcnt lgkmcnt(0)
	s_barrier
	ds_read_u16 v25, v13 offset:4
	ds_read_u16 v24, v13
                                        ; implicit-def: $sgpr14
	s_waitcnt lgkmcnt(1)
	v_lshlrev_b32_e32 v26, 16, v25
	s_waitcnt lgkmcnt(0)
	v_lshlrev_b32_e32 v27, 16, v24
	v_cmp_u_f32_e64 s[4:5], v27, v27
	v_cmp_o_f32_e64 s[6:7], v26, v26
	s_and_b64 s[6:7], s[4:5], s[6:7]
	v_cmp_lt_f32_e64 s[4:5], v26, v27
	s_or_b64 s[4:5], s[6:7], s[4:5]
	s_xor_b64 s[6:7], s[4:5], -1
	s_and_saveexec_b64 s[12:13], s[4:5]
	s_cbranch_execnz .LBB71_102
; %bb.44:
	s_or_b64 exec, exec, s[12:13]
	v_mov_b32_e32 v26, s14
	s_and_saveexec_b64 s[4:5], s[6:7]
	s_cbranch_execnz .LBB71_103
.LBB71_45:
	s_or_b64 exec, exec, s[4:5]
	v_cmp_eq_u32_e64 s[4:5], v26, v23
	s_and_saveexec_b64 s[6:7], s[4:5]
	s_cbranch_execz .LBB71_47
.LBB71_46:
	ds_read2_b64 v[26:29], v16 offset1:2
	ds_read_u8 v30, v14 offset:2
	ds_read_u8 v31, v14
	ds_write_b16 v13, v25
	ds_write_b16 v13, v24 offset:4
	s_waitcnt lgkmcnt(4)
	ds_write2_b64 v16, v[28:29], v[26:27] offset1:2
	s_waitcnt lgkmcnt(4)
	ds_write_b8 v14, v30
	s_waitcnt lgkmcnt(4)
	ds_write_b8 v14, v31 offset:2
.LBB71_47:
	s_or_b64 exec, exec, s[6:7]
	s_waitcnt lgkmcnt(0)
	s_barrier
	ds_read_b32 v24, v5
                                        ; implicit-def: $sgpr14
	s_waitcnt lgkmcnt(0)
	v_and_b32_e32 v25, 0xffff0000, v24
	v_lshlrev_b32_e32 v26, 16, v24
	v_cmp_u_f32_e64 s[4:5], v26, v26
	v_cmp_o_f32_e64 s[6:7], v25, v25
	s_and_b64 s[6:7], s[4:5], s[6:7]
	v_cmp_lt_f32_e64 s[4:5], v25, v26
	s_or_b64 s[4:5], s[6:7], s[4:5]
	s_xor_b64 s[6:7], s[4:5], -1
	s_and_saveexec_b64 s[12:13], s[4:5]
	s_cbranch_execnz .LBB71_104
; %bb.48:
	s_or_b64 exec, exec, s[12:13]
	v_mov_b32_e32 v25, s14
	s_and_saveexec_b64 s[4:5], s[6:7]
	s_cbranch_execnz .LBB71_105
.LBB71_49:
	s_or_b64 exec, exec, s[4:5]
	v_cmp_eq_u32_e64 s[4:5], v25, v23
	s_and_saveexec_b64 s[6:7], s[4:5]
	s_cbranch_execz .LBB71_51
.LBB71_50:
	v_add_u32_e32 v23, v3, v7
	ds_read_b128 v[26:29], v23
	ds_read_u16 v30, v4
	v_alignbit_b32 v24, v24, v24, 16
	ds_write_b32 v5, v24
	s_mov_b32 s4, 0xc0c0001
	s_waitcnt lgkmcnt(2)
	v_mov_b32_e32 v24, v28
	v_mov_b32_e32 v25, v29
	ds_write_b128 v23, v[24:27]
	s_waitcnt lgkmcnt(2)
	v_perm_b32 v23, 0, v30, s4
	ds_write_b16 v4, v23
.LBB71_51:
	s_or_b64 exec, exec, s[6:7]
	v_and_b32_e32 v23, 7, v2
	v_sub_u32_e32 v25, v19, v23
	v_lshl_add_u32 v23, v25, 1, v18
	s_waitcnt lgkmcnt(0)
	s_barrier
	ds_read_u16 v28, v23 offset:16
	ds_read_u16 v27, v23
	s_mov_b32 s14, 1
	s_waitcnt lgkmcnt(1)
	v_lshlrev_b32_e32 v24, 16, v28
	s_waitcnt lgkmcnt(0)
	v_lshlrev_b32_e32 v26, 16, v27
	v_cmp_u_f32_e64 s[4:5], v26, v26
	v_cmp_o_f32_e64 s[6:7], v24, v24
	s_and_b64 s[6:7], s[4:5], s[6:7]
	v_cmp_lt_f32_e64 s[4:5], v24, v26
	s_or_b64 s[4:5], s[6:7], s[4:5]
	s_xor_b64 s[6:7], s[4:5], -1
	v_add_u32_e32 v24, v17, v25
	s_and_saveexec_b64 s[12:13], s[4:5]
	s_cbranch_execz .LBB71_53
; %bb.52:
	ds_read_u8 v26, v24
	s_andn2_b64 s[6:7], s[6:7], exec
	s_waitcnt lgkmcnt(0)
	v_and_b32_e32 v26, 1, v26
	v_cmp_eq_u32_e64 s[4:5], 1, v26
	s_xor_b64 s[4:5], s[4:5], -1
	s_and_b64 s[4:5], s[4:5], exec
	s_or_b64 s[6:7], s[6:7], s[4:5]
.LBB71_53:
	s_or_b64 exec, exec, s[12:13]
	v_mov_b32_e32 v29, s14
	s_and_saveexec_b64 s[4:5], s[6:7]
	s_cbranch_execz .LBB71_55
; %bb.54:
	ds_read_u8 v26, v24 offset:8
	s_waitcnt lgkmcnt(0)
	v_xor_b32_e32 v29, 1, v26
.LBB71_55:
	s_or_b64 exec, exec, s[4:5]
	v_bfe_u32 v26, v2, 3, 1
	v_lshl_add_u32 v25, v25, 3, v15
	v_cmp_eq_u32_e64 s[4:5], v29, v26
	s_and_saveexec_b64 s[6:7], s[4:5]
	s_cbranch_execz .LBB71_57
; %bb.56:
	ds_read2_b64 v[30:33], v25 offset1:8
	ds_read_u8 v29, v24 offset:8
	ds_read_u8 v34, v24
	ds_write_b16 v23, v28
	ds_write_b16 v23, v27 offset:16
	s_waitcnt lgkmcnt(4)
	ds_write2_b64 v25, v[32:33], v[30:31] offset1:8
	s_waitcnt lgkmcnt(4)
	ds_write_b8 v24, v29
	s_waitcnt lgkmcnt(4)
	ds_write_b8 v24, v34 offset:8
.LBB71_57:
	s_or_b64 exec, exec, s[6:7]
	s_waitcnt lgkmcnt(0)
	s_barrier
	ds_read_u16 v28, v20 offset:8
	ds_read_u16 v27, v20
                                        ; implicit-def: $sgpr14
	s_waitcnt lgkmcnt(1)
	v_lshlrev_b32_e32 v29, 16, v28
	s_waitcnt lgkmcnt(0)
	v_lshlrev_b32_e32 v30, 16, v27
	v_cmp_u_f32_e64 s[4:5], v30, v30
	v_cmp_o_f32_e64 s[6:7], v29, v29
	s_and_b64 s[6:7], s[4:5], s[6:7]
	v_cmp_lt_f32_e64 s[4:5], v29, v30
	s_or_b64 s[4:5], s[6:7], s[4:5]
	s_xor_b64 s[6:7], s[4:5], -1
	s_and_saveexec_b64 s[12:13], s[4:5]
	s_cbranch_execnz .LBB71_106
; %bb.58:
	s_or_b64 exec, exec, s[12:13]
	v_mov_b32_e32 v29, s14
	s_and_saveexec_b64 s[4:5], s[6:7]
	s_cbranch_execnz .LBB71_107
.LBB71_59:
	s_or_b64 exec, exec, s[4:5]
	v_cmp_eq_u32_e64 s[4:5], v29, v26
	s_and_saveexec_b64 s[6:7], s[4:5]
	s_cbranch_execz .LBB71_61
.LBB71_60:
	ds_read2_b64 v[30:33], v22 offset1:4
	ds_read_u8 v29, v21 offset:4
	ds_read_u8 v34, v21
	ds_write_b16 v20, v28
	ds_write_b16 v20, v27 offset:8
	s_waitcnt lgkmcnt(4)
	ds_write2_b64 v22, v[32:33], v[30:31] offset1:4
	s_waitcnt lgkmcnt(4)
	ds_write_b8 v21, v29
	s_waitcnt lgkmcnt(4)
	ds_write_b8 v21, v34 offset:4
.LBB71_61:
	s_or_b64 exec, exec, s[6:7]
	s_waitcnt lgkmcnt(0)
	s_barrier
	ds_read_u16 v28, v13 offset:4
	ds_read_u16 v27, v13
                                        ; implicit-def: $sgpr14
	s_waitcnt lgkmcnt(1)
	v_lshlrev_b32_e32 v29, 16, v28
	s_waitcnt lgkmcnt(0)
	v_lshlrev_b32_e32 v30, 16, v27
	v_cmp_u_f32_e64 s[4:5], v30, v30
	v_cmp_o_f32_e64 s[6:7], v29, v29
	s_and_b64 s[6:7], s[4:5], s[6:7]
	v_cmp_lt_f32_e64 s[4:5], v29, v30
	s_or_b64 s[4:5], s[6:7], s[4:5]
	s_xor_b64 s[6:7], s[4:5], -1
	s_and_saveexec_b64 s[12:13], s[4:5]
	s_cbranch_execnz .LBB71_108
; %bb.62:
	s_or_b64 exec, exec, s[12:13]
	v_mov_b32_e32 v29, s14
	s_and_saveexec_b64 s[4:5], s[6:7]
	s_cbranch_execnz .LBB71_109
.LBB71_63:
	s_or_b64 exec, exec, s[4:5]
	v_cmp_eq_u32_e64 s[4:5], v29, v26
	s_and_saveexec_b64 s[6:7], s[4:5]
	s_cbranch_execz .LBB71_65
.LBB71_64:
	ds_read2_b64 v[30:33], v16 offset1:2
	ds_read_u8 v29, v14 offset:2
	ds_read_u8 v34, v14
	ds_write_b16 v13, v28
	ds_write_b16 v13, v27 offset:4
	s_waitcnt lgkmcnt(4)
	ds_write2_b64 v16, v[32:33], v[30:31] offset1:2
	s_waitcnt lgkmcnt(4)
	ds_write_b8 v14, v29
	s_waitcnt lgkmcnt(4)
	ds_write_b8 v14, v34 offset:2
.LBB71_65:
	s_or_b64 exec, exec, s[6:7]
	s_waitcnt lgkmcnt(0)
	s_barrier
	ds_read_b32 v27, v5
                                        ; implicit-def: $sgpr14
	s_waitcnt lgkmcnt(0)
	v_and_b32_e32 v28, 0xffff0000, v27
	v_lshlrev_b32_e32 v29, 16, v27
	v_cmp_u_f32_e64 s[4:5], v29, v29
	v_cmp_o_f32_e64 s[6:7], v28, v28
	s_and_b64 s[6:7], s[4:5], s[6:7]
	v_cmp_lt_f32_e64 s[4:5], v28, v29
	s_or_b64 s[4:5], s[6:7], s[4:5]
	s_xor_b64 s[6:7], s[4:5], -1
	s_and_saveexec_b64 s[12:13], s[4:5]
	s_cbranch_execnz .LBB71_110
; %bb.66:
	s_or_b64 exec, exec, s[12:13]
	v_mov_b32_e32 v28, s14
	s_and_saveexec_b64 s[4:5], s[6:7]
	s_cbranch_execnz .LBB71_111
.LBB71_67:
	s_or_b64 exec, exec, s[4:5]
	v_cmp_eq_u32_e64 s[4:5], v28, v26
	s_and_saveexec_b64 s[6:7], s[4:5]
	s_cbranch_execz .LBB71_69
.LBB71_68:
	v_add_u32_e32 v32, v3, v7
	ds_read_b128 v[28:31], v32
	ds_read_u16 v33, v4
	v_alignbit_b32 v26, v27, v27, 16
	ds_write_b32 v5, v26
	s_mov_b32 s4, 0xc0c0001
	s_waitcnt lgkmcnt(2)
	v_mov_b32_e32 v26, v30
	v_mov_b32_e32 v27, v31
	ds_write_b128 v32, v[26:29]
	s_waitcnt lgkmcnt(2)
	v_perm_b32 v26, 0, v33, s4
	ds_write_b16 v4, v26
.LBB71_69:
	s_or_b64 exec, exec, s[6:7]
	v_and_b32_e32 v26, 15, v2
	v_sub_u32_e32 v27, v19, v26
	v_lshl_add_u32 v18, v27, 1, v18
	s_waitcnt lgkmcnt(0)
	s_barrier
	ds_read_u16 v26, v18 offset:32
	ds_read_u16 v19, v18
	v_add_u32_e32 v17, v17, v27
	s_waitcnt lgkmcnt(1)
	v_lshlrev_b32_e32 v28, 16, v26
	s_waitcnt lgkmcnt(0)
	v_lshlrev_b32_e32 v29, 16, v19
	v_cmp_u_f32_e64 s[4:5], v29, v29
	v_cmp_o_f32_e64 s[6:7], v28, v28
	s_and_b64 s[6:7], s[4:5], s[6:7]
	v_cmp_lt_f32_e64 s[4:5], v28, v29
	s_or_b64 s[4:5], s[6:7], s[4:5]
	s_xor_b64 s[12:13], s[4:5], -1
	s_and_saveexec_b64 s[6:7], s[4:5]
	s_cbranch_execz .LBB71_71
; %bb.70:
	ds_read_u8 v28, v17
	s_andn2_b64 s[12:13], s[12:13], exec
	s_waitcnt lgkmcnt(0)
	v_and_b32_e32 v28, 1, v28
	v_cmp_eq_u32_e64 s[4:5], 1, v28
	s_xor_b64 s[4:5], s[4:5], -1
	s_and_b64 s[4:5], s[4:5], exec
	s_or_b64 s[12:13], s[12:13], s[4:5]
.LBB71_71:
	s_or_b64 exec, exec, s[6:7]
	s_and_saveexec_b64 s[6:7], s[12:13]
	s_cbranch_execz .LBB71_74
; %bb.72:
	ds_read_u8 v28, v17 offset:16
	s_waitcnt lgkmcnt(0)
	v_cmp_ne_u16_e64 s[4:5], 0, v28
	s_and_b64 exec, exec, s[4:5]
	s_cbranch_execz .LBB71_74
; %bb.73:
	v_lshl_add_u32 v15, v27, 3, v15
	ds_read2_b64 v[30:33], v15 offset1:16
	ds_read_u8 v27, v17
	ds_write_b16 v18, v26
	ds_write_b16 v18, v19 offset:32
	ds_write_b8 v17, v28
	s_waitcnt lgkmcnt(4)
	ds_write2_b64 v15, v[32:33], v[30:31] offset1:16
	s_waitcnt lgkmcnt(4)
	ds_write_b8 v17, v27 offset:16
.LBB71_74:
	s_or_b64 exec, exec, s[6:7]
	s_waitcnt lgkmcnt(0)
	s_barrier
	ds_read_u16 v17, v23 offset:16
	ds_read_u16 v15, v23
	s_waitcnt lgkmcnt(1)
	v_lshlrev_b32_e32 v18, 16, v17
	s_waitcnt lgkmcnt(0)
	v_lshlrev_b32_e32 v19, 16, v15
	v_cmp_u_f32_e64 s[4:5], v19, v19
	v_cmp_o_f32_e64 s[6:7], v18, v18
	s_and_b64 s[6:7], s[4:5], s[6:7]
	v_cmp_lt_f32_e64 s[4:5], v18, v19
	s_or_b64 s[4:5], s[6:7], s[4:5]
	s_xor_b64 s[12:13], s[4:5], -1
	s_and_saveexec_b64 s[6:7], s[4:5]
	s_cbranch_execz .LBB71_76
; %bb.75:
	ds_read_u8 v18, v24
	s_andn2_b64 s[12:13], s[12:13], exec
	s_waitcnt lgkmcnt(0)
	v_and_b32_e32 v18, 1, v18
	v_cmp_eq_u32_e64 s[4:5], 1, v18
	s_xor_b64 s[4:5], s[4:5], -1
	s_and_b64 s[4:5], s[4:5], exec
	s_or_b64 s[12:13], s[12:13], s[4:5]
.LBB71_76:
	s_or_b64 exec, exec, s[6:7]
	s_and_saveexec_b64 s[6:7], s[12:13]
	s_cbranch_execz .LBB71_79
; %bb.77:
	ds_read_u8 v18, v24 offset:8
	s_waitcnt lgkmcnt(0)
	v_cmp_ne_u16_e64 s[4:5], 0, v18
	s_and_b64 exec, exec, s[4:5]
	s_cbranch_execz .LBB71_79
; %bb.78:
	ds_read2_b64 v[26:29], v25 offset1:8
	ds_read_u8 v19, v24
	ds_write_b16 v23, v17
	ds_write_b16 v23, v15 offset:16
	ds_write_b8 v24, v18
	s_waitcnt lgkmcnt(4)
	ds_write2_b64 v25, v[28:29], v[26:27] offset1:8
	s_waitcnt lgkmcnt(4)
	ds_write_b8 v24, v19 offset:8
.LBB71_79:
	s_or_b64 exec, exec, s[6:7]
	s_waitcnt lgkmcnt(0)
	s_barrier
	ds_read_u16 v17, v20 offset:8
	ds_read_u16 v15, v20
	s_waitcnt lgkmcnt(1)
	v_lshlrev_b32_e32 v18, 16, v17
	s_waitcnt lgkmcnt(0)
	v_lshlrev_b32_e32 v19, 16, v15
	v_cmp_u_f32_e64 s[4:5], v19, v19
	v_cmp_o_f32_e64 s[6:7], v18, v18
	s_and_b64 s[6:7], s[4:5], s[6:7]
	v_cmp_lt_f32_e64 s[4:5], v18, v19
	s_or_b64 s[4:5], s[6:7], s[4:5]
	s_xor_b64 s[12:13], s[4:5], -1
	s_and_saveexec_b64 s[6:7], s[4:5]
	s_cbranch_execz .LBB71_81
; %bb.80:
	ds_read_u8 v18, v21
	s_andn2_b64 s[12:13], s[12:13], exec
	s_waitcnt lgkmcnt(0)
	v_and_b32_e32 v18, 1, v18
	v_cmp_eq_u32_e64 s[4:5], 1, v18
	s_xor_b64 s[4:5], s[4:5], -1
	s_and_b64 s[4:5], s[4:5], exec
	s_or_b64 s[12:13], s[12:13], s[4:5]
.LBB71_81:
	s_or_b64 exec, exec, s[6:7]
	s_and_saveexec_b64 s[6:7], s[12:13]
	s_cbranch_execz .LBB71_84
; %bb.82:
	ds_read_u8 v18, v21 offset:4
	s_waitcnt lgkmcnt(0)
	v_cmp_ne_u16_e64 s[4:5], 0, v18
	s_and_b64 exec, exec, s[4:5]
	s_cbranch_execz .LBB71_84
; %bb.83:
	ds_read2_b64 v[24:27], v22 offset1:4
	ds_read_u8 v19, v21
	ds_write_b16 v20, v17
	ds_write_b16 v20, v15 offset:8
	ds_write_b8 v21, v18
	s_waitcnt lgkmcnt(4)
	ds_write2_b64 v22, v[26:27], v[24:25] offset1:4
	s_waitcnt lgkmcnt(4)
	ds_write_b8 v21, v19 offset:4
.LBB71_84:
	;; [unrolled: 47-line block ×3, first 2 shown]
	s_or_b64 exec, exec, s[6:7]
	s_waitcnt lgkmcnt(0)
	s_barrier
	ds_read_b32 v13, v5
	s_waitcnt lgkmcnt(0)
	v_and_b32_e32 v14, 0xffff0000, v13
	v_lshlrev_b32_e32 v15, 16, v13
	v_cmp_u_f32_e64 s[4:5], v15, v15
	v_cmp_o_f32_e64 s[6:7], v14, v14
	s_and_b64 s[6:7], s[4:5], s[6:7]
	v_cmp_lt_f32_e64 s[4:5], v14, v15
	s_or_b64 s[4:5], s[6:7], s[4:5]
	s_xor_b64 s[12:13], s[4:5], -1
	s_and_saveexec_b64 s[6:7], s[4:5]
	s_cbranch_execz .LBB71_91
; %bb.90:
	ds_read_u8 v14, v4
	s_andn2_b64 s[12:13], s[12:13], exec
	s_waitcnt lgkmcnt(0)
	v_and_b32_e32 v14, 1, v14
	v_cmp_eq_u32_e64 s[4:5], 1, v14
	s_xor_b64 s[4:5], s[4:5], -1
	s_and_b64 s[4:5], s[4:5], exec
	s_or_b64 s[12:13], s[12:13], s[4:5]
.LBB71_91:
	s_or_b64 exec, exec, s[6:7]
	s_and_saveexec_b64 s[6:7], s[12:13]
	s_cbranch_execz .LBB71_94
; %bb.92:
	ds_read_u8 v14, v4 offset:1
	s_waitcnt lgkmcnt(0)
	v_cmp_ne_u16_e64 s[4:5], 0, v14
	s_and_b64 exec, exec, s[4:5]
	s_cbranch_execz .LBB71_94
; %bb.93:
	v_add_u32_e32 v7, v3, v7
	v_alignbit_b32 v13, v13, v13, 16
	ds_read_b128 v[16:19], v7
	ds_write_b32 v5, v13
	ds_read_u8 v5, v4
	s_waitcnt lgkmcnt(2)
	v_mov_b32_e32 v20, v16
	v_mov_b32_e32 v21, v17
	s_waitcnt lgkmcnt(0)
	v_lshlrev_b16_e32 v5, 8, v5
	v_or_b32_e32 v5, v14, v5
	ds_write_b128 v7, v[18:21]
	ds_write_b16 v4, v5
.LBB71_94:
	s_or_b64 exec, exec, s[6:7]
	s_waitcnt lgkmcnt(0)
	s_barrier
	s_and_saveexec_b64 s[4:5], vcc
	s_cbranch_execz .LBB71_99
; %bb.95:
	s_and_saveexec_b64 s[4:5], s[0:1]
	s_cbranch_execz .LBB71_97
; %bb.96:
	v_mad_u64_u32 v[4:5], s[0:1], v2, s8, 0
	v_mov_b32_e32 v14, v5
	v_mad_u64_u32 v[14:15], s[0:1], v2, s9, v[14:15]
	ds_read_u16 v7, v12
	v_mov_b32_e32 v5, v14
	v_lshlrev_b64 v[4:5], 1, v[4:5]
	v_add_co_u32_e32 v4, vcc, v10, v4
	v_addc_co_u32_e32 v5, vcc, v11, v5, vcc
	s_waitcnt lgkmcnt(0)
	global_store_short v[4:5], v7, off
	v_mad_u64_u32 v[4:5], s[0:1], v2, s10, 0
	v_mov_b32_e32 v14, v5
	ds_read_b64 v[12:13], v3
	v_mad_u64_u32 v[2:3], s[0:1], v2, s11, v[14:15]
	v_mov_b32_e32 v5, v2
	v_lshlrev_b64 v[2:3], 3, v[4:5]
	v_add_co_u32_e32 v2, vcc, v8, v2
	v_addc_co_u32_e32 v3, vcc, v9, v3, vcc
	s_waitcnt lgkmcnt(0)
	global_store_dwordx2 v[2:3], v[12:13], off
.LBB71_97:
	s_or_b64 exec, exec, s[4:5]
	s_and_b64 exec, exec, s[2:3]
	s_cbranch_execz .LBB71_99
; %bb.98:
	v_mad_u64_u32 v[2:3], s[0:1], v0, s8, 0
	v_mov_b32_e32 v4, v3
	v_mad_u64_u32 v[4:5], s[0:1], v0, s9, v[4:5]
	ds_read_u16 v6, v6
	v_mov_b32_e32 v3, v4
	ds_read_b64 v[4:5], v1
	v_lshlrev_b64 v[2:3], 1, v[2:3]
	v_add_co_u32_e32 v2, vcc, v10, v2
	v_addc_co_u32_e32 v3, vcc, v11, v3, vcc
	s_waitcnt lgkmcnt(1)
	global_store_short v[2:3], v6, off
	v_mad_u64_u32 v[2:3], s[0:1], v0, s10, 0
	v_mov_b32_e32 v6, v3
	v_mad_u64_u32 v[0:1], s[0:1], v0, s11, v[6:7]
	v_mov_b32_e32 v3, v0
	v_lshlrev_b64 v[0:1], 3, v[2:3]
	v_add_co_u32_e32 v0, vcc, v8, v0
	v_addc_co_u32_e32 v1, vcc, v9, v1, vcc
	s_waitcnt lgkmcnt(0)
	global_store_dwordx2 v[0:1], v[4:5], off
.LBB71_99:
	s_endpgm
.LBB71_100:
	ds_read_u8 v22, v4
	s_andn2_b64 s[6:7], s[6:7], exec
	s_mov_b32 s14, 1
	s_waitcnt lgkmcnt(0)
	v_and_b32_e32 v22, 1, v22
	v_cmp_eq_u32_e64 s[4:5], 1, v22
	s_xor_b64 s[4:5], s[4:5], -1
	s_and_b64 s[4:5], s[4:5], exec
	s_or_b64 s[6:7], s[6:7], s[4:5]
	s_or_b64 exec, exec, s[12:13]
	v_mov_b32_e32 v22, s14
	s_and_saveexec_b64 s[4:5], s[6:7]
	s_cbranch_execz .LBB71_35
.LBB71_101:
	ds_read_u8 v22, v4 offset:1
	s_waitcnt lgkmcnt(0)
	v_xor_b32_e32 v22, 1, v22
	s_or_b64 exec, exec, s[4:5]
	v_cmp_eq_u32_e64 s[4:5], v22, v20
	s_and_saveexec_b64 s[6:7], s[4:5]
	s_cbranch_execnz .LBB71_36
	s_branch .LBB71_37
.LBB71_102:
	ds_read_u8 v26, v14
	s_andn2_b64 s[6:7], s[6:7], exec
	s_mov_b32 s14, 1
	s_waitcnt lgkmcnt(0)
	v_and_b32_e32 v26, 1, v26
	v_cmp_eq_u32_e64 s[4:5], 1, v26
	s_xor_b64 s[4:5], s[4:5], -1
	s_and_b64 s[4:5], s[4:5], exec
	s_or_b64 s[6:7], s[6:7], s[4:5]
	s_or_b64 exec, exec, s[12:13]
	v_mov_b32_e32 v26, s14
	s_and_saveexec_b64 s[4:5], s[6:7]
	s_cbranch_execz .LBB71_45
.LBB71_103:
	ds_read_u8 v26, v14 offset:2
	s_waitcnt lgkmcnt(0)
	v_xor_b32_e32 v26, 1, v26
	s_or_b64 exec, exec, s[4:5]
	v_cmp_eq_u32_e64 s[4:5], v26, v23
	s_and_saveexec_b64 s[6:7], s[4:5]
	s_cbranch_execnz .LBB71_46
	s_branch .LBB71_47
.LBB71_104:
	ds_read_u8 v25, v4
	s_andn2_b64 s[6:7], s[6:7], exec
	s_mov_b32 s14, 1
	s_waitcnt lgkmcnt(0)
	v_and_b32_e32 v25, 1, v25
	v_cmp_eq_u32_e64 s[4:5], 1, v25
	s_xor_b64 s[4:5], s[4:5], -1
	s_and_b64 s[4:5], s[4:5], exec
	s_or_b64 s[6:7], s[6:7], s[4:5]
	s_or_b64 exec, exec, s[12:13]
	v_mov_b32_e32 v25, s14
	s_and_saveexec_b64 s[4:5], s[6:7]
	s_cbranch_execz .LBB71_49
.LBB71_105:
	ds_read_u8 v25, v4 offset:1
	s_waitcnt lgkmcnt(0)
	v_xor_b32_e32 v25, 1, v25
	s_or_b64 exec, exec, s[4:5]
	v_cmp_eq_u32_e64 s[4:5], v25, v23
	s_and_saveexec_b64 s[6:7], s[4:5]
	s_cbranch_execnz .LBB71_50
	s_branch .LBB71_51
.LBB71_106:
	ds_read_u8 v29, v21
	s_andn2_b64 s[6:7], s[6:7], exec
	s_mov_b32 s14, 1
	s_waitcnt lgkmcnt(0)
	v_and_b32_e32 v29, 1, v29
	v_cmp_eq_u32_e64 s[4:5], 1, v29
	s_xor_b64 s[4:5], s[4:5], -1
	s_and_b64 s[4:5], s[4:5], exec
	s_or_b64 s[6:7], s[6:7], s[4:5]
	s_or_b64 exec, exec, s[12:13]
	v_mov_b32_e32 v29, s14
	s_and_saveexec_b64 s[4:5], s[6:7]
	s_cbranch_execz .LBB71_59
.LBB71_107:
	ds_read_u8 v29, v21 offset:4
	s_waitcnt lgkmcnt(0)
	v_xor_b32_e32 v29, 1, v29
	s_or_b64 exec, exec, s[4:5]
	v_cmp_eq_u32_e64 s[4:5], v29, v26
	s_and_saveexec_b64 s[6:7], s[4:5]
	s_cbranch_execnz .LBB71_60
	s_branch .LBB71_61
.LBB71_108:
	ds_read_u8 v29, v14
	s_andn2_b64 s[6:7], s[6:7], exec
	s_mov_b32 s14, 1
	s_waitcnt lgkmcnt(0)
	v_and_b32_e32 v29, 1, v29
	v_cmp_eq_u32_e64 s[4:5], 1, v29
	s_xor_b64 s[4:5], s[4:5], -1
	s_and_b64 s[4:5], s[4:5], exec
	s_or_b64 s[6:7], s[6:7], s[4:5]
	s_or_b64 exec, exec, s[12:13]
	v_mov_b32_e32 v29, s14
	s_and_saveexec_b64 s[4:5], s[6:7]
	s_cbranch_execz .LBB71_63
.LBB71_109:
	ds_read_u8 v29, v14 offset:2
	s_waitcnt lgkmcnt(0)
	v_xor_b32_e32 v29, 1, v29
	s_or_b64 exec, exec, s[4:5]
	v_cmp_eq_u32_e64 s[4:5], v29, v26
	s_and_saveexec_b64 s[6:7], s[4:5]
	s_cbranch_execnz .LBB71_64
	s_branch .LBB71_65
.LBB71_110:
	ds_read_u8 v28, v4
	s_andn2_b64 s[6:7], s[6:7], exec
	s_mov_b32 s14, 1
	s_waitcnt lgkmcnt(0)
	v_and_b32_e32 v28, 1, v28
	v_cmp_eq_u32_e64 s[4:5], 1, v28
	s_xor_b64 s[4:5], s[4:5], -1
	s_and_b64 s[4:5], s[4:5], exec
	s_or_b64 s[6:7], s[6:7], s[4:5]
	s_or_b64 exec, exec, s[12:13]
	v_mov_b32_e32 v28, s14
	s_and_saveexec_b64 s[4:5], s[6:7]
	s_cbranch_execz .LBB71_67
.LBB71_111:
	ds_read_u8 v28, v4 offset:1
	s_waitcnt lgkmcnt(0)
	v_xor_b32_e32 v28, 1, v28
	s_or_b64 exec, exec, s[4:5]
	v_cmp_eq_u32_e64 s[4:5], v28, v26
	s_and_saveexec_b64 s[6:7], s[4:5]
	s_cbranch_execnz .LBB71_68
	s_branch .LBB71_69
	.section	.rodata,"a",@progbits
	.p2align	6, 0x0
	.amdhsa_kernel _ZN2at6native20bitonicSortKVInPlaceILin1ELin1ELi16ELi16EN3c108BFloat16ElNS0_4GTOpIS3_Lb1EEEmEEvNS_4cuda6detail10TensorInfoIT3_T6_EESA_SA_SA_NS8_IT4_SA_EESA_T5_
		.amdhsa_group_segment_fixed_size 5632
		.amdhsa_private_segment_fixed_size 0
		.amdhsa_kernarg_size 1128
		.amdhsa_user_sgpr_count 6
		.amdhsa_user_sgpr_private_segment_buffer 1
		.amdhsa_user_sgpr_dispatch_ptr 0
		.amdhsa_user_sgpr_queue_ptr 0
		.amdhsa_user_sgpr_kernarg_segment_ptr 1
		.amdhsa_user_sgpr_dispatch_id 0
		.amdhsa_user_sgpr_flat_scratch_init 0
		.amdhsa_user_sgpr_kernarg_preload_length 0
		.amdhsa_user_sgpr_kernarg_preload_offset 0
		.amdhsa_user_sgpr_private_segment_size 0
		.amdhsa_uses_dynamic_stack 0
		.amdhsa_system_sgpr_private_segment_wavefront_offset 0
		.amdhsa_system_sgpr_workgroup_id_x 1
		.amdhsa_system_sgpr_workgroup_id_y 1
		.amdhsa_system_sgpr_workgroup_id_z 1
		.amdhsa_system_sgpr_workgroup_info 0
		.amdhsa_system_vgpr_workitem_id 1
		.amdhsa_next_free_vgpr 35
		.amdhsa_next_free_sgpr 21
		.amdhsa_accum_offset 36
		.amdhsa_reserve_vcc 1
		.amdhsa_reserve_flat_scratch 0
		.amdhsa_float_round_mode_32 0
		.amdhsa_float_round_mode_16_64 0
		.amdhsa_float_denorm_mode_32 3
		.amdhsa_float_denorm_mode_16_64 3
		.amdhsa_dx10_clamp 1
		.amdhsa_ieee_mode 1
		.amdhsa_fp16_overflow 0
		.amdhsa_tg_split 0
		.amdhsa_exception_fp_ieee_invalid_op 0
		.amdhsa_exception_fp_denorm_src 0
		.amdhsa_exception_fp_ieee_div_zero 0
		.amdhsa_exception_fp_ieee_overflow 0
		.amdhsa_exception_fp_ieee_underflow 0
		.amdhsa_exception_fp_ieee_inexact 0
		.amdhsa_exception_int_div_zero 0
	.end_amdhsa_kernel
	.section	.text._ZN2at6native20bitonicSortKVInPlaceILin1ELin1ELi16ELi16EN3c108BFloat16ElNS0_4GTOpIS3_Lb1EEEmEEvNS_4cuda6detail10TensorInfoIT3_T6_EESA_SA_SA_NS8_IT4_SA_EESA_T5_,"axG",@progbits,_ZN2at6native20bitonicSortKVInPlaceILin1ELin1ELi16ELi16EN3c108BFloat16ElNS0_4GTOpIS3_Lb1EEEmEEvNS_4cuda6detail10TensorInfoIT3_T6_EESA_SA_SA_NS8_IT4_SA_EESA_T5_,comdat
.Lfunc_end71:
	.size	_ZN2at6native20bitonicSortKVInPlaceILin1ELin1ELi16ELi16EN3c108BFloat16ElNS0_4GTOpIS3_Lb1EEEmEEvNS_4cuda6detail10TensorInfoIT3_T6_EESA_SA_SA_NS8_IT4_SA_EESA_T5_, .Lfunc_end71-_ZN2at6native20bitonicSortKVInPlaceILin1ELin1ELi16ELi16EN3c108BFloat16ElNS0_4GTOpIS3_Lb1EEEmEEvNS_4cuda6detail10TensorInfoIT3_T6_EESA_SA_SA_NS8_IT4_SA_EESA_T5_
                                        ; -- End function
	.section	.AMDGPU.csdata,"",@progbits
; Kernel info:
; codeLenInByte = 7168
; NumSgprs: 25
; NumVgprs: 35
; NumAgprs: 0
; TotalNumVgprs: 35
; ScratchSize: 0
; MemoryBound: 0
; FloatMode: 240
; IeeeMode: 1
; LDSByteSize: 5632 bytes/workgroup (compile time only)
; SGPRBlocks: 3
; VGPRBlocks: 4
; NumSGPRsForWavesPerEU: 25
; NumVGPRsForWavesPerEU: 35
; AccumOffset: 36
; Occupancy: 8
; WaveLimiterHint : 1
; COMPUTE_PGM_RSRC2:SCRATCH_EN: 0
; COMPUTE_PGM_RSRC2:USER_SGPR: 6
; COMPUTE_PGM_RSRC2:TRAP_HANDLER: 0
; COMPUTE_PGM_RSRC2:TGID_X_EN: 1
; COMPUTE_PGM_RSRC2:TGID_Y_EN: 1
; COMPUTE_PGM_RSRC2:TGID_Z_EN: 1
; COMPUTE_PGM_RSRC2:TIDIG_COMP_CNT: 1
; COMPUTE_PGM_RSRC3_GFX90A:ACCUM_OFFSET: 8
; COMPUTE_PGM_RSRC3_GFX90A:TG_SPLIT: 0
	.section	.text._ZN2at6native20bitonicSortKVInPlaceILin2ELin1ELi16ELi16EblNS0_4LTOpIbLb1EEEjEEvNS_4cuda6detail10TensorInfoIT3_T6_EES8_S8_S8_NS6_IT4_S8_EES8_T5_,"axG",@progbits,_ZN2at6native20bitonicSortKVInPlaceILin2ELin1ELi16ELi16EblNS0_4LTOpIbLb1EEEjEEvNS_4cuda6detail10TensorInfoIT3_T6_EES8_S8_S8_NS6_IT4_S8_EES8_T5_,comdat
	.protected	_ZN2at6native20bitonicSortKVInPlaceILin2ELin1ELi16ELi16EblNS0_4LTOpIbLb1EEEjEEvNS_4cuda6detail10TensorInfoIT3_T6_EES8_S8_S8_NS6_IT4_S8_EES8_T5_ ; -- Begin function _ZN2at6native20bitonicSortKVInPlaceILin2ELin1ELi16ELi16EblNS0_4LTOpIbLb1EEEjEEvNS_4cuda6detail10TensorInfoIT3_T6_EES8_S8_S8_NS6_IT4_S8_EES8_T5_
	.globl	_ZN2at6native20bitonicSortKVInPlaceILin2ELin1ELi16ELi16EblNS0_4LTOpIbLb1EEEjEEvNS_4cuda6detail10TensorInfoIT3_T6_EES8_S8_S8_NS6_IT4_S8_EES8_T5_
	.p2align	8
	.type	_ZN2at6native20bitonicSortKVInPlaceILin2ELin1ELi16ELi16EblNS0_4LTOpIbLb1EEEjEEvNS_4cuda6detail10TensorInfoIT3_T6_EES8_S8_S8_NS6_IT4_S8_EES8_T5_,@function
_ZN2at6native20bitonicSortKVInPlaceILin2ELin1ELi16ELi16EblNS0_4LTOpIbLb1EEEjEEvNS_4cuda6detail10TensorInfoIT3_T6_EES8_S8_S8_NS6_IT4_S8_EES8_T5_: ; @_ZN2at6native20bitonicSortKVInPlaceILin2ELin1ELi16ELi16EblNS0_4LTOpIbLb1EEEjEEvNS_4cuda6detail10TensorInfoIT3_T6_EES8_S8_S8_NS6_IT4_S8_EES8_T5_
; %bb.0:
	s_load_dwordx2 s[2:3], s[4:5], 0x1c8
	s_load_dwordx4 s[12:15], s[4:5], 0xd8
	s_load_dword s9, s[4:5], 0x1d4
	s_add_u32 s0, s4, 0x1c8
	s_addc_u32 s1, s5, 0
	s_waitcnt lgkmcnt(0)
	s_mul_i32 s3, s3, s8
	s_add_i32 s3, s3, s7
	s_mul_i32 s2, s3, s2
	s_add_i32 s8, s2, s6
	s_lshr_b32 s2, s9, 16
	s_mul_i32 s8, s8, s2
	s_cmp_ge_u32 s8, s12
	s_cbranch_scc1 .LBB72_86
; %bb.1:
	s_load_dwordx2 s[6:7], s[4:5], 0x0
	s_load_dword s9, s[4:5], 0x1b8
	s_add_u32 s2, s4, 0xe8
	v_bfe_u32 v8, v0, 10, 10
	s_addc_u32 s3, s5, 0
	v_add_u32_e32 v1, s8, v8
	s_waitcnt lgkmcnt(0)
	s_cmp_lt_i32 s9, 2
	v_mov_b32_e32 v4, 0
	v_mov_b32_e32 v3, v1
	s_cbranch_scc1 .LBB72_4
; %bb.2:
	s_add_i32 s10, s9, 1
	s_add_i32 s8, s9, -1
	s_mov_b32 s9, 0
	s_lshl_b64 s[8:9], s[8:9], 2
	s_add_u32 s8, s8, s2
	s_addc_u32 s9, s9, s3
	s_add_u32 s8, s8, 8
	s_addc_u32 s9, s9, 0
	v_mov_b32_e32 v4, 0
	v_mov_b32_e32 v3, v1
.LBB72_3:                               ; =>This Inner Loop Header: Depth=1
	s_load_dword s11, s[8:9], 0x0
	s_load_dword s15, s[8:9], 0x64
	v_mov_b32_e32 v2, v3
	s_add_i32 s10, s10, -1
	s_waitcnt lgkmcnt(0)
	v_cvt_f32_u32_e32 v3, s11
	s_sub_i32 s16, 0, s11
	s_add_u32 s8, s8, -4
	s_addc_u32 s9, s9, -1
	v_rcp_iflag_f32_e32 v3, v3
	s_cmp_gt_u32 s10, 2
	v_mul_f32_e32 v3, 0x4f7ffffe, v3
	v_cvt_u32_f32_e32 v3, v3
	v_mul_lo_u32 v5, s16, v3
	v_mul_hi_u32 v5, v3, v5
	v_add_u32_e32 v3, v3, v5
	v_mul_hi_u32 v3, v2, v3
	v_mul_lo_u32 v5, v3, s11
	v_sub_u32_e32 v5, v2, v5
	v_add_u32_e32 v6, 1, v3
	v_cmp_le_u32_e32 vcc, s11, v5
	v_cndmask_b32_e32 v3, v3, v6, vcc
	v_subrev_u32_e32 v6, s11, v5
	v_cndmask_b32_e32 v5, v5, v6, vcc
	v_add_u32_e32 v6, 1, v3
	v_cmp_le_u32_e32 vcc, s11, v5
	v_cndmask_b32_e32 v3, v3, v6, vcc
	v_mul_lo_u32 v5, v3, s11
	v_sub_u32_e32 v2, v2, v5
	v_mad_u64_u32 v[4:5], s[16:17], s15, v2, v[4:5]
	s_cbranch_scc1 .LBB72_3
.LBB72_4:
	s_load_dword s8, s[4:5], 0x6c
	s_load_dword s15, s[4:5], 0x1c0
	;; [unrolled: 1-line block ×3, first 2 shown]
	v_cmp_gt_u32_e32 vcc, s12, v1
	s_load_dword s12, s[0:1], 0xc
	s_waitcnt lgkmcnt(0)
	v_mul_lo_u32 v2, s8, v1
	s_load_dwordx2 s[8:9], s[2:3], 0x0
	v_mad_u64_u32 v[4:5], s[2:3], s10, v3, v[4:5]
	v_and_b32_e32 v3, 0x3ff, v0
	v_cmp_gt_u32_e64 s[0:1], s13, v3
	v_pk_mov_b32 v[0:1], 0, 0
	s_and_b64 s[4:5], vcc, s[0:1]
	v_mov_b32_e32 v10, 0
	v_mov_b32_e32 v5, 0
	v_pk_mov_b32 v[6:7], v[0:1], v[0:1] op_sel:[0,1]
	s_and_saveexec_b64 s[10:11], s[4:5]
	s_cbranch_execz .LBB72_6
; %bb.5:
	v_mad_u64_u32 v[6:7], s[2:3], v3, s14, v[2:3]
	global_load_ubyte v5, v6, s[6:7]
	s_waitcnt lgkmcnt(0)
	v_mov_b32_e32 v9, s9
	s_waitcnt vmcnt(0)
	v_mad_u64_u32 v[6:7], s[2:3], v3, s15, v[4:5]
	v_mov_b32_e32 v7, 0
	v_lshlrev_b64 v[6:7], 3, v[6:7]
	v_add_co_u32_e64 v6, s[2:3], s8, v6
	v_addc_co_u32_e64 v7, s[2:3], v9, v7, s[2:3]
	global_load_dwordx2 v[6:7], v[6:7], off
.LBB72_6:
	s_or_b64 exec, exec, s[10:11]
	v_lshlrev_b32_e32 v9, 5, v8
	v_add_u32_e32 v16, 0x1000, v9
	v_add_u32_e32 v15, 0x1200, v9
	;; [unrolled: 1-line block ×3, first 2 shown]
	s_and_b32 s16, 0xffff, s12
	v_cndmask_b32_e64 v11, 0, 1, s[4:5]
	ds_write_b8 v9, v5
	v_add_u32_e32 v5, v15, v3
	ds_write_b8 v5, v11
	v_add_u32_e32 v5, s16, v3
	v_lshlrev_b32_e32 v13, 8, v8
	v_cmp_gt_u32_e64 s[2:3], s13, v5
	v_lshl_add_u32 v8, v3, 3, v13
	s_and_b64 s[10:11], vcc, s[2:3]
	s_waitcnt vmcnt(0)
	ds_write_b64 v8, v[6:7]
	s_and_saveexec_b64 s[12:13], s[10:11]
	s_cbranch_execz .LBB72_8
; %bb.7:
	v_mad_u64_u32 v[0:1], s[4:5], v5, s14, v[2:3]
	global_load_ubyte v10, v0, s[6:7]
	v_mad_u64_u32 v[0:1], s[4:5], v5, s15, v[4:5]
	v_mov_b32_e32 v1, 0
	v_lshlrev_b64 v[0:1], 3, v[0:1]
	s_waitcnt lgkmcnt(0)
	v_mov_b32_e32 v6, s9
	v_add_co_u32_e64 v0, s[4:5], s8, v0
	v_addc_co_u32_e64 v1, s[4:5], v6, v1, s[4:5]
	global_load_dwordx2 v[0:1], v[0:1], off
.LBB72_8:
	s_or_b64 exec, exec, s[12:13]
	v_lshl_add_u32 v6, s16, 3, v8
	v_lshlrev_b32_e32 v17, 1, v3
	v_cndmask_b32_e64 v11, 0, 1, s[10:11]
	v_add_u32_e32 v7, v16, v5
	s_waitcnt vmcnt(0)
	ds_write_b64 v6, v[0:1]
	v_add_u32_e32 v0, v15, v5
	v_add_u32_e32 v1, v16, v17
	ds_write_b8 v7, v10
	ds_write_b8 v0, v11
	s_waitcnt lgkmcnt(0)
	s_barrier
	ds_read_u16 v11, v1
	s_mov_b32 s16, 1
	v_add_u32_e32 v0, v15, v17
	s_waitcnt lgkmcnt(0)
	v_cmp_ge_u16_sdwa s[10:11], v11, v11 src0_sel:BYTE_0 src1_sel:BYTE_1
	v_cmp_lt_u16_sdwa s[4:5], v11, v11 src0_sel:BYTE_0 src1_sel:BYTE_1
	s_and_saveexec_b64 s[12:13], s[4:5]
	s_xor_b64 s[12:13], exec, s[12:13]
	s_cbranch_execz .LBB72_10
; %bb.9:
	ds_read_u8 v10, v0
	s_andn2_b64 s[10:11], s[10:11], exec
	s_waitcnt lgkmcnt(0)
	v_and_b32_e32 v10, 1, v10
	v_cmp_eq_u32_e64 s[4:5], 1, v10
	s_xor_b64 s[4:5], s[4:5], -1
	s_and_b64 s[4:5], s[4:5], exec
	s_or_b64 s[10:11], s[10:11], s[4:5]
.LBB72_10:
	s_or_b64 exec, exec, s[12:13]
	v_mov_b32_e32 v14, s16
	s_and_saveexec_b64 s[4:5], s[10:11]
	s_cbranch_execz .LBB72_12
; %bb.11:
	ds_read_u8 v10, v0 offset:1
	s_waitcnt lgkmcnt(0)
	v_xor_b32_e32 v14, 1, v10
.LBB72_12:
	s_or_b64 exec, exec, s[4:5]
	v_and_b32_e32 v12, 1, v3
	v_lshlrev_b32_e32 v10, 3, v3
	v_cmp_eq_u32_e64 s[4:5], v14, v12
	s_and_saveexec_b64 s[10:11], s[4:5]
	s_cbranch_execz .LBB72_14
; %bb.13:
	v_add_u32_e32 v14, v8, v10
	ds_read_b128 v[18:21], v14
	ds_read_u16 v24, v0
	v_lshlrev_b16_e32 v22, 8, v11
	v_or_b32_sdwa v11, v11, v22 dst_sel:DWORD dst_unused:UNUSED_PAD src0_sel:BYTE_1 src1_sel:DWORD
	s_mov_b32 s4, 0xc0c0001
	ds_write_b16 v1, v11
	s_waitcnt lgkmcnt(2)
	v_mov_b32_e32 v22, v18
	v_mov_b32_e32 v23, v19
	s_waitcnt lgkmcnt(1)
	v_perm_b32 v11, 0, v24, s4
	ds_write_b128 v14, v[20:23]
	ds_write_b16 v0, v11
.LBB72_14:
	s_or_b64 exec, exec, s[10:11]
	v_sub_u32_e32 v14, v17, v12
	v_add_u32_e32 v11, v16, v14
	s_waitcnt lgkmcnt(0)
	s_barrier
	ds_read_u8 v19, v11
	ds_read_u8 v20, v11 offset:2
	s_mov_b64 s[10:11], -1
	v_add_u32_e32 v12, v15, v14
                                        ; implicit-def: $sgpr16
	s_waitcnt lgkmcnt(0)
	v_cmp_lt_u16_e64 s[4:5], v19, v20
	s_and_saveexec_b64 s[12:13], s[4:5]
	s_xor_b64 s[12:13], exec, s[12:13]
	s_cbranch_execz .LBB72_16
; %bb.15:
	ds_read_u8 v18, v12
	s_mov_b32 s16, 1
	s_waitcnt lgkmcnt(0)
	v_and_b32_e32 v18, 1, v18
	v_cmp_eq_u32_e64 s[4:5], 1, v18
	s_xor_b64 s[4:5], s[4:5], -1
	s_orn2_b64 s[10:11], s[4:5], exec
.LBB72_16:
	s_or_b64 exec, exec, s[12:13]
	v_mov_b32_e32 v21, s16
	s_and_saveexec_b64 s[4:5], s[10:11]
	s_cbranch_execz .LBB72_18
; %bb.17:
	ds_read_u8 v18, v12 offset:2
	s_waitcnt lgkmcnt(0)
	v_xor_b32_e32 v21, 1, v18
.LBB72_18:
	s_or_b64 exec, exec, s[4:5]
	v_bfe_u32 v18, v3, 1, 1
	v_lshl_add_u32 v14, v14, 3, v13
	v_cmp_eq_u32_e64 s[4:5], v21, v18
	s_and_saveexec_b64 s[10:11], s[4:5]
	s_cbranch_execz .LBB72_20
; %bb.19:
	ds_read2_b64 v[22:25], v14 offset1:2
	ds_read_u8 v21, v12 offset:2
	ds_read_u8 v26, v12
	ds_write_b8 v11, v20
	ds_write_b8 v11, v19 offset:2
	s_waitcnt lgkmcnt(4)
	ds_write2_b64 v14, v[24:25], v[22:23] offset1:2
	s_waitcnt lgkmcnt(4)
	ds_write_b8 v12, v21
	s_waitcnt lgkmcnt(4)
	ds_write_b8 v12, v26 offset:2
.LBB72_20:
	s_or_b64 exec, exec, s[10:11]
	s_waitcnt lgkmcnt(0)
	s_barrier
	ds_read_u16 v19, v1
                                        ; implicit-def: $sgpr16
	s_waitcnt lgkmcnt(0)
	v_cmp_ge_u16_sdwa s[10:11], v19, v19 src0_sel:BYTE_0 src1_sel:BYTE_1
	v_cmp_lt_u16_sdwa s[4:5], v19, v19 src0_sel:BYTE_0 src1_sel:BYTE_1
	s_and_saveexec_b64 s[12:13], s[4:5]
	s_cbranch_execnz .LBB72_87
; %bb.21:
	s_or_b64 exec, exec, s[12:13]
	v_mov_b32_e32 v20, s16
	s_and_saveexec_b64 s[4:5], s[10:11]
	s_cbranch_execnz .LBB72_88
.LBB72_22:
	s_or_b64 exec, exec, s[4:5]
	v_cmp_eq_u32_e64 s[4:5], v20, v18
	s_and_saveexec_b64 s[10:11], s[4:5]
	s_cbranch_execz .LBB72_24
.LBB72_23:
	v_add_u32_e32 v24, v8, v10
	ds_read_b128 v[20:23], v24
	ds_read_u16 v25, v0
	v_lshlrev_b16_e32 v18, 8, v19
	v_or_b32_sdwa v18, v19, v18 dst_sel:DWORD dst_unused:UNUSED_PAD src0_sel:BYTE_1 src1_sel:DWORD
	ds_write_b16 v1, v18
	s_waitcnt lgkmcnt(2)
	v_mov_b32_e32 v18, v22
	v_mov_b32_e32 v19, v23
	s_mov_b32 s4, 0xc0c0001
	ds_write_b128 v24, v[18:21]
	s_waitcnt lgkmcnt(2)
	v_perm_b32 v18, 0, v25, s4
	ds_write_b16 v0, v18
.LBB72_24:
	s_or_b64 exec, exec, s[10:11]
	v_and_b32_e32 v18, 3, v3
	v_sub_u32_e32 v20, v17, v18
	v_add_u32_e32 v18, v16, v20
	s_waitcnt lgkmcnt(0)
	s_barrier
	ds_read_u8 v22, v18
	ds_read_u8 v23, v18 offset:4
	v_add_u32_e32 v19, v15, v20
                                        ; implicit-def: $sgpr16
	s_waitcnt lgkmcnt(0)
	v_cmp_ge_u16_e64 s[10:11], v22, v23
	v_cmp_lt_u16_e64 s[4:5], v22, v23
	s_and_saveexec_b64 s[12:13], s[4:5]
	s_cbranch_execz .LBB72_26
; %bb.25:
	ds_read_u8 v21, v19
	s_andn2_b64 s[10:11], s[10:11], exec
	s_mov_b32 s16, 1
	s_waitcnt lgkmcnt(0)
	v_and_b32_e32 v21, 1, v21
	v_cmp_eq_u32_e64 s[4:5], 1, v21
	s_xor_b64 s[4:5], s[4:5], -1
	s_and_b64 s[4:5], s[4:5], exec
	s_or_b64 s[10:11], s[10:11], s[4:5]
.LBB72_26:
	s_or_b64 exec, exec, s[12:13]
	v_mov_b32_e32 v24, s16
	s_and_saveexec_b64 s[4:5], s[10:11]
	s_cbranch_execz .LBB72_28
; %bb.27:
	ds_read_u8 v21, v19 offset:4
	s_waitcnt lgkmcnt(0)
	v_xor_b32_e32 v24, 1, v21
.LBB72_28:
	s_or_b64 exec, exec, s[4:5]
	v_bfe_u32 v21, v3, 2, 1
	v_lshl_add_u32 v20, v20, 3, v13
	v_cmp_eq_u32_e64 s[4:5], v24, v21
	s_and_saveexec_b64 s[10:11], s[4:5]
	s_cbranch_execz .LBB72_30
; %bb.29:
	ds_read2_b64 v[24:27], v20 offset1:4
	ds_read_u8 v28, v19 offset:4
	ds_read_u8 v29, v19
	ds_write_b8 v18, v23
	ds_write_b8 v18, v22 offset:4
	s_waitcnt lgkmcnt(4)
	ds_write2_b64 v20, v[26:27], v[24:25] offset1:4
	s_waitcnt lgkmcnt(4)
	ds_write_b8 v19, v28
	s_waitcnt lgkmcnt(4)
	ds_write_b8 v19, v29 offset:4
.LBB72_30:
	s_or_b64 exec, exec, s[10:11]
	s_waitcnt lgkmcnt(0)
	s_barrier
	ds_read_u8 v22, v11
	ds_read_u8 v23, v11 offset:2
                                        ; implicit-def: $sgpr16
	s_waitcnt lgkmcnt(0)
	v_cmp_ge_u16_e64 s[10:11], v22, v23
	v_cmp_lt_u16_e64 s[4:5], v22, v23
	s_and_saveexec_b64 s[12:13], s[4:5]
	s_cbranch_execnz .LBB72_89
; %bb.31:
	s_or_b64 exec, exec, s[12:13]
	v_mov_b32_e32 v24, s16
	s_and_saveexec_b64 s[4:5], s[10:11]
	s_cbranch_execnz .LBB72_90
.LBB72_32:
	s_or_b64 exec, exec, s[4:5]
	v_cmp_eq_u32_e64 s[4:5], v24, v21
	s_and_saveexec_b64 s[10:11], s[4:5]
	s_cbranch_execz .LBB72_34
.LBB72_33:
	ds_read2_b64 v[24:27], v14 offset1:2
	ds_read_u8 v28, v12 offset:2
	ds_read_u8 v29, v12
	ds_write_b8 v11, v23
	ds_write_b8 v11, v22 offset:2
	s_waitcnt lgkmcnt(4)
	ds_write2_b64 v14, v[26:27], v[24:25] offset1:2
	s_waitcnt lgkmcnt(4)
	ds_write_b8 v12, v28
	s_waitcnt lgkmcnt(4)
	ds_write_b8 v12, v29 offset:2
.LBB72_34:
	s_or_b64 exec, exec, s[10:11]
	s_waitcnt lgkmcnt(0)
	s_barrier
	ds_read_u16 v22, v1
                                        ; implicit-def: $sgpr16
	s_waitcnt lgkmcnt(0)
	v_cmp_ge_u16_sdwa s[10:11], v22, v22 src0_sel:BYTE_0 src1_sel:BYTE_1
	v_cmp_lt_u16_sdwa s[4:5], v22, v22 src0_sel:BYTE_0 src1_sel:BYTE_1
	s_and_saveexec_b64 s[12:13], s[4:5]
	s_cbranch_execnz .LBB72_91
; %bb.35:
	s_or_b64 exec, exec, s[12:13]
	v_mov_b32_e32 v23, s16
	s_and_saveexec_b64 s[4:5], s[10:11]
	s_cbranch_execnz .LBB72_92
.LBB72_36:
	s_or_b64 exec, exec, s[4:5]
	v_cmp_eq_u32_e64 s[4:5], v23, v21
	s_and_saveexec_b64 s[10:11], s[4:5]
	s_cbranch_execz .LBB72_38
.LBB72_37:
	v_add_u32_e32 v21, v8, v10
	ds_read_b128 v[24:27], v21
	ds_read_u16 v28, v0
	v_lshlrev_b16_e32 v23, 8, v22
	v_or_b32_sdwa v22, v22, v23 dst_sel:DWORD dst_unused:UNUSED_PAD src0_sel:BYTE_1 src1_sel:DWORD
	ds_write_b16 v1, v22
	s_waitcnt lgkmcnt(2)
	v_mov_b32_e32 v22, v26
	v_mov_b32_e32 v23, v27
	s_mov_b32 s4, 0xc0c0001
	ds_write_b128 v21, v[22:25]
	s_waitcnt lgkmcnt(2)
	v_perm_b32 v21, 0, v28, s4
	ds_write_b16 v0, v21
.LBB72_38:
	s_or_b64 exec, exec, s[10:11]
	v_and_b32_e32 v21, 7, v3
	v_sub_u32_e32 v23, v17, v21
	v_add_u32_e32 v21, v16, v23
	s_waitcnt lgkmcnt(0)
	s_barrier
	ds_read_u8 v25, v21
	ds_read_u8 v26, v21 offset:8
	v_add_u32_e32 v22, v15, v23
                                        ; implicit-def: $sgpr16
	s_waitcnt lgkmcnt(0)
	v_cmp_ge_u16_e64 s[10:11], v25, v26
	v_cmp_lt_u16_e64 s[4:5], v25, v26
	s_and_saveexec_b64 s[12:13], s[4:5]
	s_cbranch_execz .LBB72_40
; %bb.39:
	ds_read_u8 v24, v22
	s_andn2_b64 s[10:11], s[10:11], exec
	s_mov_b32 s16, 1
	s_waitcnt lgkmcnt(0)
	v_and_b32_e32 v24, 1, v24
	v_cmp_eq_u32_e64 s[4:5], 1, v24
	s_xor_b64 s[4:5], s[4:5], -1
	s_and_b64 s[4:5], s[4:5], exec
	s_or_b64 s[10:11], s[10:11], s[4:5]
.LBB72_40:
	s_or_b64 exec, exec, s[12:13]
	v_mov_b32_e32 v27, s16
	s_and_saveexec_b64 s[4:5], s[10:11]
	s_cbranch_execz .LBB72_42
; %bb.41:
	ds_read_u8 v24, v22 offset:8
	s_waitcnt lgkmcnt(0)
	v_xor_b32_e32 v27, 1, v24
.LBB72_42:
	s_or_b64 exec, exec, s[4:5]
	v_bfe_u32 v24, v3, 3, 1
	v_lshl_add_u32 v23, v23, 3, v13
	v_cmp_eq_u32_e64 s[4:5], v27, v24
	s_and_saveexec_b64 s[10:11], s[4:5]
	s_cbranch_execz .LBB72_44
; %bb.43:
	ds_read2_b64 v[28:31], v23 offset1:8
	ds_read_u8 v27, v22 offset:8
	ds_read_u8 v32, v22
	ds_write_b8 v21, v26
	ds_write_b8 v21, v25 offset:8
	s_waitcnt lgkmcnt(4)
	ds_write2_b64 v23, v[30:31], v[28:29] offset1:8
	s_waitcnt lgkmcnt(4)
	ds_write_b8 v22, v27
	s_waitcnt lgkmcnt(4)
	ds_write_b8 v22, v32 offset:8
.LBB72_44:
	s_or_b64 exec, exec, s[10:11]
	s_waitcnt lgkmcnt(0)
	s_barrier
	ds_read_u8 v25, v18
	ds_read_u8 v26, v18 offset:4
                                        ; implicit-def: $sgpr16
	s_waitcnt lgkmcnt(0)
	v_cmp_ge_u16_e64 s[10:11], v25, v26
	v_cmp_lt_u16_e64 s[4:5], v25, v26
	s_and_saveexec_b64 s[12:13], s[4:5]
	s_cbranch_execnz .LBB72_93
; %bb.45:
	s_or_b64 exec, exec, s[12:13]
	v_mov_b32_e32 v27, s16
	s_and_saveexec_b64 s[4:5], s[10:11]
	s_cbranch_execnz .LBB72_94
.LBB72_46:
	s_or_b64 exec, exec, s[4:5]
	v_cmp_eq_u32_e64 s[4:5], v27, v24
	s_and_saveexec_b64 s[10:11], s[4:5]
	s_cbranch_execz .LBB72_48
.LBB72_47:
	ds_read2_b64 v[28:31], v20 offset1:4
	ds_read_u8 v27, v19 offset:4
	ds_read_u8 v32, v19
	ds_write_b8 v18, v26
	ds_write_b8 v18, v25 offset:4
	s_waitcnt lgkmcnt(4)
	ds_write2_b64 v20, v[30:31], v[28:29] offset1:4
	s_waitcnt lgkmcnt(4)
	ds_write_b8 v19, v27
	s_waitcnt lgkmcnt(4)
	ds_write_b8 v19, v32 offset:4
.LBB72_48:
	s_or_b64 exec, exec, s[10:11]
	s_waitcnt lgkmcnt(0)
	s_barrier
	ds_read_u8 v25, v11
	ds_read_u8 v26, v11 offset:2
                                        ; implicit-def: $sgpr16
	s_waitcnt lgkmcnt(0)
	v_cmp_ge_u16_e64 s[10:11], v25, v26
	v_cmp_lt_u16_e64 s[4:5], v25, v26
	s_and_saveexec_b64 s[12:13], s[4:5]
	s_cbranch_execnz .LBB72_95
; %bb.49:
	s_or_b64 exec, exec, s[12:13]
	v_mov_b32_e32 v27, s16
	s_and_saveexec_b64 s[4:5], s[10:11]
	s_cbranch_execnz .LBB72_96
.LBB72_50:
	s_or_b64 exec, exec, s[4:5]
	v_cmp_eq_u32_e64 s[4:5], v27, v24
	s_and_saveexec_b64 s[10:11], s[4:5]
	s_cbranch_execz .LBB72_52
.LBB72_51:
	ds_read2_b64 v[28:31], v14 offset1:2
	ds_read_u8 v27, v12 offset:2
	ds_read_u8 v32, v12
	ds_write_b8 v11, v26
	ds_write_b8 v11, v25 offset:2
	s_waitcnt lgkmcnt(4)
	ds_write2_b64 v14, v[30:31], v[28:29] offset1:2
	s_waitcnt lgkmcnt(4)
	ds_write_b8 v12, v27
	s_waitcnt lgkmcnt(4)
	ds_write_b8 v12, v32 offset:2
.LBB72_52:
	s_or_b64 exec, exec, s[10:11]
	s_waitcnt lgkmcnt(0)
	s_barrier
	ds_read_u16 v25, v1
                                        ; implicit-def: $sgpr16
	s_waitcnt lgkmcnt(0)
	v_cmp_ge_u16_sdwa s[10:11], v25, v25 src0_sel:BYTE_0 src1_sel:BYTE_1
	v_cmp_lt_u16_sdwa s[4:5], v25, v25 src0_sel:BYTE_0 src1_sel:BYTE_1
	s_and_saveexec_b64 s[12:13], s[4:5]
	s_cbranch_execnz .LBB72_97
; %bb.53:
	s_or_b64 exec, exec, s[12:13]
	v_mov_b32_e32 v26, s16
	s_and_saveexec_b64 s[4:5], s[10:11]
	s_cbranch_execnz .LBB72_98
.LBB72_54:
	s_or_b64 exec, exec, s[4:5]
	v_cmp_eq_u32_e64 s[4:5], v26, v24
	s_and_saveexec_b64 s[10:11], s[4:5]
	s_cbranch_execz .LBB72_56
.LBB72_55:
	v_add_u32_e32 v30, v8, v10
	ds_read_b128 v[26:29], v30
	ds_read_u16 v31, v0
	v_lshlrev_b16_e32 v24, 8, v25
	v_or_b32_sdwa v24, v25, v24 dst_sel:DWORD dst_unused:UNUSED_PAD src0_sel:BYTE_1 src1_sel:DWORD
	ds_write_b16 v1, v24
	s_waitcnt lgkmcnt(2)
	v_mov_b32_e32 v24, v28
	v_mov_b32_e32 v25, v29
	s_mov_b32 s4, 0xc0c0001
	ds_write_b128 v30, v[24:27]
	s_waitcnt lgkmcnt(2)
	v_perm_b32 v24, 0, v31, s4
	ds_write_b16 v0, v24
.LBB72_56:
	s_or_b64 exec, exec, s[10:11]
	v_and_b32_e32 v24, 15, v3
	v_sub_u32_e32 v25, v17, v24
	v_add_u32_e32 v16, v16, v25
	s_waitcnt lgkmcnt(0)
	s_barrier
	ds_read_u8 v17, v16
	ds_read_u8 v24, v16 offset:16
	v_add_u32_e32 v15, v15, v25
	s_waitcnt lgkmcnt(0)
	v_cmp_ge_u16_e64 s[12:13], v17, v24
	v_cmp_lt_u16_e64 s[4:5], v17, v24
	s_and_saveexec_b64 s[10:11], s[4:5]
	s_cbranch_execz .LBB72_58
; %bb.57:
	ds_read_u8 v26, v15
	s_andn2_b64 s[12:13], s[12:13], exec
	s_waitcnt lgkmcnt(0)
	v_and_b32_e32 v26, 1, v26
	v_cmp_eq_u32_e64 s[4:5], 1, v26
	s_xor_b64 s[4:5], s[4:5], -1
	s_and_b64 s[4:5], s[4:5], exec
	s_or_b64 s[12:13], s[12:13], s[4:5]
.LBB72_58:
	s_or_b64 exec, exec, s[10:11]
	s_and_saveexec_b64 s[10:11], s[12:13]
	s_cbranch_execz .LBB72_61
; %bb.59:
	ds_read_u8 v26, v15 offset:16
	s_waitcnt lgkmcnt(0)
	v_cmp_ne_u16_e64 s[4:5], 0, v26
	s_and_b64 exec, exec, s[4:5]
	s_cbranch_execz .LBB72_61
; %bb.60:
	v_lshl_add_u32 v13, v25, 3, v13
	ds_read2_b64 v[28:31], v13 offset1:16
	ds_read_u8 v25, v15
	ds_write_b8 v16, v24
	ds_write_b8 v16, v17 offset:16
	ds_write_b8 v15, v26
	s_waitcnt lgkmcnt(4)
	ds_write2_b64 v13, v[30:31], v[28:29] offset1:16
	s_waitcnt lgkmcnt(4)
	ds_write_b8 v15, v25 offset:16
.LBB72_61:
	s_or_b64 exec, exec, s[10:11]
	s_waitcnt lgkmcnt(0)
	s_barrier
	ds_read_u8 v13, v21
	ds_read_u8 v15, v21 offset:8
	s_waitcnt lgkmcnt(0)
	v_cmp_ge_u16_e64 s[12:13], v13, v15
	v_cmp_lt_u16_e64 s[4:5], v13, v15
	s_and_saveexec_b64 s[10:11], s[4:5]
	s_cbranch_execz .LBB72_63
; %bb.62:
	ds_read_u8 v16, v22
	s_andn2_b64 s[12:13], s[12:13], exec
	s_waitcnt lgkmcnt(0)
	v_and_b32_e32 v16, 1, v16
	v_cmp_eq_u32_e64 s[4:5], 1, v16
	s_xor_b64 s[4:5], s[4:5], -1
	s_and_b64 s[4:5], s[4:5], exec
	s_or_b64 s[12:13], s[12:13], s[4:5]
.LBB72_63:
	s_or_b64 exec, exec, s[10:11]
	s_and_saveexec_b64 s[10:11], s[12:13]
	s_cbranch_execz .LBB72_66
; %bb.64:
	ds_read_u8 v16, v22 offset:8
	s_waitcnt lgkmcnt(0)
	v_cmp_ne_u16_e64 s[4:5], 0, v16
	s_and_b64 exec, exec, s[4:5]
	s_cbranch_execz .LBB72_66
; %bb.65:
	ds_read2_b64 v[24:27], v23 offset1:8
	ds_read_u8 v17, v22
	ds_write_b8 v21, v15
	ds_write_b8 v21, v13 offset:8
	ds_write_b8 v22, v16
	s_waitcnt lgkmcnt(4)
	ds_write2_b64 v23, v[26:27], v[24:25] offset1:8
	s_waitcnt lgkmcnt(4)
	ds_write_b8 v22, v17 offset:8
.LBB72_66:
	s_or_b64 exec, exec, s[10:11]
	s_waitcnt lgkmcnt(0)
	s_barrier
	ds_read_u8 v13, v18
	ds_read_u8 v15, v18 offset:4
	s_waitcnt lgkmcnt(0)
	v_cmp_ge_u16_e64 s[12:13], v13, v15
	v_cmp_lt_u16_e64 s[4:5], v13, v15
	s_and_saveexec_b64 s[10:11], s[4:5]
	s_cbranch_execz .LBB72_68
; %bb.67:
	ds_read_u8 v16, v19
	s_andn2_b64 s[12:13], s[12:13], exec
	s_waitcnt lgkmcnt(0)
	v_and_b32_e32 v16, 1, v16
	v_cmp_eq_u32_e64 s[4:5], 1, v16
	s_xor_b64 s[4:5], s[4:5], -1
	s_and_b64 s[4:5], s[4:5], exec
	s_or_b64 s[12:13], s[12:13], s[4:5]
.LBB72_68:
	s_or_b64 exec, exec, s[10:11]
	s_and_saveexec_b64 s[10:11], s[12:13]
	s_cbranch_execz .LBB72_71
; %bb.69:
	ds_read_u8 v16, v19 offset:4
	s_waitcnt lgkmcnt(0)
	v_cmp_ne_u16_e64 s[4:5], 0, v16
	s_and_b64 exec, exec, s[4:5]
	s_cbranch_execz .LBB72_71
; %bb.70:
	ds_read2_b64 v[22:25], v20 offset1:4
	ds_read_u8 v17, v19
	ds_write_b8 v18, v15
	ds_write_b8 v18, v13 offset:4
	ds_write_b8 v19, v16
	s_waitcnt lgkmcnt(4)
	ds_write2_b64 v20, v[24:25], v[22:23] offset1:4
	s_waitcnt lgkmcnt(4)
	ds_write_b8 v19, v17 offset:4
.LBB72_71:
	;; [unrolled: 40-line block ×3, first 2 shown]
	s_or_b64 exec, exec, s[10:11]
	s_waitcnt lgkmcnt(0)
	s_barrier
	ds_read_u16 v11, v1
	s_waitcnt lgkmcnt(0)
	v_cmp_ge_u16_sdwa s[12:13], v11, v11 src0_sel:BYTE_0 src1_sel:BYTE_1
	v_cmp_lt_u16_sdwa s[4:5], v11, v11 src0_sel:BYTE_0 src1_sel:BYTE_1
	s_and_saveexec_b64 s[10:11], s[4:5]
	s_cbranch_execz .LBB72_78
; %bb.77:
	ds_read_u8 v12, v0
	s_andn2_b64 s[12:13], s[12:13], exec
	s_waitcnt lgkmcnt(0)
	v_and_b32_e32 v12, 1, v12
	v_cmp_eq_u32_e64 s[4:5], 1, v12
	s_xor_b64 s[4:5], s[4:5], -1
	s_and_b64 s[4:5], s[4:5], exec
	s_or_b64 s[12:13], s[12:13], s[4:5]
.LBB72_78:
	s_or_b64 exec, exec, s[10:11]
	s_and_saveexec_b64 s[10:11], s[12:13]
	s_cbranch_execz .LBB72_81
; %bb.79:
	ds_read_u8 v12, v0 offset:1
	s_waitcnt lgkmcnt(0)
	v_cmp_ne_u16_e64 s[4:5], 0, v12
	s_and_b64 exec, exec, s[4:5]
	s_cbranch_execz .LBB72_81
; %bb.80:
	v_add_u32_e32 v10, v8, v10
	v_lshlrev_b16_e32 v13, 8, v11
	ds_read_b128 v[14:17], v10
	v_or_b32_sdwa v11, v11, v13 dst_sel:DWORD dst_unused:UNUSED_PAD src0_sel:BYTE_1 src1_sel:DWORD
	ds_read_u8 v13, v0
	ds_write_b16 v1, v11
	s_waitcnt lgkmcnt(2)
	v_mov_b32_e32 v18, v14
	v_mov_b32_e32 v19, v15
	s_waitcnt lgkmcnt(1)
	v_lshlrev_b16_e32 v1, 8, v13
	v_or_b32_e32 v1, v12, v1
	ds_write_b128 v10, v[16:19]
	ds_write_b16 v0, v1
.LBB72_81:
	s_or_b64 exec, exec, s[10:11]
	s_waitcnt lgkmcnt(0)
	s_barrier
	s_and_saveexec_b64 s[4:5], vcc
	s_cbranch_execz .LBB72_86
; %bb.82:
	s_and_saveexec_b64 s[4:5], s[0:1]
	s_cbranch_execz .LBB72_84
; %bb.83:
	ds_read_u8 v10, v9
	v_mad_u64_u32 v[0:1], s[0:1], v3, s14, v[2:3]
	ds_read_b64 v[8:9], v8
	s_waitcnt lgkmcnt(1)
	global_store_byte v0, v10, s[6:7]
	v_mad_u64_u32 v[0:1], s[0:1], v3, s15, v[4:5]
	v_mov_b32_e32 v1, 0
	v_lshlrev_b64 v[0:1], 3, v[0:1]
	v_mov_b32_e32 v3, s9
	v_add_co_u32_e32 v0, vcc, s8, v0
	v_addc_co_u32_e32 v1, vcc, v3, v1, vcc
	s_waitcnt lgkmcnt(0)
	global_store_dwordx2 v[0:1], v[8:9], off
.LBB72_84:
	s_or_b64 exec, exec, s[4:5]
	s_and_b64 exec, exec, s[2:3]
	s_cbranch_execz .LBB72_86
; %bb.85:
	ds_read_u8 v7, v7
	v_mad_u64_u32 v[0:1], s[0:1], v5, s14, v[2:3]
	ds_read_b64 v[2:3], v6
	s_waitcnt lgkmcnt(1)
	global_store_byte v0, v7, s[6:7]
	v_mad_u64_u32 v[0:1], s[0:1], v5, s15, v[4:5]
	v_mov_b32_e32 v1, 0
	v_lshlrev_b64 v[0:1], 3, v[0:1]
	v_mov_b32_e32 v4, s9
	v_add_co_u32_e32 v0, vcc, s8, v0
	v_addc_co_u32_e32 v1, vcc, v4, v1, vcc
	s_waitcnt lgkmcnt(0)
	global_store_dwordx2 v[0:1], v[2:3], off
.LBB72_86:
	s_endpgm
.LBB72_87:
	ds_read_u8 v20, v0
	s_andn2_b64 s[10:11], s[10:11], exec
	s_mov_b32 s16, 1
	s_waitcnt lgkmcnt(0)
	v_and_b32_e32 v20, 1, v20
	v_cmp_eq_u32_e64 s[4:5], 1, v20
	s_xor_b64 s[4:5], s[4:5], -1
	s_and_b64 s[4:5], s[4:5], exec
	s_or_b64 s[10:11], s[10:11], s[4:5]
	s_or_b64 exec, exec, s[12:13]
	v_mov_b32_e32 v20, s16
	s_and_saveexec_b64 s[4:5], s[10:11]
	s_cbranch_execz .LBB72_22
.LBB72_88:
	ds_read_u8 v20, v0 offset:1
	s_waitcnt lgkmcnt(0)
	v_xor_b32_e32 v20, 1, v20
	s_or_b64 exec, exec, s[4:5]
	v_cmp_eq_u32_e64 s[4:5], v20, v18
	s_and_saveexec_b64 s[10:11], s[4:5]
	s_cbranch_execnz .LBB72_23
	s_branch .LBB72_24
.LBB72_89:
	ds_read_u8 v24, v12
	s_andn2_b64 s[10:11], s[10:11], exec
	s_mov_b32 s16, 1
	s_waitcnt lgkmcnt(0)
	v_and_b32_e32 v24, 1, v24
	v_cmp_eq_u32_e64 s[4:5], 1, v24
	s_xor_b64 s[4:5], s[4:5], -1
	s_and_b64 s[4:5], s[4:5], exec
	s_or_b64 s[10:11], s[10:11], s[4:5]
	s_or_b64 exec, exec, s[12:13]
	v_mov_b32_e32 v24, s16
	s_and_saveexec_b64 s[4:5], s[10:11]
	s_cbranch_execz .LBB72_32
.LBB72_90:
	ds_read_u8 v24, v12 offset:2
	s_waitcnt lgkmcnt(0)
	v_xor_b32_e32 v24, 1, v24
	s_or_b64 exec, exec, s[4:5]
	v_cmp_eq_u32_e64 s[4:5], v24, v21
	s_and_saveexec_b64 s[10:11], s[4:5]
	s_cbranch_execnz .LBB72_33
	s_branch .LBB72_34
.LBB72_91:
	ds_read_u8 v23, v0
	s_andn2_b64 s[10:11], s[10:11], exec
	s_mov_b32 s16, 1
	s_waitcnt lgkmcnt(0)
	v_and_b32_e32 v23, 1, v23
	v_cmp_eq_u32_e64 s[4:5], 1, v23
	s_xor_b64 s[4:5], s[4:5], -1
	s_and_b64 s[4:5], s[4:5], exec
	s_or_b64 s[10:11], s[10:11], s[4:5]
	s_or_b64 exec, exec, s[12:13]
	v_mov_b32_e32 v23, s16
	s_and_saveexec_b64 s[4:5], s[10:11]
	s_cbranch_execz .LBB72_36
.LBB72_92:
	ds_read_u8 v23, v0 offset:1
	s_waitcnt lgkmcnt(0)
	v_xor_b32_e32 v23, 1, v23
	s_or_b64 exec, exec, s[4:5]
	v_cmp_eq_u32_e64 s[4:5], v23, v21
	s_and_saveexec_b64 s[10:11], s[4:5]
	s_cbranch_execnz .LBB72_37
	s_branch .LBB72_38
.LBB72_93:
	ds_read_u8 v27, v19
	s_andn2_b64 s[10:11], s[10:11], exec
	s_mov_b32 s16, 1
	s_waitcnt lgkmcnt(0)
	v_and_b32_e32 v27, 1, v27
	v_cmp_eq_u32_e64 s[4:5], 1, v27
	s_xor_b64 s[4:5], s[4:5], -1
	s_and_b64 s[4:5], s[4:5], exec
	s_or_b64 s[10:11], s[10:11], s[4:5]
	s_or_b64 exec, exec, s[12:13]
	v_mov_b32_e32 v27, s16
	s_and_saveexec_b64 s[4:5], s[10:11]
	s_cbranch_execz .LBB72_46
.LBB72_94:
	ds_read_u8 v27, v19 offset:4
	s_waitcnt lgkmcnt(0)
	v_xor_b32_e32 v27, 1, v27
	s_or_b64 exec, exec, s[4:5]
	v_cmp_eq_u32_e64 s[4:5], v27, v24
	s_and_saveexec_b64 s[10:11], s[4:5]
	s_cbranch_execnz .LBB72_47
	s_branch .LBB72_48
.LBB72_95:
	ds_read_u8 v27, v12
	s_andn2_b64 s[10:11], s[10:11], exec
	s_mov_b32 s16, 1
	s_waitcnt lgkmcnt(0)
	v_and_b32_e32 v27, 1, v27
	v_cmp_eq_u32_e64 s[4:5], 1, v27
	s_xor_b64 s[4:5], s[4:5], -1
	s_and_b64 s[4:5], s[4:5], exec
	s_or_b64 s[10:11], s[10:11], s[4:5]
	s_or_b64 exec, exec, s[12:13]
	v_mov_b32_e32 v27, s16
	s_and_saveexec_b64 s[4:5], s[10:11]
	s_cbranch_execz .LBB72_50
.LBB72_96:
	ds_read_u8 v27, v12 offset:2
	s_waitcnt lgkmcnt(0)
	v_xor_b32_e32 v27, 1, v27
	s_or_b64 exec, exec, s[4:5]
	v_cmp_eq_u32_e64 s[4:5], v27, v24
	s_and_saveexec_b64 s[10:11], s[4:5]
	s_cbranch_execnz .LBB72_51
	s_branch .LBB72_52
.LBB72_97:
	ds_read_u8 v26, v0
	s_andn2_b64 s[10:11], s[10:11], exec
	s_mov_b32 s16, 1
	s_waitcnt lgkmcnt(0)
	v_and_b32_e32 v26, 1, v26
	v_cmp_eq_u32_e64 s[4:5], 1, v26
	s_xor_b64 s[4:5], s[4:5], -1
	s_and_b64 s[4:5], s[4:5], exec
	s_or_b64 s[10:11], s[10:11], s[4:5]
	s_or_b64 exec, exec, s[12:13]
	v_mov_b32_e32 v26, s16
	s_and_saveexec_b64 s[4:5], s[10:11]
	s_cbranch_execz .LBB72_54
.LBB72_98:
	ds_read_u8 v26, v0 offset:1
	s_waitcnt lgkmcnt(0)
	v_xor_b32_e32 v26, 1, v26
	s_or_b64 exec, exec, s[4:5]
	v_cmp_eq_u32_e64 s[4:5], v26, v24
	s_and_saveexec_b64 s[10:11], s[4:5]
	s_cbranch_execnz .LBB72_55
	s_branch .LBB72_56
	.section	.rodata,"a",@progbits
	.p2align	6, 0x0
	.amdhsa_kernel _ZN2at6native20bitonicSortKVInPlaceILin2ELin1ELi16ELi16EblNS0_4LTOpIbLb1EEEjEEvNS_4cuda6detail10TensorInfoIT3_T6_EES8_S8_S8_NS6_IT4_S8_EES8_T5_
		.amdhsa_group_segment_fixed_size 5120
		.amdhsa_private_segment_fixed_size 0
		.amdhsa_kernarg_size 712
		.amdhsa_user_sgpr_count 6
		.amdhsa_user_sgpr_private_segment_buffer 1
		.amdhsa_user_sgpr_dispatch_ptr 0
		.amdhsa_user_sgpr_queue_ptr 0
		.amdhsa_user_sgpr_kernarg_segment_ptr 1
		.amdhsa_user_sgpr_dispatch_id 0
		.amdhsa_user_sgpr_flat_scratch_init 0
		.amdhsa_user_sgpr_kernarg_preload_length 0
		.amdhsa_user_sgpr_kernarg_preload_offset 0
		.amdhsa_user_sgpr_private_segment_size 0
		.amdhsa_uses_dynamic_stack 0
		.amdhsa_system_sgpr_private_segment_wavefront_offset 0
		.amdhsa_system_sgpr_workgroup_id_x 1
		.amdhsa_system_sgpr_workgroup_id_y 1
		.amdhsa_system_sgpr_workgroup_id_z 1
		.amdhsa_system_sgpr_workgroup_info 0
		.amdhsa_system_vgpr_workitem_id 1
		.amdhsa_next_free_vgpr 33
		.amdhsa_next_free_sgpr 18
		.amdhsa_accum_offset 36
		.amdhsa_reserve_vcc 1
		.amdhsa_reserve_flat_scratch 0
		.amdhsa_float_round_mode_32 0
		.amdhsa_float_round_mode_16_64 0
		.amdhsa_float_denorm_mode_32 3
		.amdhsa_float_denorm_mode_16_64 3
		.amdhsa_dx10_clamp 1
		.amdhsa_ieee_mode 1
		.amdhsa_fp16_overflow 0
		.amdhsa_tg_split 0
		.amdhsa_exception_fp_ieee_invalid_op 0
		.amdhsa_exception_fp_denorm_src 0
		.amdhsa_exception_fp_ieee_div_zero 0
		.amdhsa_exception_fp_ieee_overflow 0
		.amdhsa_exception_fp_ieee_underflow 0
		.amdhsa_exception_fp_ieee_inexact 0
		.amdhsa_exception_int_div_zero 0
	.end_amdhsa_kernel
	.section	.text._ZN2at6native20bitonicSortKVInPlaceILin2ELin1ELi16ELi16EblNS0_4LTOpIbLb1EEEjEEvNS_4cuda6detail10TensorInfoIT3_T6_EES8_S8_S8_NS6_IT4_S8_EES8_T5_,"axG",@progbits,_ZN2at6native20bitonicSortKVInPlaceILin2ELin1ELi16ELi16EblNS0_4LTOpIbLb1EEEjEEvNS_4cuda6detail10TensorInfoIT3_T6_EES8_S8_S8_NS6_IT4_S8_EES8_T5_,comdat
.Lfunc_end72:
	.size	_ZN2at6native20bitonicSortKVInPlaceILin2ELin1ELi16ELi16EblNS0_4LTOpIbLb1EEEjEEvNS_4cuda6detail10TensorInfoIT3_T6_EES8_S8_S8_NS6_IT4_S8_EES8_T5_, .Lfunc_end72-_ZN2at6native20bitonicSortKVInPlaceILin2ELin1ELi16ELi16EblNS0_4LTOpIbLb1EEEjEEvNS_4cuda6detail10TensorInfoIT3_T6_EES8_S8_S8_NS6_IT4_S8_EES8_T5_
                                        ; -- End function
	.section	.AMDGPU.csdata,"",@progbits
; Kernel info:
; codeLenInByte = 4632
; NumSgprs: 22
; NumVgprs: 33
; NumAgprs: 0
; TotalNumVgprs: 33
; ScratchSize: 0
; MemoryBound: 0
; FloatMode: 240
; IeeeMode: 1
; LDSByteSize: 5120 bytes/workgroup (compile time only)
; SGPRBlocks: 2
; VGPRBlocks: 4
; NumSGPRsForWavesPerEU: 22
; NumVGPRsForWavesPerEU: 33
; AccumOffset: 36
; Occupancy: 8
; WaveLimiterHint : 1
; COMPUTE_PGM_RSRC2:SCRATCH_EN: 0
; COMPUTE_PGM_RSRC2:USER_SGPR: 6
; COMPUTE_PGM_RSRC2:TRAP_HANDLER: 0
; COMPUTE_PGM_RSRC2:TGID_X_EN: 1
; COMPUTE_PGM_RSRC2:TGID_Y_EN: 1
; COMPUTE_PGM_RSRC2:TGID_Z_EN: 1
; COMPUTE_PGM_RSRC2:TIDIG_COMP_CNT: 1
; COMPUTE_PGM_RSRC3_GFX90A:ACCUM_OFFSET: 8
; COMPUTE_PGM_RSRC3_GFX90A:TG_SPLIT: 0
	.section	.text._ZN2at6native20bitonicSortKVInPlaceILin2ELin1ELi16ELi16EblNS0_4GTOpIbLb1EEEjEEvNS_4cuda6detail10TensorInfoIT3_T6_EES8_S8_S8_NS6_IT4_S8_EES8_T5_,"axG",@progbits,_ZN2at6native20bitonicSortKVInPlaceILin2ELin1ELi16ELi16EblNS0_4GTOpIbLb1EEEjEEvNS_4cuda6detail10TensorInfoIT3_T6_EES8_S8_S8_NS6_IT4_S8_EES8_T5_,comdat
	.protected	_ZN2at6native20bitonicSortKVInPlaceILin2ELin1ELi16ELi16EblNS0_4GTOpIbLb1EEEjEEvNS_4cuda6detail10TensorInfoIT3_T6_EES8_S8_S8_NS6_IT4_S8_EES8_T5_ ; -- Begin function _ZN2at6native20bitonicSortKVInPlaceILin2ELin1ELi16ELi16EblNS0_4GTOpIbLb1EEEjEEvNS_4cuda6detail10TensorInfoIT3_T6_EES8_S8_S8_NS6_IT4_S8_EES8_T5_
	.globl	_ZN2at6native20bitonicSortKVInPlaceILin2ELin1ELi16ELi16EblNS0_4GTOpIbLb1EEEjEEvNS_4cuda6detail10TensorInfoIT3_T6_EES8_S8_S8_NS6_IT4_S8_EES8_T5_
	.p2align	8
	.type	_ZN2at6native20bitonicSortKVInPlaceILin2ELin1ELi16ELi16EblNS0_4GTOpIbLb1EEEjEEvNS_4cuda6detail10TensorInfoIT3_T6_EES8_S8_S8_NS6_IT4_S8_EES8_T5_,@function
_ZN2at6native20bitonicSortKVInPlaceILin2ELin1ELi16ELi16EblNS0_4GTOpIbLb1EEEjEEvNS_4cuda6detail10TensorInfoIT3_T6_EES8_S8_S8_NS6_IT4_S8_EES8_T5_: ; @_ZN2at6native20bitonicSortKVInPlaceILin2ELin1ELi16ELi16EblNS0_4GTOpIbLb1EEEjEEvNS_4cuda6detail10TensorInfoIT3_T6_EES8_S8_S8_NS6_IT4_S8_EES8_T5_
; %bb.0:
	s_load_dwordx2 s[2:3], s[4:5], 0x1c8
	s_load_dwordx4 s[12:15], s[4:5], 0xd8
	s_load_dword s9, s[4:5], 0x1d4
	s_add_u32 s0, s4, 0x1c8
	s_addc_u32 s1, s5, 0
	s_waitcnt lgkmcnt(0)
	s_mul_i32 s3, s3, s8
	s_add_i32 s3, s3, s7
	s_mul_i32 s2, s3, s2
	s_add_i32 s8, s2, s6
	s_lshr_b32 s2, s9, 16
	s_mul_i32 s8, s8, s2
	s_cmp_ge_u32 s8, s12
	s_cbranch_scc1 .LBB73_86
; %bb.1:
	s_load_dwordx2 s[6:7], s[4:5], 0x0
	s_load_dword s9, s[4:5], 0x1b8
	s_add_u32 s2, s4, 0xe8
	v_bfe_u32 v8, v0, 10, 10
	s_addc_u32 s3, s5, 0
	v_add_u32_e32 v1, s8, v8
	s_waitcnt lgkmcnt(0)
	s_cmp_lt_i32 s9, 2
	v_mov_b32_e32 v4, 0
	v_mov_b32_e32 v3, v1
	s_cbranch_scc1 .LBB73_4
; %bb.2:
	s_add_i32 s10, s9, 1
	s_add_i32 s8, s9, -1
	s_mov_b32 s9, 0
	s_lshl_b64 s[8:9], s[8:9], 2
	s_add_u32 s8, s8, s2
	s_addc_u32 s9, s9, s3
	s_add_u32 s8, s8, 8
	s_addc_u32 s9, s9, 0
	v_mov_b32_e32 v4, 0
	v_mov_b32_e32 v3, v1
.LBB73_3:                               ; =>This Inner Loop Header: Depth=1
	s_load_dword s11, s[8:9], 0x0
	s_load_dword s15, s[8:9], 0x64
	v_mov_b32_e32 v2, v3
	s_add_i32 s10, s10, -1
	s_waitcnt lgkmcnt(0)
	v_cvt_f32_u32_e32 v3, s11
	s_sub_i32 s16, 0, s11
	s_add_u32 s8, s8, -4
	s_addc_u32 s9, s9, -1
	v_rcp_iflag_f32_e32 v3, v3
	s_cmp_gt_u32 s10, 2
	v_mul_f32_e32 v3, 0x4f7ffffe, v3
	v_cvt_u32_f32_e32 v3, v3
	v_mul_lo_u32 v5, s16, v3
	v_mul_hi_u32 v5, v3, v5
	v_add_u32_e32 v3, v3, v5
	v_mul_hi_u32 v3, v2, v3
	v_mul_lo_u32 v5, v3, s11
	v_sub_u32_e32 v5, v2, v5
	v_add_u32_e32 v6, 1, v3
	v_cmp_le_u32_e32 vcc, s11, v5
	v_cndmask_b32_e32 v3, v3, v6, vcc
	v_subrev_u32_e32 v6, s11, v5
	v_cndmask_b32_e32 v5, v5, v6, vcc
	v_add_u32_e32 v6, 1, v3
	v_cmp_le_u32_e32 vcc, s11, v5
	v_cndmask_b32_e32 v3, v3, v6, vcc
	v_mul_lo_u32 v5, v3, s11
	v_sub_u32_e32 v2, v2, v5
	v_mad_u64_u32 v[4:5], s[16:17], s15, v2, v[4:5]
	s_cbranch_scc1 .LBB73_3
.LBB73_4:
	s_load_dword s8, s[4:5], 0x6c
	s_load_dword s15, s[4:5], 0x1c0
	;; [unrolled: 1-line block ×3, first 2 shown]
	v_cmp_gt_u32_e32 vcc, s12, v1
	s_load_dword s12, s[0:1], 0xc
	s_waitcnt lgkmcnt(0)
	v_mul_lo_u32 v2, s8, v1
	s_load_dwordx2 s[8:9], s[2:3], 0x0
	v_mad_u64_u32 v[4:5], s[2:3], s10, v3, v[4:5]
	v_and_b32_e32 v3, 0x3ff, v0
	v_cmp_gt_u32_e64 s[0:1], s13, v3
	v_pk_mov_b32 v[0:1], 0, 0
	s_and_b64 s[4:5], vcc, s[0:1]
	v_mov_b32_e32 v10, 0
	v_mov_b32_e32 v5, 0
	v_pk_mov_b32 v[6:7], v[0:1], v[0:1] op_sel:[0,1]
	s_and_saveexec_b64 s[10:11], s[4:5]
	s_cbranch_execz .LBB73_6
; %bb.5:
	v_mad_u64_u32 v[6:7], s[2:3], v3, s14, v[2:3]
	global_load_ubyte v5, v6, s[6:7]
	s_waitcnt lgkmcnt(0)
	v_mov_b32_e32 v9, s9
	s_waitcnt vmcnt(0)
	v_mad_u64_u32 v[6:7], s[2:3], v3, s15, v[4:5]
	v_mov_b32_e32 v7, 0
	v_lshlrev_b64 v[6:7], 3, v[6:7]
	v_add_co_u32_e64 v6, s[2:3], s8, v6
	v_addc_co_u32_e64 v7, s[2:3], v9, v7, s[2:3]
	global_load_dwordx2 v[6:7], v[6:7], off
.LBB73_6:
	s_or_b64 exec, exec, s[10:11]
	v_lshlrev_b32_e32 v9, 5, v8
	v_add_u32_e32 v16, 0x1000, v9
	v_add_u32_e32 v15, 0x1200, v9
	;; [unrolled: 1-line block ×3, first 2 shown]
	s_and_b32 s16, 0xffff, s12
	v_cndmask_b32_e64 v11, 0, 1, s[4:5]
	ds_write_b8 v9, v5
	v_add_u32_e32 v5, v15, v3
	ds_write_b8 v5, v11
	v_add_u32_e32 v5, s16, v3
	v_lshlrev_b32_e32 v13, 8, v8
	v_cmp_gt_u32_e64 s[2:3], s13, v5
	v_lshl_add_u32 v8, v3, 3, v13
	s_and_b64 s[10:11], vcc, s[2:3]
	s_waitcnt vmcnt(0)
	ds_write_b64 v8, v[6:7]
	s_and_saveexec_b64 s[12:13], s[10:11]
	s_cbranch_execz .LBB73_8
; %bb.7:
	v_mad_u64_u32 v[0:1], s[4:5], v5, s14, v[2:3]
	global_load_ubyte v10, v0, s[6:7]
	v_mad_u64_u32 v[0:1], s[4:5], v5, s15, v[4:5]
	v_mov_b32_e32 v1, 0
	v_lshlrev_b64 v[0:1], 3, v[0:1]
	s_waitcnt lgkmcnt(0)
	v_mov_b32_e32 v6, s9
	v_add_co_u32_e64 v0, s[4:5], s8, v0
	v_addc_co_u32_e64 v1, s[4:5], v6, v1, s[4:5]
	global_load_dwordx2 v[0:1], v[0:1], off
.LBB73_8:
	s_or_b64 exec, exec, s[12:13]
	v_lshl_add_u32 v6, s16, 3, v8
	v_lshlrev_b32_e32 v17, 1, v3
	v_cndmask_b32_e64 v11, 0, 1, s[10:11]
	v_add_u32_e32 v7, v16, v5
	s_waitcnt vmcnt(0)
	ds_write_b64 v6, v[0:1]
	v_add_u32_e32 v0, v15, v5
	v_add_u32_e32 v1, v16, v17
	ds_write_b8 v7, v10
	ds_write_b8 v0, v11
	s_waitcnt lgkmcnt(0)
	s_barrier
	ds_read_u16 v11, v1
	s_mov_b32 s16, 1
	v_add_u32_e32 v0, v15, v17
	s_waitcnt lgkmcnt(0)
	v_cmp_le_u16_sdwa s[10:11], v11, v11 src0_sel:BYTE_0 src1_sel:BYTE_1
	v_cmp_gt_u16_sdwa s[4:5], v11, v11 src0_sel:BYTE_0 src1_sel:BYTE_1
	s_and_saveexec_b64 s[12:13], s[4:5]
	s_xor_b64 s[12:13], exec, s[12:13]
	s_cbranch_execz .LBB73_10
; %bb.9:
	ds_read_u8 v10, v0
	s_andn2_b64 s[10:11], s[10:11], exec
	s_waitcnt lgkmcnt(0)
	v_and_b32_e32 v10, 1, v10
	v_cmp_eq_u32_e64 s[4:5], 1, v10
	s_xor_b64 s[4:5], s[4:5], -1
	s_and_b64 s[4:5], s[4:5], exec
	s_or_b64 s[10:11], s[10:11], s[4:5]
.LBB73_10:
	s_or_b64 exec, exec, s[12:13]
	v_mov_b32_e32 v14, s16
	s_and_saveexec_b64 s[4:5], s[10:11]
	s_cbranch_execz .LBB73_12
; %bb.11:
	ds_read_u8 v10, v0 offset:1
	s_waitcnt lgkmcnt(0)
	v_xor_b32_e32 v14, 1, v10
.LBB73_12:
	s_or_b64 exec, exec, s[4:5]
	v_and_b32_e32 v12, 1, v3
	v_lshlrev_b32_e32 v10, 3, v3
	v_cmp_eq_u32_e64 s[4:5], v14, v12
	s_and_saveexec_b64 s[10:11], s[4:5]
	s_cbranch_execz .LBB73_14
; %bb.13:
	v_add_u32_e32 v14, v8, v10
	ds_read_b128 v[18:21], v14
	ds_read_u16 v24, v0
	v_lshlrev_b16_e32 v22, 8, v11
	v_or_b32_sdwa v11, v11, v22 dst_sel:DWORD dst_unused:UNUSED_PAD src0_sel:BYTE_1 src1_sel:DWORD
	s_mov_b32 s4, 0xc0c0001
	ds_write_b16 v1, v11
	s_waitcnt lgkmcnt(2)
	v_mov_b32_e32 v22, v18
	v_mov_b32_e32 v23, v19
	s_waitcnt lgkmcnt(1)
	v_perm_b32 v11, 0, v24, s4
	ds_write_b128 v14, v[20:23]
	ds_write_b16 v0, v11
.LBB73_14:
	s_or_b64 exec, exec, s[10:11]
	v_sub_u32_e32 v14, v17, v12
	v_add_u32_e32 v11, v16, v14
	s_waitcnt lgkmcnt(0)
	s_barrier
	ds_read_u8 v19, v11
	ds_read_u8 v20, v11 offset:2
	s_mov_b64 s[10:11], -1
	v_add_u32_e32 v12, v15, v14
                                        ; implicit-def: $sgpr16
	s_waitcnt lgkmcnt(0)
	v_cmp_gt_u16_e64 s[4:5], v19, v20
	s_and_saveexec_b64 s[12:13], s[4:5]
	s_xor_b64 s[12:13], exec, s[12:13]
	s_cbranch_execz .LBB73_16
; %bb.15:
	ds_read_u8 v18, v12
	s_mov_b32 s16, 1
	s_waitcnt lgkmcnt(0)
	v_and_b32_e32 v18, 1, v18
	v_cmp_eq_u32_e64 s[4:5], 1, v18
	s_xor_b64 s[4:5], s[4:5], -1
	s_orn2_b64 s[10:11], s[4:5], exec
.LBB73_16:
	s_or_b64 exec, exec, s[12:13]
	v_mov_b32_e32 v21, s16
	s_and_saveexec_b64 s[4:5], s[10:11]
	s_cbranch_execz .LBB73_18
; %bb.17:
	ds_read_u8 v18, v12 offset:2
	s_waitcnt lgkmcnt(0)
	v_xor_b32_e32 v21, 1, v18
.LBB73_18:
	s_or_b64 exec, exec, s[4:5]
	v_bfe_u32 v18, v3, 1, 1
	v_lshl_add_u32 v14, v14, 3, v13
	v_cmp_eq_u32_e64 s[4:5], v21, v18
	s_and_saveexec_b64 s[10:11], s[4:5]
	s_cbranch_execz .LBB73_20
; %bb.19:
	ds_read2_b64 v[22:25], v14 offset1:2
	ds_read_u8 v21, v12 offset:2
	ds_read_u8 v26, v12
	ds_write_b8 v11, v20
	ds_write_b8 v11, v19 offset:2
	s_waitcnt lgkmcnt(4)
	ds_write2_b64 v14, v[24:25], v[22:23] offset1:2
	s_waitcnt lgkmcnt(4)
	ds_write_b8 v12, v21
	s_waitcnt lgkmcnt(4)
	ds_write_b8 v12, v26 offset:2
.LBB73_20:
	s_or_b64 exec, exec, s[10:11]
	s_waitcnt lgkmcnt(0)
	s_barrier
	ds_read_u16 v19, v1
                                        ; implicit-def: $sgpr16
	s_waitcnt lgkmcnt(0)
	v_cmp_le_u16_sdwa s[10:11], v19, v19 src0_sel:BYTE_0 src1_sel:BYTE_1
	v_cmp_gt_u16_sdwa s[4:5], v19, v19 src0_sel:BYTE_0 src1_sel:BYTE_1
	s_and_saveexec_b64 s[12:13], s[4:5]
	s_cbranch_execnz .LBB73_87
; %bb.21:
	s_or_b64 exec, exec, s[12:13]
	v_mov_b32_e32 v20, s16
	s_and_saveexec_b64 s[4:5], s[10:11]
	s_cbranch_execnz .LBB73_88
.LBB73_22:
	s_or_b64 exec, exec, s[4:5]
	v_cmp_eq_u32_e64 s[4:5], v20, v18
	s_and_saveexec_b64 s[10:11], s[4:5]
	s_cbranch_execz .LBB73_24
.LBB73_23:
	v_add_u32_e32 v24, v8, v10
	ds_read_b128 v[20:23], v24
	ds_read_u16 v25, v0
	v_lshlrev_b16_e32 v18, 8, v19
	v_or_b32_sdwa v18, v19, v18 dst_sel:DWORD dst_unused:UNUSED_PAD src0_sel:BYTE_1 src1_sel:DWORD
	ds_write_b16 v1, v18
	s_waitcnt lgkmcnt(2)
	v_mov_b32_e32 v18, v22
	v_mov_b32_e32 v19, v23
	s_mov_b32 s4, 0xc0c0001
	ds_write_b128 v24, v[18:21]
	s_waitcnt lgkmcnt(2)
	v_perm_b32 v18, 0, v25, s4
	ds_write_b16 v0, v18
.LBB73_24:
	s_or_b64 exec, exec, s[10:11]
	v_and_b32_e32 v18, 3, v3
	v_sub_u32_e32 v20, v17, v18
	v_add_u32_e32 v18, v16, v20
	s_waitcnt lgkmcnt(0)
	s_barrier
	ds_read_u8 v22, v18
	ds_read_u8 v23, v18 offset:4
	v_add_u32_e32 v19, v15, v20
                                        ; implicit-def: $sgpr16
	s_waitcnt lgkmcnt(0)
	v_cmp_le_u16_e64 s[10:11], v22, v23
	v_cmp_gt_u16_e64 s[4:5], v22, v23
	s_and_saveexec_b64 s[12:13], s[4:5]
	s_cbranch_execz .LBB73_26
; %bb.25:
	ds_read_u8 v21, v19
	s_andn2_b64 s[10:11], s[10:11], exec
	s_mov_b32 s16, 1
	s_waitcnt lgkmcnt(0)
	v_and_b32_e32 v21, 1, v21
	v_cmp_eq_u32_e64 s[4:5], 1, v21
	s_xor_b64 s[4:5], s[4:5], -1
	s_and_b64 s[4:5], s[4:5], exec
	s_or_b64 s[10:11], s[10:11], s[4:5]
.LBB73_26:
	s_or_b64 exec, exec, s[12:13]
	v_mov_b32_e32 v24, s16
	s_and_saveexec_b64 s[4:5], s[10:11]
	s_cbranch_execz .LBB73_28
; %bb.27:
	ds_read_u8 v21, v19 offset:4
	s_waitcnt lgkmcnt(0)
	v_xor_b32_e32 v24, 1, v21
.LBB73_28:
	s_or_b64 exec, exec, s[4:5]
	v_bfe_u32 v21, v3, 2, 1
	v_lshl_add_u32 v20, v20, 3, v13
	v_cmp_eq_u32_e64 s[4:5], v24, v21
	s_and_saveexec_b64 s[10:11], s[4:5]
	s_cbranch_execz .LBB73_30
; %bb.29:
	ds_read2_b64 v[24:27], v20 offset1:4
	ds_read_u8 v28, v19 offset:4
	ds_read_u8 v29, v19
	ds_write_b8 v18, v23
	ds_write_b8 v18, v22 offset:4
	s_waitcnt lgkmcnt(4)
	ds_write2_b64 v20, v[26:27], v[24:25] offset1:4
	s_waitcnt lgkmcnt(4)
	ds_write_b8 v19, v28
	s_waitcnt lgkmcnt(4)
	ds_write_b8 v19, v29 offset:4
.LBB73_30:
	s_or_b64 exec, exec, s[10:11]
	s_waitcnt lgkmcnt(0)
	s_barrier
	ds_read_u8 v22, v11
	ds_read_u8 v23, v11 offset:2
                                        ; implicit-def: $sgpr16
	s_waitcnt lgkmcnt(0)
	v_cmp_le_u16_e64 s[10:11], v22, v23
	v_cmp_gt_u16_e64 s[4:5], v22, v23
	s_and_saveexec_b64 s[12:13], s[4:5]
	s_cbranch_execnz .LBB73_89
; %bb.31:
	s_or_b64 exec, exec, s[12:13]
	v_mov_b32_e32 v24, s16
	s_and_saveexec_b64 s[4:5], s[10:11]
	s_cbranch_execnz .LBB73_90
.LBB73_32:
	s_or_b64 exec, exec, s[4:5]
	v_cmp_eq_u32_e64 s[4:5], v24, v21
	s_and_saveexec_b64 s[10:11], s[4:5]
	s_cbranch_execz .LBB73_34
.LBB73_33:
	ds_read2_b64 v[24:27], v14 offset1:2
	ds_read_u8 v28, v12 offset:2
	ds_read_u8 v29, v12
	ds_write_b8 v11, v23
	ds_write_b8 v11, v22 offset:2
	s_waitcnt lgkmcnt(4)
	ds_write2_b64 v14, v[26:27], v[24:25] offset1:2
	s_waitcnt lgkmcnt(4)
	ds_write_b8 v12, v28
	s_waitcnt lgkmcnt(4)
	ds_write_b8 v12, v29 offset:2
.LBB73_34:
	s_or_b64 exec, exec, s[10:11]
	s_waitcnt lgkmcnt(0)
	s_barrier
	ds_read_u16 v22, v1
                                        ; implicit-def: $sgpr16
	s_waitcnt lgkmcnt(0)
	v_cmp_le_u16_sdwa s[10:11], v22, v22 src0_sel:BYTE_0 src1_sel:BYTE_1
	v_cmp_gt_u16_sdwa s[4:5], v22, v22 src0_sel:BYTE_0 src1_sel:BYTE_1
	s_and_saveexec_b64 s[12:13], s[4:5]
	s_cbranch_execnz .LBB73_91
; %bb.35:
	s_or_b64 exec, exec, s[12:13]
	v_mov_b32_e32 v23, s16
	s_and_saveexec_b64 s[4:5], s[10:11]
	s_cbranch_execnz .LBB73_92
.LBB73_36:
	s_or_b64 exec, exec, s[4:5]
	v_cmp_eq_u32_e64 s[4:5], v23, v21
	s_and_saveexec_b64 s[10:11], s[4:5]
	s_cbranch_execz .LBB73_38
.LBB73_37:
	v_add_u32_e32 v21, v8, v10
	ds_read_b128 v[24:27], v21
	ds_read_u16 v28, v0
	v_lshlrev_b16_e32 v23, 8, v22
	v_or_b32_sdwa v22, v22, v23 dst_sel:DWORD dst_unused:UNUSED_PAD src0_sel:BYTE_1 src1_sel:DWORD
	ds_write_b16 v1, v22
	s_waitcnt lgkmcnt(2)
	v_mov_b32_e32 v22, v26
	v_mov_b32_e32 v23, v27
	s_mov_b32 s4, 0xc0c0001
	ds_write_b128 v21, v[22:25]
	s_waitcnt lgkmcnt(2)
	v_perm_b32 v21, 0, v28, s4
	ds_write_b16 v0, v21
.LBB73_38:
	s_or_b64 exec, exec, s[10:11]
	v_and_b32_e32 v21, 7, v3
	v_sub_u32_e32 v23, v17, v21
	v_add_u32_e32 v21, v16, v23
	s_waitcnt lgkmcnt(0)
	s_barrier
	ds_read_u8 v25, v21
	ds_read_u8 v26, v21 offset:8
	v_add_u32_e32 v22, v15, v23
                                        ; implicit-def: $sgpr16
	s_waitcnt lgkmcnt(0)
	v_cmp_le_u16_e64 s[10:11], v25, v26
	v_cmp_gt_u16_e64 s[4:5], v25, v26
	s_and_saveexec_b64 s[12:13], s[4:5]
	s_cbranch_execz .LBB73_40
; %bb.39:
	ds_read_u8 v24, v22
	s_andn2_b64 s[10:11], s[10:11], exec
	s_mov_b32 s16, 1
	s_waitcnt lgkmcnt(0)
	v_and_b32_e32 v24, 1, v24
	v_cmp_eq_u32_e64 s[4:5], 1, v24
	s_xor_b64 s[4:5], s[4:5], -1
	s_and_b64 s[4:5], s[4:5], exec
	s_or_b64 s[10:11], s[10:11], s[4:5]
.LBB73_40:
	s_or_b64 exec, exec, s[12:13]
	v_mov_b32_e32 v27, s16
	s_and_saveexec_b64 s[4:5], s[10:11]
	s_cbranch_execz .LBB73_42
; %bb.41:
	ds_read_u8 v24, v22 offset:8
	s_waitcnt lgkmcnt(0)
	v_xor_b32_e32 v27, 1, v24
.LBB73_42:
	s_or_b64 exec, exec, s[4:5]
	v_bfe_u32 v24, v3, 3, 1
	v_lshl_add_u32 v23, v23, 3, v13
	v_cmp_eq_u32_e64 s[4:5], v27, v24
	s_and_saveexec_b64 s[10:11], s[4:5]
	s_cbranch_execz .LBB73_44
; %bb.43:
	ds_read2_b64 v[28:31], v23 offset1:8
	ds_read_u8 v27, v22 offset:8
	ds_read_u8 v32, v22
	ds_write_b8 v21, v26
	ds_write_b8 v21, v25 offset:8
	s_waitcnt lgkmcnt(4)
	ds_write2_b64 v23, v[30:31], v[28:29] offset1:8
	s_waitcnt lgkmcnt(4)
	ds_write_b8 v22, v27
	s_waitcnt lgkmcnt(4)
	ds_write_b8 v22, v32 offset:8
.LBB73_44:
	s_or_b64 exec, exec, s[10:11]
	s_waitcnt lgkmcnt(0)
	s_barrier
	ds_read_u8 v25, v18
	ds_read_u8 v26, v18 offset:4
                                        ; implicit-def: $sgpr16
	s_waitcnt lgkmcnt(0)
	v_cmp_le_u16_e64 s[10:11], v25, v26
	v_cmp_gt_u16_e64 s[4:5], v25, v26
	s_and_saveexec_b64 s[12:13], s[4:5]
	s_cbranch_execnz .LBB73_93
; %bb.45:
	s_or_b64 exec, exec, s[12:13]
	v_mov_b32_e32 v27, s16
	s_and_saveexec_b64 s[4:5], s[10:11]
	s_cbranch_execnz .LBB73_94
.LBB73_46:
	s_or_b64 exec, exec, s[4:5]
	v_cmp_eq_u32_e64 s[4:5], v27, v24
	s_and_saveexec_b64 s[10:11], s[4:5]
	s_cbranch_execz .LBB73_48
.LBB73_47:
	ds_read2_b64 v[28:31], v20 offset1:4
	ds_read_u8 v27, v19 offset:4
	ds_read_u8 v32, v19
	ds_write_b8 v18, v26
	ds_write_b8 v18, v25 offset:4
	s_waitcnt lgkmcnt(4)
	ds_write2_b64 v20, v[30:31], v[28:29] offset1:4
	s_waitcnt lgkmcnt(4)
	ds_write_b8 v19, v27
	s_waitcnt lgkmcnt(4)
	ds_write_b8 v19, v32 offset:4
.LBB73_48:
	s_or_b64 exec, exec, s[10:11]
	s_waitcnt lgkmcnt(0)
	s_barrier
	ds_read_u8 v25, v11
	ds_read_u8 v26, v11 offset:2
                                        ; implicit-def: $sgpr16
	s_waitcnt lgkmcnt(0)
	v_cmp_le_u16_e64 s[10:11], v25, v26
	v_cmp_gt_u16_e64 s[4:5], v25, v26
	s_and_saveexec_b64 s[12:13], s[4:5]
	s_cbranch_execnz .LBB73_95
; %bb.49:
	s_or_b64 exec, exec, s[12:13]
	v_mov_b32_e32 v27, s16
	s_and_saveexec_b64 s[4:5], s[10:11]
	s_cbranch_execnz .LBB73_96
.LBB73_50:
	s_or_b64 exec, exec, s[4:5]
	v_cmp_eq_u32_e64 s[4:5], v27, v24
	s_and_saveexec_b64 s[10:11], s[4:5]
	s_cbranch_execz .LBB73_52
.LBB73_51:
	ds_read2_b64 v[28:31], v14 offset1:2
	ds_read_u8 v27, v12 offset:2
	ds_read_u8 v32, v12
	ds_write_b8 v11, v26
	ds_write_b8 v11, v25 offset:2
	s_waitcnt lgkmcnt(4)
	ds_write2_b64 v14, v[30:31], v[28:29] offset1:2
	s_waitcnt lgkmcnt(4)
	ds_write_b8 v12, v27
	s_waitcnt lgkmcnt(4)
	ds_write_b8 v12, v32 offset:2
.LBB73_52:
	s_or_b64 exec, exec, s[10:11]
	s_waitcnt lgkmcnt(0)
	s_barrier
	ds_read_u16 v25, v1
                                        ; implicit-def: $sgpr16
	s_waitcnt lgkmcnt(0)
	v_cmp_le_u16_sdwa s[10:11], v25, v25 src0_sel:BYTE_0 src1_sel:BYTE_1
	v_cmp_gt_u16_sdwa s[4:5], v25, v25 src0_sel:BYTE_0 src1_sel:BYTE_1
	s_and_saveexec_b64 s[12:13], s[4:5]
	s_cbranch_execnz .LBB73_97
; %bb.53:
	s_or_b64 exec, exec, s[12:13]
	v_mov_b32_e32 v26, s16
	s_and_saveexec_b64 s[4:5], s[10:11]
	s_cbranch_execnz .LBB73_98
.LBB73_54:
	s_or_b64 exec, exec, s[4:5]
	v_cmp_eq_u32_e64 s[4:5], v26, v24
	s_and_saveexec_b64 s[10:11], s[4:5]
	s_cbranch_execz .LBB73_56
.LBB73_55:
	v_add_u32_e32 v30, v8, v10
	ds_read_b128 v[26:29], v30
	ds_read_u16 v31, v0
	v_lshlrev_b16_e32 v24, 8, v25
	v_or_b32_sdwa v24, v25, v24 dst_sel:DWORD dst_unused:UNUSED_PAD src0_sel:BYTE_1 src1_sel:DWORD
	ds_write_b16 v1, v24
	s_waitcnt lgkmcnt(2)
	v_mov_b32_e32 v24, v28
	v_mov_b32_e32 v25, v29
	s_mov_b32 s4, 0xc0c0001
	ds_write_b128 v30, v[24:27]
	s_waitcnt lgkmcnt(2)
	v_perm_b32 v24, 0, v31, s4
	ds_write_b16 v0, v24
.LBB73_56:
	s_or_b64 exec, exec, s[10:11]
	v_and_b32_e32 v24, 15, v3
	v_sub_u32_e32 v25, v17, v24
	v_add_u32_e32 v16, v16, v25
	s_waitcnt lgkmcnt(0)
	s_barrier
	ds_read_u8 v17, v16
	ds_read_u8 v24, v16 offset:16
	v_add_u32_e32 v15, v15, v25
	s_waitcnt lgkmcnt(0)
	v_cmp_le_u16_e64 s[12:13], v17, v24
	v_cmp_gt_u16_e64 s[4:5], v17, v24
	s_and_saveexec_b64 s[10:11], s[4:5]
	s_cbranch_execz .LBB73_58
; %bb.57:
	ds_read_u8 v26, v15
	s_andn2_b64 s[12:13], s[12:13], exec
	s_waitcnt lgkmcnt(0)
	v_and_b32_e32 v26, 1, v26
	v_cmp_eq_u32_e64 s[4:5], 1, v26
	s_xor_b64 s[4:5], s[4:5], -1
	s_and_b64 s[4:5], s[4:5], exec
	s_or_b64 s[12:13], s[12:13], s[4:5]
.LBB73_58:
	s_or_b64 exec, exec, s[10:11]
	s_and_saveexec_b64 s[10:11], s[12:13]
	s_cbranch_execz .LBB73_61
; %bb.59:
	ds_read_u8 v26, v15 offset:16
	s_waitcnt lgkmcnt(0)
	v_cmp_ne_u16_e64 s[4:5], 0, v26
	s_and_b64 exec, exec, s[4:5]
	s_cbranch_execz .LBB73_61
; %bb.60:
	v_lshl_add_u32 v13, v25, 3, v13
	ds_read2_b64 v[28:31], v13 offset1:16
	ds_read_u8 v25, v15
	ds_write_b8 v16, v24
	ds_write_b8 v16, v17 offset:16
	ds_write_b8 v15, v26
	s_waitcnt lgkmcnt(4)
	ds_write2_b64 v13, v[30:31], v[28:29] offset1:16
	s_waitcnt lgkmcnt(4)
	ds_write_b8 v15, v25 offset:16
.LBB73_61:
	s_or_b64 exec, exec, s[10:11]
	s_waitcnt lgkmcnt(0)
	s_barrier
	ds_read_u8 v13, v21
	ds_read_u8 v15, v21 offset:8
	s_waitcnt lgkmcnt(0)
	v_cmp_le_u16_e64 s[12:13], v13, v15
	v_cmp_gt_u16_e64 s[4:5], v13, v15
	s_and_saveexec_b64 s[10:11], s[4:5]
	s_cbranch_execz .LBB73_63
; %bb.62:
	ds_read_u8 v16, v22
	s_andn2_b64 s[12:13], s[12:13], exec
	s_waitcnt lgkmcnt(0)
	v_and_b32_e32 v16, 1, v16
	v_cmp_eq_u32_e64 s[4:5], 1, v16
	s_xor_b64 s[4:5], s[4:5], -1
	s_and_b64 s[4:5], s[4:5], exec
	s_or_b64 s[12:13], s[12:13], s[4:5]
.LBB73_63:
	s_or_b64 exec, exec, s[10:11]
	s_and_saveexec_b64 s[10:11], s[12:13]
	s_cbranch_execz .LBB73_66
; %bb.64:
	ds_read_u8 v16, v22 offset:8
	s_waitcnt lgkmcnt(0)
	v_cmp_ne_u16_e64 s[4:5], 0, v16
	s_and_b64 exec, exec, s[4:5]
	s_cbranch_execz .LBB73_66
; %bb.65:
	ds_read2_b64 v[24:27], v23 offset1:8
	ds_read_u8 v17, v22
	ds_write_b8 v21, v15
	ds_write_b8 v21, v13 offset:8
	ds_write_b8 v22, v16
	s_waitcnt lgkmcnt(4)
	ds_write2_b64 v23, v[26:27], v[24:25] offset1:8
	s_waitcnt lgkmcnt(4)
	ds_write_b8 v22, v17 offset:8
.LBB73_66:
	s_or_b64 exec, exec, s[10:11]
	s_waitcnt lgkmcnt(0)
	s_barrier
	ds_read_u8 v13, v18
	ds_read_u8 v15, v18 offset:4
	s_waitcnt lgkmcnt(0)
	v_cmp_le_u16_e64 s[12:13], v13, v15
	v_cmp_gt_u16_e64 s[4:5], v13, v15
	s_and_saveexec_b64 s[10:11], s[4:5]
	s_cbranch_execz .LBB73_68
; %bb.67:
	ds_read_u8 v16, v19
	s_andn2_b64 s[12:13], s[12:13], exec
	s_waitcnt lgkmcnt(0)
	v_and_b32_e32 v16, 1, v16
	v_cmp_eq_u32_e64 s[4:5], 1, v16
	s_xor_b64 s[4:5], s[4:5], -1
	s_and_b64 s[4:5], s[4:5], exec
	s_or_b64 s[12:13], s[12:13], s[4:5]
.LBB73_68:
	s_or_b64 exec, exec, s[10:11]
	s_and_saveexec_b64 s[10:11], s[12:13]
	s_cbranch_execz .LBB73_71
; %bb.69:
	ds_read_u8 v16, v19 offset:4
	s_waitcnt lgkmcnt(0)
	v_cmp_ne_u16_e64 s[4:5], 0, v16
	s_and_b64 exec, exec, s[4:5]
	s_cbranch_execz .LBB73_71
; %bb.70:
	ds_read2_b64 v[22:25], v20 offset1:4
	ds_read_u8 v17, v19
	ds_write_b8 v18, v15
	ds_write_b8 v18, v13 offset:4
	ds_write_b8 v19, v16
	s_waitcnt lgkmcnt(4)
	ds_write2_b64 v20, v[24:25], v[22:23] offset1:4
	s_waitcnt lgkmcnt(4)
	ds_write_b8 v19, v17 offset:4
.LBB73_71:
	s_or_b64 exec, exec, s[10:11]
	s_waitcnt lgkmcnt(0)
	s_barrier
	ds_read_u8 v13, v11
	ds_read_u8 v15, v11 offset:2
	s_waitcnt lgkmcnt(0)
	v_cmp_le_u16_e64 s[12:13], v13, v15
	v_cmp_gt_u16_e64 s[4:5], v13, v15
	s_and_saveexec_b64 s[10:11], s[4:5]
	s_cbranch_execz .LBB73_73
; %bb.72:
	ds_read_u8 v16, v12
	s_andn2_b64 s[12:13], s[12:13], exec
	s_waitcnt lgkmcnt(0)
	v_and_b32_e32 v16, 1, v16
	v_cmp_eq_u32_e64 s[4:5], 1, v16
	s_xor_b64 s[4:5], s[4:5], -1
	s_and_b64 s[4:5], s[4:5], exec
	s_or_b64 s[12:13], s[12:13], s[4:5]
.LBB73_73:
	s_or_b64 exec, exec, s[10:11]
	s_and_saveexec_b64 s[10:11], s[12:13]
	s_cbranch_execz .LBB73_76
; %bb.74:
	ds_read_u8 v16, v12 offset:2
	s_waitcnt lgkmcnt(0)
	v_cmp_ne_u16_e64 s[4:5], 0, v16
	s_and_b64 exec, exec, s[4:5]
	s_cbranch_execz .LBB73_76
; %bb.75:
	ds_read2_b64 v[18:21], v14 offset1:2
	ds_read_u8 v17, v12
	ds_write_b8 v11, v15
	ds_write_b8 v11, v13 offset:2
	ds_write_b8 v12, v16
	s_waitcnt lgkmcnt(4)
	ds_write2_b64 v14, v[20:21], v[18:19] offset1:2
	s_waitcnt lgkmcnt(4)
	ds_write_b8 v12, v17 offset:2
.LBB73_76:
	s_or_b64 exec, exec, s[10:11]
	s_waitcnt lgkmcnt(0)
	s_barrier
	ds_read_u16 v11, v1
	s_waitcnt lgkmcnt(0)
	v_cmp_le_u16_sdwa s[12:13], v11, v11 src0_sel:BYTE_0 src1_sel:BYTE_1
	v_cmp_gt_u16_sdwa s[4:5], v11, v11 src0_sel:BYTE_0 src1_sel:BYTE_1
	s_and_saveexec_b64 s[10:11], s[4:5]
	s_cbranch_execz .LBB73_78
; %bb.77:
	ds_read_u8 v12, v0
	s_andn2_b64 s[12:13], s[12:13], exec
	s_waitcnt lgkmcnt(0)
	v_and_b32_e32 v12, 1, v12
	v_cmp_eq_u32_e64 s[4:5], 1, v12
	s_xor_b64 s[4:5], s[4:5], -1
	s_and_b64 s[4:5], s[4:5], exec
	s_or_b64 s[12:13], s[12:13], s[4:5]
.LBB73_78:
	s_or_b64 exec, exec, s[10:11]
	s_and_saveexec_b64 s[10:11], s[12:13]
	s_cbranch_execz .LBB73_81
; %bb.79:
	ds_read_u8 v12, v0 offset:1
	s_waitcnt lgkmcnt(0)
	v_cmp_ne_u16_e64 s[4:5], 0, v12
	s_and_b64 exec, exec, s[4:5]
	s_cbranch_execz .LBB73_81
; %bb.80:
	v_add_u32_e32 v10, v8, v10
	v_lshlrev_b16_e32 v13, 8, v11
	ds_read_b128 v[14:17], v10
	v_or_b32_sdwa v11, v11, v13 dst_sel:DWORD dst_unused:UNUSED_PAD src0_sel:BYTE_1 src1_sel:DWORD
	ds_read_u8 v13, v0
	ds_write_b16 v1, v11
	s_waitcnt lgkmcnt(2)
	v_mov_b32_e32 v18, v14
	v_mov_b32_e32 v19, v15
	s_waitcnt lgkmcnt(1)
	v_lshlrev_b16_e32 v1, 8, v13
	v_or_b32_e32 v1, v12, v1
	ds_write_b128 v10, v[16:19]
	ds_write_b16 v0, v1
.LBB73_81:
	s_or_b64 exec, exec, s[10:11]
	s_waitcnt lgkmcnt(0)
	s_barrier
	s_and_saveexec_b64 s[4:5], vcc
	s_cbranch_execz .LBB73_86
; %bb.82:
	s_and_saveexec_b64 s[4:5], s[0:1]
	s_cbranch_execz .LBB73_84
; %bb.83:
	ds_read_u8 v10, v9
	v_mad_u64_u32 v[0:1], s[0:1], v3, s14, v[2:3]
	ds_read_b64 v[8:9], v8
	s_waitcnt lgkmcnt(1)
	global_store_byte v0, v10, s[6:7]
	v_mad_u64_u32 v[0:1], s[0:1], v3, s15, v[4:5]
	v_mov_b32_e32 v1, 0
	v_lshlrev_b64 v[0:1], 3, v[0:1]
	v_mov_b32_e32 v3, s9
	v_add_co_u32_e32 v0, vcc, s8, v0
	v_addc_co_u32_e32 v1, vcc, v3, v1, vcc
	s_waitcnt lgkmcnt(0)
	global_store_dwordx2 v[0:1], v[8:9], off
.LBB73_84:
	s_or_b64 exec, exec, s[4:5]
	s_and_b64 exec, exec, s[2:3]
	s_cbranch_execz .LBB73_86
; %bb.85:
	ds_read_u8 v7, v7
	v_mad_u64_u32 v[0:1], s[0:1], v5, s14, v[2:3]
	ds_read_b64 v[2:3], v6
	s_waitcnt lgkmcnt(1)
	global_store_byte v0, v7, s[6:7]
	v_mad_u64_u32 v[0:1], s[0:1], v5, s15, v[4:5]
	v_mov_b32_e32 v1, 0
	v_lshlrev_b64 v[0:1], 3, v[0:1]
	v_mov_b32_e32 v4, s9
	v_add_co_u32_e32 v0, vcc, s8, v0
	v_addc_co_u32_e32 v1, vcc, v4, v1, vcc
	s_waitcnt lgkmcnt(0)
	global_store_dwordx2 v[0:1], v[2:3], off
.LBB73_86:
	s_endpgm
.LBB73_87:
	ds_read_u8 v20, v0
	s_andn2_b64 s[10:11], s[10:11], exec
	s_mov_b32 s16, 1
	s_waitcnt lgkmcnt(0)
	v_and_b32_e32 v20, 1, v20
	v_cmp_eq_u32_e64 s[4:5], 1, v20
	s_xor_b64 s[4:5], s[4:5], -1
	s_and_b64 s[4:5], s[4:5], exec
	s_or_b64 s[10:11], s[10:11], s[4:5]
	s_or_b64 exec, exec, s[12:13]
	v_mov_b32_e32 v20, s16
	s_and_saveexec_b64 s[4:5], s[10:11]
	s_cbranch_execz .LBB73_22
.LBB73_88:
	ds_read_u8 v20, v0 offset:1
	s_waitcnt lgkmcnt(0)
	v_xor_b32_e32 v20, 1, v20
	s_or_b64 exec, exec, s[4:5]
	v_cmp_eq_u32_e64 s[4:5], v20, v18
	s_and_saveexec_b64 s[10:11], s[4:5]
	s_cbranch_execnz .LBB73_23
	s_branch .LBB73_24
.LBB73_89:
	ds_read_u8 v24, v12
	s_andn2_b64 s[10:11], s[10:11], exec
	s_mov_b32 s16, 1
	s_waitcnt lgkmcnt(0)
	v_and_b32_e32 v24, 1, v24
	v_cmp_eq_u32_e64 s[4:5], 1, v24
	s_xor_b64 s[4:5], s[4:5], -1
	s_and_b64 s[4:5], s[4:5], exec
	s_or_b64 s[10:11], s[10:11], s[4:5]
	s_or_b64 exec, exec, s[12:13]
	v_mov_b32_e32 v24, s16
	s_and_saveexec_b64 s[4:5], s[10:11]
	s_cbranch_execz .LBB73_32
.LBB73_90:
	ds_read_u8 v24, v12 offset:2
	s_waitcnt lgkmcnt(0)
	v_xor_b32_e32 v24, 1, v24
	s_or_b64 exec, exec, s[4:5]
	v_cmp_eq_u32_e64 s[4:5], v24, v21
	s_and_saveexec_b64 s[10:11], s[4:5]
	s_cbranch_execnz .LBB73_33
	s_branch .LBB73_34
.LBB73_91:
	ds_read_u8 v23, v0
	s_andn2_b64 s[10:11], s[10:11], exec
	s_mov_b32 s16, 1
	s_waitcnt lgkmcnt(0)
	v_and_b32_e32 v23, 1, v23
	v_cmp_eq_u32_e64 s[4:5], 1, v23
	s_xor_b64 s[4:5], s[4:5], -1
	s_and_b64 s[4:5], s[4:5], exec
	s_or_b64 s[10:11], s[10:11], s[4:5]
	s_or_b64 exec, exec, s[12:13]
	v_mov_b32_e32 v23, s16
	s_and_saveexec_b64 s[4:5], s[10:11]
	s_cbranch_execz .LBB73_36
.LBB73_92:
	ds_read_u8 v23, v0 offset:1
	s_waitcnt lgkmcnt(0)
	v_xor_b32_e32 v23, 1, v23
	s_or_b64 exec, exec, s[4:5]
	v_cmp_eq_u32_e64 s[4:5], v23, v21
	s_and_saveexec_b64 s[10:11], s[4:5]
	s_cbranch_execnz .LBB73_37
	s_branch .LBB73_38
.LBB73_93:
	ds_read_u8 v27, v19
	s_andn2_b64 s[10:11], s[10:11], exec
	s_mov_b32 s16, 1
	s_waitcnt lgkmcnt(0)
	v_and_b32_e32 v27, 1, v27
	v_cmp_eq_u32_e64 s[4:5], 1, v27
	s_xor_b64 s[4:5], s[4:5], -1
	s_and_b64 s[4:5], s[4:5], exec
	s_or_b64 s[10:11], s[10:11], s[4:5]
	s_or_b64 exec, exec, s[12:13]
	v_mov_b32_e32 v27, s16
	s_and_saveexec_b64 s[4:5], s[10:11]
	s_cbranch_execz .LBB73_46
.LBB73_94:
	ds_read_u8 v27, v19 offset:4
	s_waitcnt lgkmcnt(0)
	v_xor_b32_e32 v27, 1, v27
	s_or_b64 exec, exec, s[4:5]
	v_cmp_eq_u32_e64 s[4:5], v27, v24
	s_and_saveexec_b64 s[10:11], s[4:5]
	s_cbranch_execnz .LBB73_47
	s_branch .LBB73_48
.LBB73_95:
	ds_read_u8 v27, v12
	s_andn2_b64 s[10:11], s[10:11], exec
	s_mov_b32 s16, 1
	s_waitcnt lgkmcnt(0)
	v_and_b32_e32 v27, 1, v27
	v_cmp_eq_u32_e64 s[4:5], 1, v27
	s_xor_b64 s[4:5], s[4:5], -1
	s_and_b64 s[4:5], s[4:5], exec
	s_or_b64 s[10:11], s[10:11], s[4:5]
	s_or_b64 exec, exec, s[12:13]
	v_mov_b32_e32 v27, s16
	s_and_saveexec_b64 s[4:5], s[10:11]
	s_cbranch_execz .LBB73_50
.LBB73_96:
	ds_read_u8 v27, v12 offset:2
	s_waitcnt lgkmcnt(0)
	v_xor_b32_e32 v27, 1, v27
	s_or_b64 exec, exec, s[4:5]
	v_cmp_eq_u32_e64 s[4:5], v27, v24
	s_and_saveexec_b64 s[10:11], s[4:5]
	s_cbranch_execnz .LBB73_51
	s_branch .LBB73_52
.LBB73_97:
	ds_read_u8 v26, v0
	s_andn2_b64 s[10:11], s[10:11], exec
	s_mov_b32 s16, 1
	s_waitcnt lgkmcnt(0)
	v_and_b32_e32 v26, 1, v26
	v_cmp_eq_u32_e64 s[4:5], 1, v26
	s_xor_b64 s[4:5], s[4:5], -1
	s_and_b64 s[4:5], s[4:5], exec
	s_or_b64 s[10:11], s[10:11], s[4:5]
	s_or_b64 exec, exec, s[12:13]
	v_mov_b32_e32 v26, s16
	s_and_saveexec_b64 s[4:5], s[10:11]
	s_cbranch_execz .LBB73_54
.LBB73_98:
	ds_read_u8 v26, v0 offset:1
	s_waitcnt lgkmcnt(0)
	v_xor_b32_e32 v26, 1, v26
	s_or_b64 exec, exec, s[4:5]
	v_cmp_eq_u32_e64 s[4:5], v26, v24
	s_and_saveexec_b64 s[10:11], s[4:5]
	s_cbranch_execnz .LBB73_55
	s_branch .LBB73_56
	.section	.rodata,"a",@progbits
	.p2align	6, 0x0
	.amdhsa_kernel _ZN2at6native20bitonicSortKVInPlaceILin2ELin1ELi16ELi16EblNS0_4GTOpIbLb1EEEjEEvNS_4cuda6detail10TensorInfoIT3_T6_EES8_S8_S8_NS6_IT4_S8_EES8_T5_
		.amdhsa_group_segment_fixed_size 5120
		.amdhsa_private_segment_fixed_size 0
		.amdhsa_kernarg_size 712
		.amdhsa_user_sgpr_count 6
		.amdhsa_user_sgpr_private_segment_buffer 1
		.amdhsa_user_sgpr_dispatch_ptr 0
		.amdhsa_user_sgpr_queue_ptr 0
		.amdhsa_user_sgpr_kernarg_segment_ptr 1
		.amdhsa_user_sgpr_dispatch_id 0
		.amdhsa_user_sgpr_flat_scratch_init 0
		.amdhsa_user_sgpr_kernarg_preload_length 0
		.amdhsa_user_sgpr_kernarg_preload_offset 0
		.amdhsa_user_sgpr_private_segment_size 0
		.amdhsa_uses_dynamic_stack 0
		.amdhsa_system_sgpr_private_segment_wavefront_offset 0
		.amdhsa_system_sgpr_workgroup_id_x 1
		.amdhsa_system_sgpr_workgroup_id_y 1
		.amdhsa_system_sgpr_workgroup_id_z 1
		.amdhsa_system_sgpr_workgroup_info 0
		.amdhsa_system_vgpr_workitem_id 1
		.amdhsa_next_free_vgpr 33
		.amdhsa_next_free_sgpr 18
		.amdhsa_accum_offset 36
		.amdhsa_reserve_vcc 1
		.amdhsa_reserve_flat_scratch 0
		.amdhsa_float_round_mode_32 0
		.amdhsa_float_round_mode_16_64 0
		.amdhsa_float_denorm_mode_32 3
		.amdhsa_float_denorm_mode_16_64 3
		.amdhsa_dx10_clamp 1
		.amdhsa_ieee_mode 1
		.amdhsa_fp16_overflow 0
		.amdhsa_tg_split 0
		.amdhsa_exception_fp_ieee_invalid_op 0
		.amdhsa_exception_fp_denorm_src 0
		.amdhsa_exception_fp_ieee_div_zero 0
		.amdhsa_exception_fp_ieee_overflow 0
		.amdhsa_exception_fp_ieee_underflow 0
		.amdhsa_exception_fp_ieee_inexact 0
		.amdhsa_exception_int_div_zero 0
	.end_amdhsa_kernel
	.section	.text._ZN2at6native20bitonicSortKVInPlaceILin2ELin1ELi16ELi16EblNS0_4GTOpIbLb1EEEjEEvNS_4cuda6detail10TensorInfoIT3_T6_EES8_S8_S8_NS6_IT4_S8_EES8_T5_,"axG",@progbits,_ZN2at6native20bitonicSortKVInPlaceILin2ELin1ELi16ELi16EblNS0_4GTOpIbLb1EEEjEEvNS_4cuda6detail10TensorInfoIT3_T6_EES8_S8_S8_NS6_IT4_S8_EES8_T5_,comdat
.Lfunc_end73:
	.size	_ZN2at6native20bitonicSortKVInPlaceILin2ELin1ELi16ELi16EblNS0_4GTOpIbLb1EEEjEEvNS_4cuda6detail10TensorInfoIT3_T6_EES8_S8_S8_NS6_IT4_S8_EES8_T5_, .Lfunc_end73-_ZN2at6native20bitonicSortKVInPlaceILin2ELin1ELi16ELi16EblNS0_4GTOpIbLb1EEEjEEvNS_4cuda6detail10TensorInfoIT3_T6_EES8_S8_S8_NS6_IT4_S8_EES8_T5_
                                        ; -- End function
	.section	.AMDGPU.csdata,"",@progbits
; Kernel info:
; codeLenInByte = 4632
; NumSgprs: 22
; NumVgprs: 33
; NumAgprs: 0
; TotalNumVgprs: 33
; ScratchSize: 0
; MemoryBound: 0
; FloatMode: 240
; IeeeMode: 1
; LDSByteSize: 5120 bytes/workgroup (compile time only)
; SGPRBlocks: 2
; VGPRBlocks: 4
; NumSGPRsForWavesPerEU: 22
; NumVGPRsForWavesPerEU: 33
; AccumOffset: 36
; Occupancy: 8
; WaveLimiterHint : 1
; COMPUTE_PGM_RSRC2:SCRATCH_EN: 0
; COMPUTE_PGM_RSRC2:USER_SGPR: 6
; COMPUTE_PGM_RSRC2:TRAP_HANDLER: 0
; COMPUTE_PGM_RSRC2:TGID_X_EN: 1
; COMPUTE_PGM_RSRC2:TGID_Y_EN: 1
; COMPUTE_PGM_RSRC2:TGID_Z_EN: 1
; COMPUTE_PGM_RSRC2:TIDIG_COMP_CNT: 1
; COMPUTE_PGM_RSRC3_GFX90A:ACCUM_OFFSET: 8
; COMPUTE_PGM_RSRC3_GFX90A:TG_SPLIT: 0
	.section	.text._ZN2at6native20bitonicSortKVInPlaceILi2ELin1ELi16ELi16EblNS0_4LTOpIbLb1EEEjEEvNS_4cuda6detail10TensorInfoIT3_T6_EES8_S8_S8_NS6_IT4_S8_EES8_T5_,"axG",@progbits,_ZN2at6native20bitonicSortKVInPlaceILi2ELin1ELi16ELi16EblNS0_4LTOpIbLb1EEEjEEvNS_4cuda6detail10TensorInfoIT3_T6_EES8_S8_S8_NS6_IT4_S8_EES8_T5_,comdat
	.protected	_ZN2at6native20bitonicSortKVInPlaceILi2ELin1ELi16ELi16EblNS0_4LTOpIbLb1EEEjEEvNS_4cuda6detail10TensorInfoIT3_T6_EES8_S8_S8_NS6_IT4_S8_EES8_T5_ ; -- Begin function _ZN2at6native20bitonicSortKVInPlaceILi2ELin1ELi16ELi16EblNS0_4LTOpIbLb1EEEjEEvNS_4cuda6detail10TensorInfoIT3_T6_EES8_S8_S8_NS6_IT4_S8_EES8_T5_
	.globl	_ZN2at6native20bitonicSortKVInPlaceILi2ELin1ELi16ELi16EblNS0_4LTOpIbLb1EEEjEEvNS_4cuda6detail10TensorInfoIT3_T6_EES8_S8_S8_NS6_IT4_S8_EES8_T5_
	.p2align	8
	.type	_ZN2at6native20bitonicSortKVInPlaceILi2ELin1ELi16ELi16EblNS0_4LTOpIbLb1EEEjEEvNS_4cuda6detail10TensorInfoIT3_T6_EES8_S8_S8_NS6_IT4_S8_EES8_T5_,@function
_ZN2at6native20bitonicSortKVInPlaceILi2ELin1ELi16ELi16EblNS0_4LTOpIbLb1EEEjEEvNS_4cuda6detail10TensorInfoIT3_T6_EES8_S8_S8_NS6_IT4_S8_EES8_T5_: ; @_ZN2at6native20bitonicSortKVInPlaceILi2ELin1ELi16ELi16EblNS0_4LTOpIbLb1EEEjEEvNS_4cuda6detail10TensorInfoIT3_T6_EES8_S8_S8_NS6_IT4_S8_EES8_T5_
; %bb.0:
	s_load_dwordx2 s[0:1], s[4:5], 0x1c8
	s_load_dwordx4 s[12:15], s[4:5], 0xd8
	s_load_dword s9, s[4:5], 0x1d4
	s_add_u32 s2, s4, 0x1c8
	s_addc_u32 s3, s5, 0
	s_waitcnt lgkmcnt(0)
	s_mul_i32 s1, s1, s8
	s_add_i32 s1, s1, s7
	s_mul_i32 s0, s1, s0
	s_add_i32 s0, s0, s6
	s_lshr_b32 s1, s9, 16
	s_mul_i32 s0, s0, s1
	s_cmp_ge_u32 s0, s12
	s_cbranch_scc1 .LBB74_86
; %bb.1:
	s_load_dword s15, s[4:5], 0xc
	s_load_dwordx2 s[8:9], s[4:5], 0x6c
	s_load_dword s17, s[4:5], 0x1b8
	s_add_u32 s10, s4, 0xe8
	v_bfe_u32 v8, v0, 10, 10
	s_waitcnt lgkmcnt(0)
	v_cvt_f32_u32_e32 v1, s15
	s_load_dwordx2 s[6:7], s[4:5], 0x0
	s_addc_u32 s11, s5, 0
	s_mov_b32 s1, 0
	v_rcp_iflag_f32_e32 v1, v1
	v_mov_b32_e32 v4, 0
	v_mul_f32_e32 v1, 0x4f7ffffe, v1
	v_cvt_u32_f32_e32 v2, v1
	v_add_u32_e32 v1, s0, v8
	s_sub_i32 s0, 0, s15
	s_cmp_lt_i32 s17, 2
	v_mul_lo_u32 v3, s0, v2
	v_mul_hi_u32 v3, v2, v3
	v_add_u32_e32 v2, v2, v3
	v_mad_u64_u32 v[2:3], s[18:19], v1, v2, 0
	v_mov_b32_e32 v6, v1
	s_cbranch_scc1 .LBB74_4
; %bb.2:
	s_add_i32 s0, s17, -1
	s_add_i32 s16, s17, 1
	s_lshl_b64 s[0:1], s[0:1], 2
	s_add_u32 s0, s0, s10
	s_addc_u32 s1, s1, s11
	s_add_u32 s0, s0, 8
	s_addc_u32 s1, s1, 0
	v_mov_b32_e32 v4, 0
	v_mov_b32_e32 v6, v1
.LBB74_3:                               ; =>This Inner Loop Header: Depth=1
	s_load_dword s17, s[0:1], 0x0
	s_load_dword s18, s[0:1], 0x64
	v_mov_b32_e32 v2, v6
	s_add_i32 s16, s16, -1
	s_waitcnt lgkmcnt(0)
	v_cvt_f32_u32_e32 v5, s17
	s_sub_i32 s19, 0, s17
	s_add_u32 s0, s0, -4
	s_addc_u32 s1, s1, -1
	v_rcp_iflag_f32_e32 v5, v5
	s_cmp_gt_u32 s16, 2
	v_mul_f32_e32 v5, 0x4f7ffffe, v5
	v_cvt_u32_f32_e32 v5, v5
	v_mul_lo_u32 v6, s19, v5
	v_mul_hi_u32 v6, v5, v6
	v_add_u32_e32 v5, v5, v6
	v_mul_hi_u32 v5, v2, v5
	v_mul_lo_u32 v6, v5, s17
	v_sub_u32_e32 v6, v2, v6
	v_add_u32_e32 v7, 1, v5
	v_cmp_le_u32_e32 vcc, s17, v6
	v_cndmask_b32_e32 v5, v5, v7, vcc
	v_subrev_u32_e32 v7, s17, v6
	v_cndmask_b32_e32 v6, v6, v7, vcc
	v_add_u32_e32 v7, 1, v5
	v_cmp_le_u32_e32 vcc, s17, v6
	v_cndmask_b32_e32 v6, v5, v7, vcc
	v_mul_lo_u32 v5, v6, s17
	v_sub_u32_e32 v2, v2, v5
	v_mad_u64_u32 v[4:5], s[18:19], s18, v2, v[4:5]
	s_cbranch_scc1 .LBB74_3
.LBB74_4:
	v_mul_lo_u32 v2, v3, s15
	v_sub_u32_e32 v2, v1, v2
	v_add_u32_e32 v5, 1, v3
	v_cmp_le_u32_e64 s[0:1], s15, v2
	v_cndmask_b32_e64 v3, v3, v5, s[0:1]
	v_subrev_u32_e32 v5, s15, v2
	v_cndmask_b32_e64 v2, v2, v5, s[0:1]
	v_add_u32_e32 v5, 1, v3
	v_cmp_le_u32_e64 s[0:1], s15, v2
	v_cndmask_b32_e64 v3, v3, v5, s[0:1]
	v_cmp_gt_u32_e32 vcc, s12, v1
	v_mul_lo_u32 v2, v3, s15
	s_load_dword s15, s[4:5], 0x1c0
	s_load_dword s12, s[10:11], 0x6c
	v_sub_u32_e32 v1, v1, v2
	v_mul_lo_u32 v2, v1, s9
	v_mad_u64_u32 v[2:3], s[0:1], v3, s8, v[2:3]
	s_load_dwordx2 s[8:9], s[10:11], 0x0
	s_waitcnt lgkmcnt(0)
	v_mad_u64_u32 v[4:5], s[0:1], s12, v6, v[4:5]
	s_load_dword s12, s[2:3], 0xc
	v_and_b32_e32 v3, 0x3ff, v0
	v_cmp_gt_u32_e64 s[0:1], s13, v3
	v_pk_mov_b32 v[0:1], 0, 0
	s_and_b64 s[4:5], vcc, s[0:1]
	v_mov_b32_e32 v10, 0
	v_mov_b32_e32 v5, 0
	v_pk_mov_b32 v[6:7], v[0:1], v[0:1] op_sel:[0,1]
	s_and_saveexec_b64 s[10:11], s[4:5]
	s_cbranch_execz .LBB74_6
; %bb.5:
	v_mad_u64_u32 v[6:7], s[2:3], v3, s14, v[2:3]
	global_load_ubyte v5, v6, s[6:7]
	v_mov_b32_e32 v9, s9
	s_waitcnt vmcnt(0)
	v_mad_u64_u32 v[6:7], s[2:3], v3, s15, v[4:5]
	v_mov_b32_e32 v7, 0
	v_lshlrev_b64 v[6:7], 3, v[6:7]
	v_add_co_u32_e64 v6, s[2:3], s8, v6
	v_addc_co_u32_e64 v7, s[2:3], v9, v7, s[2:3]
	global_load_dwordx2 v[6:7], v[6:7], off
.LBB74_6:
	s_or_b64 exec, exec, s[10:11]
	v_lshlrev_b32_e32 v9, 5, v8
	v_add_u32_e32 v16, 0x1000, v9
	v_add_u32_e32 v15, 0x1200, v9
	v_add_u32_e32 v9, v16, v3
	s_waitcnt lgkmcnt(0)
	s_and_b32 s16, 0xffff, s12
	v_cndmask_b32_e64 v11, 0, 1, s[4:5]
	ds_write_b8 v9, v5
	v_add_u32_e32 v5, v15, v3
	ds_write_b8 v5, v11
	v_add_u32_e32 v5, s16, v3
	v_lshlrev_b32_e32 v13, 8, v8
	v_cmp_gt_u32_e64 s[2:3], s13, v5
	v_lshl_add_u32 v8, v3, 3, v13
	s_and_b64 s[10:11], vcc, s[2:3]
	s_waitcnt vmcnt(0)
	ds_write_b64 v8, v[6:7]
	s_and_saveexec_b64 s[12:13], s[10:11]
	s_cbranch_execz .LBB74_8
; %bb.7:
	v_mad_u64_u32 v[0:1], s[4:5], v5, s14, v[2:3]
	global_load_ubyte v10, v0, s[6:7]
	v_mad_u64_u32 v[0:1], s[4:5], v5, s15, v[4:5]
	v_mov_b32_e32 v1, 0
	v_lshlrev_b64 v[0:1], 3, v[0:1]
	v_mov_b32_e32 v6, s9
	v_add_co_u32_e64 v0, s[4:5], s8, v0
	v_addc_co_u32_e64 v1, s[4:5], v6, v1, s[4:5]
	global_load_dwordx2 v[0:1], v[0:1], off
.LBB74_8:
	s_or_b64 exec, exec, s[12:13]
	v_lshl_add_u32 v6, s16, 3, v8
	v_lshlrev_b32_e32 v17, 1, v3
	v_cndmask_b32_e64 v11, 0, 1, s[10:11]
	v_add_u32_e32 v7, v16, v5
	s_waitcnt vmcnt(0)
	ds_write_b64 v6, v[0:1]
	v_add_u32_e32 v0, v15, v5
	v_add_u32_e32 v1, v16, v17
	ds_write_b8 v7, v10
	ds_write_b8 v0, v11
	s_waitcnt lgkmcnt(0)
	s_barrier
	ds_read_u16 v11, v1
	s_mov_b32 s16, 1
	v_add_u32_e32 v0, v15, v17
	s_waitcnt lgkmcnt(0)
	v_cmp_ge_u16_sdwa s[10:11], v11, v11 src0_sel:BYTE_0 src1_sel:BYTE_1
	v_cmp_lt_u16_sdwa s[4:5], v11, v11 src0_sel:BYTE_0 src1_sel:BYTE_1
	s_and_saveexec_b64 s[12:13], s[4:5]
	s_xor_b64 s[12:13], exec, s[12:13]
	s_cbranch_execz .LBB74_10
; %bb.9:
	ds_read_u8 v10, v0
	s_andn2_b64 s[10:11], s[10:11], exec
	s_waitcnt lgkmcnt(0)
	v_and_b32_e32 v10, 1, v10
	v_cmp_eq_u32_e64 s[4:5], 1, v10
	s_xor_b64 s[4:5], s[4:5], -1
	s_and_b64 s[4:5], s[4:5], exec
	s_or_b64 s[10:11], s[10:11], s[4:5]
.LBB74_10:
	s_or_b64 exec, exec, s[12:13]
	v_mov_b32_e32 v14, s16
	s_and_saveexec_b64 s[4:5], s[10:11]
	s_cbranch_execz .LBB74_12
; %bb.11:
	ds_read_u8 v10, v0 offset:1
	s_waitcnt lgkmcnt(0)
	v_xor_b32_e32 v14, 1, v10
.LBB74_12:
	s_or_b64 exec, exec, s[4:5]
	v_and_b32_e32 v12, 1, v3
	v_lshlrev_b32_e32 v10, 3, v3
	v_cmp_eq_u32_e64 s[4:5], v14, v12
	s_and_saveexec_b64 s[10:11], s[4:5]
	s_cbranch_execz .LBB74_14
; %bb.13:
	v_add_u32_e32 v14, v8, v10
	ds_read_b128 v[18:21], v14
	ds_read_u16 v24, v0
	v_lshlrev_b16_e32 v22, 8, v11
	v_or_b32_sdwa v11, v11, v22 dst_sel:DWORD dst_unused:UNUSED_PAD src0_sel:BYTE_1 src1_sel:DWORD
	s_mov_b32 s4, 0xc0c0001
	ds_write_b16 v1, v11
	s_waitcnt lgkmcnt(2)
	v_mov_b32_e32 v22, v18
	v_mov_b32_e32 v23, v19
	s_waitcnt lgkmcnt(1)
	v_perm_b32 v11, 0, v24, s4
	ds_write_b128 v14, v[20:23]
	ds_write_b16 v0, v11
.LBB74_14:
	s_or_b64 exec, exec, s[10:11]
	v_sub_u32_e32 v14, v17, v12
	v_add_u32_e32 v11, v16, v14
	s_waitcnt lgkmcnt(0)
	s_barrier
	ds_read_u8 v19, v11
	ds_read_u8 v20, v11 offset:2
	s_mov_b64 s[10:11], -1
	v_add_u32_e32 v12, v15, v14
                                        ; implicit-def: $sgpr16
	s_waitcnt lgkmcnt(0)
	v_cmp_lt_u16_e64 s[4:5], v19, v20
	s_and_saveexec_b64 s[12:13], s[4:5]
	s_xor_b64 s[12:13], exec, s[12:13]
	s_cbranch_execz .LBB74_16
; %bb.15:
	ds_read_u8 v18, v12
	s_mov_b32 s16, 1
	s_waitcnt lgkmcnt(0)
	v_and_b32_e32 v18, 1, v18
	v_cmp_eq_u32_e64 s[4:5], 1, v18
	s_xor_b64 s[4:5], s[4:5], -1
	s_orn2_b64 s[10:11], s[4:5], exec
.LBB74_16:
	s_or_b64 exec, exec, s[12:13]
	v_mov_b32_e32 v21, s16
	s_and_saveexec_b64 s[4:5], s[10:11]
	s_cbranch_execz .LBB74_18
; %bb.17:
	ds_read_u8 v18, v12 offset:2
	s_waitcnt lgkmcnt(0)
	v_xor_b32_e32 v21, 1, v18
.LBB74_18:
	s_or_b64 exec, exec, s[4:5]
	v_bfe_u32 v18, v3, 1, 1
	v_lshl_add_u32 v14, v14, 3, v13
	v_cmp_eq_u32_e64 s[4:5], v21, v18
	s_and_saveexec_b64 s[10:11], s[4:5]
	s_cbranch_execz .LBB74_20
; %bb.19:
	ds_read2_b64 v[22:25], v14 offset1:2
	ds_read_u8 v21, v12 offset:2
	ds_read_u8 v26, v12
	ds_write_b8 v11, v20
	ds_write_b8 v11, v19 offset:2
	s_waitcnt lgkmcnt(4)
	ds_write2_b64 v14, v[24:25], v[22:23] offset1:2
	s_waitcnt lgkmcnt(4)
	ds_write_b8 v12, v21
	s_waitcnt lgkmcnt(4)
	ds_write_b8 v12, v26 offset:2
.LBB74_20:
	s_or_b64 exec, exec, s[10:11]
	s_waitcnt lgkmcnt(0)
	s_barrier
	ds_read_u16 v19, v1
                                        ; implicit-def: $sgpr16
	s_waitcnt lgkmcnt(0)
	v_cmp_ge_u16_sdwa s[10:11], v19, v19 src0_sel:BYTE_0 src1_sel:BYTE_1
	v_cmp_lt_u16_sdwa s[4:5], v19, v19 src0_sel:BYTE_0 src1_sel:BYTE_1
	s_and_saveexec_b64 s[12:13], s[4:5]
	s_cbranch_execnz .LBB74_87
; %bb.21:
	s_or_b64 exec, exec, s[12:13]
	v_mov_b32_e32 v20, s16
	s_and_saveexec_b64 s[4:5], s[10:11]
	s_cbranch_execnz .LBB74_88
.LBB74_22:
	s_or_b64 exec, exec, s[4:5]
	v_cmp_eq_u32_e64 s[4:5], v20, v18
	s_and_saveexec_b64 s[10:11], s[4:5]
	s_cbranch_execz .LBB74_24
.LBB74_23:
	v_add_u32_e32 v24, v8, v10
	ds_read_b128 v[20:23], v24
	ds_read_u16 v25, v0
	v_lshlrev_b16_e32 v18, 8, v19
	v_or_b32_sdwa v18, v19, v18 dst_sel:DWORD dst_unused:UNUSED_PAD src0_sel:BYTE_1 src1_sel:DWORD
	ds_write_b16 v1, v18
	s_waitcnt lgkmcnt(2)
	v_mov_b32_e32 v18, v22
	v_mov_b32_e32 v19, v23
	s_mov_b32 s4, 0xc0c0001
	ds_write_b128 v24, v[18:21]
	s_waitcnt lgkmcnt(2)
	v_perm_b32 v18, 0, v25, s4
	ds_write_b16 v0, v18
.LBB74_24:
	s_or_b64 exec, exec, s[10:11]
	v_and_b32_e32 v18, 3, v3
	v_sub_u32_e32 v20, v17, v18
	v_add_u32_e32 v18, v16, v20
	s_waitcnt lgkmcnt(0)
	s_barrier
	ds_read_u8 v22, v18
	ds_read_u8 v23, v18 offset:4
	v_add_u32_e32 v19, v15, v20
                                        ; implicit-def: $sgpr16
	s_waitcnt lgkmcnt(0)
	v_cmp_ge_u16_e64 s[10:11], v22, v23
	v_cmp_lt_u16_e64 s[4:5], v22, v23
	s_and_saveexec_b64 s[12:13], s[4:5]
	s_cbranch_execz .LBB74_26
; %bb.25:
	ds_read_u8 v21, v19
	s_andn2_b64 s[10:11], s[10:11], exec
	s_mov_b32 s16, 1
	s_waitcnt lgkmcnt(0)
	v_and_b32_e32 v21, 1, v21
	v_cmp_eq_u32_e64 s[4:5], 1, v21
	s_xor_b64 s[4:5], s[4:5], -1
	s_and_b64 s[4:5], s[4:5], exec
	s_or_b64 s[10:11], s[10:11], s[4:5]
.LBB74_26:
	s_or_b64 exec, exec, s[12:13]
	v_mov_b32_e32 v24, s16
	s_and_saveexec_b64 s[4:5], s[10:11]
	s_cbranch_execz .LBB74_28
; %bb.27:
	ds_read_u8 v21, v19 offset:4
	s_waitcnt lgkmcnt(0)
	v_xor_b32_e32 v24, 1, v21
.LBB74_28:
	s_or_b64 exec, exec, s[4:5]
	v_bfe_u32 v21, v3, 2, 1
	v_lshl_add_u32 v20, v20, 3, v13
	v_cmp_eq_u32_e64 s[4:5], v24, v21
	s_and_saveexec_b64 s[10:11], s[4:5]
	s_cbranch_execz .LBB74_30
; %bb.29:
	ds_read2_b64 v[24:27], v20 offset1:4
	ds_read_u8 v28, v19 offset:4
	ds_read_u8 v29, v19
	ds_write_b8 v18, v23
	ds_write_b8 v18, v22 offset:4
	s_waitcnt lgkmcnt(4)
	ds_write2_b64 v20, v[26:27], v[24:25] offset1:4
	s_waitcnt lgkmcnt(4)
	ds_write_b8 v19, v28
	s_waitcnt lgkmcnt(4)
	ds_write_b8 v19, v29 offset:4
.LBB74_30:
	s_or_b64 exec, exec, s[10:11]
	s_waitcnt lgkmcnt(0)
	s_barrier
	ds_read_u8 v22, v11
	ds_read_u8 v23, v11 offset:2
                                        ; implicit-def: $sgpr16
	s_waitcnt lgkmcnt(0)
	v_cmp_ge_u16_e64 s[10:11], v22, v23
	v_cmp_lt_u16_e64 s[4:5], v22, v23
	s_and_saveexec_b64 s[12:13], s[4:5]
	s_cbranch_execnz .LBB74_89
; %bb.31:
	s_or_b64 exec, exec, s[12:13]
	v_mov_b32_e32 v24, s16
	s_and_saveexec_b64 s[4:5], s[10:11]
	s_cbranch_execnz .LBB74_90
.LBB74_32:
	s_or_b64 exec, exec, s[4:5]
	v_cmp_eq_u32_e64 s[4:5], v24, v21
	s_and_saveexec_b64 s[10:11], s[4:5]
	s_cbranch_execz .LBB74_34
.LBB74_33:
	ds_read2_b64 v[24:27], v14 offset1:2
	ds_read_u8 v28, v12 offset:2
	ds_read_u8 v29, v12
	ds_write_b8 v11, v23
	ds_write_b8 v11, v22 offset:2
	s_waitcnt lgkmcnt(4)
	ds_write2_b64 v14, v[26:27], v[24:25] offset1:2
	s_waitcnt lgkmcnt(4)
	ds_write_b8 v12, v28
	s_waitcnt lgkmcnt(4)
	ds_write_b8 v12, v29 offset:2
.LBB74_34:
	s_or_b64 exec, exec, s[10:11]
	s_waitcnt lgkmcnt(0)
	s_barrier
	ds_read_u16 v22, v1
                                        ; implicit-def: $sgpr16
	s_waitcnt lgkmcnt(0)
	v_cmp_ge_u16_sdwa s[10:11], v22, v22 src0_sel:BYTE_0 src1_sel:BYTE_1
	v_cmp_lt_u16_sdwa s[4:5], v22, v22 src0_sel:BYTE_0 src1_sel:BYTE_1
	s_and_saveexec_b64 s[12:13], s[4:5]
	s_cbranch_execnz .LBB74_91
; %bb.35:
	s_or_b64 exec, exec, s[12:13]
	v_mov_b32_e32 v23, s16
	s_and_saveexec_b64 s[4:5], s[10:11]
	s_cbranch_execnz .LBB74_92
.LBB74_36:
	s_or_b64 exec, exec, s[4:5]
	v_cmp_eq_u32_e64 s[4:5], v23, v21
	s_and_saveexec_b64 s[10:11], s[4:5]
	s_cbranch_execz .LBB74_38
.LBB74_37:
	v_add_u32_e32 v21, v8, v10
	ds_read_b128 v[24:27], v21
	ds_read_u16 v28, v0
	v_lshlrev_b16_e32 v23, 8, v22
	v_or_b32_sdwa v22, v22, v23 dst_sel:DWORD dst_unused:UNUSED_PAD src0_sel:BYTE_1 src1_sel:DWORD
	ds_write_b16 v1, v22
	s_waitcnt lgkmcnt(2)
	v_mov_b32_e32 v22, v26
	v_mov_b32_e32 v23, v27
	s_mov_b32 s4, 0xc0c0001
	ds_write_b128 v21, v[22:25]
	s_waitcnt lgkmcnt(2)
	v_perm_b32 v21, 0, v28, s4
	ds_write_b16 v0, v21
.LBB74_38:
	s_or_b64 exec, exec, s[10:11]
	v_and_b32_e32 v21, 7, v3
	v_sub_u32_e32 v23, v17, v21
	v_add_u32_e32 v21, v16, v23
	s_waitcnt lgkmcnt(0)
	s_barrier
	ds_read_u8 v25, v21
	ds_read_u8 v26, v21 offset:8
	v_add_u32_e32 v22, v15, v23
                                        ; implicit-def: $sgpr16
	s_waitcnt lgkmcnt(0)
	v_cmp_ge_u16_e64 s[10:11], v25, v26
	v_cmp_lt_u16_e64 s[4:5], v25, v26
	s_and_saveexec_b64 s[12:13], s[4:5]
	s_cbranch_execz .LBB74_40
; %bb.39:
	ds_read_u8 v24, v22
	s_andn2_b64 s[10:11], s[10:11], exec
	s_mov_b32 s16, 1
	s_waitcnt lgkmcnt(0)
	v_and_b32_e32 v24, 1, v24
	v_cmp_eq_u32_e64 s[4:5], 1, v24
	s_xor_b64 s[4:5], s[4:5], -1
	s_and_b64 s[4:5], s[4:5], exec
	s_or_b64 s[10:11], s[10:11], s[4:5]
.LBB74_40:
	s_or_b64 exec, exec, s[12:13]
	v_mov_b32_e32 v27, s16
	s_and_saveexec_b64 s[4:5], s[10:11]
	s_cbranch_execz .LBB74_42
; %bb.41:
	ds_read_u8 v24, v22 offset:8
	s_waitcnt lgkmcnt(0)
	v_xor_b32_e32 v27, 1, v24
.LBB74_42:
	s_or_b64 exec, exec, s[4:5]
	v_bfe_u32 v24, v3, 3, 1
	v_lshl_add_u32 v23, v23, 3, v13
	v_cmp_eq_u32_e64 s[4:5], v27, v24
	s_and_saveexec_b64 s[10:11], s[4:5]
	s_cbranch_execz .LBB74_44
; %bb.43:
	ds_read2_b64 v[28:31], v23 offset1:8
	ds_read_u8 v27, v22 offset:8
	ds_read_u8 v32, v22
	ds_write_b8 v21, v26
	ds_write_b8 v21, v25 offset:8
	s_waitcnt lgkmcnt(4)
	ds_write2_b64 v23, v[30:31], v[28:29] offset1:8
	s_waitcnt lgkmcnt(4)
	ds_write_b8 v22, v27
	s_waitcnt lgkmcnt(4)
	ds_write_b8 v22, v32 offset:8
.LBB74_44:
	s_or_b64 exec, exec, s[10:11]
	s_waitcnt lgkmcnt(0)
	s_barrier
	ds_read_u8 v25, v18
	ds_read_u8 v26, v18 offset:4
                                        ; implicit-def: $sgpr16
	s_waitcnt lgkmcnt(0)
	v_cmp_ge_u16_e64 s[10:11], v25, v26
	v_cmp_lt_u16_e64 s[4:5], v25, v26
	s_and_saveexec_b64 s[12:13], s[4:5]
	s_cbranch_execnz .LBB74_93
; %bb.45:
	s_or_b64 exec, exec, s[12:13]
	v_mov_b32_e32 v27, s16
	s_and_saveexec_b64 s[4:5], s[10:11]
	s_cbranch_execnz .LBB74_94
.LBB74_46:
	s_or_b64 exec, exec, s[4:5]
	v_cmp_eq_u32_e64 s[4:5], v27, v24
	s_and_saveexec_b64 s[10:11], s[4:5]
	s_cbranch_execz .LBB74_48
.LBB74_47:
	ds_read2_b64 v[28:31], v20 offset1:4
	ds_read_u8 v27, v19 offset:4
	ds_read_u8 v32, v19
	ds_write_b8 v18, v26
	ds_write_b8 v18, v25 offset:4
	s_waitcnt lgkmcnt(4)
	ds_write2_b64 v20, v[30:31], v[28:29] offset1:4
	s_waitcnt lgkmcnt(4)
	ds_write_b8 v19, v27
	s_waitcnt lgkmcnt(4)
	ds_write_b8 v19, v32 offset:4
.LBB74_48:
	s_or_b64 exec, exec, s[10:11]
	s_waitcnt lgkmcnt(0)
	s_barrier
	ds_read_u8 v25, v11
	ds_read_u8 v26, v11 offset:2
                                        ; implicit-def: $sgpr16
	s_waitcnt lgkmcnt(0)
	v_cmp_ge_u16_e64 s[10:11], v25, v26
	v_cmp_lt_u16_e64 s[4:5], v25, v26
	s_and_saveexec_b64 s[12:13], s[4:5]
	s_cbranch_execnz .LBB74_95
; %bb.49:
	s_or_b64 exec, exec, s[12:13]
	v_mov_b32_e32 v27, s16
	s_and_saveexec_b64 s[4:5], s[10:11]
	s_cbranch_execnz .LBB74_96
.LBB74_50:
	s_or_b64 exec, exec, s[4:5]
	v_cmp_eq_u32_e64 s[4:5], v27, v24
	s_and_saveexec_b64 s[10:11], s[4:5]
	s_cbranch_execz .LBB74_52
.LBB74_51:
	ds_read2_b64 v[28:31], v14 offset1:2
	ds_read_u8 v27, v12 offset:2
	ds_read_u8 v32, v12
	ds_write_b8 v11, v26
	ds_write_b8 v11, v25 offset:2
	s_waitcnt lgkmcnt(4)
	ds_write2_b64 v14, v[30:31], v[28:29] offset1:2
	s_waitcnt lgkmcnt(4)
	ds_write_b8 v12, v27
	s_waitcnt lgkmcnt(4)
	ds_write_b8 v12, v32 offset:2
.LBB74_52:
	s_or_b64 exec, exec, s[10:11]
	s_waitcnt lgkmcnt(0)
	s_barrier
	ds_read_u16 v25, v1
                                        ; implicit-def: $sgpr16
	s_waitcnt lgkmcnt(0)
	v_cmp_ge_u16_sdwa s[10:11], v25, v25 src0_sel:BYTE_0 src1_sel:BYTE_1
	v_cmp_lt_u16_sdwa s[4:5], v25, v25 src0_sel:BYTE_0 src1_sel:BYTE_1
	s_and_saveexec_b64 s[12:13], s[4:5]
	s_cbranch_execnz .LBB74_97
; %bb.53:
	s_or_b64 exec, exec, s[12:13]
	v_mov_b32_e32 v26, s16
	s_and_saveexec_b64 s[4:5], s[10:11]
	s_cbranch_execnz .LBB74_98
.LBB74_54:
	s_or_b64 exec, exec, s[4:5]
	v_cmp_eq_u32_e64 s[4:5], v26, v24
	s_and_saveexec_b64 s[10:11], s[4:5]
	s_cbranch_execz .LBB74_56
.LBB74_55:
	v_add_u32_e32 v30, v8, v10
	ds_read_b128 v[26:29], v30
	ds_read_u16 v31, v0
	v_lshlrev_b16_e32 v24, 8, v25
	v_or_b32_sdwa v24, v25, v24 dst_sel:DWORD dst_unused:UNUSED_PAD src0_sel:BYTE_1 src1_sel:DWORD
	ds_write_b16 v1, v24
	s_waitcnt lgkmcnt(2)
	v_mov_b32_e32 v24, v28
	v_mov_b32_e32 v25, v29
	s_mov_b32 s4, 0xc0c0001
	ds_write_b128 v30, v[24:27]
	s_waitcnt lgkmcnt(2)
	v_perm_b32 v24, 0, v31, s4
	ds_write_b16 v0, v24
.LBB74_56:
	s_or_b64 exec, exec, s[10:11]
	v_and_b32_e32 v24, 15, v3
	v_sub_u32_e32 v25, v17, v24
	v_add_u32_e32 v16, v16, v25
	s_waitcnt lgkmcnt(0)
	s_barrier
	ds_read_u8 v17, v16
	ds_read_u8 v24, v16 offset:16
	v_add_u32_e32 v15, v15, v25
	s_waitcnt lgkmcnt(0)
	v_cmp_ge_u16_e64 s[12:13], v17, v24
	v_cmp_lt_u16_e64 s[4:5], v17, v24
	s_and_saveexec_b64 s[10:11], s[4:5]
	s_cbranch_execz .LBB74_58
; %bb.57:
	ds_read_u8 v26, v15
	s_andn2_b64 s[12:13], s[12:13], exec
	s_waitcnt lgkmcnt(0)
	v_and_b32_e32 v26, 1, v26
	v_cmp_eq_u32_e64 s[4:5], 1, v26
	s_xor_b64 s[4:5], s[4:5], -1
	s_and_b64 s[4:5], s[4:5], exec
	s_or_b64 s[12:13], s[12:13], s[4:5]
.LBB74_58:
	s_or_b64 exec, exec, s[10:11]
	s_and_saveexec_b64 s[10:11], s[12:13]
	s_cbranch_execz .LBB74_61
; %bb.59:
	ds_read_u8 v26, v15 offset:16
	s_waitcnt lgkmcnt(0)
	v_cmp_ne_u16_e64 s[4:5], 0, v26
	s_and_b64 exec, exec, s[4:5]
	s_cbranch_execz .LBB74_61
; %bb.60:
	v_lshl_add_u32 v13, v25, 3, v13
	ds_read2_b64 v[28:31], v13 offset1:16
	ds_read_u8 v25, v15
	ds_write_b8 v16, v24
	ds_write_b8 v16, v17 offset:16
	ds_write_b8 v15, v26
	s_waitcnt lgkmcnt(4)
	ds_write2_b64 v13, v[30:31], v[28:29] offset1:16
	s_waitcnt lgkmcnt(4)
	ds_write_b8 v15, v25 offset:16
.LBB74_61:
	s_or_b64 exec, exec, s[10:11]
	s_waitcnt lgkmcnt(0)
	s_barrier
	ds_read_u8 v13, v21
	ds_read_u8 v15, v21 offset:8
	s_waitcnt lgkmcnt(0)
	v_cmp_ge_u16_e64 s[12:13], v13, v15
	v_cmp_lt_u16_e64 s[4:5], v13, v15
	s_and_saveexec_b64 s[10:11], s[4:5]
	s_cbranch_execz .LBB74_63
; %bb.62:
	ds_read_u8 v16, v22
	s_andn2_b64 s[12:13], s[12:13], exec
	s_waitcnt lgkmcnt(0)
	v_and_b32_e32 v16, 1, v16
	v_cmp_eq_u32_e64 s[4:5], 1, v16
	s_xor_b64 s[4:5], s[4:5], -1
	s_and_b64 s[4:5], s[4:5], exec
	s_or_b64 s[12:13], s[12:13], s[4:5]
.LBB74_63:
	s_or_b64 exec, exec, s[10:11]
	s_and_saveexec_b64 s[10:11], s[12:13]
	s_cbranch_execz .LBB74_66
; %bb.64:
	ds_read_u8 v16, v22 offset:8
	s_waitcnt lgkmcnt(0)
	v_cmp_ne_u16_e64 s[4:5], 0, v16
	s_and_b64 exec, exec, s[4:5]
	s_cbranch_execz .LBB74_66
; %bb.65:
	ds_read2_b64 v[24:27], v23 offset1:8
	ds_read_u8 v17, v22
	ds_write_b8 v21, v15
	ds_write_b8 v21, v13 offset:8
	ds_write_b8 v22, v16
	s_waitcnt lgkmcnt(4)
	ds_write2_b64 v23, v[26:27], v[24:25] offset1:8
	s_waitcnt lgkmcnt(4)
	ds_write_b8 v22, v17 offset:8
.LBB74_66:
	s_or_b64 exec, exec, s[10:11]
	s_waitcnt lgkmcnt(0)
	s_barrier
	ds_read_u8 v13, v18
	ds_read_u8 v15, v18 offset:4
	s_waitcnt lgkmcnt(0)
	v_cmp_ge_u16_e64 s[12:13], v13, v15
	v_cmp_lt_u16_e64 s[4:5], v13, v15
	s_and_saveexec_b64 s[10:11], s[4:5]
	s_cbranch_execz .LBB74_68
; %bb.67:
	ds_read_u8 v16, v19
	s_andn2_b64 s[12:13], s[12:13], exec
	s_waitcnt lgkmcnt(0)
	v_and_b32_e32 v16, 1, v16
	v_cmp_eq_u32_e64 s[4:5], 1, v16
	s_xor_b64 s[4:5], s[4:5], -1
	s_and_b64 s[4:5], s[4:5], exec
	s_or_b64 s[12:13], s[12:13], s[4:5]
.LBB74_68:
	s_or_b64 exec, exec, s[10:11]
	s_and_saveexec_b64 s[10:11], s[12:13]
	s_cbranch_execz .LBB74_71
; %bb.69:
	ds_read_u8 v16, v19 offset:4
	s_waitcnt lgkmcnt(0)
	v_cmp_ne_u16_e64 s[4:5], 0, v16
	s_and_b64 exec, exec, s[4:5]
	s_cbranch_execz .LBB74_71
; %bb.70:
	ds_read2_b64 v[22:25], v20 offset1:4
	ds_read_u8 v17, v19
	ds_write_b8 v18, v15
	ds_write_b8 v18, v13 offset:4
	ds_write_b8 v19, v16
	s_waitcnt lgkmcnt(4)
	ds_write2_b64 v20, v[24:25], v[22:23] offset1:4
	s_waitcnt lgkmcnt(4)
	ds_write_b8 v19, v17 offset:4
.LBB74_71:
	;; [unrolled: 40-line block ×3, first 2 shown]
	s_or_b64 exec, exec, s[10:11]
	s_waitcnt lgkmcnt(0)
	s_barrier
	ds_read_u16 v11, v1
	s_waitcnt lgkmcnt(0)
	v_cmp_ge_u16_sdwa s[12:13], v11, v11 src0_sel:BYTE_0 src1_sel:BYTE_1
	v_cmp_lt_u16_sdwa s[4:5], v11, v11 src0_sel:BYTE_0 src1_sel:BYTE_1
	s_and_saveexec_b64 s[10:11], s[4:5]
	s_cbranch_execz .LBB74_78
; %bb.77:
	ds_read_u8 v12, v0
	s_andn2_b64 s[12:13], s[12:13], exec
	s_waitcnt lgkmcnt(0)
	v_and_b32_e32 v12, 1, v12
	v_cmp_eq_u32_e64 s[4:5], 1, v12
	s_xor_b64 s[4:5], s[4:5], -1
	s_and_b64 s[4:5], s[4:5], exec
	s_or_b64 s[12:13], s[12:13], s[4:5]
.LBB74_78:
	s_or_b64 exec, exec, s[10:11]
	s_and_saveexec_b64 s[10:11], s[12:13]
	s_cbranch_execz .LBB74_81
; %bb.79:
	ds_read_u8 v12, v0 offset:1
	s_waitcnt lgkmcnt(0)
	v_cmp_ne_u16_e64 s[4:5], 0, v12
	s_and_b64 exec, exec, s[4:5]
	s_cbranch_execz .LBB74_81
; %bb.80:
	v_add_u32_e32 v10, v8, v10
	v_lshlrev_b16_e32 v13, 8, v11
	ds_read_b128 v[14:17], v10
	v_or_b32_sdwa v11, v11, v13 dst_sel:DWORD dst_unused:UNUSED_PAD src0_sel:BYTE_1 src1_sel:DWORD
	ds_read_u8 v13, v0
	ds_write_b16 v1, v11
	s_waitcnt lgkmcnt(2)
	v_mov_b32_e32 v18, v14
	v_mov_b32_e32 v19, v15
	s_waitcnt lgkmcnt(1)
	v_lshlrev_b16_e32 v1, 8, v13
	v_or_b32_e32 v1, v12, v1
	ds_write_b128 v10, v[16:19]
	ds_write_b16 v0, v1
.LBB74_81:
	s_or_b64 exec, exec, s[10:11]
	s_waitcnt lgkmcnt(0)
	s_barrier
	s_and_saveexec_b64 s[4:5], vcc
	s_cbranch_execz .LBB74_86
; %bb.82:
	s_and_saveexec_b64 s[4:5], s[0:1]
	s_cbranch_execz .LBB74_84
; %bb.83:
	ds_read_u8 v10, v9
	v_mad_u64_u32 v[0:1], s[0:1], v3, s14, v[2:3]
	ds_read_b64 v[8:9], v8
	s_waitcnt lgkmcnt(1)
	global_store_byte v0, v10, s[6:7]
	v_mad_u64_u32 v[0:1], s[0:1], v3, s15, v[4:5]
	v_mov_b32_e32 v1, 0
	v_lshlrev_b64 v[0:1], 3, v[0:1]
	v_mov_b32_e32 v3, s9
	v_add_co_u32_e32 v0, vcc, s8, v0
	v_addc_co_u32_e32 v1, vcc, v3, v1, vcc
	s_waitcnt lgkmcnt(0)
	global_store_dwordx2 v[0:1], v[8:9], off
.LBB74_84:
	s_or_b64 exec, exec, s[4:5]
	s_and_b64 exec, exec, s[2:3]
	s_cbranch_execz .LBB74_86
; %bb.85:
	ds_read_u8 v7, v7
	v_mad_u64_u32 v[0:1], s[0:1], v5, s14, v[2:3]
	ds_read_b64 v[2:3], v6
	s_waitcnt lgkmcnt(1)
	global_store_byte v0, v7, s[6:7]
	v_mad_u64_u32 v[0:1], s[0:1], v5, s15, v[4:5]
	v_mov_b32_e32 v1, 0
	v_lshlrev_b64 v[0:1], 3, v[0:1]
	v_mov_b32_e32 v4, s9
	v_add_co_u32_e32 v0, vcc, s8, v0
	v_addc_co_u32_e32 v1, vcc, v4, v1, vcc
	s_waitcnt lgkmcnt(0)
	global_store_dwordx2 v[0:1], v[2:3], off
.LBB74_86:
	s_endpgm
.LBB74_87:
	ds_read_u8 v20, v0
	s_andn2_b64 s[10:11], s[10:11], exec
	s_mov_b32 s16, 1
	s_waitcnt lgkmcnt(0)
	v_and_b32_e32 v20, 1, v20
	v_cmp_eq_u32_e64 s[4:5], 1, v20
	s_xor_b64 s[4:5], s[4:5], -1
	s_and_b64 s[4:5], s[4:5], exec
	s_or_b64 s[10:11], s[10:11], s[4:5]
	s_or_b64 exec, exec, s[12:13]
	v_mov_b32_e32 v20, s16
	s_and_saveexec_b64 s[4:5], s[10:11]
	s_cbranch_execz .LBB74_22
.LBB74_88:
	ds_read_u8 v20, v0 offset:1
	s_waitcnt lgkmcnt(0)
	v_xor_b32_e32 v20, 1, v20
	s_or_b64 exec, exec, s[4:5]
	v_cmp_eq_u32_e64 s[4:5], v20, v18
	s_and_saveexec_b64 s[10:11], s[4:5]
	s_cbranch_execnz .LBB74_23
	s_branch .LBB74_24
.LBB74_89:
	ds_read_u8 v24, v12
	s_andn2_b64 s[10:11], s[10:11], exec
	s_mov_b32 s16, 1
	s_waitcnt lgkmcnt(0)
	v_and_b32_e32 v24, 1, v24
	v_cmp_eq_u32_e64 s[4:5], 1, v24
	s_xor_b64 s[4:5], s[4:5], -1
	s_and_b64 s[4:5], s[4:5], exec
	s_or_b64 s[10:11], s[10:11], s[4:5]
	s_or_b64 exec, exec, s[12:13]
	v_mov_b32_e32 v24, s16
	s_and_saveexec_b64 s[4:5], s[10:11]
	s_cbranch_execz .LBB74_32
.LBB74_90:
	ds_read_u8 v24, v12 offset:2
	s_waitcnt lgkmcnt(0)
	v_xor_b32_e32 v24, 1, v24
	s_or_b64 exec, exec, s[4:5]
	v_cmp_eq_u32_e64 s[4:5], v24, v21
	s_and_saveexec_b64 s[10:11], s[4:5]
	s_cbranch_execnz .LBB74_33
	s_branch .LBB74_34
.LBB74_91:
	ds_read_u8 v23, v0
	s_andn2_b64 s[10:11], s[10:11], exec
	s_mov_b32 s16, 1
	s_waitcnt lgkmcnt(0)
	v_and_b32_e32 v23, 1, v23
	v_cmp_eq_u32_e64 s[4:5], 1, v23
	s_xor_b64 s[4:5], s[4:5], -1
	s_and_b64 s[4:5], s[4:5], exec
	s_or_b64 s[10:11], s[10:11], s[4:5]
	s_or_b64 exec, exec, s[12:13]
	v_mov_b32_e32 v23, s16
	s_and_saveexec_b64 s[4:5], s[10:11]
	s_cbranch_execz .LBB74_36
.LBB74_92:
	ds_read_u8 v23, v0 offset:1
	s_waitcnt lgkmcnt(0)
	v_xor_b32_e32 v23, 1, v23
	s_or_b64 exec, exec, s[4:5]
	v_cmp_eq_u32_e64 s[4:5], v23, v21
	s_and_saveexec_b64 s[10:11], s[4:5]
	s_cbranch_execnz .LBB74_37
	s_branch .LBB74_38
.LBB74_93:
	ds_read_u8 v27, v19
	s_andn2_b64 s[10:11], s[10:11], exec
	s_mov_b32 s16, 1
	s_waitcnt lgkmcnt(0)
	v_and_b32_e32 v27, 1, v27
	v_cmp_eq_u32_e64 s[4:5], 1, v27
	s_xor_b64 s[4:5], s[4:5], -1
	s_and_b64 s[4:5], s[4:5], exec
	s_or_b64 s[10:11], s[10:11], s[4:5]
	s_or_b64 exec, exec, s[12:13]
	v_mov_b32_e32 v27, s16
	s_and_saveexec_b64 s[4:5], s[10:11]
	s_cbranch_execz .LBB74_46
.LBB74_94:
	ds_read_u8 v27, v19 offset:4
	s_waitcnt lgkmcnt(0)
	v_xor_b32_e32 v27, 1, v27
	s_or_b64 exec, exec, s[4:5]
	v_cmp_eq_u32_e64 s[4:5], v27, v24
	s_and_saveexec_b64 s[10:11], s[4:5]
	s_cbranch_execnz .LBB74_47
	s_branch .LBB74_48
.LBB74_95:
	ds_read_u8 v27, v12
	s_andn2_b64 s[10:11], s[10:11], exec
	s_mov_b32 s16, 1
	s_waitcnt lgkmcnt(0)
	v_and_b32_e32 v27, 1, v27
	v_cmp_eq_u32_e64 s[4:5], 1, v27
	s_xor_b64 s[4:5], s[4:5], -1
	s_and_b64 s[4:5], s[4:5], exec
	s_or_b64 s[10:11], s[10:11], s[4:5]
	s_or_b64 exec, exec, s[12:13]
	v_mov_b32_e32 v27, s16
	s_and_saveexec_b64 s[4:5], s[10:11]
	s_cbranch_execz .LBB74_50
.LBB74_96:
	ds_read_u8 v27, v12 offset:2
	s_waitcnt lgkmcnt(0)
	v_xor_b32_e32 v27, 1, v27
	s_or_b64 exec, exec, s[4:5]
	v_cmp_eq_u32_e64 s[4:5], v27, v24
	s_and_saveexec_b64 s[10:11], s[4:5]
	s_cbranch_execnz .LBB74_51
	s_branch .LBB74_52
.LBB74_97:
	ds_read_u8 v26, v0
	s_andn2_b64 s[10:11], s[10:11], exec
	s_mov_b32 s16, 1
	s_waitcnt lgkmcnt(0)
	v_and_b32_e32 v26, 1, v26
	v_cmp_eq_u32_e64 s[4:5], 1, v26
	s_xor_b64 s[4:5], s[4:5], -1
	s_and_b64 s[4:5], s[4:5], exec
	s_or_b64 s[10:11], s[10:11], s[4:5]
	s_or_b64 exec, exec, s[12:13]
	v_mov_b32_e32 v26, s16
	s_and_saveexec_b64 s[4:5], s[10:11]
	s_cbranch_execz .LBB74_54
.LBB74_98:
	ds_read_u8 v26, v0 offset:1
	s_waitcnt lgkmcnt(0)
	v_xor_b32_e32 v26, 1, v26
	s_or_b64 exec, exec, s[4:5]
	v_cmp_eq_u32_e64 s[4:5], v26, v24
	s_and_saveexec_b64 s[10:11], s[4:5]
	s_cbranch_execnz .LBB74_55
	s_branch .LBB74_56
	.section	.rodata,"a",@progbits
	.p2align	6, 0x0
	.amdhsa_kernel _ZN2at6native20bitonicSortKVInPlaceILi2ELin1ELi16ELi16EblNS0_4LTOpIbLb1EEEjEEvNS_4cuda6detail10TensorInfoIT3_T6_EES8_S8_S8_NS6_IT4_S8_EES8_T5_
		.amdhsa_group_segment_fixed_size 5120
		.amdhsa_private_segment_fixed_size 0
		.amdhsa_kernarg_size 712
		.amdhsa_user_sgpr_count 6
		.amdhsa_user_sgpr_private_segment_buffer 1
		.amdhsa_user_sgpr_dispatch_ptr 0
		.amdhsa_user_sgpr_queue_ptr 0
		.amdhsa_user_sgpr_kernarg_segment_ptr 1
		.amdhsa_user_sgpr_dispatch_id 0
		.amdhsa_user_sgpr_flat_scratch_init 0
		.amdhsa_user_sgpr_kernarg_preload_length 0
		.amdhsa_user_sgpr_kernarg_preload_offset 0
		.amdhsa_user_sgpr_private_segment_size 0
		.amdhsa_uses_dynamic_stack 0
		.amdhsa_system_sgpr_private_segment_wavefront_offset 0
		.amdhsa_system_sgpr_workgroup_id_x 1
		.amdhsa_system_sgpr_workgroup_id_y 1
		.amdhsa_system_sgpr_workgroup_id_z 1
		.amdhsa_system_sgpr_workgroup_info 0
		.amdhsa_system_vgpr_workitem_id 1
		.amdhsa_next_free_vgpr 33
		.amdhsa_next_free_sgpr 20
		.amdhsa_accum_offset 36
		.amdhsa_reserve_vcc 1
		.amdhsa_reserve_flat_scratch 0
		.amdhsa_float_round_mode_32 0
		.amdhsa_float_round_mode_16_64 0
		.amdhsa_float_denorm_mode_32 3
		.amdhsa_float_denorm_mode_16_64 3
		.amdhsa_dx10_clamp 1
		.amdhsa_ieee_mode 1
		.amdhsa_fp16_overflow 0
		.amdhsa_tg_split 0
		.amdhsa_exception_fp_ieee_invalid_op 0
		.amdhsa_exception_fp_denorm_src 0
		.amdhsa_exception_fp_ieee_div_zero 0
		.amdhsa_exception_fp_ieee_overflow 0
		.amdhsa_exception_fp_ieee_underflow 0
		.amdhsa_exception_fp_ieee_inexact 0
		.amdhsa_exception_int_div_zero 0
	.end_amdhsa_kernel
	.section	.text._ZN2at6native20bitonicSortKVInPlaceILi2ELin1ELi16ELi16EblNS0_4LTOpIbLb1EEEjEEvNS_4cuda6detail10TensorInfoIT3_T6_EES8_S8_S8_NS6_IT4_S8_EES8_T5_,"axG",@progbits,_ZN2at6native20bitonicSortKVInPlaceILi2ELin1ELi16ELi16EblNS0_4LTOpIbLb1EEEjEEvNS_4cuda6detail10TensorInfoIT3_T6_EES8_S8_S8_NS6_IT4_S8_EES8_T5_,comdat
.Lfunc_end74:
	.size	_ZN2at6native20bitonicSortKVInPlaceILi2ELin1ELi16ELi16EblNS0_4LTOpIbLb1EEEjEEvNS_4cuda6detail10TensorInfoIT3_T6_EES8_S8_S8_NS6_IT4_S8_EES8_T5_, .Lfunc_end74-_ZN2at6native20bitonicSortKVInPlaceILi2ELin1ELi16ELi16EblNS0_4LTOpIbLb1EEEjEEvNS_4cuda6detail10TensorInfoIT3_T6_EES8_S8_S8_NS6_IT4_S8_EES8_T5_
                                        ; -- End function
	.section	.AMDGPU.csdata,"",@progbits
; Kernel info:
; codeLenInByte = 4772
; NumSgprs: 24
; NumVgprs: 33
; NumAgprs: 0
; TotalNumVgprs: 33
; ScratchSize: 0
; MemoryBound: 0
; FloatMode: 240
; IeeeMode: 1
; LDSByteSize: 5120 bytes/workgroup (compile time only)
; SGPRBlocks: 2
; VGPRBlocks: 4
; NumSGPRsForWavesPerEU: 24
; NumVGPRsForWavesPerEU: 33
; AccumOffset: 36
; Occupancy: 8
; WaveLimiterHint : 1
; COMPUTE_PGM_RSRC2:SCRATCH_EN: 0
; COMPUTE_PGM_RSRC2:USER_SGPR: 6
; COMPUTE_PGM_RSRC2:TRAP_HANDLER: 0
; COMPUTE_PGM_RSRC2:TGID_X_EN: 1
; COMPUTE_PGM_RSRC2:TGID_Y_EN: 1
; COMPUTE_PGM_RSRC2:TGID_Z_EN: 1
; COMPUTE_PGM_RSRC2:TIDIG_COMP_CNT: 1
; COMPUTE_PGM_RSRC3_GFX90A:ACCUM_OFFSET: 8
; COMPUTE_PGM_RSRC3_GFX90A:TG_SPLIT: 0
	.section	.text._ZN2at6native20bitonicSortKVInPlaceILi2ELin1ELi16ELi16EblNS0_4GTOpIbLb1EEEjEEvNS_4cuda6detail10TensorInfoIT3_T6_EES8_S8_S8_NS6_IT4_S8_EES8_T5_,"axG",@progbits,_ZN2at6native20bitonicSortKVInPlaceILi2ELin1ELi16ELi16EblNS0_4GTOpIbLb1EEEjEEvNS_4cuda6detail10TensorInfoIT3_T6_EES8_S8_S8_NS6_IT4_S8_EES8_T5_,comdat
	.protected	_ZN2at6native20bitonicSortKVInPlaceILi2ELin1ELi16ELi16EblNS0_4GTOpIbLb1EEEjEEvNS_4cuda6detail10TensorInfoIT3_T6_EES8_S8_S8_NS6_IT4_S8_EES8_T5_ ; -- Begin function _ZN2at6native20bitonicSortKVInPlaceILi2ELin1ELi16ELi16EblNS0_4GTOpIbLb1EEEjEEvNS_4cuda6detail10TensorInfoIT3_T6_EES8_S8_S8_NS6_IT4_S8_EES8_T5_
	.globl	_ZN2at6native20bitonicSortKVInPlaceILi2ELin1ELi16ELi16EblNS0_4GTOpIbLb1EEEjEEvNS_4cuda6detail10TensorInfoIT3_T6_EES8_S8_S8_NS6_IT4_S8_EES8_T5_
	.p2align	8
	.type	_ZN2at6native20bitonicSortKVInPlaceILi2ELin1ELi16ELi16EblNS0_4GTOpIbLb1EEEjEEvNS_4cuda6detail10TensorInfoIT3_T6_EES8_S8_S8_NS6_IT4_S8_EES8_T5_,@function
_ZN2at6native20bitonicSortKVInPlaceILi2ELin1ELi16ELi16EblNS0_4GTOpIbLb1EEEjEEvNS_4cuda6detail10TensorInfoIT3_T6_EES8_S8_S8_NS6_IT4_S8_EES8_T5_: ; @_ZN2at6native20bitonicSortKVInPlaceILi2ELin1ELi16ELi16EblNS0_4GTOpIbLb1EEEjEEvNS_4cuda6detail10TensorInfoIT3_T6_EES8_S8_S8_NS6_IT4_S8_EES8_T5_
; %bb.0:
	s_load_dwordx2 s[0:1], s[4:5], 0x1c8
	s_load_dwordx4 s[12:15], s[4:5], 0xd8
	s_load_dword s9, s[4:5], 0x1d4
	s_add_u32 s2, s4, 0x1c8
	s_addc_u32 s3, s5, 0
	s_waitcnt lgkmcnt(0)
	s_mul_i32 s1, s1, s8
	s_add_i32 s1, s1, s7
	s_mul_i32 s0, s1, s0
	s_add_i32 s0, s0, s6
	s_lshr_b32 s1, s9, 16
	s_mul_i32 s0, s0, s1
	s_cmp_ge_u32 s0, s12
	s_cbranch_scc1 .LBB75_86
; %bb.1:
	s_load_dword s15, s[4:5], 0xc
	s_load_dwordx2 s[8:9], s[4:5], 0x6c
	s_load_dword s17, s[4:5], 0x1b8
	s_add_u32 s10, s4, 0xe8
	v_bfe_u32 v8, v0, 10, 10
	s_waitcnt lgkmcnt(0)
	v_cvt_f32_u32_e32 v1, s15
	s_load_dwordx2 s[6:7], s[4:5], 0x0
	s_addc_u32 s11, s5, 0
	s_mov_b32 s1, 0
	v_rcp_iflag_f32_e32 v1, v1
	v_mov_b32_e32 v4, 0
	v_mul_f32_e32 v1, 0x4f7ffffe, v1
	v_cvt_u32_f32_e32 v2, v1
	v_add_u32_e32 v1, s0, v8
	s_sub_i32 s0, 0, s15
	s_cmp_lt_i32 s17, 2
	v_mul_lo_u32 v3, s0, v2
	v_mul_hi_u32 v3, v2, v3
	v_add_u32_e32 v2, v2, v3
	v_mad_u64_u32 v[2:3], s[18:19], v1, v2, 0
	v_mov_b32_e32 v6, v1
	s_cbranch_scc1 .LBB75_4
; %bb.2:
	s_add_i32 s0, s17, -1
	s_add_i32 s16, s17, 1
	s_lshl_b64 s[0:1], s[0:1], 2
	s_add_u32 s0, s0, s10
	s_addc_u32 s1, s1, s11
	s_add_u32 s0, s0, 8
	s_addc_u32 s1, s1, 0
	v_mov_b32_e32 v4, 0
	v_mov_b32_e32 v6, v1
.LBB75_3:                               ; =>This Inner Loop Header: Depth=1
	s_load_dword s17, s[0:1], 0x0
	s_load_dword s18, s[0:1], 0x64
	v_mov_b32_e32 v2, v6
	s_add_i32 s16, s16, -1
	s_waitcnt lgkmcnt(0)
	v_cvt_f32_u32_e32 v5, s17
	s_sub_i32 s19, 0, s17
	s_add_u32 s0, s0, -4
	s_addc_u32 s1, s1, -1
	v_rcp_iflag_f32_e32 v5, v5
	s_cmp_gt_u32 s16, 2
	v_mul_f32_e32 v5, 0x4f7ffffe, v5
	v_cvt_u32_f32_e32 v5, v5
	v_mul_lo_u32 v6, s19, v5
	v_mul_hi_u32 v6, v5, v6
	v_add_u32_e32 v5, v5, v6
	v_mul_hi_u32 v5, v2, v5
	v_mul_lo_u32 v6, v5, s17
	v_sub_u32_e32 v6, v2, v6
	v_add_u32_e32 v7, 1, v5
	v_cmp_le_u32_e32 vcc, s17, v6
	v_cndmask_b32_e32 v5, v5, v7, vcc
	v_subrev_u32_e32 v7, s17, v6
	v_cndmask_b32_e32 v6, v6, v7, vcc
	v_add_u32_e32 v7, 1, v5
	v_cmp_le_u32_e32 vcc, s17, v6
	v_cndmask_b32_e32 v6, v5, v7, vcc
	v_mul_lo_u32 v5, v6, s17
	v_sub_u32_e32 v2, v2, v5
	v_mad_u64_u32 v[4:5], s[18:19], s18, v2, v[4:5]
	s_cbranch_scc1 .LBB75_3
.LBB75_4:
	v_mul_lo_u32 v2, v3, s15
	v_sub_u32_e32 v2, v1, v2
	v_add_u32_e32 v5, 1, v3
	v_cmp_le_u32_e64 s[0:1], s15, v2
	v_cndmask_b32_e64 v3, v3, v5, s[0:1]
	v_subrev_u32_e32 v5, s15, v2
	v_cndmask_b32_e64 v2, v2, v5, s[0:1]
	v_add_u32_e32 v5, 1, v3
	v_cmp_le_u32_e64 s[0:1], s15, v2
	v_cndmask_b32_e64 v3, v3, v5, s[0:1]
	v_cmp_gt_u32_e32 vcc, s12, v1
	v_mul_lo_u32 v2, v3, s15
	s_load_dword s15, s[4:5], 0x1c0
	s_load_dword s12, s[10:11], 0x6c
	v_sub_u32_e32 v1, v1, v2
	v_mul_lo_u32 v2, v1, s9
	v_mad_u64_u32 v[2:3], s[0:1], v3, s8, v[2:3]
	s_load_dwordx2 s[8:9], s[10:11], 0x0
	s_waitcnt lgkmcnt(0)
	v_mad_u64_u32 v[4:5], s[0:1], s12, v6, v[4:5]
	s_load_dword s12, s[2:3], 0xc
	v_and_b32_e32 v3, 0x3ff, v0
	v_cmp_gt_u32_e64 s[0:1], s13, v3
	v_pk_mov_b32 v[0:1], 0, 0
	s_and_b64 s[4:5], vcc, s[0:1]
	v_mov_b32_e32 v10, 0
	v_mov_b32_e32 v5, 0
	v_pk_mov_b32 v[6:7], v[0:1], v[0:1] op_sel:[0,1]
	s_and_saveexec_b64 s[10:11], s[4:5]
	s_cbranch_execz .LBB75_6
; %bb.5:
	v_mad_u64_u32 v[6:7], s[2:3], v3, s14, v[2:3]
	global_load_ubyte v5, v6, s[6:7]
	v_mov_b32_e32 v9, s9
	s_waitcnt vmcnt(0)
	v_mad_u64_u32 v[6:7], s[2:3], v3, s15, v[4:5]
	v_mov_b32_e32 v7, 0
	v_lshlrev_b64 v[6:7], 3, v[6:7]
	v_add_co_u32_e64 v6, s[2:3], s8, v6
	v_addc_co_u32_e64 v7, s[2:3], v9, v7, s[2:3]
	global_load_dwordx2 v[6:7], v[6:7], off
.LBB75_6:
	s_or_b64 exec, exec, s[10:11]
	v_lshlrev_b32_e32 v9, 5, v8
	v_add_u32_e32 v16, 0x1000, v9
	v_add_u32_e32 v15, 0x1200, v9
	;; [unrolled: 1-line block ×3, first 2 shown]
	s_waitcnt lgkmcnt(0)
	s_and_b32 s16, 0xffff, s12
	v_cndmask_b32_e64 v11, 0, 1, s[4:5]
	ds_write_b8 v9, v5
	v_add_u32_e32 v5, v15, v3
	ds_write_b8 v5, v11
	v_add_u32_e32 v5, s16, v3
	v_lshlrev_b32_e32 v13, 8, v8
	v_cmp_gt_u32_e64 s[2:3], s13, v5
	v_lshl_add_u32 v8, v3, 3, v13
	s_and_b64 s[10:11], vcc, s[2:3]
	s_waitcnt vmcnt(0)
	ds_write_b64 v8, v[6:7]
	s_and_saveexec_b64 s[12:13], s[10:11]
	s_cbranch_execz .LBB75_8
; %bb.7:
	v_mad_u64_u32 v[0:1], s[4:5], v5, s14, v[2:3]
	global_load_ubyte v10, v0, s[6:7]
	v_mad_u64_u32 v[0:1], s[4:5], v5, s15, v[4:5]
	v_mov_b32_e32 v1, 0
	v_lshlrev_b64 v[0:1], 3, v[0:1]
	v_mov_b32_e32 v6, s9
	v_add_co_u32_e64 v0, s[4:5], s8, v0
	v_addc_co_u32_e64 v1, s[4:5], v6, v1, s[4:5]
	global_load_dwordx2 v[0:1], v[0:1], off
.LBB75_8:
	s_or_b64 exec, exec, s[12:13]
	v_lshl_add_u32 v6, s16, 3, v8
	v_lshlrev_b32_e32 v17, 1, v3
	v_cndmask_b32_e64 v11, 0, 1, s[10:11]
	v_add_u32_e32 v7, v16, v5
	s_waitcnt vmcnt(0)
	ds_write_b64 v6, v[0:1]
	v_add_u32_e32 v0, v15, v5
	v_add_u32_e32 v1, v16, v17
	ds_write_b8 v7, v10
	ds_write_b8 v0, v11
	s_waitcnt lgkmcnt(0)
	s_barrier
	ds_read_u16 v11, v1
	s_mov_b32 s16, 1
	v_add_u32_e32 v0, v15, v17
	s_waitcnt lgkmcnt(0)
	v_cmp_le_u16_sdwa s[10:11], v11, v11 src0_sel:BYTE_0 src1_sel:BYTE_1
	v_cmp_gt_u16_sdwa s[4:5], v11, v11 src0_sel:BYTE_0 src1_sel:BYTE_1
	s_and_saveexec_b64 s[12:13], s[4:5]
	s_xor_b64 s[12:13], exec, s[12:13]
	s_cbranch_execz .LBB75_10
; %bb.9:
	ds_read_u8 v10, v0
	s_andn2_b64 s[10:11], s[10:11], exec
	s_waitcnt lgkmcnt(0)
	v_and_b32_e32 v10, 1, v10
	v_cmp_eq_u32_e64 s[4:5], 1, v10
	s_xor_b64 s[4:5], s[4:5], -1
	s_and_b64 s[4:5], s[4:5], exec
	s_or_b64 s[10:11], s[10:11], s[4:5]
.LBB75_10:
	s_or_b64 exec, exec, s[12:13]
	v_mov_b32_e32 v14, s16
	s_and_saveexec_b64 s[4:5], s[10:11]
	s_cbranch_execz .LBB75_12
; %bb.11:
	ds_read_u8 v10, v0 offset:1
	s_waitcnt lgkmcnt(0)
	v_xor_b32_e32 v14, 1, v10
.LBB75_12:
	s_or_b64 exec, exec, s[4:5]
	v_and_b32_e32 v12, 1, v3
	v_lshlrev_b32_e32 v10, 3, v3
	v_cmp_eq_u32_e64 s[4:5], v14, v12
	s_and_saveexec_b64 s[10:11], s[4:5]
	s_cbranch_execz .LBB75_14
; %bb.13:
	v_add_u32_e32 v14, v8, v10
	ds_read_b128 v[18:21], v14
	ds_read_u16 v24, v0
	v_lshlrev_b16_e32 v22, 8, v11
	v_or_b32_sdwa v11, v11, v22 dst_sel:DWORD dst_unused:UNUSED_PAD src0_sel:BYTE_1 src1_sel:DWORD
	s_mov_b32 s4, 0xc0c0001
	ds_write_b16 v1, v11
	s_waitcnt lgkmcnt(2)
	v_mov_b32_e32 v22, v18
	v_mov_b32_e32 v23, v19
	s_waitcnt lgkmcnt(1)
	v_perm_b32 v11, 0, v24, s4
	ds_write_b128 v14, v[20:23]
	ds_write_b16 v0, v11
.LBB75_14:
	s_or_b64 exec, exec, s[10:11]
	v_sub_u32_e32 v14, v17, v12
	v_add_u32_e32 v11, v16, v14
	s_waitcnt lgkmcnt(0)
	s_barrier
	ds_read_u8 v19, v11
	ds_read_u8 v20, v11 offset:2
	s_mov_b64 s[10:11], -1
	v_add_u32_e32 v12, v15, v14
                                        ; implicit-def: $sgpr16
	s_waitcnt lgkmcnt(0)
	v_cmp_gt_u16_e64 s[4:5], v19, v20
	s_and_saveexec_b64 s[12:13], s[4:5]
	s_xor_b64 s[12:13], exec, s[12:13]
	s_cbranch_execz .LBB75_16
; %bb.15:
	ds_read_u8 v18, v12
	s_mov_b32 s16, 1
	s_waitcnt lgkmcnt(0)
	v_and_b32_e32 v18, 1, v18
	v_cmp_eq_u32_e64 s[4:5], 1, v18
	s_xor_b64 s[4:5], s[4:5], -1
	s_orn2_b64 s[10:11], s[4:5], exec
.LBB75_16:
	s_or_b64 exec, exec, s[12:13]
	v_mov_b32_e32 v21, s16
	s_and_saveexec_b64 s[4:5], s[10:11]
	s_cbranch_execz .LBB75_18
; %bb.17:
	ds_read_u8 v18, v12 offset:2
	s_waitcnt lgkmcnt(0)
	v_xor_b32_e32 v21, 1, v18
.LBB75_18:
	s_or_b64 exec, exec, s[4:5]
	v_bfe_u32 v18, v3, 1, 1
	v_lshl_add_u32 v14, v14, 3, v13
	v_cmp_eq_u32_e64 s[4:5], v21, v18
	s_and_saveexec_b64 s[10:11], s[4:5]
	s_cbranch_execz .LBB75_20
; %bb.19:
	ds_read2_b64 v[22:25], v14 offset1:2
	ds_read_u8 v21, v12 offset:2
	ds_read_u8 v26, v12
	ds_write_b8 v11, v20
	ds_write_b8 v11, v19 offset:2
	s_waitcnt lgkmcnt(4)
	ds_write2_b64 v14, v[24:25], v[22:23] offset1:2
	s_waitcnt lgkmcnt(4)
	ds_write_b8 v12, v21
	s_waitcnt lgkmcnt(4)
	ds_write_b8 v12, v26 offset:2
.LBB75_20:
	s_or_b64 exec, exec, s[10:11]
	s_waitcnt lgkmcnt(0)
	s_barrier
	ds_read_u16 v19, v1
                                        ; implicit-def: $sgpr16
	s_waitcnt lgkmcnt(0)
	v_cmp_le_u16_sdwa s[10:11], v19, v19 src0_sel:BYTE_0 src1_sel:BYTE_1
	v_cmp_gt_u16_sdwa s[4:5], v19, v19 src0_sel:BYTE_0 src1_sel:BYTE_1
	s_and_saveexec_b64 s[12:13], s[4:5]
	s_cbranch_execnz .LBB75_87
; %bb.21:
	s_or_b64 exec, exec, s[12:13]
	v_mov_b32_e32 v20, s16
	s_and_saveexec_b64 s[4:5], s[10:11]
	s_cbranch_execnz .LBB75_88
.LBB75_22:
	s_or_b64 exec, exec, s[4:5]
	v_cmp_eq_u32_e64 s[4:5], v20, v18
	s_and_saveexec_b64 s[10:11], s[4:5]
	s_cbranch_execz .LBB75_24
.LBB75_23:
	v_add_u32_e32 v24, v8, v10
	ds_read_b128 v[20:23], v24
	ds_read_u16 v25, v0
	v_lshlrev_b16_e32 v18, 8, v19
	v_or_b32_sdwa v18, v19, v18 dst_sel:DWORD dst_unused:UNUSED_PAD src0_sel:BYTE_1 src1_sel:DWORD
	ds_write_b16 v1, v18
	s_waitcnt lgkmcnt(2)
	v_mov_b32_e32 v18, v22
	v_mov_b32_e32 v19, v23
	s_mov_b32 s4, 0xc0c0001
	ds_write_b128 v24, v[18:21]
	s_waitcnt lgkmcnt(2)
	v_perm_b32 v18, 0, v25, s4
	ds_write_b16 v0, v18
.LBB75_24:
	s_or_b64 exec, exec, s[10:11]
	v_and_b32_e32 v18, 3, v3
	v_sub_u32_e32 v20, v17, v18
	v_add_u32_e32 v18, v16, v20
	s_waitcnt lgkmcnt(0)
	s_barrier
	ds_read_u8 v22, v18
	ds_read_u8 v23, v18 offset:4
	v_add_u32_e32 v19, v15, v20
                                        ; implicit-def: $sgpr16
	s_waitcnt lgkmcnt(0)
	v_cmp_le_u16_e64 s[10:11], v22, v23
	v_cmp_gt_u16_e64 s[4:5], v22, v23
	s_and_saveexec_b64 s[12:13], s[4:5]
	s_cbranch_execz .LBB75_26
; %bb.25:
	ds_read_u8 v21, v19
	s_andn2_b64 s[10:11], s[10:11], exec
	s_mov_b32 s16, 1
	s_waitcnt lgkmcnt(0)
	v_and_b32_e32 v21, 1, v21
	v_cmp_eq_u32_e64 s[4:5], 1, v21
	s_xor_b64 s[4:5], s[4:5], -1
	s_and_b64 s[4:5], s[4:5], exec
	s_or_b64 s[10:11], s[10:11], s[4:5]
.LBB75_26:
	s_or_b64 exec, exec, s[12:13]
	v_mov_b32_e32 v24, s16
	s_and_saveexec_b64 s[4:5], s[10:11]
	s_cbranch_execz .LBB75_28
; %bb.27:
	ds_read_u8 v21, v19 offset:4
	s_waitcnt lgkmcnt(0)
	v_xor_b32_e32 v24, 1, v21
.LBB75_28:
	s_or_b64 exec, exec, s[4:5]
	v_bfe_u32 v21, v3, 2, 1
	v_lshl_add_u32 v20, v20, 3, v13
	v_cmp_eq_u32_e64 s[4:5], v24, v21
	s_and_saveexec_b64 s[10:11], s[4:5]
	s_cbranch_execz .LBB75_30
; %bb.29:
	ds_read2_b64 v[24:27], v20 offset1:4
	ds_read_u8 v28, v19 offset:4
	ds_read_u8 v29, v19
	ds_write_b8 v18, v23
	ds_write_b8 v18, v22 offset:4
	s_waitcnt lgkmcnt(4)
	ds_write2_b64 v20, v[26:27], v[24:25] offset1:4
	s_waitcnt lgkmcnt(4)
	ds_write_b8 v19, v28
	s_waitcnt lgkmcnt(4)
	ds_write_b8 v19, v29 offset:4
.LBB75_30:
	s_or_b64 exec, exec, s[10:11]
	s_waitcnt lgkmcnt(0)
	s_barrier
	ds_read_u8 v22, v11
	ds_read_u8 v23, v11 offset:2
                                        ; implicit-def: $sgpr16
	s_waitcnt lgkmcnt(0)
	v_cmp_le_u16_e64 s[10:11], v22, v23
	v_cmp_gt_u16_e64 s[4:5], v22, v23
	s_and_saveexec_b64 s[12:13], s[4:5]
	s_cbranch_execnz .LBB75_89
; %bb.31:
	s_or_b64 exec, exec, s[12:13]
	v_mov_b32_e32 v24, s16
	s_and_saveexec_b64 s[4:5], s[10:11]
	s_cbranch_execnz .LBB75_90
.LBB75_32:
	s_or_b64 exec, exec, s[4:5]
	v_cmp_eq_u32_e64 s[4:5], v24, v21
	s_and_saveexec_b64 s[10:11], s[4:5]
	s_cbranch_execz .LBB75_34
.LBB75_33:
	ds_read2_b64 v[24:27], v14 offset1:2
	ds_read_u8 v28, v12 offset:2
	ds_read_u8 v29, v12
	ds_write_b8 v11, v23
	ds_write_b8 v11, v22 offset:2
	s_waitcnt lgkmcnt(4)
	ds_write2_b64 v14, v[26:27], v[24:25] offset1:2
	s_waitcnt lgkmcnt(4)
	ds_write_b8 v12, v28
	s_waitcnt lgkmcnt(4)
	ds_write_b8 v12, v29 offset:2
.LBB75_34:
	s_or_b64 exec, exec, s[10:11]
	s_waitcnt lgkmcnt(0)
	s_barrier
	ds_read_u16 v22, v1
                                        ; implicit-def: $sgpr16
	s_waitcnt lgkmcnt(0)
	v_cmp_le_u16_sdwa s[10:11], v22, v22 src0_sel:BYTE_0 src1_sel:BYTE_1
	v_cmp_gt_u16_sdwa s[4:5], v22, v22 src0_sel:BYTE_0 src1_sel:BYTE_1
	s_and_saveexec_b64 s[12:13], s[4:5]
	s_cbranch_execnz .LBB75_91
; %bb.35:
	s_or_b64 exec, exec, s[12:13]
	v_mov_b32_e32 v23, s16
	s_and_saveexec_b64 s[4:5], s[10:11]
	s_cbranch_execnz .LBB75_92
.LBB75_36:
	s_or_b64 exec, exec, s[4:5]
	v_cmp_eq_u32_e64 s[4:5], v23, v21
	s_and_saveexec_b64 s[10:11], s[4:5]
	s_cbranch_execz .LBB75_38
.LBB75_37:
	v_add_u32_e32 v21, v8, v10
	ds_read_b128 v[24:27], v21
	ds_read_u16 v28, v0
	v_lshlrev_b16_e32 v23, 8, v22
	v_or_b32_sdwa v22, v22, v23 dst_sel:DWORD dst_unused:UNUSED_PAD src0_sel:BYTE_1 src1_sel:DWORD
	ds_write_b16 v1, v22
	s_waitcnt lgkmcnt(2)
	v_mov_b32_e32 v22, v26
	v_mov_b32_e32 v23, v27
	s_mov_b32 s4, 0xc0c0001
	ds_write_b128 v21, v[22:25]
	s_waitcnt lgkmcnt(2)
	v_perm_b32 v21, 0, v28, s4
	ds_write_b16 v0, v21
.LBB75_38:
	s_or_b64 exec, exec, s[10:11]
	v_and_b32_e32 v21, 7, v3
	v_sub_u32_e32 v23, v17, v21
	v_add_u32_e32 v21, v16, v23
	s_waitcnt lgkmcnt(0)
	s_barrier
	ds_read_u8 v25, v21
	ds_read_u8 v26, v21 offset:8
	v_add_u32_e32 v22, v15, v23
                                        ; implicit-def: $sgpr16
	s_waitcnt lgkmcnt(0)
	v_cmp_le_u16_e64 s[10:11], v25, v26
	v_cmp_gt_u16_e64 s[4:5], v25, v26
	s_and_saveexec_b64 s[12:13], s[4:5]
	s_cbranch_execz .LBB75_40
; %bb.39:
	ds_read_u8 v24, v22
	s_andn2_b64 s[10:11], s[10:11], exec
	s_mov_b32 s16, 1
	s_waitcnt lgkmcnt(0)
	v_and_b32_e32 v24, 1, v24
	v_cmp_eq_u32_e64 s[4:5], 1, v24
	s_xor_b64 s[4:5], s[4:5], -1
	s_and_b64 s[4:5], s[4:5], exec
	s_or_b64 s[10:11], s[10:11], s[4:5]
.LBB75_40:
	s_or_b64 exec, exec, s[12:13]
	v_mov_b32_e32 v27, s16
	s_and_saveexec_b64 s[4:5], s[10:11]
	s_cbranch_execz .LBB75_42
; %bb.41:
	ds_read_u8 v24, v22 offset:8
	s_waitcnt lgkmcnt(0)
	v_xor_b32_e32 v27, 1, v24
.LBB75_42:
	s_or_b64 exec, exec, s[4:5]
	v_bfe_u32 v24, v3, 3, 1
	v_lshl_add_u32 v23, v23, 3, v13
	v_cmp_eq_u32_e64 s[4:5], v27, v24
	s_and_saveexec_b64 s[10:11], s[4:5]
	s_cbranch_execz .LBB75_44
; %bb.43:
	ds_read2_b64 v[28:31], v23 offset1:8
	ds_read_u8 v27, v22 offset:8
	ds_read_u8 v32, v22
	ds_write_b8 v21, v26
	ds_write_b8 v21, v25 offset:8
	s_waitcnt lgkmcnt(4)
	ds_write2_b64 v23, v[30:31], v[28:29] offset1:8
	s_waitcnt lgkmcnt(4)
	ds_write_b8 v22, v27
	s_waitcnt lgkmcnt(4)
	ds_write_b8 v22, v32 offset:8
.LBB75_44:
	s_or_b64 exec, exec, s[10:11]
	s_waitcnt lgkmcnt(0)
	s_barrier
	ds_read_u8 v25, v18
	ds_read_u8 v26, v18 offset:4
                                        ; implicit-def: $sgpr16
	s_waitcnt lgkmcnt(0)
	v_cmp_le_u16_e64 s[10:11], v25, v26
	v_cmp_gt_u16_e64 s[4:5], v25, v26
	s_and_saveexec_b64 s[12:13], s[4:5]
	s_cbranch_execnz .LBB75_93
; %bb.45:
	s_or_b64 exec, exec, s[12:13]
	v_mov_b32_e32 v27, s16
	s_and_saveexec_b64 s[4:5], s[10:11]
	s_cbranch_execnz .LBB75_94
.LBB75_46:
	s_or_b64 exec, exec, s[4:5]
	v_cmp_eq_u32_e64 s[4:5], v27, v24
	s_and_saveexec_b64 s[10:11], s[4:5]
	s_cbranch_execz .LBB75_48
.LBB75_47:
	ds_read2_b64 v[28:31], v20 offset1:4
	ds_read_u8 v27, v19 offset:4
	ds_read_u8 v32, v19
	ds_write_b8 v18, v26
	ds_write_b8 v18, v25 offset:4
	s_waitcnt lgkmcnt(4)
	ds_write2_b64 v20, v[30:31], v[28:29] offset1:4
	s_waitcnt lgkmcnt(4)
	ds_write_b8 v19, v27
	s_waitcnt lgkmcnt(4)
	ds_write_b8 v19, v32 offset:4
.LBB75_48:
	s_or_b64 exec, exec, s[10:11]
	s_waitcnt lgkmcnt(0)
	s_barrier
	ds_read_u8 v25, v11
	ds_read_u8 v26, v11 offset:2
                                        ; implicit-def: $sgpr16
	s_waitcnt lgkmcnt(0)
	v_cmp_le_u16_e64 s[10:11], v25, v26
	v_cmp_gt_u16_e64 s[4:5], v25, v26
	s_and_saveexec_b64 s[12:13], s[4:5]
	s_cbranch_execnz .LBB75_95
; %bb.49:
	s_or_b64 exec, exec, s[12:13]
	v_mov_b32_e32 v27, s16
	s_and_saveexec_b64 s[4:5], s[10:11]
	s_cbranch_execnz .LBB75_96
.LBB75_50:
	s_or_b64 exec, exec, s[4:5]
	v_cmp_eq_u32_e64 s[4:5], v27, v24
	s_and_saveexec_b64 s[10:11], s[4:5]
	s_cbranch_execz .LBB75_52
.LBB75_51:
	ds_read2_b64 v[28:31], v14 offset1:2
	ds_read_u8 v27, v12 offset:2
	ds_read_u8 v32, v12
	ds_write_b8 v11, v26
	ds_write_b8 v11, v25 offset:2
	s_waitcnt lgkmcnt(4)
	ds_write2_b64 v14, v[30:31], v[28:29] offset1:2
	s_waitcnt lgkmcnt(4)
	ds_write_b8 v12, v27
	s_waitcnt lgkmcnt(4)
	ds_write_b8 v12, v32 offset:2
.LBB75_52:
	s_or_b64 exec, exec, s[10:11]
	s_waitcnt lgkmcnt(0)
	s_barrier
	ds_read_u16 v25, v1
                                        ; implicit-def: $sgpr16
	s_waitcnt lgkmcnt(0)
	v_cmp_le_u16_sdwa s[10:11], v25, v25 src0_sel:BYTE_0 src1_sel:BYTE_1
	v_cmp_gt_u16_sdwa s[4:5], v25, v25 src0_sel:BYTE_0 src1_sel:BYTE_1
	s_and_saveexec_b64 s[12:13], s[4:5]
	s_cbranch_execnz .LBB75_97
; %bb.53:
	s_or_b64 exec, exec, s[12:13]
	v_mov_b32_e32 v26, s16
	s_and_saveexec_b64 s[4:5], s[10:11]
	s_cbranch_execnz .LBB75_98
.LBB75_54:
	s_or_b64 exec, exec, s[4:5]
	v_cmp_eq_u32_e64 s[4:5], v26, v24
	s_and_saveexec_b64 s[10:11], s[4:5]
	s_cbranch_execz .LBB75_56
.LBB75_55:
	v_add_u32_e32 v30, v8, v10
	ds_read_b128 v[26:29], v30
	ds_read_u16 v31, v0
	v_lshlrev_b16_e32 v24, 8, v25
	v_or_b32_sdwa v24, v25, v24 dst_sel:DWORD dst_unused:UNUSED_PAD src0_sel:BYTE_1 src1_sel:DWORD
	ds_write_b16 v1, v24
	s_waitcnt lgkmcnt(2)
	v_mov_b32_e32 v24, v28
	v_mov_b32_e32 v25, v29
	s_mov_b32 s4, 0xc0c0001
	ds_write_b128 v30, v[24:27]
	s_waitcnt lgkmcnt(2)
	v_perm_b32 v24, 0, v31, s4
	ds_write_b16 v0, v24
.LBB75_56:
	s_or_b64 exec, exec, s[10:11]
	v_and_b32_e32 v24, 15, v3
	v_sub_u32_e32 v25, v17, v24
	v_add_u32_e32 v16, v16, v25
	s_waitcnt lgkmcnt(0)
	s_barrier
	ds_read_u8 v17, v16
	ds_read_u8 v24, v16 offset:16
	v_add_u32_e32 v15, v15, v25
	s_waitcnt lgkmcnt(0)
	v_cmp_le_u16_e64 s[12:13], v17, v24
	v_cmp_gt_u16_e64 s[4:5], v17, v24
	s_and_saveexec_b64 s[10:11], s[4:5]
	s_cbranch_execz .LBB75_58
; %bb.57:
	ds_read_u8 v26, v15
	s_andn2_b64 s[12:13], s[12:13], exec
	s_waitcnt lgkmcnt(0)
	v_and_b32_e32 v26, 1, v26
	v_cmp_eq_u32_e64 s[4:5], 1, v26
	s_xor_b64 s[4:5], s[4:5], -1
	s_and_b64 s[4:5], s[4:5], exec
	s_or_b64 s[12:13], s[12:13], s[4:5]
.LBB75_58:
	s_or_b64 exec, exec, s[10:11]
	s_and_saveexec_b64 s[10:11], s[12:13]
	s_cbranch_execz .LBB75_61
; %bb.59:
	ds_read_u8 v26, v15 offset:16
	s_waitcnt lgkmcnt(0)
	v_cmp_ne_u16_e64 s[4:5], 0, v26
	s_and_b64 exec, exec, s[4:5]
	s_cbranch_execz .LBB75_61
; %bb.60:
	v_lshl_add_u32 v13, v25, 3, v13
	ds_read2_b64 v[28:31], v13 offset1:16
	ds_read_u8 v25, v15
	ds_write_b8 v16, v24
	ds_write_b8 v16, v17 offset:16
	ds_write_b8 v15, v26
	s_waitcnt lgkmcnt(4)
	ds_write2_b64 v13, v[30:31], v[28:29] offset1:16
	s_waitcnt lgkmcnt(4)
	ds_write_b8 v15, v25 offset:16
.LBB75_61:
	s_or_b64 exec, exec, s[10:11]
	s_waitcnt lgkmcnt(0)
	s_barrier
	ds_read_u8 v13, v21
	ds_read_u8 v15, v21 offset:8
	s_waitcnt lgkmcnt(0)
	v_cmp_le_u16_e64 s[12:13], v13, v15
	v_cmp_gt_u16_e64 s[4:5], v13, v15
	s_and_saveexec_b64 s[10:11], s[4:5]
	s_cbranch_execz .LBB75_63
; %bb.62:
	ds_read_u8 v16, v22
	s_andn2_b64 s[12:13], s[12:13], exec
	s_waitcnt lgkmcnt(0)
	v_and_b32_e32 v16, 1, v16
	v_cmp_eq_u32_e64 s[4:5], 1, v16
	s_xor_b64 s[4:5], s[4:5], -1
	s_and_b64 s[4:5], s[4:5], exec
	s_or_b64 s[12:13], s[12:13], s[4:5]
.LBB75_63:
	s_or_b64 exec, exec, s[10:11]
	s_and_saveexec_b64 s[10:11], s[12:13]
	s_cbranch_execz .LBB75_66
; %bb.64:
	ds_read_u8 v16, v22 offset:8
	s_waitcnt lgkmcnt(0)
	v_cmp_ne_u16_e64 s[4:5], 0, v16
	s_and_b64 exec, exec, s[4:5]
	s_cbranch_execz .LBB75_66
; %bb.65:
	ds_read2_b64 v[24:27], v23 offset1:8
	ds_read_u8 v17, v22
	ds_write_b8 v21, v15
	ds_write_b8 v21, v13 offset:8
	ds_write_b8 v22, v16
	s_waitcnt lgkmcnt(4)
	ds_write2_b64 v23, v[26:27], v[24:25] offset1:8
	s_waitcnt lgkmcnt(4)
	ds_write_b8 v22, v17 offset:8
.LBB75_66:
	s_or_b64 exec, exec, s[10:11]
	s_waitcnt lgkmcnt(0)
	s_barrier
	ds_read_u8 v13, v18
	ds_read_u8 v15, v18 offset:4
	s_waitcnt lgkmcnt(0)
	v_cmp_le_u16_e64 s[12:13], v13, v15
	v_cmp_gt_u16_e64 s[4:5], v13, v15
	s_and_saveexec_b64 s[10:11], s[4:5]
	s_cbranch_execz .LBB75_68
; %bb.67:
	ds_read_u8 v16, v19
	s_andn2_b64 s[12:13], s[12:13], exec
	s_waitcnt lgkmcnt(0)
	v_and_b32_e32 v16, 1, v16
	v_cmp_eq_u32_e64 s[4:5], 1, v16
	s_xor_b64 s[4:5], s[4:5], -1
	s_and_b64 s[4:5], s[4:5], exec
	s_or_b64 s[12:13], s[12:13], s[4:5]
.LBB75_68:
	s_or_b64 exec, exec, s[10:11]
	s_and_saveexec_b64 s[10:11], s[12:13]
	s_cbranch_execz .LBB75_71
; %bb.69:
	ds_read_u8 v16, v19 offset:4
	s_waitcnt lgkmcnt(0)
	v_cmp_ne_u16_e64 s[4:5], 0, v16
	s_and_b64 exec, exec, s[4:5]
	s_cbranch_execz .LBB75_71
; %bb.70:
	ds_read2_b64 v[22:25], v20 offset1:4
	ds_read_u8 v17, v19
	ds_write_b8 v18, v15
	ds_write_b8 v18, v13 offset:4
	ds_write_b8 v19, v16
	s_waitcnt lgkmcnt(4)
	ds_write2_b64 v20, v[24:25], v[22:23] offset1:4
	s_waitcnt lgkmcnt(4)
	ds_write_b8 v19, v17 offset:4
.LBB75_71:
	;; [unrolled: 40-line block ×3, first 2 shown]
	s_or_b64 exec, exec, s[10:11]
	s_waitcnt lgkmcnt(0)
	s_barrier
	ds_read_u16 v11, v1
	s_waitcnt lgkmcnt(0)
	v_cmp_le_u16_sdwa s[12:13], v11, v11 src0_sel:BYTE_0 src1_sel:BYTE_1
	v_cmp_gt_u16_sdwa s[4:5], v11, v11 src0_sel:BYTE_0 src1_sel:BYTE_1
	s_and_saveexec_b64 s[10:11], s[4:5]
	s_cbranch_execz .LBB75_78
; %bb.77:
	ds_read_u8 v12, v0
	s_andn2_b64 s[12:13], s[12:13], exec
	s_waitcnt lgkmcnt(0)
	v_and_b32_e32 v12, 1, v12
	v_cmp_eq_u32_e64 s[4:5], 1, v12
	s_xor_b64 s[4:5], s[4:5], -1
	s_and_b64 s[4:5], s[4:5], exec
	s_or_b64 s[12:13], s[12:13], s[4:5]
.LBB75_78:
	s_or_b64 exec, exec, s[10:11]
	s_and_saveexec_b64 s[10:11], s[12:13]
	s_cbranch_execz .LBB75_81
; %bb.79:
	ds_read_u8 v12, v0 offset:1
	s_waitcnt lgkmcnt(0)
	v_cmp_ne_u16_e64 s[4:5], 0, v12
	s_and_b64 exec, exec, s[4:5]
	s_cbranch_execz .LBB75_81
; %bb.80:
	v_add_u32_e32 v10, v8, v10
	v_lshlrev_b16_e32 v13, 8, v11
	ds_read_b128 v[14:17], v10
	v_or_b32_sdwa v11, v11, v13 dst_sel:DWORD dst_unused:UNUSED_PAD src0_sel:BYTE_1 src1_sel:DWORD
	ds_read_u8 v13, v0
	ds_write_b16 v1, v11
	s_waitcnt lgkmcnt(2)
	v_mov_b32_e32 v18, v14
	v_mov_b32_e32 v19, v15
	s_waitcnt lgkmcnt(1)
	v_lshlrev_b16_e32 v1, 8, v13
	v_or_b32_e32 v1, v12, v1
	ds_write_b128 v10, v[16:19]
	ds_write_b16 v0, v1
.LBB75_81:
	s_or_b64 exec, exec, s[10:11]
	s_waitcnt lgkmcnt(0)
	s_barrier
	s_and_saveexec_b64 s[4:5], vcc
	s_cbranch_execz .LBB75_86
; %bb.82:
	s_and_saveexec_b64 s[4:5], s[0:1]
	s_cbranch_execz .LBB75_84
; %bb.83:
	ds_read_u8 v10, v9
	v_mad_u64_u32 v[0:1], s[0:1], v3, s14, v[2:3]
	ds_read_b64 v[8:9], v8
	s_waitcnt lgkmcnt(1)
	global_store_byte v0, v10, s[6:7]
	v_mad_u64_u32 v[0:1], s[0:1], v3, s15, v[4:5]
	v_mov_b32_e32 v1, 0
	v_lshlrev_b64 v[0:1], 3, v[0:1]
	v_mov_b32_e32 v3, s9
	v_add_co_u32_e32 v0, vcc, s8, v0
	v_addc_co_u32_e32 v1, vcc, v3, v1, vcc
	s_waitcnt lgkmcnt(0)
	global_store_dwordx2 v[0:1], v[8:9], off
.LBB75_84:
	s_or_b64 exec, exec, s[4:5]
	s_and_b64 exec, exec, s[2:3]
	s_cbranch_execz .LBB75_86
; %bb.85:
	ds_read_u8 v7, v7
	v_mad_u64_u32 v[0:1], s[0:1], v5, s14, v[2:3]
	ds_read_b64 v[2:3], v6
	s_waitcnt lgkmcnt(1)
	global_store_byte v0, v7, s[6:7]
	v_mad_u64_u32 v[0:1], s[0:1], v5, s15, v[4:5]
	v_mov_b32_e32 v1, 0
	v_lshlrev_b64 v[0:1], 3, v[0:1]
	v_mov_b32_e32 v4, s9
	v_add_co_u32_e32 v0, vcc, s8, v0
	v_addc_co_u32_e32 v1, vcc, v4, v1, vcc
	s_waitcnt lgkmcnt(0)
	global_store_dwordx2 v[0:1], v[2:3], off
.LBB75_86:
	s_endpgm
.LBB75_87:
	ds_read_u8 v20, v0
	s_andn2_b64 s[10:11], s[10:11], exec
	s_mov_b32 s16, 1
	s_waitcnt lgkmcnt(0)
	v_and_b32_e32 v20, 1, v20
	v_cmp_eq_u32_e64 s[4:5], 1, v20
	s_xor_b64 s[4:5], s[4:5], -1
	s_and_b64 s[4:5], s[4:5], exec
	s_or_b64 s[10:11], s[10:11], s[4:5]
	s_or_b64 exec, exec, s[12:13]
	v_mov_b32_e32 v20, s16
	s_and_saveexec_b64 s[4:5], s[10:11]
	s_cbranch_execz .LBB75_22
.LBB75_88:
	ds_read_u8 v20, v0 offset:1
	s_waitcnt lgkmcnt(0)
	v_xor_b32_e32 v20, 1, v20
	s_or_b64 exec, exec, s[4:5]
	v_cmp_eq_u32_e64 s[4:5], v20, v18
	s_and_saveexec_b64 s[10:11], s[4:5]
	s_cbranch_execnz .LBB75_23
	s_branch .LBB75_24
.LBB75_89:
	ds_read_u8 v24, v12
	s_andn2_b64 s[10:11], s[10:11], exec
	s_mov_b32 s16, 1
	s_waitcnt lgkmcnt(0)
	v_and_b32_e32 v24, 1, v24
	v_cmp_eq_u32_e64 s[4:5], 1, v24
	s_xor_b64 s[4:5], s[4:5], -1
	s_and_b64 s[4:5], s[4:5], exec
	s_or_b64 s[10:11], s[10:11], s[4:5]
	s_or_b64 exec, exec, s[12:13]
	v_mov_b32_e32 v24, s16
	s_and_saveexec_b64 s[4:5], s[10:11]
	s_cbranch_execz .LBB75_32
.LBB75_90:
	ds_read_u8 v24, v12 offset:2
	s_waitcnt lgkmcnt(0)
	v_xor_b32_e32 v24, 1, v24
	s_or_b64 exec, exec, s[4:5]
	v_cmp_eq_u32_e64 s[4:5], v24, v21
	s_and_saveexec_b64 s[10:11], s[4:5]
	s_cbranch_execnz .LBB75_33
	s_branch .LBB75_34
.LBB75_91:
	ds_read_u8 v23, v0
	s_andn2_b64 s[10:11], s[10:11], exec
	s_mov_b32 s16, 1
	s_waitcnt lgkmcnt(0)
	v_and_b32_e32 v23, 1, v23
	v_cmp_eq_u32_e64 s[4:5], 1, v23
	s_xor_b64 s[4:5], s[4:5], -1
	s_and_b64 s[4:5], s[4:5], exec
	s_or_b64 s[10:11], s[10:11], s[4:5]
	s_or_b64 exec, exec, s[12:13]
	v_mov_b32_e32 v23, s16
	s_and_saveexec_b64 s[4:5], s[10:11]
	s_cbranch_execz .LBB75_36
.LBB75_92:
	ds_read_u8 v23, v0 offset:1
	s_waitcnt lgkmcnt(0)
	v_xor_b32_e32 v23, 1, v23
	s_or_b64 exec, exec, s[4:5]
	v_cmp_eq_u32_e64 s[4:5], v23, v21
	s_and_saveexec_b64 s[10:11], s[4:5]
	s_cbranch_execnz .LBB75_37
	s_branch .LBB75_38
.LBB75_93:
	ds_read_u8 v27, v19
	s_andn2_b64 s[10:11], s[10:11], exec
	s_mov_b32 s16, 1
	s_waitcnt lgkmcnt(0)
	v_and_b32_e32 v27, 1, v27
	v_cmp_eq_u32_e64 s[4:5], 1, v27
	s_xor_b64 s[4:5], s[4:5], -1
	s_and_b64 s[4:5], s[4:5], exec
	s_or_b64 s[10:11], s[10:11], s[4:5]
	s_or_b64 exec, exec, s[12:13]
	v_mov_b32_e32 v27, s16
	s_and_saveexec_b64 s[4:5], s[10:11]
	s_cbranch_execz .LBB75_46
.LBB75_94:
	ds_read_u8 v27, v19 offset:4
	s_waitcnt lgkmcnt(0)
	v_xor_b32_e32 v27, 1, v27
	s_or_b64 exec, exec, s[4:5]
	v_cmp_eq_u32_e64 s[4:5], v27, v24
	s_and_saveexec_b64 s[10:11], s[4:5]
	s_cbranch_execnz .LBB75_47
	s_branch .LBB75_48
.LBB75_95:
	ds_read_u8 v27, v12
	s_andn2_b64 s[10:11], s[10:11], exec
	s_mov_b32 s16, 1
	s_waitcnt lgkmcnt(0)
	v_and_b32_e32 v27, 1, v27
	v_cmp_eq_u32_e64 s[4:5], 1, v27
	s_xor_b64 s[4:5], s[4:5], -1
	s_and_b64 s[4:5], s[4:5], exec
	s_or_b64 s[10:11], s[10:11], s[4:5]
	s_or_b64 exec, exec, s[12:13]
	v_mov_b32_e32 v27, s16
	s_and_saveexec_b64 s[4:5], s[10:11]
	s_cbranch_execz .LBB75_50
.LBB75_96:
	ds_read_u8 v27, v12 offset:2
	s_waitcnt lgkmcnt(0)
	v_xor_b32_e32 v27, 1, v27
	s_or_b64 exec, exec, s[4:5]
	v_cmp_eq_u32_e64 s[4:5], v27, v24
	s_and_saveexec_b64 s[10:11], s[4:5]
	s_cbranch_execnz .LBB75_51
	s_branch .LBB75_52
.LBB75_97:
	ds_read_u8 v26, v0
	s_andn2_b64 s[10:11], s[10:11], exec
	s_mov_b32 s16, 1
	s_waitcnt lgkmcnt(0)
	v_and_b32_e32 v26, 1, v26
	v_cmp_eq_u32_e64 s[4:5], 1, v26
	s_xor_b64 s[4:5], s[4:5], -1
	s_and_b64 s[4:5], s[4:5], exec
	s_or_b64 s[10:11], s[10:11], s[4:5]
	s_or_b64 exec, exec, s[12:13]
	v_mov_b32_e32 v26, s16
	s_and_saveexec_b64 s[4:5], s[10:11]
	s_cbranch_execz .LBB75_54
.LBB75_98:
	ds_read_u8 v26, v0 offset:1
	s_waitcnt lgkmcnt(0)
	v_xor_b32_e32 v26, 1, v26
	s_or_b64 exec, exec, s[4:5]
	v_cmp_eq_u32_e64 s[4:5], v26, v24
	s_and_saveexec_b64 s[10:11], s[4:5]
	s_cbranch_execnz .LBB75_55
	s_branch .LBB75_56
	.section	.rodata,"a",@progbits
	.p2align	6, 0x0
	.amdhsa_kernel _ZN2at6native20bitonicSortKVInPlaceILi2ELin1ELi16ELi16EblNS0_4GTOpIbLb1EEEjEEvNS_4cuda6detail10TensorInfoIT3_T6_EES8_S8_S8_NS6_IT4_S8_EES8_T5_
		.amdhsa_group_segment_fixed_size 5120
		.amdhsa_private_segment_fixed_size 0
		.amdhsa_kernarg_size 712
		.amdhsa_user_sgpr_count 6
		.amdhsa_user_sgpr_private_segment_buffer 1
		.amdhsa_user_sgpr_dispatch_ptr 0
		.amdhsa_user_sgpr_queue_ptr 0
		.amdhsa_user_sgpr_kernarg_segment_ptr 1
		.amdhsa_user_sgpr_dispatch_id 0
		.amdhsa_user_sgpr_flat_scratch_init 0
		.amdhsa_user_sgpr_kernarg_preload_length 0
		.amdhsa_user_sgpr_kernarg_preload_offset 0
		.amdhsa_user_sgpr_private_segment_size 0
		.amdhsa_uses_dynamic_stack 0
		.amdhsa_system_sgpr_private_segment_wavefront_offset 0
		.amdhsa_system_sgpr_workgroup_id_x 1
		.amdhsa_system_sgpr_workgroup_id_y 1
		.amdhsa_system_sgpr_workgroup_id_z 1
		.amdhsa_system_sgpr_workgroup_info 0
		.amdhsa_system_vgpr_workitem_id 1
		.amdhsa_next_free_vgpr 33
		.amdhsa_next_free_sgpr 20
		.amdhsa_accum_offset 36
		.amdhsa_reserve_vcc 1
		.amdhsa_reserve_flat_scratch 0
		.amdhsa_float_round_mode_32 0
		.amdhsa_float_round_mode_16_64 0
		.amdhsa_float_denorm_mode_32 3
		.amdhsa_float_denorm_mode_16_64 3
		.amdhsa_dx10_clamp 1
		.amdhsa_ieee_mode 1
		.amdhsa_fp16_overflow 0
		.amdhsa_tg_split 0
		.amdhsa_exception_fp_ieee_invalid_op 0
		.amdhsa_exception_fp_denorm_src 0
		.amdhsa_exception_fp_ieee_div_zero 0
		.amdhsa_exception_fp_ieee_overflow 0
		.amdhsa_exception_fp_ieee_underflow 0
		.amdhsa_exception_fp_ieee_inexact 0
		.amdhsa_exception_int_div_zero 0
	.end_amdhsa_kernel
	.section	.text._ZN2at6native20bitonicSortKVInPlaceILi2ELin1ELi16ELi16EblNS0_4GTOpIbLb1EEEjEEvNS_4cuda6detail10TensorInfoIT3_T6_EES8_S8_S8_NS6_IT4_S8_EES8_T5_,"axG",@progbits,_ZN2at6native20bitonicSortKVInPlaceILi2ELin1ELi16ELi16EblNS0_4GTOpIbLb1EEEjEEvNS_4cuda6detail10TensorInfoIT3_T6_EES8_S8_S8_NS6_IT4_S8_EES8_T5_,comdat
.Lfunc_end75:
	.size	_ZN2at6native20bitonicSortKVInPlaceILi2ELin1ELi16ELi16EblNS0_4GTOpIbLb1EEEjEEvNS_4cuda6detail10TensorInfoIT3_T6_EES8_S8_S8_NS6_IT4_S8_EES8_T5_, .Lfunc_end75-_ZN2at6native20bitonicSortKVInPlaceILi2ELin1ELi16ELi16EblNS0_4GTOpIbLb1EEEjEEvNS_4cuda6detail10TensorInfoIT3_T6_EES8_S8_S8_NS6_IT4_S8_EES8_T5_
                                        ; -- End function
	.section	.AMDGPU.csdata,"",@progbits
; Kernel info:
; codeLenInByte = 4772
; NumSgprs: 24
; NumVgprs: 33
; NumAgprs: 0
; TotalNumVgprs: 33
; ScratchSize: 0
; MemoryBound: 0
; FloatMode: 240
; IeeeMode: 1
; LDSByteSize: 5120 bytes/workgroup (compile time only)
; SGPRBlocks: 2
; VGPRBlocks: 4
; NumSGPRsForWavesPerEU: 24
; NumVGPRsForWavesPerEU: 33
; AccumOffset: 36
; Occupancy: 8
; WaveLimiterHint : 1
; COMPUTE_PGM_RSRC2:SCRATCH_EN: 0
; COMPUTE_PGM_RSRC2:USER_SGPR: 6
; COMPUTE_PGM_RSRC2:TRAP_HANDLER: 0
; COMPUTE_PGM_RSRC2:TGID_X_EN: 1
; COMPUTE_PGM_RSRC2:TGID_Y_EN: 1
; COMPUTE_PGM_RSRC2:TGID_Z_EN: 1
; COMPUTE_PGM_RSRC2:TIDIG_COMP_CNT: 1
; COMPUTE_PGM_RSRC3_GFX90A:ACCUM_OFFSET: 8
; COMPUTE_PGM_RSRC3_GFX90A:TG_SPLIT: 0
	.section	.text._ZN2at6native20bitonicSortKVInPlaceILin1ELin1ELi16ELi16EblNS0_4LTOpIbLb1EEEjEEvNS_4cuda6detail10TensorInfoIT3_T6_EES8_S8_S8_NS6_IT4_S8_EES8_T5_,"axG",@progbits,_ZN2at6native20bitonicSortKVInPlaceILin1ELin1ELi16ELi16EblNS0_4LTOpIbLb1EEEjEEvNS_4cuda6detail10TensorInfoIT3_T6_EES8_S8_S8_NS6_IT4_S8_EES8_T5_,comdat
	.protected	_ZN2at6native20bitonicSortKVInPlaceILin1ELin1ELi16ELi16EblNS0_4LTOpIbLb1EEEjEEvNS_4cuda6detail10TensorInfoIT3_T6_EES8_S8_S8_NS6_IT4_S8_EES8_T5_ ; -- Begin function _ZN2at6native20bitonicSortKVInPlaceILin1ELin1ELi16ELi16EblNS0_4LTOpIbLb1EEEjEEvNS_4cuda6detail10TensorInfoIT3_T6_EES8_S8_S8_NS6_IT4_S8_EES8_T5_
	.globl	_ZN2at6native20bitonicSortKVInPlaceILin1ELin1ELi16ELi16EblNS0_4LTOpIbLb1EEEjEEvNS_4cuda6detail10TensorInfoIT3_T6_EES8_S8_S8_NS6_IT4_S8_EES8_T5_
	.p2align	8
	.type	_ZN2at6native20bitonicSortKVInPlaceILin1ELin1ELi16ELi16EblNS0_4LTOpIbLb1EEEjEEvNS_4cuda6detail10TensorInfoIT3_T6_EES8_S8_S8_NS6_IT4_S8_EES8_T5_,@function
_ZN2at6native20bitonicSortKVInPlaceILin1ELin1ELi16ELi16EblNS0_4LTOpIbLb1EEEjEEvNS_4cuda6detail10TensorInfoIT3_T6_EES8_S8_S8_NS6_IT4_S8_EES8_T5_: ; @_ZN2at6native20bitonicSortKVInPlaceILin1ELin1ELi16ELi16EblNS0_4LTOpIbLb1EEEjEEvNS_4cuda6detail10TensorInfoIT3_T6_EES8_S8_S8_NS6_IT4_S8_EES8_T5_
; %bb.0:
	s_load_dwordx2 s[2:3], s[4:5], 0x1c8
	s_load_dwordx4 s[12:15], s[4:5], 0xd8
	s_load_dword s9, s[4:5], 0x1d4
	s_add_u32 s0, s4, 0x1c8
	s_addc_u32 s1, s5, 0
	s_waitcnt lgkmcnt(0)
	s_mul_i32 s3, s3, s8
	s_add_i32 s3, s3, s7
	s_mul_i32 s2, s3, s2
	s_add_i32 s3, s2, s6
	s_lshr_b32 s2, s9, 16
	s_mul_i32 s3, s3, s2
	s_cmp_ge_u32 s3, s12
	s_cbranch_scc1 .LBB76_89
; %bb.1:
	s_load_dword s2, s[4:5], 0xd0
	v_bfe_u32 v8, v0, 10, 10
	v_add_u32_e32 v1, s3, v8
	v_mov_b32_e32 v2, 0
	v_mov_b32_e32 v6, v1
	s_waitcnt lgkmcnt(0)
	s_cmp_lt_i32 s2, 2
	s_cbranch_scc1 .LBB76_4
; %bb.2:
	s_add_i32 s6, s2, 1
	s_add_i32 s2, s2, -1
	s_mov_b32 s3, 0
	s_lshl_b64 s[2:3], s[2:3], 2
	s_add_u32 s2, s2, s4
	s_addc_u32 s3, s3, s5
	s_add_u32 s2, s2, 8
	s_addc_u32 s3, s3, 0
	v_mov_b32_e32 v2, 0
	v_mov_b32_e32 v6, v1
.LBB76_3:                               ; =>This Inner Loop Header: Depth=1
	s_load_dword s7, s[2:3], 0x0
	s_load_dword s8, s[2:3], 0x64
	v_mov_b32_e32 v3, v6
	s_add_i32 s6, s6, -1
	s_waitcnt lgkmcnt(0)
	v_cvt_f32_u32_e32 v4, s7
	s_sub_i32 s9, 0, s7
	s_add_u32 s2, s2, -4
	s_addc_u32 s3, s3, -1
	v_rcp_iflag_f32_e32 v4, v4
	s_cmp_gt_u32 s6, 2
	v_mul_f32_e32 v4, 0x4f7ffffe, v4
	v_cvt_u32_f32_e32 v4, v4
	v_mul_lo_u32 v5, s9, v4
	v_mul_hi_u32 v5, v4, v5
	v_add_u32_e32 v4, v4, v5
	v_mul_hi_u32 v4, v3, v4
	v_mul_lo_u32 v5, v4, s7
	v_sub_u32_e32 v5, v3, v5
	v_add_u32_e32 v6, 1, v4
	v_cmp_le_u32_e32 vcc, s7, v5
	v_cndmask_b32_e32 v4, v4, v6, vcc
	v_subrev_u32_e32 v6, s7, v5
	v_cndmask_b32_e32 v5, v5, v6, vcc
	v_add_u32_e32 v6, 1, v4
	v_cmp_le_u32_e32 vcc, s7, v5
	v_cndmask_b32_e32 v6, v4, v6, vcc
	v_mul_lo_u32 v4, v6, s7
	v_sub_u32_e32 v3, v3, v4
	v_mad_u64_u32 v[2:3], s[8:9], s8, v3, v[2:3]
	s_cbranch_scc1 .LBB76_3
.LBB76_4:
	s_load_dword s2, s[4:5], 0x1b8
	v_mov_b32_e32 v4, 0
	v_mov_b32_e32 v7, v1
	s_waitcnt lgkmcnt(0)
	s_cmp_lt_i32 s2, 2
	s_cbranch_scc1 .LBB76_7
; %bb.5:
	s_add_i32 s6, s2, 1
	s_add_i32 s2, s2, -1
	s_mov_b32 s3, 0
	s_lshl_b64 s[2:3], s[2:3], 2
	s_add_u32 s2, s2, s4
	s_addc_u32 s3, s3, s5
	s_add_u32 s2, s2, 0xf0
	s_addc_u32 s3, s3, 0
	v_mov_b32_e32 v4, 0
	v_mov_b32_e32 v7, v1
.LBB76_6:                               ; =>This Inner Loop Header: Depth=1
	s_load_dword s7, s[2:3], 0x0
	s_load_dword s8, s[2:3], 0x64
	v_mov_b32_e32 v3, v7
	s_add_i32 s6, s6, -1
	s_waitcnt lgkmcnt(0)
	v_cvt_f32_u32_e32 v5, s7
	s_sub_i32 s9, 0, s7
	s_add_u32 s2, s2, -4
	s_addc_u32 s3, s3, -1
	v_rcp_iflag_f32_e32 v5, v5
	s_cmp_gt_u32 s6, 2
	v_mul_f32_e32 v5, 0x4f7ffffe, v5
	v_cvt_u32_f32_e32 v5, v5
	v_mul_lo_u32 v7, s9, v5
	v_mul_hi_u32 v7, v5, v7
	v_add_u32_e32 v5, v5, v7
	v_mul_hi_u32 v5, v3, v5
	v_mul_lo_u32 v7, v5, s7
	v_sub_u32_e32 v7, v3, v7
	v_add_u32_e32 v9, 1, v5
	v_cmp_le_u32_e32 vcc, s7, v7
	v_cndmask_b32_e32 v5, v5, v9, vcc
	v_subrev_u32_e32 v9, s7, v7
	v_cndmask_b32_e32 v7, v7, v9, vcc
	v_add_u32_e32 v9, 1, v5
	v_cmp_le_u32_e32 vcc, s7, v7
	v_cndmask_b32_e32 v7, v5, v9, vcc
	v_mul_lo_u32 v5, v7, s7
	v_sub_u32_e32 v3, v3, v5
	v_mad_u64_u32 v[4:5], s[8:9], s8, v3, v[4:5]
	s_cbranch_scc1 .LBB76_6
.LBB76_7:
	s_load_dword s2, s[4:5], 0x6c
	v_cmp_gt_u32_e32 vcc, s12, v1
	v_mov_b32_e32 v10, 0
	s_waitcnt lgkmcnt(0)
	v_mad_u64_u32 v[2:3], s[2:3], s2, v6, v[2:3]
	s_load_dword s15, s[4:5], 0x1c0
	s_load_dword s2, s[4:5], 0x154
	s_load_dwordx2 s[8:9], s[4:5], 0x0
	s_load_dwordx2 s[6:7], s[4:5], 0xe8
	s_load_dword s12, s[0:1], 0xc
	v_and_b32_e32 v3, 0x3ff, v0
	v_cmp_gt_u32_e64 s[0:1], s13, v3
	s_waitcnt lgkmcnt(0)
	v_mad_u64_u32 v[4:5], s[2:3], s2, v7, v[4:5]
	v_pk_mov_b32 v[0:1], 0, 0
	s_and_b64 s[4:5], vcc, s[0:1]
	v_mov_b32_e32 v5, 0
	v_pk_mov_b32 v[6:7], v[0:1], v[0:1] op_sel:[0,1]
	s_and_saveexec_b64 s[10:11], s[4:5]
	s_cbranch_execz .LBB76_9
; %bb.8:
	v_mad_u64_u32 v[6:7], s[2:3], v3, s14, v[2:3]
	global_load_ubyte v5, v6, s[8:9]
	v_mov_b32_e32 v9, s7
	s_waitcnt vmcnt(0)
	v_mad_u64_u32 v[6:7], s[2:3], v3, s15, v[4:5]
	v_mov_b32_e32 v7, 0
	v_lshlrev_b64 v[6:7], 3, v[6:7]
	v_add_co_u32_e64 v6, s[2:3], s6, v6
	v_addc_co_u32_e64 v7, s[2:3], v9, v7, s[2:3]
	global_load_dwordx2 v[6:7], v[6:7], off
.LBB76_9:
	s_or_b64 exec, exec, s[10:11]
	v_lshlrev_b32_e32 v9, 5, v8
	v_add_u32_e32 v16, 0x1000, v9
	v_add_u32_e32 v15, 0x1200, v9
	;; [unrolled: 1-line block ×3, first 2 shown]
	s_and_b32 s16, 0xffff, s12
	v_cndmask_b32_e64 v11, 0, 1, s[4:5]
	ds_write_b8 v9, v5
	v_add_u32_e32 v5, v15, v3
	ds_write_b8 v5, v11
	v_add_u32_e32 v5, s16, v3
	v_lshlrev_b32_e32 v13, 8, v8
	v_cmp_gt_u32_e64 s[2:3], s13, v5
	v_lshl_add_u32 v8, v3, 3, v13
	s_and_b64 s[10:11], vcc, s[2:3]
	s_waitcnt vmcnt(0)
	ds_write_b64 v8, v[6:7]
	s_and_saveexec_b64 s[12:13], s[10:11]
	s_cbranch_execz .LBB76_11
; %bb.10:
	v_mad_u64_u32 v[0:1], s[4:5], v5, s14, v[2:3]
	global_load_ubyte v10, v0, s[8:9]
	v_mad_u64_u32 v[0:1], s[4:5], v5, s15, v[4:5]
	v_mov_b32_e32 v1, 0
	v_lshlrev_b64 v[0:1], 3, v[0:1]
	v_mov_b32_e32 v6, s7
	v_add_co_u32_e64 v0, s[4:5], s6, v0
	v_addc_co_u32_e64 v1, s[4:5], v6, v1, s[4:5]
	global_load_dwordx2 v[0:1], v[0:1], off
.LBB76_11:
	s_or_b64 exec, exec, s[12:13]
	v_lshl_add_u32 v6, s16, 3, v8
	v_lshlrev_b32_e32 v17, 1, v3
	v_cndmask_b32_e64 v11, 0, 1, s[10:11]
	v_add_u32_e32 v7, v16, v5
	s_waitcnt vmcnt(0)
	ds_write_b64 v6, v[0:1]
	v_add_u32_e32 v0, v15, v5
	v_add_u32_e32 v1, v16, v17
	ds_write_b8 v7, v10
	ds_write_b8 v0, v11
	s_waitcnt lgkmcnt(0)
	s_barrier
	ds_read_u16 v11, v1
	s_mov_b32 s16, 1
	v_add_u32_e32 v0, v15, v17
	s_waitcnt lgkmcnt(0)
	v_cmp_ge_u16_sdwa s[10:11], v11, v11 src0_sel:BYTE_0 src1_sel:BYTE_1
	v_cmp_lt_u16_sdwa s[4:5], v11, v11 src0_sel:BYTE_0 src1_sel:BYTE_1
	s_and_saveexec_b64 s[12:13], s[4:5]
	s_xor_b64 s[12:13], exec, s[12:13]
	s_cbranch_execz .LBB76_13
; %bb.12:
	ds_read_u8 v10, v0
	s_andn2_b64 s[10:11], s[10:11], exec
	s_waitcnt lgkmcnt(0)
	v_and_b32_e32 v10, 1, v10
	v_cmp_eq_u32_e64 s[4:5], 1, v10
	s_xor_b64 s[4:5], s[4:5], -1
	s_and_b64 s[4:5], s[4:5], exec
	s_or_b64 s[10:11], s[10:11], s[4:5]
.LBB76_13:
	s_or_b64 exec, exec, s[12:13]
	v_mov_b32_e32 v14, s16
	s_and_saveexec_b64 s[4:5], s[10:11]
	s_cbranch_execz .LBB76_15
; %bb.14:
	ds_read_u8 v10, v0 offset:1
	s_waitcnt lgkmcnt(0)
	v_xor_b32_e32 v14, 1, v10
.LBB76_15:
	s_or_b64 exec, exec, s[4:5]
	v_and_b32_e32 v12, 1, v3
	v_lshlrev_b32_e32 v10, 3, v3
	v_cmp_eq_u32_e64 s[4:5], v14, v12
	s_and_saveexec_b64 s[10:11], s[4:5]
	s_cbranch_execz .LBB76_17
; %bb.16:
	v_add_u32_e32 v14, v8, v10
	ds_read_b128 v[18:21], v14
	ds_read_u16 v24, v0
	v_lshlrev_b16_e32 v22, 8, v11
	v_or_b32_sdwa v11, v11, v22 dst_sel:DWORD dst_unused:UNUSED_PAD src0_sel:BYTE_1 src1_sel:DWORD
	s_mov_b32 s4, 0xc0c0001
	ds_write_b16 v1, v11
	s_waitcnt lgkmcnt(2)
	v_mov_b32_e32 v22, v18
	v_mov_b32_e32 v23, v19
	s_waitcnt lgkmcnt(1)
	v_perm_b32 v11, 0, v24, s4
	ds_write_b128 v14, v[20:23]
	ds_write_b16 v0, v11
.LBB76_17:
	s_or_b64 exec, exec, s[10:11]
	v_sub_u32_e32 v14, v17, v12
	v_add_u32_e32 v11, v16, v14
	s_waitcnt lgkmcnt(0)
	s_barrier
	ds_read_u8 v19, v11
	ds_read_u8 v20, v11 offset:2
	s_mov_b64 s[10:11], -1
	v_add_u32_e32 v12, v15, v14
                                        ; implicit-def: $sgpr16
	s_waitcnt lgkmcnt(0)
	v_cmp_lt_u16_e64 s[4:5], v19, v20
	s_and_saveexec_b64 s[12:13], s[4:5]
	s_xor_b64 s[12:13], exec, s[12:13]
	s_cbranch_execz .LBB76_19
; %bb.18:
	ds_read_u8 v18, v12
	s_mov_b32 s16, 1
	s_waitcnt lgkmcnt(0)
	v_and_b32_e32 v18, 1, v18
	v_cmp_eq_u32_e64 s[4:5], 1, v18
	s_xor_b64 s[4:5], s[4:5], -1
	s_orn2_b64 s[10:11], s[4:5], exec
.LBB76_19:
	s_or_b64 exec, exec, s[12:13]
	v_mov_b32_e32 v21, s16
	s_and_saveexec_b64 s[4:5], s[10:11]
	s_cbranch_execz .LBB76_21
; %bb.20:
	ds_read_u8 v18, v12 offset:2
	s_waitcnt lgkmcnt(0)
	v_xor_b32_e32 v21, 1, v18
.LBB76_21:
	s_or_b64 exec, exec, s[4:5]
	v_bfe_u32 v18, v3, 1, 1
	v_lshl_add_u32 v14, v14, 3, v13
	v_cmp_eq_u32_e64 s[4:5], v21, v18
	s_and_saveexec_b64 s[10:11], s[4:5]
	s_cbranch_execz .LBB76_23
; %bb.22:
	ds_read2_b64 v[22:25], v14 offset1:2
	ds_read_u8 v21, v12 offset:2
	ds_read_u8 v26, v12
	ds_write_b8 v11, v20
	ds_write_b8 v11, v19 offset:2
	s_waitcnt lgkmcnt(4)
	ds_write2_b64 v14, v[24:25], v[22:23] offset1:2
	s_waitcnt lgkmcnt(4)
	ds_write_b8 v12, v21
	s_waitcnt lgkmcnt(4)
	ds_write_b8 v12, v26 offset:2
.LBB76_23:
	s_or_b64 exec, exec, s[10:11]
	s_waitcnt lgkmcnt(0)
	s_barrier
	ds_read_u16 v19, v1
                                        ; implicit-def: $sgpr16
	s_waitcnt lgkmcnt(0)
	v_cmp_ge_u16_sdwa s[10:11], v19, v19 src0_sel:BYTE_0 src1_sel:BYTE_1
	v_cmp_lt_u16_sdwa s[4:5], v19, v19 src0_sel:BYTE_0 src1_sel:BYTE_1
	s_and_saveexec_b64 s[12:13], s[4:5]
	s_cbranch_execnz .LBB76_90
; %bb.24:
	s_or_b64 exec, exec, s[12:13]
	v_mov_b32_e32 v20, s16
	s_and_saveexec_b64 s[4:5], s[10:11]
	s_cbranch_execnz .LBB76_91
.LBB76_25:
	s_or_b64 exec, exec, s[4:5]
	v_cmp_eq_u32_e64 s[4:5], v20, v18
	s_and_saveexec_b64 s[10:11], s[4:5]
	s_cbranch_execz .LBB76_27
.LBB76_26:
	v_add_u32_e32 v24, v8, v10
	ds_read_b128 v[20:23], v24
	ds_read_u16 v25, v0
	v_lshlrev_b16_e32 v18, 8, v19
	v_or_b32_sdwa v18, v19, v18 dst_sel:DWORD dst_unused:UNUSED_PAD src0_sel:BYTE_1 src1_sel:DWORD
	ds_write_b16 v1, v18
	s_waitcnt lgkmcnt(2)
	v_mov_b32_e32 v18, v22
	v_mov_b32_e32 v19, v23
	s_mov_b32 s4, 0xc0c0001
	ds_write_b128 v24, v[18:21]
	s_waitcnt lgkmcnt(2)
	v_perm_b32 v18, 0, v25, s4
	ds_write_b16 v0, v18
.LBB76_27:
	s_or_b64 exec, exec, s[10:11]
	v_and_b32_e32 v18, 3, v3
	v_sub_u32_e32 v20, v17, v18
	v_add_u32_e32 v18, v16, v20
	s_waitcnt lgkmcnt(0)
	s_barrier
	ds_read_u8 v22, v18
	ds_read_u8 v23, v18 offset:4
	v_add_u32_e32 v19, v15, v20
                                        ; implicit-def: $sgpr16
	s_waitcnt lgkmcnt(0)
	v_cmp_ge_u16_e64 s[10:11], v22, v23
	v_cmp_lt_u16_e64 s[4:5], v22, v23
	s_and_saveexec_b64 s[12:13], s[4:5]
	s_cbranch_execz .LBB76_29
; %bb.28:
	ds_read_u8 v21, v19
	s_andn2_b64 s[10:11], s[10:11], exec
	s_mov_b32 s16, 1
	s_waitcnt lgkmcnt(0)
	v_and_b32_e32 v21, 1, v21
	v_cmp_eq_u32_e64 s[4:5], 1, v21
	s_xor_b64 s[4:5], s[4:5], -1
	s_and_b64 s[4:5], s[4:5], exec
	s_or_b64 s[10:11], s[10:11], s[4:5]
.LBB76_29:
	s_or_b64 exec, exec, s[12:13]
	v_mov_b32_e32 v24, s16
	s_and_saveexec_b64 s[4:5], s[10:11]
	s_cbranch_execz .LBB76_31
; %bb.30:
	ds_read_u8 v21, v19 offset:4
	s_waitcnt lgkmcnt(0)
	v_xor_b32_e32 v24, 1, v21
.LBB76_31:
	s_or_b64 exec, exec, s[4:5]
	v_bfe_u32 v21, v3, 2, 1
	v_lshl_add_u32 v20, v20, 3, v13
	v_cmp_eq_u32_e64 s[4:5], v24, v21
	s_and_saveexec_b64 s[10:11], s[4:5]
	s_cbranch_execz .LBB76_33
; %bb.32:
	ds_read2_b64 v[24:27], v20 offset1:4
	ds_read_u8 v28, v19 offset:4
	ds_read_u8 v29, v19
	ds_write_b8 v18, v23
	ds_write_b8 v18, v22 offset:4
	s_waitcnt lgkmcnt(4)
	ds_write2_b64 v20, v[26:27], v[24:25] offset1:4
	s_waitcnt lgkmcnt(4)
	ds_write_b8 v19, v28
	s_waitcnt lgkmcnt(4)
	ds_write_b8 v19, v29 offset:4
.LBB76_33:
	s_or_b64 exec, exec, s[10:11]
	s_waitcnt lgkmcnt(0)
	s_barrier
	ds_read_u8 v22, v11
	ds_read_u8 v23, v11 offset:2
                                        ; implicit-def: $sgpr16
	s_waitcnt lgkmcnt(0)
	v_cmp_ge_u16_e64 s[10:11], v22, v23
	v_cmp_lt_u16_e64 s[4:5], v22, v23
	s_and_saveexec_b64 s[12:13], s[4:5]
	s_cbranch_execnz .LBB76_92
; %bb.34:
	s_or_b64 exec, exec, s[12:13]
	v_mov_b32_e32 v24, s16
	s_and_saveexec_b64 s[4:5], s[10:11]
	s_cbranch_execnz .LBB76_93
.LBB76_35:
	s_or_b64 exec, exec, s[4:5]
	v_cmp_eq_u32_e64 s[4:5], v24, v21
	s_and_saveexec_b64 s[10:11], s[4:5]
	s_cbranch_execz .LBB76_37
.LBB76_36:
	ds_read2_b64 v[24:27], v14 offset1:2
	ds_read_u8 v28, v12 offset:2
	ds_read_u8 v29, v12
	ds_write_b8 v11, v23
	ds_write_b8 v11, v22 offset:2
	s_waitcnt lgkmcnt(4)
	ds_write2_b64 v14, v[26:27], v[24:25] offset1:2
	s_waitcnt lgkmcnt(4)
	ds_write_b8 v12, v28
	s_waitcnt lgkmcnt(4)
	ds_write_b8 v12, v29 offset:2
.LBB76_37:
	s_or_b64 exec, exec, s[10:11]
	s_waitcnt lgkmcnt(0)
	s_barrier
	ds_read_u16 v22, v1
                                        ; implicit-def: $sgpr16
	s_waitcnt lgkmcnt(0)
	v_cmp_ge_u16_sdwa s[10:11], v22, v22 src0_sel:BYTE_0 src1_sel:BYTE_1
	v_cmp_lt_u16_sdwa s[4:5], v22, v22 src0_sel:BYTE_0 src1_sel:BYTE_1
	s_and_saveexec_b64 s[12:13], s[4:5]
	s_cbranch_execnz .LBB76_94
; %bb.38:
	s_or_b64 exec, exec, s[12:13]
	v_mov_b32_e32 v23, s16
	s_and_saveexec_b64 s[4:5], s[10:11]
	s_cbranch_execnz .LBB76_95
.LBB76_39:
	s_or_b64 exec, exec, s[4:5]
	v_cmp_eq_u32_e64 s[4:5], v23, v21
	s_and_saveexec_b64 s[10:11], s[4:5]
	s_cbranch_execz .LBB76_41
.LBB76_40:
	v_add_u32_e32 v21, v8, v10
	ds_read_b128 v[24:27], v21
	ds_read_u16 v28, v0
	v_lshlrev_b16_e32 v23, 8, v22
	v_or_b32_sdwa v22, v22, v23 dst_sel:DWORD dst_unused:UNUSED_PAD src0_sel:BYTE_1 src1_sel:DWORD
	ds_write_b16 v1, v22
	s_waitcnt lgkmcnt(2)
	v_mov_b32_e32 v22, v26
	v_mov_b32_e32 v23, v27
	s_mov_b32 s4, 0xc0c0001
	ds_write_b128 v21, v[22:25]
	s_waitcnt lgkmcnt(2)
	v_perm_b32 v21, 0, v28, s4
	ds_write_b16 v0, v21
.LBB76_41:
	s_or_b64 exec, exec, s[10:11]
	v_and_b32_e32 v21, 7, v3
	v_sub_u32_e32 v23, v17, v21
	v_add_u32_e32 v21, v16, v23
	s_waitcnt lgkmcnt(0)
	s_barrier
	ds_read_u8 v25, v21
	ds_read_u8 v26, v21 offset:8
	v_add_u32_e32 v22, v15, v23
                                        ; implicit-def: $sgpr16
	s_waitcnt lgkmcnt(0)
	v_cmp_ge_u16_e64 s[10:11], v25, v26
	v_cmp_lt_u16_e64 s[4:5], v25, v26
	s_and_saveexec_b64 s[12:13], s[4:5]
	s_cbranch_execz .LBB76_43
; %bb.42:
	ds_read_u8 v24, v22
	s_andn2_b64 s[10:11], s[10:11], exec
	s_mov_b32 s16, 1
	s_waitcnt lgkmcnt(0)
	v_and_b32_e32 v24, 1, v24
	v_cmp_eq_u32_e64 s[4:5], 1, v24
	s_xor_b64 s[4:5], s[4:5], -1
	s_and_b64 s[4:5], s[4:5], exec
	s_or_b64 s[10:11], s[10:11], s[4:5]
.LBB76_43:
	s_or_b64 exec, exec, s[12:13]
	v_mov_b32_e32 v27, s16
	s_and_saveexec_b64 s[4:5], s[10:11]
	s_cbranch_execz .LBB76_45
; %bb.44:
	ds_read_u8 v24, v22 offset:8
	s_waitcnt lgkmcnt(0)
	v_xor_b32_e32 v27, 1, v24
.LBB76_45:
	s_or_b64 exec, exec, s[4:5]
	v_bfe_u32 v24, v3, 3, 1
	v_lshl_add_u32 v23, v23, 3, v13
	v_cmp_eq_u32_e64 s[4:5], v27, v24
	s_and_saveexec_b64 s[10:11], s[4:5]
	s_cbranch_execz .LBB76_47
; %bb.46:
	ds_read2_b64 v[28:31], v23 offset1:8
	ds_read_u8 v27, v22 offset:8
	ds_read_u8 v32, v22
	ds_write_b8 v21, v26
	ds_write_b8 v21, v25 offset:8
	s_waitcnt lgkmcnt(4)
	ds_write2_b64 v23, v[30:31], v[28:29] offset1:8
	s_waitcnt lgkmcnt(4)
	ds_write_b8 v22, v27
	s_waitcnt lgkmcnt(4)
	ds_write_b8 v22, v32 offset:8
.LBB76_47:
	s_or_b64 exec, exec, s[10:11]
	s_waitcnt lgkmcnt(0)
	s_barrier
	ds_read_u8 v25, v18
	ds_read_u8 v26, v18 offset:4
                                        ; implicit-def: $sgpr16
	s_waitcnt lgkmcnt(0)
	v_cmp_ge_u16_e64 s[10:11], v25, v26
	v_cmp_lt_u16_e64 s[4:5], v25, v26
	s_and_saveexec_b64 s[12:13], s[4:5]
	s_cbranch_execnz .LBB76_96
; %bb.48:
	s_or_b64 exec, exec, s[12:13]
	v_mov_b32_e32 v27, s16
	s_and_saveexec_b64 s[4:5], s[10:11]
	s_cbranch_execnz .LBB76_97
.LBB76_49:
	s_or_b64 exec, exec, s[4:5]
	v_cmp_eq_u32_e64 s[4:5], v27, v24
	s_and_saveexec_b64 s[10:11], s[4:5]
	s_cbranch_execz .LBB76_51
.LBB76_50:
	ds_read2_b64 v[28:31], v20 offset1:4
	ds_read_u8 v27, v19 offset:4
	ds_read_u8 v32, v19
	ds_write_b8 v18, v26
	ds_write_b8 v18, v25 offset:4
	s_waitcnt lgkmcnt(4)
	ds_write2_b64 v20, v[30:31], v[28:29] offset1:4
	s_waitcnt lgkmcnt(4)
	ds_write_b8 v19, v27
	s_waitcnt lgkmcnt(4)
	ds_write_b8 v19, v32 offset:4
.LBB76_51:
	s_or_b64 exec, exec, s[10:11]
	s_waitcnt lgkmcnt(0)
	s_barrier
	ds_read_u8 v25, v11
	ds_read_u8 v26, v11 offset:2
                                        ; implicit-def: $sgpr16
	s_waitcnt lgkmcnt(0)
	v_cmp_ge_u16_e64 s[10:11], v25, v26
	v_cmp_lt_u16_e64 s[4:5], v25, v26
	s_and_saveexec_b64 s[12:13], s[4:5]
	s_cbranch_execnz .LBB76_98
; %bb.52:
	s_or_b64 exec, exec, s[12:13]
	v_mov_b32_e32 v27, s16
	s_and_saveexec_b64 s[4:5], s[10:11]
	s_cbranch_execnz .LBB76_99
.LBB76_53:
	s_or_b64 exec, exec, s[4:5]
	v_cmp_eq_u32_e64 s[4:5], v27, v24
	s_and_saveexec_b64 s[10:11], s[4:5]
	s_cbranch_execz .LBB76_55
.LBB76_54:
	ds_read2_b64 v[28:31], v14 offset1:2
	ds_read_u8 v27, v12 offset:2
	ds_read_u8 v32, v12
	ds_write_b8 v11, v26
	ds_write_b8 v11, v25 offset:2
	s_waitcnt lgkmcnt(4)
	ds_write2_b64 v14, v[30:31], v[28:29] offset1:2
	s_waitcnt lgkmcnt(4)
	ds_write_b8 v12, v27
	s_waitcnt lgkmcnt(4)
	ds_write_b8 v12, v32 offset:2
.LBB76_55:
	s_or_b64 exec, exec, s[10:11]
	s_waitcnt lgkmcnt(0)
	s_barrier
	ds_read_u16 v25, v1
                                        ; implicit-def: $sgpr16
	s_waitcnt lgkmcnt(0)
	v_cmp_ge_u16_sdwa s[10:11], v25, v25 src0_sel:BYTE_0 src1_sel:BYTE_1
	v_cmp_lt_u16_sdwa s[4:5], v25, v25 src0_sel:BYTE_0 src1_sel:BYTE_1
	s_and_saveexec_b64 s[12:13], s[4:5]
	s_cbranch_execnz .LBB76_100
; %bb.56:
	s_or_b64 exec, exec, s[12:13]
	v_mov_b32_e32 v26, s16
	s_and_saveexec_b64 s[4:5], s[10:11]
	s_cbranch_execnz .LBB76_101
.LBB76_57:
	s_or_b64 exec, exec, s[4:5]
	v_cmp_eq_u32_e64 s[4:5], v26, v24
	s_and_saveexec_b64 s[10:11], s[4:5]
	s_cbranch_execz .LBB76_59
.LBB76_58:
	v_add_u32_e32 v30, v8, v10
	ds_read_b128 v[26:29], v30
	ds_read_u16 v31, v0
	v_lshlrev_b16_e32 v24, 8, v25
	v_or_b32_sdwa v24, v25, v24 dst_sel:DWORD dst_unused:UNUSED_PAD src0_sel:BYTE_1 src1_sel:DWORD
	ds_write_b16 v1, v24
	s_waitcnt lgkmcnt(2)
	v_mov_b32_e32 v24, v28
	v_mov_b32_e32 v25, v29
	s_mov_b32 s4, 0xc0c0001
	ds_write_b128 v30, v[24:27]
	s_waitcnt lgkmcnt(2)
	v_perm_b32 v24, 0, v31, s4
	ds_write_b16 v0, v24
.LBB76_59:
	s_or_b64 exec, exec, s[10:11]
	v_and_b32_e32 v24, 15, v3
	v_sub_u32_e32 v25, v17, v24
	v_add_u32_e32 v16, v16, v25
	s_waitcnt lgkmcnt(0)
	s_barrier
	ds_read_u8 v17, v16
	ds_read_u8 v24, v16 offset:16
	v_add_u32_e32 v15, v15, v25
	s_waitcnt lgkmcnt(0)
	v_cmp_ge_u16_e64 s[12:13], v17, v24
	v_cmp_lt_u16_e64 s[4:5], v17, v24
	s_and_saveexec_b64 s[10:11], s[4:5]
	s_cbranch_execz .LBB76_61
; %bb.60:
	ds_read_u8 v26, v15
	s_andn2_b64 s[12:13], s[12:13], exec
	s_waitcnt lgkmcnt(0)
	v_and_b32_e32 v26, 1, v26
	v_cmp_eq_u32_e64 s[4:5], 1, v26
	s_xor_b64 s[4:5], s[4:5], -1
	s_and_b64 s[4:5], s[4:5], exec
	s_or_b64 s[12:13], s[12:13], s[4:5]
.LBB76_61:
	s_or_b64 exec, exec, s[10:11]
	s_and_saveexec_b64 s[10:11], s[12:13]
	s_cbranch_execz .LBB76_64
; %bb.62:
	ds_read_u8 v26, v15 offset:16
	s_waitcnt lgkmcnt(0)
	v_cmp_ne_u16_e64 s[4:5], 0, v26
	s_and_b64 exec, exec, s[4:5]
	s_cbranch_execz .LBB76_64
; %bb.63:
	v_lshl_add_u32 v13, v25, 3, v13
	ds_read2_b64 v[28:31], v13 offset1:16
	ds_read_u8 v25, v15
	ds_write_b8 v16, v24
	ds_write_b8 v16, v17 offset:16
	ds_write_b8 v15, v26
	s_waitcnt lgkmcnt(4)
	ds_write2_b64 v13, v[30:31], v[28:29] offset1:16
	s_waitcnt lgkmcnt(4)
	ds_write_b8 v15, v25 offset:16
.LBB76_64:
	s_or_b64 exec, exec, s[10:11]
	s_waitcnt lgkmcnt(0)
	s_barrier
	ds_read_u8 v13, v21
	ds_read_u8 v15, v21 offset:8
	s_waitcnt lgkmcnt(0)
	v_cmp_ge_u16_e64 s[12:13], v13, v15
	v_cmp_lt_u16_e64 s[4:5], v13, v15
	s_and_saveexec_b64 s[10:11], s[4:5]
	s_cbranch_execz .LBB76_66
; %bb.65:
	ds_read_u8 v16, v22
	s_andn2_b64 s[12:13], s[12:13], exec
	s_waitcnt lgkmcnt(0)
	v_and_b32_e32 v16, 1, v16
	v_cmp_eq_u32_e64 s[4:5], 1, v16
	s_xor_b64 s[4:5], s[4:5], -1
	s_and_b64 s[4:5], s[4:5], exec
	s_or_b64 s[12:13], s[12:13], s[4:5]
.LBB76_66:
	s_or_b64 exec, exec, s[10:11]
	s_and_saveexec_b64 s[10:11], s[12:13]
	s_cbranch_execz .LBB76_69
; %bb.67:
	ds_read_u8 v16, v22 offset:8
	s_waitcnt lgkmcnt(0)
	v_cmp_ne_u16_e64 s[4:5], 0, v16
	s_and_b64 exec, exec, s[4:5]
	s_cbranch_execz .LBB76_69
; %bb.68:
	ds_read2_b64 v[24:27], v23 offset1:8
	ds_read_u8 v17, v22
	ds_write_b8 v21, v15
	ds_write_b8 v21, v13 offset:8
	ds_write_b8 v22, v16
	s_waitcnt lgkmcnt(4)
	ds_write2_b64 v23, v[26:27], v[24:25] offset1:8
	s_waitcnt lgkmcnt(4)
	ds_write_b8 v22, v17 offset:8
.LBB76_69:
	s_or_b64 exec, exec, s[10:11]
	s_waitcnt lgkmcnt(0)
	s_barrier
	ds_read_u8 v13, v18
	ds_read_u8 v15, v18 offset:4
	s_waitcnt lgkmcnt(0)
	v_cmp_ge_u16_e64 s[12:13], v13, v15
	v_cmp_lt_u16_e64 s[4:5], v13, v15
	s_and_saveexec_b64 s[10:11], s[4:5]
	s_cbranch_execz .LBB76_71
; %bb.70:
	ds_read_u8 v16, v19
	s_andn2_b64 s[12:13], s[12:13], exec
	s_waitcnt lgkmcnt(0)
	v_and_b32_e32 v16, 1, v16
	v_cmp_eq_u32_e64 s[4:5], 1, v16
	s_xor_b64 s[4:5], s[4:5], -1
	s_and_b64 s[4:5], s[4:5], exec
	s_or_b64 s[12:13], s[12:13], s[4:5]
.LBB76_71:
	s_or_b64 exec, exec, s[10:11]
	s_and_saveexec_b64 s[10:11], s[12:13]
	s_cbranch_execz .LBB76_74
; %bb.72:
	ds_read_u8 v16, v19 offset:4
	s_waitcnt lgkmcnt(0)
	v_cmp_ne_u16_e64 s[4:5], 0, v16
	s_and_b64 exec, exec, s[4:5]
	s_cbranch_execz .LBB76_74
; %bb.73:
	ds_read2_b64 v[22:25], v20 offset1:4
	ds_read_u8 v17, v19
	ds_write_b8 v18, v15
	ds_write_b8 v18, v13 offset:4
	ds_write_b8 v19, v16
	s_waitcnt lgkmcnt(4)
	ds_write2_b64 v20, v[24:25], v[22:23] offset1:4
	s_waitcnt lgkmcnt(4)
	ds_write_b8 v19, v17 offset:4
.LBB76_74:
	;; [unrolled: 40-line block ×3, first 2 shown]
	s_or_b64 exec, exec, s[10:11]
	s_waitcnt lgkmcnt(0)
	s_barrier
	ds_read_u16 v11, v1
	s_waitcnt lgkmcnt(0)
	v_cmp_ge_u16_sdwa s[12:13], v11, v11 src0_sel:BYTE_0 src1_sel:BYTE_1
	v_cmp_lt_u16_sdwa s[4:5], v11, v11 src0_sel:BYTE_0 src1_sel:BYTE_1
	s_and_saveexec_b64 s[10:11], s[4:5]
	s_cbranch_execz .LBB76_81
; %bb.80:
	ds_read_u8 v12, v0
	s_andn2_b64 s[12:13], s[12:13], exec
	s_waitcnt lgkmcnt(0)
	v_and_b32_e32 v12, 1, v12
	v_cmp_eq_u32_e64 s[4:5], 1, v12
	s_xor_b64 s[4:5], s[4:5], -1
	s_and_b64 s[4:5], s[4:5], exec
	s_or_b64 s[12:13], s[12:13], s[4:5]
.LBB76_81:
	s_or_b64 exec, exec, s[10:11]
	s_and_saveexec_b64 s[10:11], s[12:13]
	s_cbranch_execz .LBB76_84
; %bb.82:
	ds_read_u8 v12, v0 offset:1
	s_waitcnt lgkmcnt(0)
	v_cmp_ne_u16_e64 s[4:5], 0, v12
	s_and_b64 exec, exec, s[4:5]
	s_cbranch_execz .LBB76_84
; %bb.83:
	v_add_u32_e32 v10, v8, v10
	v_lshlrev_b16_e32 v13, 8, v11
	ds_read_b128 v[14:17], v10
	v_or_b32_sdwa v11, v11, v13 dst_sel:DWORD dst_unused:UNUSED_PAD src0_sel:BYTE_1 src1_sel:DWORD
	ds_read_u8 v13, v0
	ds_write_b16 v1, v11
	s_waitcnt lgkmcnt(2)
	v_mov_b32_e32 v18, v14
	v_mov_b32_e32 v19, v15
	s_waitcnt lgkmcnt(1)
	v_lshlrev_b16_e32 v1, 8, v13
	v_or_b32_e32 v1, v12, v1
	ds_write_b128 v10, v[16:19]
	ds_write_b16 v0, v1
.LBB76_84:
	s_or_b64 exec, exec, s[10:11]
	s_waitcnt lgkmcnt(0)
	s_barrier
	s_and_saveexec_b64 s[4:5], vcc
	s_cbranch_execz .LBB76_89
; %bb.85:
	s_and_saveexec_b64 s[4:5], s[0:1]
	s_cbranch_execz .LBB76_87
; %bb.86:
	ds_read_u8 v10, v9
	v_mad_u64_u32 v[0:1], s[0:1], v3, s14, v[2:3]
	ds_read_b64 v[8:9], v8
	s_waitcnt lgkmcnt(1)
	global_store_byte v0, v10, s[8:9]
	v_mad_u64_u32 v[0:1], s[0:1], v3, s15, v[4:5]
	v_mov_b32_e32 v1, 0
	v_lshlrev_b64 v[0:1], 3, v[0:1]
	v_mov_b32_e32 v3, s7
	v_add_co_u32_e32 v0, vcc, s6, v0
	v_addc_co_u32_e32 v1, vcc, v3, v1, vcc
	s_waitcnt lgkmcnt(0)
	global_store_dwordx2 v[0:1], v[8:9], off
.LBB76_87:
	s_or_b64 exec, exec, s[4:5]
	s_and_b64 exec, exec, s[2:3]
	s_cbranch_execz .LBB76_89
; %bb.88:
	ds_read_u8 v7, v7
	v_mad_u64_u32 v[0:1], s[0:1], v5, s14, v[2:3]
	ds_read_b64 v[2:3], v6
	s_waitcnt lgkmcnt(1)
	global_store_byte v0, v7, s[8:9]
	v_mad_u64_u32 v[0:1], s[0:1], v5, s15, v[4:5]
	v_mov_b32_e32 v1, 0
	v_lshlrev_b64 v[0:1], 3, v[0:1]
	v_mov_b32_e32 v4, s7
	v_add_co_u32_e32 v0, vcc, s6, v0
	v_addc_co_u32_e32 v1, vcc, v4, v1, vcc
	s_waitcnt lgkmcnt(0)
	global_store_dwordx2 v[0:1], v[2:3], off
.LBB76_89:
	s_endpgm
.LBB76_90:
	ds_read_u8 v20, v0
	s_andn2_b64 s[10:11], s[10:11], exec
	s_mov_b32 s16, 1
	s_waitcnt lgkmcnt(0)
	v_and_b32_e32 v20, 1, v20
	v_cmp_eq_u32_e64 s[4:5], 1, v20
	s_xor_b64 s[4:5], s[4:5], -1
	s_and_b64 s[4:5], s[4:5], exec
	s_or_b64 s[10:11], s[10:11], s[4:5]
	s_or_b64 exec, exec, s[12:13]
	v_mov_b32_e32 v20, s16
	s_and_saveexec_b64 s[4:5], s[10:11]
	s_cbranch_execz .LBB76_25
.LBB76_91:
	ds_read_u8 v20, v0 offset:1
	s_waitcnt lgkmcnt(0)
	v_xor_b32_e32 v20, 1, v20
	s_or_b64 exec, exec, s[4:5]
	v_cmp_eq_u32_e64 s[4:5], v20, v18
	s_and_saveexec_b64 s[10:11], s[4:5]
	s_cbranch_execnz .LBB76_26
	s_branch .LBB76_27
.LBB76_92:
	ds_read_u8 v24, v12
	s_andn2_b64 s[10:11], s[10:11], exec
	s_mov_b32 s16, 1
	s_waitcnt lgkmcnt(0)
	v_and_b32_e32 v24, 1, v24
	v_cmp_eq_u32_e64 s[4:5], 1, v24
	s_xor_b64 s[4:5], s[4:5], -1
	s_and_b64 s[4:5], s[4:5], exec
	s_or_b64 s[10:11], s[10:11], s[4:5]
	s_or_b64 exec, exec, s[12:13]
	v_mov_b32_e32 v24, s16
	s_and_saveexec_b64 s[4:5], s[10:11]
	s_cbranch_execz .LBB76_35
.LBB76_93:
	ds_read_u8 v24, v12 offset:2
	s_waitcnt lgkmcnt(0)
	v_xor_b32_e32 v24, 1, v24
	s_or_b64 exec, exec, s[4:5]
	v_cmp_eq_u32_e64 s[4:5], v24, v21
	s_and_saveexec_b64 s[10:11], s[4:5]
	s_cbranch_execnz .LBB76_36
	s_branch .LBB76_37
.LBB76_94:
	ds_read_u8 v23, v0
	s_andn2_b64 s[10:11], s[10:11], exec
	s_mov_b32 s16, 1
	s_waitcnt lgkmcnt(0)
	v_and_b32_e32 v23, 1, v23
	v_cmp_eq_u32_e64 s[4:5], 1, v23
	s_xor_b64 s[4:5], s[4:5], -1
	s_and_b64 s[4:5], s[4:5], exec
	s_or_b64 s[10:11], s[10:11], s[4:5]
	s_or_b64 exec, exec, s[12:13]
	v_mov_b32_e32 v23, s16
	s_and_saveexec_b64 s[4:5], s[10:11]
	s_cbranch_execz .LBB76_39
.LBB76_95:
	ds_read_u8 v23, v0 offset:1
	s_waitcnt lgkmcnt(0)
	v_xor_b32_e32 v23, 1, v23
	s_or_b64 exec, exec, s[4:5]
	v_cmp_eq_u32_e64 s[4:5], v23, v21
	s_and_saveexec_b64 s[10:11], s[4:5]
	s_cbranch_execnz .LBB76_40
	s_branch .LBB76_41
.LBB76_96:
	ds_read_u8 v27, v19
	s_andn2_b64 s[10:11], s[10:11], exec
	s_mov_b32 s16, 1
	s_waitcnt lgkmcnt(0)
	v_and_b32_e32 v27, 1, v27
	v_cmp_eq_u32_e64 s[4:5], 1, v27
	s_xor_b64 s[4:5], s[4:5], -1
	s_and_b64 s[4:5], s[4:5], exec
	s_or_b64 s[10:11], s[10:11], s[4:5]
	s_or_b64 exec, exec, s[12:13]
	v_mov_b32_e32 v27, s16
	s_and_saveexec_b64 s[4:5], s[10:11]
	s_cbranch_execz .LBB76_49
.LBB76_97:
	ds_read_u8 v27, v19 offset:4
	s_waitcnt lgkmcnt(0)
	v_xor_b32_e32 v27, 1, v27
	s_or_b64 exec, exec, s[4:5]
	v_cmp_eq_u32_e64 s[4:5], v27, v24
	s_and_saveexec_b64 s[10:11], s[4:5]
	s_cbranch_execnz .LBB76_50
	s_branch .LBB76_51
.LBB76_98:
	ds_read_u8 v27, v12
	s_andn2_b64 s[10:11], s[10:11], exec
	s_mov_b32 s16, 1
	s_waitcnt lgkmcnt(0)
	v_and_b32_e32 v27, 1, v27
	v_cmp_eq_u32_e64 s[4:5], 1, v27
	s_xor_b64 s[4:5], s[4:5], -1
	s_and_b64 s[4:5], s[4:5], exec
	s_or_b64 s[10:11], s[10:11], s[4:5]
	s_or_b64 exec, exec, s[12:13]
	v_mov_b32_e32 v27, s16
	s_and_saveexec_b64 s[4:5], s[10:11]
	s_cbranch_execz .LBB76_53
.LBB76_99:
	ds_read_u8 v27, v12 offset:2
	s_waitcnt lgkmcnt(0)
	v_xor_b32_e32 v27, 1, v27
	s_or_b64 exec, exec, s[4:5]
	v_cmp_eq_u32_e64 s[4:5], v27, v24
	s_and_saveexec_b64 s[10:11], s[4:5]
	s_cbranch_execnz .LBB76_54
	s_branch .LBB76_55
.LBB76_100:
	ds_read_u8 v26, v0
	s_andn2_b64 s[10:11], s[10:11], exec
	s_mov_b32 s16, 1
	s_waitcnt lgkmcnt(0)
	v_and_b32_e32 v26, 1, v26
	v_cmp_eq_u32_e64 s[4:5], 1, v26
	s_xor_b64 s[4:5], s[4:5], -1
	s_and_b64 s[4:5], s[4:5], exec
	s_or_b64 s[10:11], s[10:11], s[4:5]
	s_or_b64 exec, exec, s[12:13]
	v_mov_b32_e32 v26, s16
	s_and_saveexec_b64 s[4:5], s[10:11]
	s_cbranch_execz .LBB76_57
.LBB76_101:
	ds_read_u8 v26, v0 offset:1
	s_waitcnt lgkmcnt(0)
	v_xor_b32_e32 v26, 1, v26
	s_or_b64 exec, exec, s[4:5]
	v_cmp_eq_u32_e64 s[4:5], v26, v24
	s_and_saveexec_b64 s[10:11], s[4:5]
	s_cbranch_execnz .LBB76_58
	s_branch .LBB76_59
	.section	.rodata,"a",@progbits
	.p2align	6, 0x0
	.amdhsa_kernel _ZN2at6native20bitonicSortKVInPlaceILin1ELin1ELi16ELi16EblNS0_4LTOpIbLb1EEEjEEvNS_4cuda6detail10TensorInfoIT3_T6_EES8_S8_S8_NS6_IT4_S8_EES8_T5_
		.amdhsa_group_segment_fixed_size 5120
		.amdhsa_private_segment_fixed_size 0
		.amdhsa_kernarg_size 712
		.amdhsa_user_sgpr_count 6
		.amdhsa_user_sgpr_private_segment_buffer 1
		.amdhsa_user_sgpr_dispatch_ptr 0
		.amdhsa_user_sgpr_queue_ptr 0
		.amdhsa_user_sgpr_kernarg_segment_ptr 1
		.amdhsa_user_sgpr_dispatch_id 0
		.amdhsa_user_sgpr_flat_scratch_init 0
		.amdhsa_user_sgpr_kernarg_preload_length 0
		.amdhsa_user_sgpr_kernarg_preload_offset 0
		.amdhsa_user_sgpr_private_segment_size 0
		.amdhsa_uses_dynamic_stack 0
		.amdhsa_system_sgpr_private_segment_wavefront_offset 0
		.amdhsa_system_sgpr_workgroup_id_x 1
		.amdhsa_system_sgpr_workgroup_id_y 1
		.amdhsa_system_sgpr_workgroup_id_z 1
		.amdhsa_system_sgpr_workgroup_info 0
		.amdhsa_system_vgpr_workitem_id 1
		.amdhsa_next_free_vgpr 33
		.amdhsa_next_free_sgpr 17
		.amdhsa_accum_offset 36
		.amdhsa_reserve_vcc 1
		.amdhsa_reserve_flat_scratch 0
		.amdhsa_float_round_mode_32 0
		.amdhsa_float_round_mode_16_64 0
		.amdhsa_float_denorm_mode_32 3
		.amdhsa_float_denorm_mode_16_64 3
		.amdhsa_dx10_clamp 1
		.amdhsa_ieee_mode 1
		.amdhsa_fp16_overflow 0
		.amdhsa_tg_split 0
		.amdhsa_exception_fp_ieee_invalid_op 0
		.amdhsa_exception_fp_denorm_src 0
		.amdhsa_exception_fp_ieee_div_zero 0
		.amdhsa_exception_fp_ieee_overflow 0
		.amdhsa_exception_fp_ieee_underflow 0
		.amdhsa_exception_fp_ieee_inexact 0
		.amdhsa_exception_int_div_zero 0
	.end_amdhsa_kernel
	.section	.text._ZN2at6native20bitonicSortKVInPlaceILin1ELin1ELi16ELi16EblNS0_4LTOpIbLb1EEEjEEvNS_4cuda6detail10TensorInfoIT3_T6_EES8_S8_S8_NS6_IT4_S8_EES8_T5_,"axG",@progbits,_ZN2at6native20bitonicSortKVInPlaceILin1ELin1ELi16ELi16EblNS0_4LTOpIbLb1EEEjEEvNS_4cuda6detail10TensorInfoIT3_T6_EES8_S8_S8_NS6_IT4_S8_EES8_T5_,comdat
.Lfunc_end76:
	.size	_ZN2at6native20bitonicSortKVInPlaceILin1ELin1ELi16ELi16EblNS0_4LTOpIbLb1EEEjEEvNS_4cuda6detail10TensorInfoIT3_T6_EES8_S8_S8_NS6_IT4_S8_EES8_T5_, .Lfunc_end76-_ZN2at6native20bitonicSortKVInPlaceILin1ELin1ELi16ELi16EblNS0_4LTOpIbLb1EEEjEEvNS_4cuda6detail10TensorInfoIT3_T6_EES8_S8_S8_NS6_IT4_S8_EES8_T5_
                                        ; -- End function
	.section	.AMDGPU.csdata,"",@progbits
; Kernel info:
; codeLenInByte = 4848
; NumSgprs: 21
; NumVgprs: 33
; NumAgprs: 0
; TotalNumVgprs: 33
; ScratchSize: 0
; MemoryBound: 0
; FloatMode: 240
; IeeeMode: 1
; LDSByteSize: 5120 bytes/workgroup (compile time only)
; SGPRBlocks: 2
; VGPRBlocks: 4
; NumSGPRsForWavesPerEU: 21
; NumVGPRsForWavesPerEU: 33
; AccumOffset: 36
; Occupancy: 8
; WaveLimiterHint : 1
; COMPUTE_PGM_RSRC2:SCRATCH_EN: 0
; COMPUTE_PGM_RSRC2:USER_SGPR: 6
; COMPUTE_PGM_RSRC2:TRAP_HANDLER: 0
; COMPUTE_PGM_RSRC2:TGID_X_EN: 1
; COMPUTE_PGM_RSRC2:TGID_Y_EN: 1
; COMPUTE_PGM_RSRC2:TGID_Z_EN: 1
; COMPUTE_PGM_RSRC2:TIDIG_COMP_CNT: 1
; COMPUTE_PGM_RSRC3_GFX90A:ACCUM_OFFSET: 8
; COMPUTE_PGM_RSRC3_GFX90A:TG_SPLIT: 0
	.section	.text._ZN2at6native20bitonicSortKVInPlaceILin1ELin1ELi16ELi16EblNS0_4GTOpIbLb1EEEjEEvNS_4cuda6detail10TensorInfoIT3_T6_EES8_S8_S8_NS6_IT4_S8_EES8_T5_,"axG",@progbits,_ZN2at6native20bitonicSortKVInPlaceILin1ELin1ELi16ELi16EblNS0_4GTOpIbLb1EEEjEEvNS_4cuda6detail10TensorInfoIT3_T6_EES8_S8_S8_NS6_IT4_S8_EES8_T5_,comdat
	.protected	_ZN2at6native20bitonicSortKVInPlaceILin1ELin1ELi16ELi16EblNS0_4GTOpIbLb1EEEjEEvNS_4cuda6detail10TensorInfoIT3_T6_EES8_S8_S8_NS6_IT4_S8_EES8_T5_ ; -- Begin function _ZN2at6native20bitonicSortKVInPlaceILin1ELin1ELi16ELi16EblNS0_4GTOpIbLb1EEEjEEvNS_4cuda6detail10TensorInfoIT3_T6_EES8_S8_S8_NS6_IT4_S8_EES8_T5_
	.globl	_ZN2at6native20bitonicSortKVInPlaceILin1ELin1ELi16ELi16EblNS0_4GTOpIbLb1EEEjEEvNS_4cuda6detail10TensorInfoIT3_T6_EES8_S8_S8_NS6_IT4_S8_EES8_T5_
	.p2align	8
	.type	_ZN2at6native20bitonicSortKVInPlaceILin1ELin1ELi16ELi16EblNS0_4GTOpIbLb1EEEjEEvNS_4cuda6detail10TensorInfoIT3_T6_EES8_S8_S8_NS6_IT4_S8_EES8_T5_,@function
_ZN2at6native20bitonicSortKVInPlaceILin1ELin1ELi16ELi16EblNS0_4GTOpIbLb1EEEjEEvNS_4cuda6detail10TensorInfoIT3_T6_EES8_S8_S8_NS6_IT4_S8_EES8_T5_: ; @_ZN2at6native20bitonicSortKVInPlaceILin1ELin1ELi16ELi16EblNS0_4GTOpIbLb1EEEjEEvNS_4cuda6detail10TensorInfoIT3_T6_EES8_S8_S8_NS6_IT4_S8_EES8_T5_
; %bb.0:
	s_load_dwordx2 s[2:3], s[4:5], 0x1c8
	s_load_dwordx4 s[12:15], s[4:5], 0xd8
	s_load_dword s9, s[4:5], 0x1d4
	s_add_u32 s0, s4, 0x1c8
	s_addc_u32 s1, s5, 0
	s_waitcnt lgkmcnt(0)
	s_mul_i32 s3, s3, s8
	s_add_i32 s3, s3, s7
	s_mul_i32 s2, s3, s2
	s_add_i32 s3, s2, s6
	s_lshr_b32 s2, s9, 16
	s_mul_i32 s3, s3, s2
	s_cmp_ge_u32 s3, s12
	s_cbranch_scc1 .LBB77_89
; %bb.1:
	s_load_dword s2, s[4:5], 0xd0
	v_bfe_u32 v8, v0, 10, 10
	v_add_u32_e32 v1, s3, v8
	v_mov_b32_e32 v2, 0
	v_mov_b32_e32 v6, v1
	s_waitcnt lgkmcnt(0)
	s_cmp_lt_i32 s2, 2
	s_cbranch_scc1 .LBB77_4
; %bb.2:
	s_add_i32 s6, s2, 1
	s_add_i32 s2, s2, -1
	s_mov_b32 s3, 0
	s_lshl_b64 s[2:3], s[2:3], 2
	s_add_u32 s2, s2, s4
	s_addc_u32 s3, s3, s5
	s_add_u32 s2, s2, 8
	s_addc_u32 s3, s3, 0
	v_mov_b32_e32 v2, 0
	v_mov_b32_e32 v6, v1
.LBB77_3:                               ; =>This Inner Loop Header: Depth=1
	s_load_dword s7, s[2:3], 0x0
	s_load_dword s8, s[2:3], 0x64
	v_mov_b32_e32 v3, v6
	s_add_i32 s6, s6, -1
	s_waitcnt lgkmcnt(0)
	v_cvt_f32_u32_e32 v4, s7
	s_sub_i32 s9, 0, s7
	s_add_u32 s2, s2, -4
	s_addc_u32 s3, s3, -1
	v_rcp_iflag_f32_e32 v4, v4
	s_cmp_gt_u32 s6, 2
	v_mul_f32_e32 v4, 0x4f7ffffe, v4
	v_cvt_u32_f32_e32 v4, v4
	v_mul_lo_u32 v5, s9, v4
	v_mul_hi_u32 v5, v4, v5
	v_add_u32_e32 v4, v4, v5
	v_mul_hi_u32 v4, v3, v4
	v_mul_lo_u32 v5, v4, s7
	v_sub_u32_e32 v5, v3, v5
	v_add_u32_e32 v6, 1, v4
	v_cmp_le_u32_e32 vcc, s7, v5
	v_cndmask_b32_e32 v4, v4, v6, vcc
	v_subrev_u32_e32 v6, s7, v5
	v_cndmask_b32_e32 v5, v5, v6, vcc
	v_add_u32_e32 v6, 1, v4
	v_cmp_le_u32_e32 vcc, s7, v5
	v_cndmask_b32_e32 v6, v4, v6, vcc
	v_mul_lo_u32 v4, v6, s7
	v_sub_u32_e32 v3, v3, v4
	v_mad_u64_u32 v[2:3], s[8:9], s8, v3, v[2:3]
	s_cbranch_scc1 .LBB77_3
.LBB77_4:
	s_load_dword s2, s[4:5], 0x1b8
	v_mov_b32_e32 v4, 0
	v_mov_b32_e32 v7, v1
	s_waitcnt lgkmcnt(0)
	s_cmp_lt_i32 s2, 2
	s_cbranch_scc1 .LBB77_7
; %bb.5:
	s_add_i32 s6, s2, 1
	s_add_i32 s2, s2, -1
	s_mov_b32 s3, 0
	s_lshl_b64 s[2:3], s[2:3], 2
	s_add_u32 s2, s2, s4
	s_addc_u32 s3, s3, s5
	s_add_u32 s2, s2, 0xf0
	s_addc_u32 s3, s3, 0
	v_mov_b32_e32 v4, 0
	v_mov_b32_e32 v7, v1
.LBB77_6:                               ; =>This Inner Loop Header: Depth=1
	s_load_dword s7, s[2:3], 0x0
	s_load_dword s8, s[2:3], 0x64
	v_mov_b32_e32 v3, v7
	s_add_i32 s6, s6, -1
	s_waitcnt lgkmcnt(0)
	v_cvt_f32_u32_e32 v5, s7
	s_sub_i32 s9, 0, s7
	s_add_u32 s2, s2, -4
	s_addc_u32 s3, s3, -1
	v_rcp_iflag_f32_e32 v5, v5
	s_cmp_gt_u32 s6, 2
	v_mul_f32_e32 v5, 0x4f7ffffe, v5
	v_cvt_u32_f32_e32 v5, v5
	v_mul_lo_u32 v7, s9, v5
	v_mul_hi_u32 v7, v5, v7
	v_add_u32_e32 v5, v5, v7
	v_mul_hi_u32 v5, v3, v5
	v_mul_lo_u32 v7, v5, s7
	v_sub_u32_e32 v7, v3, v7
	v_add_u32_e32 v9, 1, v5
	v_cmp_le_u32_e32 vcc, s7, v7
	v_cndmask_b32_e32 v5, v5, v9, vcc
	v_subrev_u32_e32 v9, s7, v7
	v_cndmask_b32_e32 v7, v7, v9, vcc
	v_add_u32_e32 v9, 1, v5
	v_cmp_le_u32_e32 vcc, s7, v7
	v_cndmask_b32_e32 v7, v5, v9, vcc
	v_mul_lo_u32 v5, v7, s7
	v_sub_u32_e32 v3, v3, v5
	v_mad_u64_u32 v[4:5], s[8:9], s8, v3, v[4:5]
	s_cbranch_scc1 .LBB77_6
.LBB77_7:
	s_load_dword s2, s[4:5], 0x6c
	v_cmp_gt_u32_e32 vcc, s12, v1
	v_mov_b32_e32 v10, 0
	s_waitcnt lgkmcnt(0)
	v_mad_u64_u32 v[2:3], s[2:3], s2, v6, v[2:3]
	s_load_dword s15, s[4:5], 0x1c0
	s_load_dword s2, s[4:5], 0x154
	s_load_dwordx2 s[8:9], s[4:5], 0x0
	s_load_dwordx2 s[6:7], s[4:5], 0xe8
	s_load_dword s12, s[0:1], 0xc
	v_and_b32_e32 v3, 0x3ff, v0
	v_cmp_gt_u32_e64 s[0:1], s13, v3
	s_waitcnt lgkmcnt(0)
	v_mad_u64_u32 v[4:5], s[2:3], s2, v7, v[4:5]
	v_pk_mov_b32 v[0:1], 0, 0
	s_and_b64 s[4:5], vcc, s[0:1]
	v_mov_b32_e32 v5, 0
	v_pk_mov_b32 v[6:7], v[0:1], v[0:1] op_sel:[0,1]
	s_and_saveexec_b64 s[10:11], s[4:5]
	s_cbranch_execz .LBB77_9
; %bb.8:
	v_mad_u64_u32 v[6:7], s[2:3], v3, s14, v[2:3]
	global_load_ubyte v5, v6, s[8:9]
	v_mov_b32_e32 v9, s7
	s_waitcnt vmcnt(0)
	v_mad_u64_u32 v[6:7], s[2:3], v3, s15, v[4:5]
	v_mov_b32_e32 v7, 0
	v_lshlrev_b64 v[6:7], 3, v[6:7]
	v_add_co_u32_e64 v6, s[2:3], s6, v6
	v_addc_co_u32_e64 v7, s[2:3], v9, v7, s[2:3]
	global_load_dwordx2 v[6:7], v[6:7], off
.LBB77_9:
	s_or_b64 exec, exec, s[10:11]
	v_lshlrev_b32_e32 v9, 5, v8
	v_add_u32_e32 v16, 0x1000, v9
	v_add_u32_e32 v15, 0x1200, v9
	;; [unrolled: 1-line block ×3, first 2 shown]
	s_and_b32 s16, 0xffff, s12
	v_cndmask_b32_e64 v11, 0, 1, s[4:5]
	ds_write_b8 v9, v5
	v_add_u32_e32 v5, v15, v3
	ds_write_b8 v5, v11
	v_add_u32_e32 v5, s16, v3
	v_lshlrev_b32_e32 v13, 8, v8
	v_cmp_gt_u32_e64 s[2:3], s13, v5
	v_lshl_add_u32 v8, v3, 3, v13
	s_and_b64 s[10:11], vcc, s[2:3]
	s_waitcnt vmcnt(0)
	ds_write_b64 v8, v[6:7]
	s_and_saveexec_b64 s[12:13], s[10:11]
	s_cbranch_execz .LBB77_11
; %bb.10:
	v_mad_u64_u32 v[0:1], s[4:5], v5, s14, v[2:3]
	global_load_ubyte v10, v0, s[8:9]
	v_mad_u64_u32 v[0:1], s[4:5], v5, s15, v[4:5]
	v_mov_b32_e32 v1, 0
	v_lshlrev_b64 v[0:1], 3, v[0:1]
	v_mov_b32_e32 v6, s7
	v_add_co_u32_e64 v0, s[4:5], s6, v0
	v_addc_co_u32_e64 v1, s[4:5], v6, v1, s[4:5]
	global_load_dwordx2 v[0:1], v[0:1], off
.LBB77_11:
	s_or_b64 exec, exec, s[12:13]
	v_lshl_add_u32 v6, s16, 3, v8
	v_lshlrev_b32_e32 v17, 1, v3
	v_cndmask_b32_e64 v11, 0, 1, s[10:11]
	v_add_u32_e32 v7, v16, v5
	s_waitcnt vmcnt(0)
	ds_write_b64 v6, v[0:1]
	v_add_u32_e32 v0, v15, v5
	v_add_u32_e32 v1, v16, v17
	ds_write_b8 v7, v10
	ds_write_b8 v0, v11
	s_waitcnt lgkmcnt(0)
	s_barrier
	ds_read_u16 v11, v1
	s_mov_b32 s16, 1
	v_add_u32_e32 v0, v15, v17
	s_waitcnt lgkmcnt(0)
	v_cmp_le_u16_sdwa s[10:11], v11, v11 src0_sel:BYTE_0 src1_sel:BYTE_1
	v_cmp_gt_u16_sdwa s[4:5], v11, v11 src0_sel:BYTE_0 src1_sel:BYTE_1
	s_and_saveexec_b64 s[12:13], s[4:5]
	s_xor_b64 s[12:13], exec, s[12:13]
	s_cbranch_execz .LBB77_13
; %bb.12:
	ds_read_u8 v10, v0
	s_andn2_b64 s[10:11], s[10:11], exec
	s_waitcnt lgkmcnt(0)
	v_and_b32_e32 v10, 1, v10
	v_cmp_eq_u32_e64 s[4:5], 1, v10
	s_xor_b64 s[4:5], s[4:5], -1
	s_and_b64 s[4:5], s[4:5], exec
	s_or_b64 s[10:11], s[10:11], s[4:5]
.LBB77_13:
	s_or_b64 exec, exec, s[12:13]
	v_mov_b32_e32 v14, s16
	s_and_saveexec_b64 s[4:5], s[10:11]
	s_cbranch_execz .LBB77_15
; %bb.14:
	ds_read_u8 v10, v0 offset:1
	s_waitcnt lgkmcnt(0)
	v_xor_b32_e32 v14, 1, v10
.LBB77_15:
	s_or_b64 exec, exec, s[4:5]
	v_and_b32_e32 v12, 1, v3
	v_lshlrev_b32_e32 v10, 3, v3
	v_cmp_eq_u32_e64 s[4:5], v14, v12
	s_and_saveexec_b64 s[10:11], s[4:5]
	s_cbranch_execz .LBB77_17
; %bb.16:
	v_add_u32_e32 v14, v8, v10
	ds_read_b128 v[18:21], v14
	ds_read_u16 v24, v0
	v_lshlrev_b16_e32 v22, 8, v11
	v_or_b32_sdwa v11, v11, v22 dst_sel:DWORD dst_unused:UNUSED_PAD src0_sel:BYTE_1 src1_sel:DWORD
	s_mov_b32 s4, 0xc0c0001
	ds_write_b16 v1, v11
	s_waitcnt lgkmcnt(2)
	v_mov_b32_e32 v22, v18
	v_mov_b32_e32 v23, v19
	s_waitcnt lgkmcnt(1)
	v_perm_b32 v11, 0, v24, s4
	ds_write_b128 v14, v[20:23]
	ds_write_b16 v0, v11
.LBB77_17:
	s_or_b64 exec, exec, s[10:11]
	v_sub_u32_e32 v14, v17, v12
	v_add_u32_e32 v11, v16, v14
	s_waitcnt lgkmcnt(0)
	s_barrier
	ds_read_u8 v19, v11
	ds_read_u8 v20, v11 offset:2
	s_mov_b64 s[10:11], -1
	v_add_u32_e32 v12, v15, v14
                                        ; implicit-def: $sgpr16
	s_waitcnt lgkmcnt(0)
	v_cmp_gt_u16_e64 s[4:5], v19, v20
	s_and_saveexec_b64 s[12:13], s[4:5]
	s_xor_b64 s[12:13], exec, s[12:13]
	s_cbranch_execz .LBB77_19
; %bb.18:
	ds_read_u8 v18, v12
	s_mov_b32 s16, 1
	s_waitcnt lgkmcnt(0)
	v_and_b32_e32 v18, 1, v18
	v_cmp_eq_u32_e64 s[4:5], 1, v18
	s_xor_b64 s[4:5], s[4:5], -1
	s_orn2_b64 s[10:11], s[4:5], exec
.LBB77_19:
	s_or_b64 exec, exec, s[12:13]
	v_mov_b32_e32 v21, s16
	s_and_saveexec_b64 s[4:5], s[10:11]
	s_cbranch_execz .LBB77_21
; %bb.20:
	ds_read_u8 v18, v12 offset:2
	s_waitcnt lgkmcnt(0)
	v_xor_b32_e32 v21, 1, v18
.LBB77_21:
	s_or_b64 exec, exec, s[4:5]
	v_bfe_u32 v18, v3, 1, 1
	v_lshl_add_u32 v14, v14, 3, v13
	v_cmp_eq_u32_e64 s[4:5], v21, v18
	s_and_saveexec_b64 s[10:11], s[4:5]
	s_cbranch_execz .LBB77_23
; %bb.22:
	ds_read2_b64 v[22:25], v14 offset1:2
	ds_read_u8 v21, v12 offset:2
	ds_read_u8 v26, v12
	ds_write_b8 v11, v20
	ds_write_b8 v11, v19 offset:2
	s_waitcnt lgkmcnt(4)
	ds_write2_b64 v14, v[24:25], v[22:23] offset1:2
	s_waitcnt lgkmcnt(4)
	ds_write_b8 v12, v21
	s_waitcnt lgkmcnt(4)
	ds_write_b8 v12, v26 offset:2
.LBB77_23:
	s_or_b64 exec, exec, s[10:11]
	s_waitcnt lgkmcnt(0)
	s_barrier
	ds_read_u16 v19, v1
                                        ; implicit-def: $sgpr16
	s_waitcnt lgkmcnt(0)
	v_cmp_le_u16_sdwa s[10:11], v19, v19 src0_sel:BYTE_0 src1_sel:BYTE_1
	v_cmp_gt_u16_sdwa s[4:5], v19, v19 src0_sel:BYTE_0 src1_sel:BYTE_1
	s_and_saveexec_b64 s[12:13], s[4:5]
	s_cbranch_execnz .LBB77_90
; %bb.24:
	s_or_b64 exec, exec, s[12:13]
	v_mov_b32_e32 v20, s16
	s_and_saveexec_b64 s[4:5], s[10:11]
	s_cbranch_execnz .LBB77_91
.LBB77_25:
	s_or_b64 exec, exec, s[4:5]
	v_cmp_eq_u32_e64 s[4:5], v20, v18
	s_and_saveexec_b64 s[10:11], s[4:5]
	s_cbranch_execz .LBB77_27
.LBB77_26:
	v_add_u32_e32 v24, v8, v10
	ds_read_b128 v[20:23], v24
	ds_read_u16 v25, v0
	v_lshlrev_b16_e32 v18, 8, v19
	v_or_b32_sdwa v18, v19, v18 dst_sel:DWORD dst_unused:UNUSED_PAD src0_sel:BYTE_1 src1_sel:DWORD
	ds_write_b16 v1, v18
	s_waitcnt lgkmcnt(2)
	v_mov_b32_e32 v18, v22
	v_mov_b32_e32 v19, v23
	s_mov_b32 s4, 0xc0c0001
	ds_write_b128 v24, v[18:21]
	s_waitcnt lgkmcnt(2)
	v_perm_b32 v18, 0, v25, s4
	ds_write_b16 v0, v18
.LBB77_27:
	s_or_b64 exec, exec, s[10:11]
	v_and_b32_e32 v18, 3, v3
	v_sub_u32_e32 v20, v17, v18
	v_add_u32_e32 v18, v16, v20
	s_waitcnt lgkmcnt(0)
	s_barrier
	ds_read_u8 v22, v18
	ds_read_u8 v23, v18 offset:4
	v_add_u32_e32 v19, v15, v20
                                        ; implicit-def: $sgpr16
	s_waitcnt lgkmcnt(0)
	v_cmp_le_u16_e64 s[10:11], v22, v23
	v_cmp_gt_u16_e64 s[4:5], v22, v23
	s_and_saveexec_b64 s[12:13], s[4:5]
	s_cbranch_execz .LBB77_29
; %bb.28:
	ds_read_u8 v21, v19
	s_andn2_b64 s[10:11], s[10:11], exec
	s_mov_b32 s16, 1
	s_waitcnt lgkmcnt(0)
	v_and_b32_e32 v21, 1, v21
	v_cmp_eq_u32_e64 s[4:5], 1, v21
	s_xor_b64 s[4:5], s[4:5], -1
	s_and_b64 s[4:5], s[4:5], exec
	s_or_b64 s[10:11], s[10:11], s[4:5]
.LBB77_29:
	s_or_b64 exec, exec, s[12:13]
	v_mov_b32_e32 v24, s16
	s_and_saveexec_b64 s[4:5], s[10:11]
	s_cbranch_execz .LBB77_31
; %bb.30:
	ds_read_u8 v21, v19 offset:4
	s_waitcnt lgkmcnt(0)
	v_xor_b32_e32 v24, 1, v21
.LBB77_31:
	s_or_b64 exec, exec, s[4:5]
	v_bfe_u32 v21, v3, 2, 1
	v_lshl_add_u32 v20, v20, 3, v13
	v_cmp_eq_u32_e64 s[4:5], v24, v21
	s_and_saveexec_b64 s[10:11], s[4:5]
	s_cbranch_execz .LBB77_33
; %bb.32:
	ds_read2_b64 v[24:27], v20 offset1:4
	ds_read_u8 v28, v19 offset:4
	ds_read_u8 v29, v19
	ds_write_b8 v18, v23
	ds_write_b8 v18, v22 offset:4
	s_waitcnt lgkmcnt(4)
	ds_write2_b64 v20, v[26:27], v[24:25] offset1:4
	s_waitcnt lgkmcnt(4)
	ds_write_b8 v19, v28
	s_waitcnt lgkmcnt(4)
	ds_write_b8 v19, v29 offset:4
.LBB77_33:
	s_or_b64 exec, exec, s[10:11]
	s_waitcnt lgkmcnt(0)
	s_barrier
	ds_read_u8 v22, v11
	ds_read_u8 v23, v11 offset:2
                                        ; implicit-def: $sgpr16
	s_waitcnt lgkmcnt(0)
	v_cmp_le_u16_e64 s[10:11], v22, v23
	v_cmp_gt_u16_e64 s[4:5], v22, v23
	s_and_saveexec_b64 s[12:13], s[4:5]
	s_cbranch_execnz .LBB77_92
; %bb.34:
	s_or_b64 exec, exec, s[12:13]
	v_mov_b32_e32 v24, s16
	s_and_saveexec_b64 s[4:5], s[10:11]
	s_cbranch_execnz .LBB77_93
.LBB77_35:
	s_or_b64 exec, exec, s[4:5]
	v_cmp_eq_u32_e64 s[4:5], v24, v21
	s_and_saveexec_b64 s[10:11], s[4:5]
	s_cbranch_execz .LBB77_37
.LBB77_36:
	ds_read2_b64 v[24:27], v14 offset1:2
	ds_read_u8 v28, v12 offset:2
	ds_read_u8 v29, v12
	ds_write_b8 v11, v23
	ds_write_b8 v11, v22 offset:2
	s_waitcnt lgkmcnt(4)
	ds_write2_b64 v14, v[26:27], v[24:25] offset1:2
	s_waitcnt lgkmcnt(4)
	ds_write_b8 v12, v28
	s_waitcnt lgkmcnt(4)
	ds_write_b8 v12, v29 offset:2
.LBB77_37:
	s_or_b64 exec, exec, s[10:11]
	s_waitcnt lgkmcnt(0)
	s_barrier
	ds_read_u16 v22, v1
                                        ; implicit-def: $sgpr16
	s_waitcnt lgkmcnt(0)
	v_cmp_le_u16_sdwa s[10:11], v22, v22 src0_sel:BYTE_0 src1_sel:BYTE_1
	v_cmp_gt_u16_sdwa s[4:5], v22, v22 src0_sel:BYTE_0 src1_sel:BYTE_1
	s_and_saveexec_b64 s[12:13], s[4:5]
	s_cbranch_execnz .LBB77_94
; %bb.38:
	s_or_b64 exec, exec, s[12:13]
	v_mov_b32_e32 v23, s16
	s_and_saveexec_b64 s[4:5], s[10:11]
	s_cbranch_execnz .LBB77_95
.LBB77_39:
	s_or_b64 exec, exec, s[4:5]
	v_cmp_eq_u32_e64 s[4:5], v23, v21
	s_and_saveexec_b64 s[10:11], s[4:5]
	s_cbranch_execz .LBB77_41
.LBB77_40:
	v_add_u32_e32 v21, v8, v10
	ds_read_b128 v[24:27], v21
	ds_read_u16 v28, v0
	v_lshlrev_b16_e32 v23, 8, v22
	v_or_b32_sdwa v22, v22, v23 dst_sel:DWORD dst_unused:UNUSED_PAD src0_sel:BYTE_1 src1_sel:DWORD
	ds_write_b16 v1, v22
	s_waitcnt lgkmcnt(2)
	v_mov_b32_e32 v22, v26
	v_mov_b32_e32 v23, v27
	s_mov_b32 s4, 0xc0c0001
	ds_write_b128 v21, v[22:25]
	s_waitcnt lgkmcnt(2)
	v_perm_b32 v21, 0, v28, s4
	ds_write_b16 v0, v21
.LBB77_41:
	s_or_b64 exec, exec, s[10:11]
	v_and_b32_e32 v21, 7, v3
	v_sub_u32_e32 v23, v17, v21
	v_add_u32_e32 v21, v16, v23
	s_waitcnt lgkmcnt(0)
	s_barrier
	ds_read_u8 v25, v21
	ds_read_u8 v26, v21 offset:8
	v_add_u32_e32 v22, v15, v23
                                        ; implicit-def: $sgpr16
	s_waitcnt lgkmcnt(0)
	v_cmp_le_u16_e64 s[10:11], v25, v26
	v_cmp_gt_u16_e64 s[4:5], v25, v26
	s_and_saveexec_b64 s[12:13], s[4:5]
	s_cbranch_execz .LBB77_43
; %bb.42:
	ds_read_u8 v24, v22
	s_andn2_b64 s[10:11], s[10:11], exec
	s_mov_b32 s16, 1
	s_waitcnt lgkmcnt(0)
	v_and_b32_e32 v24, 1, v24
	v_cmp_eq_u32_e64 s[4:5], 1, v24
	s_xor_b64 s[4:5], s[4:5], -1
	s_and_b64 s[4:5], s[4:5], exec
	s_or_b64 s[10:11], s[10:11], s[4:5]
.LBB77_43:
	s_or_b64 exec, exec, s[12:13]
	v_mov_b32_e32 v27, s16
	s_and_saveexec_b64 s[4:5], s[10:11]
	s_cbranch_execz .LBB77_45
; %bb.44:
	ds_read_u8 v24, v22 offset:8
	s_waitcnt lgkmcnt(0)
	v_xor_b32_e32 v27, 1, v24
.LBB77_45:
	s_or_b64 exec, exec, s[4:5]
	v_bfe_u32 v24, v3, 3, 1
	v_lshl_add_u32 v23, v23, 3, v13
	v_cmp_eq_u32_e64 s[4:5], v27, v24
	s_and_saveexec_b64 s[10:11], s[4:5]
	s_cbranch_execz .LBB77_47
; %bb.46:
	ds_read2_b64 v[28:31], v23 offset1:8
	ds_read_u8 v27, v22 offset:8
	ds_read_u8 v32, v22
	ds_write_b8 v21, v26
	ds_write_b8 v21, v25 offset:8
	s_waitcnt lgkmcnt(4)
	ds_write2_b64 v23, v[30:31], v[28:29] offset1:8
	s_waitcnt lgkmcnt(4)
	ds_write_b8 v22, v27
	s_waitcnt lgkmcnt(4)
	ds_write_b8 v22, v32 offset:8
.LBB77_47:
	s_or_b64 exec, exec, s[10:11]
	s_waitcnt lgkmcnt(0)
	s_barrier
	ds_read_u8 v25, v18
	ds_read_u8 v26, v18 offset:4
                                        ; implicit-def: $sgpr16
	s_waitcnt lgkmcnt(0)
	v_cmp_le_u16_e64 s[10:11], v25, v26
	v_cmp_gt_u16_e64 s[4:5], v25, v26
	s_and_saveexec_b64 s[12:13], s[4:5]
	s_cbranch_execnz .LBB77_96
; %bb.48:
	s_or_b64 exec, exec, s[12:13]
	v_mov_b32_e32 v27, s16
	s_and_saveexec_b64 s[4:5], s[10:11]
	s_cbranch_execnz .LBB77_97
.LBB77_49:
	s_or_b64 exec, exec, s[4:5]
	v_cmp_eq_u32_e64 s[4:5], v27, v24
	s_and_saveexec_b64 s[10:11], s[4:5]
	s_cbranch_execz .LBB77_51
.LBB77_50:
	ds_read2_b64 v[28:31], v20 offset1:4
	ds_read_u8 v27, v19 offset:4
	ds_read_u8 v32, v19
	ds_write_b8 v18, v26
	ds_write_b8 v18, v25 offset:4
	s_waitcnt lgkmcnt(4)
	ds_write2_b64 v20, v[30:31], v[28:29] offset1:4
	s_waitcnt lgkmcnt(4)
	ds_write_b8 v19, v27
	s_waitcnt lgkmcnt(4)
	ds_write_b8 v19, v32 offset:4
.LBB77_51:
	s_or_b64 exec, exec, s[10:11]
	s_waitcnt lgkmcnt(0)
	s_barrier
	ds_read_u8 v25, v11
	ds_read_u8 v26, v11 offset:2
                                        ; implicit-def: $sgpr16
	s_waitcnt lgkmcnt(0)
	v_cmp_le_u16_e64 s[10:11], v25, v26
	v_cmp_gt_u16_e64 s[4:5], v25, v26
	s_and_saveexec_b64 s[12:13], s[4:5]
	s_cbranch_execnz .LBB77_98
; %bb.52:
	s_or_b64 exec, exec, s[12:13]
	v_mov_b32_e32 v27, s16
	s_and_saveexec_b64 s[4:5], s[10:11]
	s_cbranch_execnz .LBB77_99
.LBB77_53:
	s_or_b64 exec, exec, s[4:5]
	v_cmp_eq_u32_e64 s[4:5], v27, v24
	s_and_saveexec_b64 s[10:11], s[4:5]
	s_cbranch_execz .LBB77_55
.LBB77_54:
	ds_read2_b64 v[28:31], v14 offset1:2
	ds_read_u8 v27, v12 offset:2
	ds_read_u8 v32, v12
	ds_write_b8 v11, v26
	ds_write_b8 v11, v25 offset:2
	s_waitcnt lgkmcnt(4)
	ds_write2_b64 v14, v[30:31], v[28:29] offset1:2
	s_waitcnt lgkmcnt(4)
	ds_write_b8 v12, v27
	s_waitcnt lgkmcnt(4)
	ds_write_b8 v12, v32 offset:2
.LBB77_55:
	s_or_b64 exec, exec, s[10:11]
	s_waitcnt lgkmcnt(0)
	s_barrier
	ds_read_u16 v25, v1
                                        ; implicit-def: $sgpr16
	s_waitcnt lgkmcnt(0)
	v_cmp_le_u16_sdwa s[10:11], v25, v25 src0_sel:BYTE_0 src1_sel:BYTE_1
	v_cmp_gt_u16_sdwa s[4:5], v25, v25 src0_sel:BYTE_0 src1_sel:BYTE_1
	s_and_saveexec_b64 s[12:13], s[4:5]
	s_cbranch_execnz .LBB77_100
; %bb.56:
	s_or_b64 exec, exec, s[12:13]
	v_mov_b32_e32 v26, s16
	s_and_saveexec_b64 s[4:5], s[10:11]
	s_cbranch_execnz .LBB77_101
.LBB77_57:
	s_or_b64 exec, exec, s[4:5]
	v_cmp_eq_u32_e64 s[4:5], v26, v24
	s_and_saveexec_b64 s[10:11], s[4:5]
	s_cbranch_execz .LBB77_59
.LBB77_58:
	v_add_u32_e32 v30, v8, v10
	ds_read_b128 v[26:29], v30
	ds_read_u16 v31, v0
	v_lshlrev_b16_e32 v24, 8, v25
	v_or_b32_sdwa v24, v25, v24 dst_sel:DWORD dst_unused:UNUSED_PAD src0_sel:BYTE_1 src1_sel:DWORD
	ds_write_b16 v1, v24
	s_waitcnt lgkmcnt(2)
	v_mov_b32_e32 v24, v28
	v_mov_b32_e32 v25, v29
	s_mov_b32 s4, 0xc0c0001
	ds_write_b128 v30, v[24:27]
	s_waitcnt lgkmcnt(2)
	v_perm_b32 v24, 0, v31, s4
	ds_write_b16 v0, v24
.LBB77_59:
	s_or_b64 exec, exec, s[10:11]
	v_and_b32_e32 v24, 15, v3
	v_sub_u32_e32 v25, v17, v24
	v_add_u32_e32 v16, v16, v25
	s_waitcnt lgkmcnt(0)
	s_barrier
	ds_read_u8 v17, v16
	ds_read_u8 v24, v16 offset:16
	v_add_u32_e32 v15, v15, v25
	s_waitcnt lgkmcnt(0)
	v_cmp_le_u16_e64 s[12:13], v17, v24
	v_cmp_gt_u16_e64 s[4:5], v17, v24
	s_and_saveexec_b64 s[10:11], s[4:5]
	s_cbranch_execz .LBB77_61
; %bb.60:
	ds_read_u8 v26, v15
	s_andn2_b64 s[12:13], s[12:13], exec
	s_waitcnt lgkmcnt(0)
	v_and_b32_e32 v26, 1, v26
	v_cmp_eq_u32_e64 s[4:5], 1, v26
	s_xor_b64 s[4:5], s[4:5], -1
	s_and_b64 s[4:5], s[4:5], exec
	s_or_b64 s[12:13], s[12:13], s[4:5]
.LBB77_61:
	s_or_b64 exec, exec, s[10:11]
	s_and_saveexec_b64 s[10:11], s[12:13]
	s_cbranch_execz .LBB77_64
; %bb.62:
	ds_read_u8 v26, v15 offset:16
	s_waitcnt lgkmcnt(0)
	v_cmp_ne_u16_e64 s[4:5], 0, v26
	s_and_b64 exec, exec, s[4:5]
	s_cbranch_execz .LBB77_64
; %bb.63:
	v_lshl_add_u32 v13, v25, 3, v13
	ds_read2_b64 v[28:31], v13 offset1:16
	ds_read_u8 v25, v15
	ds_write_b8 v16, v24
	ds_write_b8 v16, v17 offset:16
	ds_write_b8 v15, v26
	s_waitcnt lgkmcnt(4)
	ds_write2_b64 v13, v[30:31], v[28:29] offset1:16
	s_waitcnt lgkmcnt(4)
	ds_write_b8 v15, v25 offset:16
.LBB77_64:
	s_or_b64 exec, exec, s[10:11]
	s_waitcnt lgkmcnt(0)
	s_barrier
	ds_read_u8 v13, v21
	ds_read_u8 v15, v21 offset:8
	s_waitcnt lgkmcnt(0)
	v_cmp_le_u16_e64 s[12:13], v13, v15
	v_cmp_gt_u16_e64 s[4:5], v13, v15
	s_and_saveexec_b64 s[10:11], s[4:5]
	s_cbranch_execz .LBB77_66
; %bb.65:
	ds_read_u8 v16, v22
	s_andn2_b64 s[12:13], s[12:13], exec
	s_waitcnt lgkmcnt(0)
	v_and_b32_e32 v16, 1, v16
	v_cmp_eq_u32_e64 s[4:5], 1, v16
	s_xor_b64 s[4:5], s[4:5], -1
	s_and_b64 s[4:5], s[4:5], exec
	s_or_b64 s[12:13], s[12:13], s[4:5]
.LBB77_66:
	s_or_b64 exec, exec, s[10:11]
	s_and_saveexec_b64 s[10:11], s[12:13]
	s_cbranch_execz .LBB77_69
; %bb.67:
	ds_read_u8 v16, v22 offset:8
	s_waitcnt lgkmcnt(0)
	v_cmp_ne_u16_e64 s[4:5], 0, v16
	s_and_b64 exec, exec, s[4:5]
	s_cbranch_execz .LBB77_69
; %bb.68:
	ds_read2_b64 v[24:27], v23 offset1:8
	ds_read_u8 v17, v22
	ds_write_b8 v21, v15
	ds_write_b8 v21, v13 offset:8
	ds_write_b8 v22, v16
	s_waitcnt lgkmcnt(4)
	ds_write2_b64 v23, v[26:27], v[24:25] offset1:8
	s_waitcnt lgkmcnt(4)
	ds_write_b8 v22, v17 offset:8
.LBB77_69:
	s_or_b64 exec, exec, s[10:11]
	s_waitcnt lgkmcnt(0)
	s_barrier
	ds_read_u8 v13, v18
	ds_read_u8 v15, v18 offset:4
	s_waitcnt lgkmcnt(0)
	v_cmp_le_u16_e64 s[12:13], v13, v15
	v_cmp_gt_u16_e64 s[4:5], v13, v15
	s_and_saveexec_b64 s[10:11], s[4:5]
	s_cbranch_execz .LBB77_71
; %bb.70:
	ds_read_u8 v16, v19
	s_andn2_b64 s[12:13], s[12:13], exec
	s_waitcnt lgkmcnt(0)
	v_and_b32_e32 v16, 1, v16
	v_cmp_eq_u32_e64 s[4:5], 1, v16
	s_xor_b64 s[4:5], s[4:5], -1
	s_and_b64 s[4:5], s[4:5], exec
	s_or_b64 s[12:13], s[12:13], s[4:5]
.LBB77_71:
	s_or_b64 exec, exec, s[10:11]
	s_and_saveexec_b64 s[10:11], s[12:13]
	s_cbranch_execz .LBB77_74
; %bb.72:
	ds_read_u8 v16, v19 offset:4
	s_waitcnt lgkmcnt(0)
	v_cmp_ne_u16_e64 s[4:5], 0, v16
	s_and_b64 exec, exec, s[4:5]
	s_cbranch_execz .LBB77_74
; %bb.73:
	ds_read2_b64 v[22:25], v20 offset1:4
	ds_read_u8 v17, v19
	ds_write_b8 v18, v15
	ds_write_b8 v18, v13 offset:4
	ds_write_b8 v19, v16
	s_waitcnt lgkmcnt(4)
	ds_write2_b64 v20, v[24:25], v[22:23] offset1:4
	s_waitcnt lgkmcnt(4)
	ds_write_b8 v19, v17 offset:4
.LBB77_74:
	;; [unrolled: 40-line block ×3, first 2 shown]
	s_or_b64 exec, exec, s[10:11]
	s_waitcnt lgkmcnt(0)
	s_barrier
	ds_read_u16 v11, v1
	s_waitcnt lgkmcnt(0)
	v_cmp_le_u16_sdwa s[12:13], v11, v11 src0_sel:BYTE_0 src1_sel:BYTE_1
	v_cmp_gt_u16_sdwa s[4:5], v11, v11 src0_sel:BYTE_0 src1_sel:BYTE_1
	s_and_saveexec_b64 s[10:11], s[4:5]
	s_cbranch_execz .LBB77_81
; %bb.80:
	ds_read_u8 v12, v0
	s_andn2_b64 s[12:13], s[12:13], exec
	s_waitcnt lgkmcnt(0)
	v_and_b32_e32 v12, 1, v12
	v_cmp_eq_u32_e64 s[4:5], 1, v12
	s_xor_b64 s[4:5], s[4:5], -1
	s_and_b64 s[4:5], s[4:5], exec
	s_or_b64 s[12:13], s[12:13], s[4:5]
.LBB77_81:
	s_or_b64 exec, exec, s[10:11]
	s_and_saveexec_b64 s[10:11], s[12:13]
	s_cbranch_execz .LBB77_84
; %bb.82:
	ds_read_u8 v12, v0 offset:1
	s_waitcnt lgkmcnt(0)
	v_cmp_ne_u16_e64 s[4:5], 0, v12
	s_and_b64 exec, exec, s[4:5]
	s_cbranch_execz .LBB77_84
; %bb.83:
	v_add_u32_e32 v10, v8, v10
	v_lshlrev_b16_e32 v13, 8, v11
	ds_read_b128 v[14:17], v10
	v_or_b32_sdwa v11, v11, v13 dst_sel:DWORD dst_unused:UNUSED_PAD src0_sel:BYTE_1 src1_sel:DWORD
	ds_read_u8 v13, v0
	ds_write_b16 v1, v11
	s_waitcnt lgkmcnt(2)
	v_mov_b32_e32 v18, v14
	v_mov_b32_e32 v19, v15
	s_waitcnt lgkmcnt(1)
	v_lshlrev_b16_e32 v1, 8, v13
	v_or_b32_e32 v1, v12, v1
	ds_write_b128 v10, v[16:19]
	ds_write_b16 v0, v1
.LBB77_84:
	s_or_b64 exec, exec, s[10:11]
	s_waitcnt lgkmcnt(0)
	s_barrier
	s_and_saveexec_b64 s[4:5], vcc
	s_cbranch_execz .LBB77_89
; %bb.85:
	s_and_saveexec_b64 s[4:5], s[0:1]
	s_cbranch_execz .LBB77_87
; %bb.86:
	ds_read_u8 v10, v9
	v_mad_u64_u32 v[0:1], s[0:1], v3, s14, v[2:3]
	ds_read_b64 v[8:9], v8
	s_waitcnt lgkmcnt(1)
	global_store_byte v0, v10, s[8:9]
	v_mad_u64_u32 v[0:1], s[0:1], v3, s15, v[4:5]
	v_mov_b32_e32 v1, 0
	v_lshlrev_b64 v[0:1], 3, v[0:1]
	v_mov_b32_e32 v3, s7
	v_add_co_u32_e32 v0, vcc, s6, v0
	v_addc_co_u32_e32 v1, vcc, v3, v1, vcc
	s_waitcnt lgkmcnt(0)
	global_store_dwordx2 v[0:1], v[8:9], off
.LBB77_87:
	s_or_b64 exec, exec, s[4:5]
	s_and_b64 exec, exec, s[2:3]
	s_cbranch_execz .LBB77_89
; %bb.88:
	ds_read_u8 v7, v7
	v_mad_u64_u32 v[0:1], s[0:1], v5, s14, v[2:3]
	ds_read_b64 v[2:3], v6
	s_waitcnt lgkmcnt(1)
	global_store_byte v0, v7, s[8:9]
	v_mad_u64_u32 v[0:1], s[0:1], v5, s15, v[4:5]
	v_mov_b32_e32 v1, 0
	v_lshlrev_b64 v[0:1], 3, v[0:1]
	v_mov_b32_e32 v4, s7
	v_add_co_u32_e32 v0, vcc, s6, v0
	v_addc_co_u32_e32 v1, vcc, v4, v1, vcc
	s_waitcnt lgkmcnt(0)
	global_store_dwordx2 v[0:1], v[2:3], off
.LBB77_89:
	s_endpgm
.LBB77_90:
	ds_read_u8 v20, v0
	s_andn2_b64 s[10:11], s[10:11], exec
	s_mov_b32 s16, 1
	s_waitcnt lgkmcnt(0)
	v_and_b32_e32 v20, 1, v20
	v_cmp_eq_u32_e64 s[4:5], 1, v20
	s_xor_b64 s[4:5], s[4:5], -1
	s_and_b64 s[4:5], s[4:5], exec
	s_or_b64 s[10:11], s[10:11], s[4:5]
	s_or_b64 exec, exec, s[12:13]
	v_mov_b32_e32 v20, s16
	s_and_saveexec_b64 s[4:5], s[10:11]
	s_cbranch_execz .LBB77_25
.LBB77_91:
	ds_read_u8 v20, v0 offset:1
	s_waitcnt lgkmcnt(0)
	v_xor_b32_e32 v20, 1, v20
	s_or_b64 exec, exec, s[4:5]
	v_cmp_eq_u32_e64 s[4:5], v20, v18
	s_and_saveexec_b64 s[10:11], s[4:5]
	s_cbranch_execnz .LBB77_26
	s_branch .LBB77_27
.LBB77_92:
	ds_read_u8 v24, v12
	s_andn2_b64 s[10:11], s[10:11], exec
	s_mov_b32 s16, 1
	s_waitcnt lgkmcnt(0)
	v_and_b32_e32 v24, 1, v24
	v_cmp_eq_u32_e64 s[4:5], 1, v24
	s_xor_b64 s[4:5], s[4:5], -1
	s_and_b64 s[4:5], s[4:5], exec
	s_or_b64 s[10:11], s[10:11], s[4:5]
	s_or_b64 exec, exec, s[12:13]
	v_mov_b32_e32 v24, s16
	s_and_saveexec_b64 s[4:5], s[10:11]
	s_cbranch_execz .LBB77_35
.LBB77_93:
	ds_read_u8 v24, v12 offset:2
	s_waitcnt lgkmcnt(0)
	v_xor_b32_e32 v24, 1, v24
	s_or_b64 exec, exec, s[4:5]
	v_cmp_eq_u32_e64 s[4:5], v24, v21
	s_and_saveexec_b64 s[10:11], s[4:5]
	s_cbranch_execnz .LBB77_36
	s_branch .LBB77_37
.LBB77_94:
	ds_read_u8 v23, v0
	s_andn2_b64 s[10:11], s[10:11], exec
	s_mov_b32 s16, 1
	s_waitcnt lgkmcnt(0)
	v_and_b32_e32 v23, 1, v23
	v_cmp_eq_u32_e64 s[4:5], 1, v23
	s_xor_b64 s[4:5], s[4:5], -1
	s_and_b64 s[4:5], s[4:5], exec
	s_or_b64 s[10:11], s[10:11], s[4:5]
	s_or_b64 exec, exec, s[12:13]
	v_mov_b32_e32 v23, s16
	s_and_saveexec_b64 s[4:5], s[10:11]
	s_cbranch_execz .LBB77_39
.LBB77_95:
	ds_read_u8 v23, v0 offset:1
	s_waitcnt lgkmcnt(0)
	v_xor_b32_e32 v23, 1, v23
	s_or_b64 exec, exec, s[4:5]
	v_cmp_eq_u32_e64 s[4:5], v23, v21
	s_and_saveexec_b64 s[10:11], s[4:5]
	s_cbranch_execnz .LBB77_40
	s_branch .LBB77_41
.LBB77_96:
	ds_read_u8 v27, v19
	s_andn2_b64 s[10:11], s[10:11], exec
	s_mov_b32 s16, 1
	s_waitcnt lgkmcnt(0)
	v_and_b32_e32 v27, 1, v27
	v_cmp_eq_u32_e64 s[4:5], 1, v27
	s_xor_b64 s[4:5], s[4:5], -1
	s_and_b64 s[4:5], s[4:5], exec
	s_or_b64 s[10:11], s[10:11], s[4:5]
	s_or_b64 exec, exec, s[12:13]
	v_mov_b32_e32 v27, s16
	s_and_saveexec_b64 s[4:5], s[10:11]
	s_cbranch_execz .LBB77_49
.LBB77_97:
	ds_read_u8 v27, v19 offset:4
	s_waitcnt lgkmcnt(0)
	v_xor_b32_e32 v27, 1, v27
	s_or_b64 exec, exec, s[4:5]
	v_cmp_eq_u32_e64 s[4:5], v27, v24
	s_and_saveexec_b64 s[10:11], s[4:5]
	s_cbranch_execnz .LBB77_50
	s_branch .LBB77_51
.LBB77_98:
	ds_read_u8 v27, v12
	s_andn2_b64 s[10:11], s[10:11], exec
	s_mov_b32 s16, 1
	s_waitcnt lgkmcnt(0)
	v_and_b32_e32 v27, 1, v27
	v_cmp_eq_u32_e64 s[4:5], 1, v27
	s_xor_b64 s[4:5], s[4:5], -1
	s_and_b64 s[4:5], s[4:5], exec
	s_or_b64 s[10:11], s[10:11], s[4:5]
	s_or_b64 exec, exec, s[12:13]
	v_mov_b32_e32 v27, s16
	s_and_saveexec_b64 s[4:5], s[10:11]
	s_cbranch_execz .LBB77_53
.LBB77_99:
	ds_read_u8 v27, v12 offset:2
	s_waitcnt lgkmcnt(0)
	v_xor_b32_e32 v27, 1, v27
	s_or_b64 exec, exec, s[4:5]
	v_cmp_eq_u32_e64 s[4:5], v27, v24
	s_and_saveexec_b64 s[10:11], s[4:5]
	s_cbranch_execnz .LBB77_54
	s_branch .LBB77_55
.LBB77_100:
	ds_read_u8 v26, v0
	s_andn2_b64 s[10:11], s[10:11], exec
	s_mov_b32 s16, 1
	s_waitcnt lgkmcnt(0)
	v_and_b32_e32 v26, 1, v26
	v_cmp_eq_u32_e64 s[4:5], 1, v26
	s_xor_b64 s[4:5], s[4:5], -1
	s_and_b64 s[4:5], s[4:5], exec
	s_or_b64 s[10:11], s[10:11], s[4:5]
	s_or_b64 exec, exec, s[12:13]
	v_mov_b32_e32 v26, s16
	s_and_saveexec_b64 s[4:5], s[10:11]
	s_cbranch_execz .LBB77_57
.LBB77_101:
	ds_read_u8 v26, v0 offset:1
	s_waitcnt lgkmcnt(0)
	v_xor_b32_e32 v26, 1, v26
	s_or_b64 exec, exec, s[4:5]
	v_cmp_eq_u32_e64 s[4:5], v26, v24
	s_and_saveexec_b64 s[10:11], s[4:5]
	s_cbranch_execnz .LBB77_58
	s_branch .LBB77_59
	.section	.rodata,"a",@progbits
	.p2align	6, 0x0
	.amdhsa_kernel _ZN2at6native20bitonicSortKVInPlaceILin1ELin1ELi16ELi16EblNS0_4GTOpIbLb1EEEjEEvNS_4cuda6detail10TensorInfoIT3_T6_EES8_S8_S8_NS6_IT4_S8_EES8_T5_
		.amdhsa_group_segment_fixed_size 5120
		.amdhsa_private_segment_fixed_size 0
		.amdhsa_kernarg_size 712
		.amdhsa_user_sgpr_count 6
		.amdhsa_user_sgpr_private_segment_buffer 1
		.amdhsa_user_sgpr_dispatch_ptr 0
		.amdhsa_user_sgpr_queue_ptr 0
		.amdhsa_user_sgpr_kernarg_segment_ptr 1
		.amdhsa_user_sgpr_dispatch_id 0
		.amdhsa_user_sgpr_flat_scratch_init 0
		.amdhsa_user_sgpr_kernarg_preload_length 0
		.amdhsa_user_sgpr_kernarg_preload_offset 0
		.amdhsa_user_sgpr_private_segment_size 0
		.amdhsa_uses_dynamic_stack 0
		.amdhsa_system_sgpr_private_segment_wavefront_offset 0
		.amdhsa_system_sgpr_workgroup_id_x 1
		.amdhsa_system_sgpr_workgroup_id_y 1
		.amdhsa_system_sgpr_workgroup_id_z 1
		.amdhsa_system_sgpr_workgroup_info 0
		.amdhsa_system_vgpr_workitem_id 1
		.amdhsa_next_free_vgpr 33
		.amdhsa_next_free_sgpr 17
		.amdhsa_accum_offset 36
		.amdhsa_reserve_vcc 1
		.amdhsa_reserve_flat_scratch 0
		.amdhsa_float_round_mode_32 0
		.amdhsa_float_round_mode_16_64 0
		.amdhsa_float_denorm_mode_32 3
		.amdhsa_float_denorm_mode_16_64 3
		.amdhsa_dx10_clamp 1
		.amdhsa_ieee_mode 1
		.amdhsa_fp16_overflow 0
		.amdhsa_tg_split 0
		.amdhsa_exception_fp_ieee_invalid_op 0
		.amdhsa_exception_fp_denorm_src 0
		.amdhsa_exception_fp_ieee_div_zero 0
		.amdhsa_exception_fp_ieee_overflow 0
		.amdhsa_exception_fp_ieee_underflow 0
		.amdhsa_exception_fp_ieee_inexact 0
		.amdhsa_exception_int_div_zero 0
	.end_amdhsa_kernel
	.section	.text._ZN2at6native20bitonicSortKVInPlaceILin1ELin1ELi16ELi16EblNS0_4GTOpIbLb1EEEjEEvNS_4cuda6detail10TensorInfoIT3_T6_EES8_S8_S8_NS6_IT4_S8_EES8_T5_,"axG",@progbits,_ZN2at6native20bitonicSortKVInPlaceILin1ELin1ELi16ELi16EblNS0_4GTOpIbLb1EEEjEEvNS_4cuda6detail10TensorInfoIT3_T6_EES8_S8_S8_NS6_IT4_S8_EES8_T5_,comdat
.Lfunc_end77:
	.size	_ZN2at6native20bitonicSortKVInPlaceILin1ELin1ELi16ELi16EblNS0_4GTOpIbLb1EEEjEEvNS_4cuda6detail10TensorInfoIT3_T6_EES8_S8_S8_NS6_IT4_S8_EES8_T5_, .Lfunc_end77-_ZN2at6native20bitonicSortKVInPlaceILin1ELin1ELi16ELi16EblNS0_4GTOpIbLb1EEEjEEvNS_4cuda6detail10TensorInfoIT3_T6_EES8_S8_S8_NS6_IT4_S8_EES8_T5_
                                        ; -- End function
	.section	.AMDGPU.csdata,"",@progbits
; Kernel info:
; codeLenInByte = 4848
; NumSgprs: 21
; NumVgprs: 33
; NumAgprs: 0
; TotalNumVgprs: 33
; ScratchSize: 0
; MemoryBound: 0
; FloatMode: 240
; IeeeMode: 1
; LDSByteSize: 5120 bytes/workgroup (compile time only)
; SGPRBlocks: 2
; VGPRBlocks: 4
; NumSGPRsForWavesPerEU: 21
; NumVGPRsForWavesPerEU: 33
; AccumOffset: 36
; Occupancy: 8
; WaveLimiterHint : 1
; COMPUTE_PGM_RSRC2:SCRATCH_EN: 0
; COMPUTE_PGM_RSRC2:USER_SGPR: 6
; COMPUTE_PGM_RSRC2:TRAP_HANDLER: 0
; COMPUTE_PGM_RSRC2:TGID_X_EN: 1
; COMPUTE_PGM_RSRC2:TGID_Y_EN: 1
; COMPUTE_PGM_RSRC2:TGID_Z_EN: 1
; COMPUTE_PGM_RSRC2:TIDIG_COMP_CNT: 1
; COMPUTE_PGM_RSRC3_GFX90A:ACCUM_OFFSET: 8
; COMPUTE_PGM_RSRC3_GFX90A:TG_SPLIT: 0
	.section	.text._ZN2at6native20bitonicSortKVInPlaceILin1ELin1ELi16ELi16EblNS0_4LTOpIbLb1EEEmEEvNS_4cuda6detail10TensorInfoIT3_T6_EES8_S8_S8_NS6_IT4_S8_EES8_T5_,"axG",@progbits,_ZN2at6native20bitonicSortKVInPlaceILin1ELin1ELi16ELi16EblNS0_4LTOpIbLb1EEEmEEvNS_4cuda6detail10TensorInfoIT3_T6_EES8_S8_S8_NS6_IT4_S8_EES8_T5_,comdat
	.protected	_ZN2at6native20bitonicSortKVInPlaceILin1ELin1ELi16ELi16EblNS0_4LTOpIbLb1EEEmEEvNS_4cuda6detail10TensorInfoIT3_T6_EES8_S8_S8_NS6_IT4_S8_EES8_T5_ ; -- Begin function _ZN2at6native20bitonicSortKVInPlaceILin1ELin1ELi16ELi16EblNS0_4LTOpIbLb1EEEmEEvNS_4cuda6detail10TensorInfoIT3_T6_EES8_S8_S8_NS6_IT4_S8_EES8_T5_
	.globl	_ZN2at6native20bitonicSortKVInPlaceILin1ELin1ELi16ELi16EblNS0_4LTOpIbLb1EEEmEEvNS_4cuda6detail10TensorInfoIT3_T6_EES8_S8_S8_NS6_IT4_S8_EES8_T5_
	.p2align	8
	.type	_ZN2at6native20bitonicSortKVInPlaceILin1ELin1ELi16ELi16EblNS0_4LTOpIbLb1EEEmEEvNS_4cuda6detail10TensorInfoIT3_T6_EES8_S8_S8_NS6_IT4_S8_EES8_T5_,@function
_ZN2at6native20bitonicSortKVInPlaceILin1ELin1ELi16ELi16EblNS0_4LTOpIbLb1EEEmEEvNS_4cuda6detail10TensorInfoIT3_T6_EES8_S8_S8_NS6_IT4_S8_EES8_T5_: ; @_ZN2at6native20bitonicSortKVInPlaceILin1ELin1ELi16ELi16EblNS0_4LTOpIbLb1EEEmEEvNS_4cuda6detail10TensorInfoIT3_T6_EES8_S8_S8_NS6_IT4_S8_EES8_T5_
; %bb.0:
	s_load_dwordx2 s[0:1], s[4:5], 0x368
	s_load_dwordx4 s[12:15], s[4:5], 0x1a0
	s_load_dword s9, s[4:5], 0x374
	s_add_u32 s2, s4, 0x368
	s_addc_u32 s3, s5, 0
	s_waitcnt lgkmcnt(0)
	s_mul_i32 s1, s1, s8
	s_add_i32 s1, s1, s7
	s_mul_i32 s0, s1, s0
	s_add_i32 s0, s0, s6
	s_lshr_b32 s6, s9, 16
	s_mul_hi_u32 s1, s0, s6
	s_mul_i32 s0, s0, s6
	v_pk_mov_b32 v[2:3], s[12:13], s[12:13] op_sel:[0,1]
	v_cmp_ge_u64_e32 vcc, s[0:1], v[2:3]
	s_cbranch_vccnz .LBB78_99
; %bb.1:
	v_mov_b32_e32 v1, s1
	s_load_dwordx2 s[6:7], s[4:5], 0x1b0
	s_load_dword s1, s[4:5], 0x198
	v_bfe_u32 v16, v0, 10, 10
	v_add_co_u32_e32 v4, vcc, s0, v16
	v_addc_co_u32_e32 v5, vcc, 0, v1, vcc
	v_mov_b32_e32 v8, 0
	s_waitcnt lgkmcnt(0)
	s_cmp_lt_i32 s1, 2
	v_pk_mov_b32 v[2:3], 0, 0
	v_pk_mov_b32 v[6:7], v[4:5], v[4:5] op_sel:[0,1]
	s_cbranch_scc1 .LBB78_9
; %bb.2:
	s_add_i32 s18, s1, 1
	s_add_i32 s0, s1, -1
	s_mov_b32 s1, 0
	s_lshl_b64 s[0:1], s[0:1], 3
	s_add_u32 s0, s0, s4
	s_addc_u32 s1, s1, s5
	s_add_u32 s8, s0, 8
	s_addc_u32 s9, s1, 0
	v_pk_mov_b32 v[2:3], 0, 0
	v_pk_mov_b32 v[10:11], v[4:5], v[4:5] op_sel:[0,1]
.LBB78_3:                               ; =>This Inner Loop Header: Depth=1
	s_load_dwordx2 s[10:11], s[8:9], 0x0
                                        ; implicit-def: $vgpr6_vgpr7
	s_waitcnt lgkmcnt(0)
	v_or_b32_e32 v9, s11, v11
	v_cmp_ne_u64_e32 vcc, 0, v[8:9]
	s_and_saveexec_b64 s[0:1], vcc
	s_xor_b64 s[16:17], exec, s[0:1]
	s_cbranch_execz .LBB78_5
; %bb.4:                                ;   in Loop: Header=BB78_3 Depth=1
	v_cvt_f32_u32_e32 v1, s10
	v_cvt_f32_u32_e32 v6, s11
	s_sub_u32 s0, 0, s10
	s_subb_u32 s1, 0, s11
	v_mac_f32_e32 v1, 0x4f800000, v6
	v_rcp_f32_e32 v1, v1
	v_mul_f32_e32 v1, 0x5f7ffffc, v1
	v_mul_f32_e32 v6, 0x2f800000, v1
	v_trunc_f32_e32 v6, v6
	v_mac_f32_e32 v1, 0xcf800000, v6
	v_cvt_u32_f32_e32 v6, v6
	v_cvt_u32_f32_e32 v1, v1
	v_mul_lo_u32 v7, s0, v6
	v_mul_hi_u32 v12, s0, v1
	v_mul_lo_u32 v9, s1, v1
	v_add_u32_e32 v7, v12, v7
	v_mul_lo_u32 v13, s0, v1
	v_add_u32_e32 v7, v7, v9
	v_mul_hi_u32 v12, v1, v13
	v_mul_lo_u32 v14, v1, v7
	v_mul_hi_u32 v9, v1, v7
	v_add_co_u32_e32 v12, vcc, v12, v14
	v_addc_co_u32_e32 v9, vcc, 0, v9, vcc
	v_mul_hi_u32 v15, v6, v13
	v_mul_lo_u32 v13, v6, v13
	v_add_co_u32_e32 v12, vcc, v12, v13
	v_mul_hi_u32 v14, v6, v7
	v_addc_co_u32_e32 v9, vcc, v9, v15, vcc
	v_addc_co_u32_e32 v12, vcc, 0, v14, vcc
	v_mul_lo_u32 v7, v6, v7
	v_add_co_u32_e32 v7, vcc, v9, v7
	v_addc_co_u32_e32 v9, vcc, 0, v12, vcc
	v_add_co_u32_e32 v1, vcc, v1, v7
	v_addc_co_u32_e32 v6, vcc, v6, v9, vcc
	v_mul_lo_u32 v7, s0, v6
	v_mul_hi_u32 v9, s0, v1
	v_add_u32_e32 v7, v9, v7
	v_mul_lo_u32 v9, s1, v1
	v_add_u32_e32 v7, v7, v9
	v_mul_lo_u32 v12, s0, v1
	v_mul_hi_u32 v13, v6, v12
	v_mul_lo_u32 v14, v6, v12
	v_mul_lo_u32 v17, v1, v7
	v_mul_hi_u32 v12, v1, v12
	v_mul_hi_u32 v15, v1, v7
	v_add_co_u32_e32 v12, vcc, v12, v17
	v_addc_co_u32_e32 v15, vcc, 0, v15, vcc
	v_add_co_u32_e32 v12, vcc, v12, v14
	v_mul_hi_u32 v9, v6, v7
	v_addc_co_u32_e32 v12, vcc, v15, v13, vcc
	v_addc_co_u32_e32 v9, vcc, 0, v9, vcc
	v_mul_lo_u32 v7, v6, v7
	v_add_co_u32_e32 v7, vcc, v12, v7
	v_addc_co_u32_e32 v9, vcc, 0, v9, vcc
	v_add_co_u32_e32 v1, vcc, v1, v7
	v_addc_co_u32_e32 v9, vcc, v6, v9, vcc
	v_mad_u64_u32 v[6:7], s[0:1], v10, v9, 0
	v_mul_hi_u32 v12, v10, v1
	v_add_co_u32_e32 v14, vcc, v12, v6
	v_addc_co_u32_e32 v15, vcc, 0, v7, vcc
	v_mad_u64_u32 v[12:13], s[0:1], v11, v1, 0
	v_add_co_u32_e32 v1, vcc, v14, v12
	v_mad_u64_u32 v[6:7], s[0:1], v11, v9, 0
	v_addc_co_u32_e32 v1, vcc, v15, v13, vcc
	v_addc_co_u32_e32 v7, vcc, 0, v7, vcc
	v_add_co_u32_e32 v1, vcc, v1, v6
	v_addc_co_u32_e32 v9, vcc, 0, v7, vcc
	v_mul_lo_u32 v12, s11, v1
	v_mul_lo_u32 v13, s10, v9
	v_mad_u64_u32 v[6:7], s[0:1], s10, v1, 0
	v_add3_u32 v7, v7, v13, v12
	v_sub_u32_e32 v12, v11, v7
	v_mov_b32_e32 v13, s11
	v_sub_co_u32_e32 v6, vcc, v10, v6
	v_subb_co_u32_e64 v12, s[0:1], v12, v13, vcc
	v_subrev_co_u32_e64 v13, s[0:1], s10, v6
	v_subbrev_co_u32_e64 v12, s[0:1], 0, v12, s[0:1]
	v_cmp_le_u32_e64 s[0:1], s11, v12
	v_cndmask_b32_e64 v14, 0, -1, s[0:1]
	v_cmp_le_u32_e64 s[0:1], s10, v13
	v_cndmask_b32_e64 v13, 0, -1, s[0:1]
	v_cmp_eq_u32_e64 s[0:1], s11, v12
	v_cndmask_b32_e64 v12, v14, v13, s[0:1]
	v_add_co_u32_e64 v13, s[0:1], 2, v1
	v_addc_co_u32_e64 v14, s[0:1], 0, v9, s[0:1]
	v_add_co_u32_e64 v15, s[0:1], 1, v1
	v_addc_co_u32_e64 v17, s[0:1], 0, v9, s[0:1]
	v_subb_co_u32_e32 v7, vcc, v11, v7, vcc
	v_cmp_ne_u32_e64 s[0:1], 0, v12
	v_cmp_le_u32_e32 vcc, s11, v7
	v_cndmask_b32_e64 v12, v17, v14, s[0:1]
	v_cndmask_b32_e64 v14, 0, -1, vcc
	v_cmp_le_u32_e32 vcc, s10, v6
	v_cndmask_b32_e64 v6, 0, -1, vcc
	v_cmp_eq_u32_e32 vcc, s11, v7
	v_cndmask_b32_e32 v6, v14, v6, vcc
	v_cmp_ne_u32_e32 vcc, 0, v6
	v_cndmask_b32_e64 v6, v15, v13, s[0:1]
	v_cndmask_b32_e32 v7, v9, v12, vcc
	v_cndmask_b32_e32 v6, v1, v6, vcc
.LBB78_5:                               ;   in Loop: Header=BB78_3 Depth=1
	s_andn2_saveexec_b64 s[0:1], s[16:17]
	s_cbranch_execz .LBB78_7
; %bb.6:                                ;   in Loop: Header=BB78_3 Depth=1
	v_cvt_f32_u32_e32 v1, s10
	s_sub_i32 s16, 0, s10
	v_rcp_iflag_f32_e32 v1, v1
	v_mul_f32_e32 v1, 0x4f7ffffe, v1
	v_cvt_u32_f32_e32 v1, v1
	v_mul_lo_u32 v6, s16, v1
	v_mul_hi_u32 v6, v1, v6
	v_add_u32_e32 v1, v1, v6
	v_mul_hi_u32 v1, v10, v1
	v_mul_lo_u32 v6, v1, s10
	v_sub_u32_e32 v6, v10, v6
	v_add_u32_e32 v7, 1, v1
	v_subrev_u32_e32 v9, s10, v6
	v_cmp_le_u32_e32 vcc, s10, v6
	v_cndmask_b32_e32 v6, v6, v9, vcc
	v_cndmask_b32_e32 v1, v1, v7, vcc
	v_add_u32_e32 v7, 1, v1
	v_cmp_le_u32_e32 vcc, s10, v6
	v_cndmask_b32_e32 v6, v1, v7, vcc
	v_mov_b32_e32 v7, v8
.LBB78_7:                               ;   in Loop: Header=BB78_3 Depth=1
	s_or_b64 exec, exec, s[0:1]
	v_mad_u64_u32 v[12:13], s[0:1], v6, s10, 0
	s_load_dwordx2 s[0:1], s[8:9], 0xc8
	v_mul_lo_u32 v1, v7, s10
	v_mul_lo_u32 v9, v6, s11
	v_add3_u32 v1, v13, v9, v1
	v_sub_co_u32_e32 v9, vcc, v10, v12
	s_add_i32 s18, s18, -1
	v_subb_co_u32_e32 v1, vcc, v11, v1, vcc
	s_add_u32 s8, s8, -8
	s_waitcnt lgkmcnt(0)
	v_mul_lo_u32 v1, s0, v1
	v_mul_lo_u32 v10, s1, v9
	v_mad_u64_u32 v[2:3], s[0:1], s0, v9, v[2:3]
	s_addc_u32 s9, s9, -1
	s_cmp_gt_u32 s18, 2
	v_add3_u32 v3, v10, v3, v1
	s_cbranch_scc0 .LBB78_9
; %bb.8:                                ;   in Loop: Header=BB78_3 Depth=1
	v_pk_mov_b32 v[10:11], v[6:7], v[6:7] op_sel:[0,1]
	s_branch .LBB78_3
.LBB78_9:
	s_load_dword s0, s[4:5], 0x350
	s_load_dwordx2 s[10:11], s[4:5], 0xd0
	v_pk_mov_b32 v[8:9], 0, 0
	v_pk_mov_b32 v[14:15], v[4:5], v[4:5] op_sel:[0,1]
	s_waitcnt lgkmcnt(0)
	s_cmp_lt_i32 s0, 2
	s_cbranch_scc1 .LBB78_17
; %bb.10:
	s_add_i32 s20, s0, 1
	s_add_i32 s0, s0, -1
	s_mov_b32 s1, 0
	s_lshl_b64 s[0:1], s[0:1], 3
	s_add_u32 s0, s0, s4
	s_addc_u32 s1, s1, s5
	s_add_u32 s8, s0, 0x1c0
	s_addc_u32 s9, s1, 0
	v_pk_mov_b32 v[8:9], 0, 0
	v_mov_b32_e32 v10, 0
	v_pk_mov_b32 v[12:13], v[4:5], v[4:5] op_sel:[0,1]
.LBB78_11:                              ; =>This Inner Loop Header: Depth=1
	s_load_dwordx2 s[16:17], s[8:9], 0x0
                                        ; implicit-def: $vgpr14_vgpr15
	s_waitcnt lgkmcnt(0)
	v_or_b32_e32 v11, s17, v13
	v_cmp_ne_u64_e32 vcc, 0, v[10:11]
	s_and_saveexec_b64 s[0:1], vcc
	s_xor_b64 s[18:19], exec, s[0:1]
	s_cbranch_execz .LBB78_13
; %bb.12:                               ;   in Loop: Header=BB78_11 Depth=1
	v_cvt_f32_u32_e32 v1, s16
	v_cvt_f32_u32_e32 v11, s17
	s_sub_u32 s0, 0, s16
	s_subb_u32 s1, 0, s17
	v_mac_f32_e32 v1, 0x4f800000, v11
	v_rcp_f32_e32 v1, v1
	v_mul_f32_e32 v1, 0x5f7ffffc, v1
	v_mul_f32_e32 v11, 0x2f800000, v1
	v_trunc_f32_e32 v11, v11
	v_mac_f32_e32 v1, 0xcf800000, v11
	v_cvt_u32_f32_e32 v11, v11
	v_cvt_u32_f32_e32 v1, v1
	v_mul_lo_u32 v14, s0, v11
	v_mul_hi_u32 v17, s0, v1
	v_mul_lo_u32 v15, s1, v1
	v_add_u32_e32 v14, v17, v14
	v_mul_lo_u32 v18, s0, v1
	v_add_u32_e32 v14, v14, v15
	v_mul_hi_u32 v17, v1, v18
	v_mul_lo_u32 v19, v1, v14
	v_mul_hi_u32 v15, v1, v14
	v_add_co_u32_e32 v17, vcc, v17, v19
	v_addc_co_u32_e32 v15, vcc, 0, v15, vcc
	v_mul_hi_u32 v20, v11, v18
	v_mul_lo_u32 v18, v11, v18
	v_add_co_u32_e32 v17, vcc, v17, v18
	v_mul_hi_u32 v19, v11, v14
	v_addc_co_u32_e32 v15, vcc, v15, v20, vcc
	v_addc_co_u32_e32 v17, vcc, 0, v19, vcc
	v_mul_lo_u32 v14, v11, v14
	v_add_co_u32_e32 v14, vcc, v15, v14
	v_addc_co_u32_e32 v15, vcc, 0, v17, vcc
	v_add_co_u32_e32 v1, vcc, v1, v14
	v_addc_co_u32_e32 v11, vcc, v11, v15, vcc
	v_mul_lo_u32 v14, s0, v11
	v_mul_hi_u32 v15, s0, v1
	v_add_u32_e32 v14, v15, v14
	v_mul_lo_u32 v15, s1, v1
	v_add_u32_e32 v14, v14, v15
	v_mul_lo_u32 v17, s0, v1
	v_mul_hi_u32 v18, v11, v17
	v_mul_lo_u32 v19, v11, v17
	v_mul_lo_u32 v21, v1, v14
	v_mul_hi_u32 v17, v1, v17
	v_mul_hi_u32 v20, v1, v14
	v_add_co_u32_e32 v17, vcc, v17, v21
	v_addc_co_u32_e32 v20, vcc, 0, v20, vcc
	v_add_co_u32_e32 v17, vcc, v17, v19
	v_mul_hi_u32 v15, v11, v14
	v_addc_co_u32_e32 v17, vcc, v20, v18, vcc
	v_addc_co_u32_e32 v15, vcc, 0, v15, vcc
	v_mul_lo_u32 v14, v11, v14
	v_add_co_u32_e32 v14, vcc, v17, v14
	v_addc_co_u32_e32 v15, vcc, 0, v15, vcc
	v_add_co_u32_e32 v1, vcc, v1, v14
	v_addc_co_u32_e32 v11, vcc, v11, v15, vcc
	v_mad_u64_u32 v[14:15], s[0:1], v12, v11, 0
	v_mul_hi_u32 v17, v12, v1
	v_add_co_u32_e32 v17, vcc, v17, v14
	v_addc_co_u32_e32 v20, vcc, 0, v15, vcc
	v_mad_u64_u32 v[18:19], s[0:1], v13, v1, 0
	v_add_co_u32_e32 v1, vcc, v17, v18
	v_mad_u64_u32 v[14:15], s[0:1], v13, v11, 0
	v_addc_co_u32_e32 v1, vcc, v20, v19, vcc
	v_addc_co_u32_e32 v11, vcc, 0, v15, vcc
	v_add_co_u32_e32 v1, vcc, v1, v14
	v_addc_co_u32_e32 v11, vcc, 0, v11, vcc
	v_mul_lo_u32 v17, s17, v1
	v_mul_lo_u32 v18, s16, v11
	v_mad_u64_u32 v[14:15], s[0:1], s16, v1, 0
	v_add3_u32 v15, v15, v18, v17
	v_sub_u32_e32 v17, v13, v15
	v_mov_b32_e32 v18, s17
	v_sub_co_u32_e32 v14, vcc, v12, v14
	v_subb_co_u32_e64 v17, s[0:1], v17, v18, vcc
	v_subrev_co_u32_e64 v18, s[0:1], s16, v14
	v_subbrev_co_u32_e64 v17, s[0:1], 0, v17, s[0:1]
	v_cmp_le_u32_e64 s[0:1], s17, v17
	v_cndmask_b32_e64 v19, 0, -1, s[0:1]
	v_cmp_le_u32_e64 s[0:1], s16, v18
	v_cndmask_b32_e64 v18, 0, -1, s[0:1]
	v_cmp_eq_u32_e64 s[0:1], s17, v17
	v_cndmask_b32_e64 v17, v19, v18, s[0:1]
	v_add_co_u32_e64 v18, s[0:1], 2, v1
	v_addc_co_u32_e64 v19, s[0:1], 0, v11, s[0:1]
	v_add_co_u32_e64 v20, s[0:1], 1, v1
	v_addc_co_u32_e64 v21, s[0:1], 0, v11, s[0:1]
	v_subb_co_u32_e32 v15, vcc, v13, v15, vcc
	v_cmp_ne_u32_e64 s[0:1], 0, v17
	v_cmp_le_u32_e32 vcc, s17, v15
	v_cndmask_b32_e64 v17, v21, v19, s[0:1]
	v_cndmask_b32_e64 v19, 0, -1, vcc
	v_cmp_le_u32_e32 vcc, s16, v14
	v_cndmask_b32_e64 v14, 0, -1, vcc
	v_cmp_eq_u32_e32 vcc, s17, v15
	v_cndmask_b32_e32 v14, v19, v14, vcc
	v_cmp_ne_u32_e32 vcc, 0, v14
	v_cndmask_b32_e32 v15, v11, v17, vcc
	v_cndmask_b32_e64 v11, v20, v18, s[0:1]
	v_cndmask_b32_e32 v14, v1, v11, vcc
.LBB78_13:                              ;   in Loop: Header=BB78_11 Depth=1
	s_andn2_saveexec_b64 s[0:1], s[18:19]
	s_cbranch_execz .LBB78_15
; %bb.14:                               ;   in Loop: Header=BB78_11 Depth=1
	v_cvt_f32_u32_e32 v1, s16
	s_sub_i32 s18, 0, s16
	v_rcp_iflag_f32_e32 v1, v1
	v_mul_f32_e32 v1, 0x4f7ffffe, v1
	v_cvt_u32_f32_e32 v1, v1
	v_mul_lo_u32 v11, s18, v1
	v_mul_hi_u32 v11, v1, v11
	v_add_u32_e32 v1, v1, v11
	v_mul_hi_u32 v1, v12, v1
	v_mul_lo_u32 v11, v1, s16
	v_sub_u32_e32 v11, v12, v11
	v_add_u32_e32 v14, 1, v1
	v_subrev_u32_e32 v15, s16, v11
	v_cmp_le_u32_e32 vcc, s16, v11
	v_cndmask_b32_e32 v11, v11, v15, vcc
	v_cndmask_b32_e32 v1, v1, v14, vcc
	v_add_u32_e32 v14, 1, v1
	v_cmp_le_u32_e32 vcc, s16, v11
	v_cndmask_b32_e32 v14, v1, v14, vcc
	v_mov_b32_e32 v15, v10
.LBB78_15:                              ;   in Loop: Header=BB78_11 Depth=1
	s_or_b64 exec, exec, s[0:1]
	v_mad_u64_u32 v[18:19], s[0:1], v14, s16, 0
	s_load_dwordx2 s[0:1], s[8:9], 0xc8
	v_mul_lo_u32 v1, v15, s16
	v_mul_lo_u32 v11, v14, s17
	v_add3_u32 v1, v19, v11, v1
	v_sub_co_u32_e32 v11, vcc, v12, v18
	s_add_i32 s20, s20, -1
	v_subb_co_u32_e32 v1, vcc, v13, v1, vcc
	s_add_u32 s8, s8, -8
	s_waitcnt lgkmcnt(0)
	v_mul_lo_u32 v1, s0, v1
	v_mul_lo_u32 v12, s1, v11
	v_mad_u64_u32 v[8:9], s[0:1], s0, v11, v[8:9]
	s_addc_u32 s9, s9, -1
	s_cmp_gt_u32 s20, 2
	v_add3_u32 v9, v12, v9, v1
	s_cbranch_scc0 .LBB78_17
; %bb.16:                               ;   in Loop: Header=BB78_11 Depth=1
	v_pk_mov_b32 v[12:13], v[14:15], v[14:15] op_sel:[0,1]
	s_branch .LBB78_11
.LBB78_17:
	s_load_dwordx2 s[0:1], s[4:5], 0x288
	s_load_dwordx2 s[8:9], s[4:5], 0x358
	;; [unrolled: 1-line block ×4, first 2 shown]
	v_cmp_gt_u64_e32 vcc, s[12:13], v[4:5]
	s_load_dword s12, s[2:3], 0xc
	s_waitcnt lgkmcnt(0)
	v_mul_lo_u32 v1, s1, v14
	v_mul_lo_u32 v10, s0, v15
	v_mad_u64_u32 v[4:5], s[0:1], s0, v14, 0
	v_add3_u32 v5, v5, v10, v1
	v_pk_mov_b32 v[10:11], s[16:17], s[16:17] op_sel:[0,1]
	v_mad_u64_u32 v[10:11], s[0:1], s10, v6, v[10:11]
	v_mul_lo_u32 v1, s10, v7
	v_mul_lo_u32 v6, s11, v6
	v_add3_u32 v1, v6, v11, v1
	v_add_co_u32_e64 v2, s[0:1], v10, v2
	v_addc_co_u32_e64 v3, s[0:1], v1, v3, s[0:1]
	v_lshlrev_b64 v[4:5], 3, v[4:5]
	v_mov_b32_e32 v1, s19
	v_add_co_u32_e64 v6, s[0:1], s18, v4
	v_addc_co_u32_e64 v1, s[0:1], v1, v5, s[0:1]
	v_lshlrev_b64 v[4:5], 3, v[8:9]
	v_add_co_u32_e64 v10, s[0:1], v6, v4
	v_addc_co_u32_e64 v11, s[0:1], v1, v5, s[0:1]
	v_mov_b32_e32 v1, 0
	v_and_b32_e32 v4, 0x3ff, v0
	v_mov_b32_e32 v5, v1
	v_cmp_gt_u64_e64 s[0:1], s[14:15], v[4:5]
	v_pk_mov_b32 v[6:7], 0, 0
	s_and_b64 s[4:5], vcc, s[0:1]
	v_mov_b32_e32 v0, 0
	v_pk_mov_b32 v[8:9], v[6:7], v[6:7] op_sel:[0,1]
	s_and_saveexec_b64 s[10:11], s[4:5]
	s_cbranch_execz .LBB78_19
; %bb.18:
	v_mad_u64_u32 v[8:9], s[2:3], v4, s6, v[2:3]
	v_mov_b32_e32 v0, v9
	v_mad_u64_u32 v[12:13], s[2:3], v4, s7, v[0:1]
	v_mov_b32_e32 v9, v12
	global_load_ubyte v0, v[8:9], off
	v_mad_u64_u32 v[8:9], s[2:3], v4, s8, 0
	v_mov_b32_e32 v12, v9
	v_mad_u64_u32 v[12:13], s[2:3], v4, s9, v[12:13]
	v_mov_b32_e32 v9, v12
	v_lshlrev_b64 v[8:9], 3, v[8:9]
	v_add_co_u32_e64 v8, s[2:3], v10, v8
	v_addc_co_u32_e64 v9, s[2:3], v11, v9, s[2:3]
	global_load_dwordx2 v[8:9], v[8:9], off
.LBB78_19:
	s_or_b64 exec, exec, s[10:11]
	v_lshlrev_b32_e32 v5, 5, v16
	v_add_u32_e32 v18, 0x1000, v5
	v_add_u32_e32 v17, 0x1200, v5
	;; [unrolled: 1-line block ×3, first 2 shown]
	s_and_b32 s16, 0xffff, s12
	v_cndmask_b32_e64 v13, 0, 1, s[4:5]
	s_waitcnt vmcnt(1)
	ds_write_b8 v12, v0
	v_add_u32_e32 v0, v17, v4
	ds_write_b8 v0, v13
	v_add_u32_e32 v0, s16, v4
	v_lshlrev_b32_e32 v15, 8, v16
	v_cmp_gt_u64_e64 s[2:3], s[14:15], v[0:1]
	v_lshl_add_u32 v5, v4, 3, v15
	s_and_b64 s[10:11], vcc, s[2:3]
	s_waitcnt vmcnt(0)
	ds_write_b64 v5, v[8:9]
	s_and_saveexec_b64 s[12:13], s[10:11]
	s_cbranch_execz .LBB78_21
; %bb.20:
	v_mad_u64_u32 v[6:7], s[4:5], v0, s6, v[2:3]
	v_mov_b32_e32 v8, v7
	v_mad_u64_u32 v[8:9], s[4:5], v0, s7, v[8:9]
	v_mov_b32_e32 v7, v8
	global_load_ubyte v1, v[6:7], off
	v_mad_u64_u32 v[6:7], s[4:5], v0, s8, 0
	v_mov_b32_e32 v8, v7
	v_mad_u64_u32 v[8:9], s[4:5], v0, s9, v[8:9]
	v_mov_b32_e32 v7, v8
	v_lshlrev_b64 v[6:7], 3, v[6:7]
	v_add_co_u32_e64 v6, s[4:5], v10, v6
	v_addc_co_u32_e64 v7, s[4:5], v11, v7, s[4:5]
	global_load_dwordx2 v[6:7], v[6:7], off
.LBB78_21:
	s_or_b64 exec, exec, s[12:13]
	v_add_u32_e32 v8, v18, v0
	s_waitcnt vmcnt(1)
	ds_write_b8 v8, v1
	v_lshl_add_u32 v1, s16, 3, v5
	v_lshlrev_b32_e32 v19, 1, v4
	v_cndmask_b32_e64 v9, 0, 1, s[10:11]
	s_waitcnt vmcnt(0)
	ds_write_b64 v1, v[6:7]
	v_add_u32_e32 v6, v17, v0
	v_add_u32_e32 v7, v18, v19
	ds_write_b8 v6, v9
	s_waitcnt lgkmcnt(0)
	s_barrier
	ds_read_u16 v13, v7
	s_mov_b32 s14, 1
	v_add_u32_e32 v6, v17, v19
	s_waitcnt lgkmcnt(0)
	v_cmp_ge_u16_sdwa s[10:11], v13, v13 src0_sel:BYTE_0 src1_sel:BYTE_1
	v_cmp_lt_u16_sdwa s[4:5], v13, v13 src0_sel:BYTE_0 src1_sel:BYTE_1
	s_and_saveexec_b64 s[12:13], s[4:5]
	s_xor_b64 s[12:13], exec, s[12:13]
	s_cbranch_execz .LBB78_23
; %bb.22:
	ds_read_u8 v9, v6
	s_andn2_b64 s[10:11], s[10:11], exec
	s_waitcnt lgkmcnt(0)
	v_and_b32_e32 v9, 1, v9
	v_cmp_eq_u32_e64 s[4:5], 1, v9
	s_xor_b64 s[4:5], s[4:5], -1
	s_and_b64 s[4:5], s[4:5], exec
	s_or_b64 s[10:11], s[10:11], s[4:5]
.LBB78_23:
	s_or_b64 exec, exec, s[12:13]
	v_mov_b32_e32 v16, s14
	s_and_saveexec_b64 s[4:5], s[10:11]
	s_cbranch_execz .LBB78_25
; %bb.24:
	ds_read_u8 v9, v6 offset:1
	s_waitcnt lgkmcnt(0)
	v_xor_b32_e32 v16, 1, v9
.LBB78_25:
	s_or_b64 exec, exec, s[4:5]
	v_and_b32_e32 v14, 1, v4
	v_lshlrev_b32_e32 v9, 3, v4
	v_cmp_eq_u32_e64 s[4:5], v16, v14
	s_and_saveexec_b64 s[10:11], s[4:5]
	s_cbranch_execz .LBB78_27
; %bb.26:
	v_add_u32_e32 v16, v5, v9
	ds_read_b128 v[20:23], v16
	ds_read_u16 v26, v6
	v_lshlrev_b16_e32 v24, 8, v13
	v_or_b32_sdwa v13, v13, v24 dst_sel:DWORD dst_unused:UNUSED_PAD src0_sel:BYTE_1 src1_sel:DWORD
	s_mov_b32 s4, 0xc0c0001
	ds_write_b16 v7, v13
	s_waitcnt lgkmcnt(2)
	v_mov_b32_e32 v24, v20
	v_mov_b32_e32 v25, v21
	s_waitcnt lgkmcnt(1)
	v_perm_b32 v13, 0, v26, s4
	ds_write_b128 v16, v[22:25]
	ds_write_b16 v6, v13
.LBB78_27:
	s_or_b64 exec, exec, s[10:11]
	v_sub_u32_e32 v16, v19, v14
	v_add_u32_e32 v13, v18, v16
	s_waitcnt lgkmcnt(0)
	s_barrier
	ds_read_u8 v21, v13
	ds_read_u8 v22, v13 offset:2
	s_mov_b64 s[10:11], -1
	v_add_u32_e32 v14, v17, v16
                                        ; implicit-def: $sgpr14
	s_waitcnt lgkmcnt(0)
	v_cmp_lt_u16_e64 s[4:5], v21, v22
	s_and_saveexec_b64 s[12:13], s[4:5]
	s_xor_b64 s[12:13], exec, s[12:13]
	s_cbranch_execz .LBB78_29
; %bb.28:
	ds_read_u8 v20, v14
	s_mov_b32 s14, 1
	s_waitcnt lgkmcnt(0)
	v_and_b32_e32 v20, 1, v20
	v_cmp_eq_u32_e64 s[4:5], 1, v20
	s_xor_b64 s[4:5], s[4:5], -1
	s_orn2_b64 s[10:11], s[4:5], exec
.LBB78_29:
	s_or_b64 exec, exec, s[12:13]
	v_mov_b32_e32 v23, s14
	s_and_saveexec_b64 s[4:5], s[10:11]
	s_cbranch_execz .LBB78_31
; %bb.30:
	ds_read_u8 v20, v14 offset:2
	s_waitcnt lgkmcnt(0)
	v_xor_b32_e32 v23, 1, v20
.LBB78_31:
	s_or_b64 exec, exec, s[4:5]
	v_bfe_u32 v20, v4, 1, 1
	v_lshl_add_u32 v16, v16, 3, v15
	v_cmp_eq_u32_e64 s[4:5], v23, v20
	s_and_saveexec_b64 s[10:11], s[4:5]
	s_cbranch_execz .LBB78_33
; %bb.32:
	ds_read2_b64 v[24:27], v16 offset1:2
	ds_read_u8 v23, v14 offset:2
	ds_read_u8 v28, v14
	ds_write_b8 v13, v22
	ds_write_b8 v13, v21 offset:2
	s_waitcnt lgkmcnt(4)
	ds_write2_b64 v16, v[26:27], v[24:25] offset1:2
	s_waitcnt lgkmcnt(4)
	ds_write_b8 v14, v23
	s_waitcnt lgkmcnt(4)
	ds_write_b8 v14, v28 offset:2
.LBB78_33:
	s_or_b64 exec, exec, s[10:11]
	s_waitcnt lgkmcnt(0)
	s_barrier
	ds_read_u16 v21, v7
                                        ; implicit-def: $sgpr14
	s_waitcnt lgkmcnt(0)
	v_cmp_ge_u16_sdwa s[10:11], v21, v21 src0_sel:BYTE_0 src1_sel:BYTE_1
	v_cmp_lt_u16_sdwa s[4:5], v21, v21 src0_sel:BYTE_0 src1_sel:BYTE_1
	s_and_saveexec_b64 s[12:13], s[4:5]
	s_cbranch_execnz .LBB78_100
; %bb.34:
	s_or_b64 exec, exec, s[12:13]
	v_mov_b32_e32 v22, s14
	s_and_saveexec_b64 s[4:5], s[10:11]
	s_cbranch_execnz .LBB78_101
.LBB78_35:
	s_or_b64 exec, exec, s[4:5]
	v_cmp_eq_u32_e64 s[4:5], v22, v20
	s_and_saveexec_b64 s[10:11], s[4:5]
	s_cbranch_execz .LBB78_37
.LBB78_36:
	v_add_u32_e32 v26, v5, v9
	ds_read_b128 v[22:25], v26
	ds_read_u16 v27, v6
	v_lshlrev_b16_e32 v20, 8, v21
	v_or_b32_sdwa v20, v21, v20 dst_sel:DWORD dst_unused:UNUSED_PAD src0_sel:BYTE_1 src1_sel:DWORD
	ds_write_b16 v7, v20
	s_waitcnt lgkmcnt(2)
	v_mov_b32_e32 v20, v24
	v_mov_b32_e32 v21, v25
	s_mov_b32 s4, 0xc0c0001
	ds_write_b128 v26, v[20:23]
	s_waitcnt lgkmcnt(2)
	v_perm_b32 v20, 0, v27, s4
	ds_write_b16 v6, v20
.LBB78_37:
	s_or_b64 exec, exec, s[10:11]
	v_and_b32_e32 v20, 3, v4
	v_sub_u32_e32 v22, v19, v20
	v_add_u32_e32 v20, v18, v22
	s_waitcnt lgkmcnt(0)
	s_barrier
	ds_read_u8 v24, v20
	ds_read_u8 v25, v20 offset:4
	v_add_u32_e32 v21, v17, v22
                                        ; implicit-def: $sgpr14
	s_waitcnt lgkmcnt(0)
	v_cmp_ge_u16_e64 s[10:11], v24, v25
	v_cmp_lt_u16_e64 s[4:5], v24, v25
	s_and_saveexec_b64 s[12:13], s[4:5]
	s_cbranch_execz .LBB78_39
; %bb.38:
	ds_read_u8 v23, v21
	s_andn2_b64 s[10:11], s[10:11], exec
	s_mov_b32 s14, 1
	s_waitcnt lgkmcnt(0)
	v_and_b32_e32 v23, 1, v23
	v_cmp_eq_u32_e64 s[4:5], 1, v23
	s_xor_b64 s[4:5], s[4:5], -1
	s_and_b64 s[4:5], s[4:5], exec
	s_or_b64 s[10:11], s[10:11], s[4:5]
.LBB78_39:
	s_or_b64 exec, exec, s[12:13]
	v_mov_b32_e32 v26, s14
	s_and_saveexec_b64 s[4:5], s[10:11]
	s_cbranch_execz .LBB78_41
; %bb.40:
	ds_read_u8 v23, v21 offset:4
	s_waitcnt lgkmcnt(0)
	v_xor_b32_e32 v26, 1, v23
.LBB78_41:
	s_or_b64 exec, exec, s[4:5]
	v_bfe_u32 v23, v4, 2, 1
	v_lshl_add_u32 v22, v22, 3, v15
	v_cmp_eq_u32_e64 s[4:5], v26, v23
	s_and_saveexec_b64 s[10:11], s[4:5]
	s_cbranch_execz .LBB78_43
; %bb.42:
	ds_read2_b64 v[26:29], v22 offset1:4
	ds_read_u8 v30, v21 offset:4
	ds_read_u8 v31, v21
	ds_write_b8 v20, v25
	ds_write_b8 v20, v24 offset:4
	s_waitcnt lgkmcnt(4)
	ds_write2_b64 v22, v[28:29], v[26:27] offset1:4
	s_waitcnt lgkmcnt(4)
	ds_write_b8 v21, v30
	s_waitcnt lgkmcnt(4)
	ds_write_b8 v21, v31 offset:4
.LBB78_43:
	s_or_b64 exec, exec, s[10:11]
	s_waitcnt lgkmcnt(0)
	s_barrier
	ds_read_u8 v24, v13
	ds_read_u8 v25, v13 offset:2
                                        ; implicit-def: $sgpr14
	s_waitcnt lgkmcnt(0)
	v_cmp_ge_u16_e64 s[10:11], v24, v25
	v_cmp_lt_u16_e64 s[4:5], v24, v25
	s_and_saveexec_b64 s[12:13], s[4:5]
	s_cbranch_execnz .LBB78_102
; %bb.44:
	s_or_b64 exec, exec, s[12:13]
	v_mov_b32_e32 v26, s14
	s_and_saveexec_b64 s[4:5], s[10:11]
	s_cbranch_execnz .LBB78_103
.LBB78_45:
	s_or_b64 exec, exec, s[4:5]
	v_cmp_eq_u32_e64 s[4:5], v26, v23
	s_and_saveexec_b64 s[10:11], s[4:5]
	s_cbranch_execz .LBB78_47
.LBB78_46:
	ds_read2_b64 v[26:29], v16 offset1:2
	ds_read_u8 v30, v14 offset:2
	ds_read_u8 v31, v14
	ds_write_b8 v13, v25
	ds_write_b8 v13, v24 offset:2
	s_waitcnt lgkmcnt(4)
	ds_write2_b64 v16, v[28:29], v[26:27] offset1:2
	s_waitcnt lgkmcnt(4)
	ds_write_b8 v14, v30
	s_waitcnt lgkmcnt(4)
	ds_write_b8 v14, v31 offset:2
.LBB78_47:
	s_or_b64 exec, exec, s[10:11]
	s_waitcnt lgkmcnt(0)
	s_barrier
	ds_read_u16 v24, v7
                                        ; implicit-def: $sgpr14
	s_waitcnt lgkmcnt(0)
	v_cmp_ge_u16_sdwa s[10:11], v24, v24 src0_sel:BYTE_0 src1_sel:BYTE_1
	v_cmp_lt_u16_sdwa s[4:5], v24, v24 src0_sel:BYTE_0 src1_sel:BYTE_1
	s_and_saveexec_b64 s[12:13], s[4:5]
	s_cbranch_execnz .LBB78_104
; %bb.48:
	s_or_b64 exec, exec, s[12:13]
	v_mov_b32_e32 v25, s14
	s_and_saveexec_b64 s[4:5], s[10:11]
	s_cbranch_execnz .LBB78_105
.LBB78_49:
	s_or_b64 exec, exec, s[4:5]
	v_cmp_eq_u32_e64 s[4:5], v25, v23
	s_and_saveexec_b64 s[10:11], s[4:5]
	s_cbranch_execz .LBB78_51
.LBB78_50:
	v_add_u32_e32 v23, v5, v9
	ds_read_b128 v[26:29], v23
	ds_read_u16 v30, v6
	v_lshlrev_b16_e32 v25, 8, v24
	v_or_b32_sdwa v24, v24, v25 dst_sel:DWORD dst_unused:UNUSED_PAD src0_sel:BYTE_1 src1_sel:DWORD
	ds_write_b16 v7, v24
	s_waitcnt lgkmcnt(2)
	v_mov_b32_e32 v24, v28
	v_mov_b32_e32 v25, v29
	s_mov_b32 s4, 0xc0c0001
	ds_write_b128 v23, v[24:27]
	s_waitcnt lgkmcnt(2)
	v_perm_b32 v23, 0, v30, s4
	ds_write_b16 v6, v23
.LBB78_51:
	s_or_b64 exec, exec, s[10:11]
	v_and_b32_e32 v23, 7, v4
	v_sub_u32_e32 v25, v19, v23
	v_add_u32_e32 v23, v18, v25
	s_waitcnt lgkmcnt(0)
	s_barrier
	ds_read_u8 v27, v23
	ds_read_u8 v28, v23 offset:8
	v_add_u32_e32 v24, v17, v25
                                        ; implicit-def: $sgpr14
	s_waitcnt lgkmcnt(0)
	v_cmp_ge_u16_e64 s[10:11], v27, v28
	v_cmp_lt_u16_e64 s[4:5], v27, v28
	s_and_saveexec_b64 s[12:13], s[4:5]
	s_cbranch_execz .LBB78_53
; %bb.52:
	ds_read_u8 v26, v24
	s_andn2_b64 s[10:11], s[10:11], exec
	s_mov_b32 s14, 1
	s_waitcnt lgkmcnt(0)
	v_and_b32_e32 v26, 1, v26
	v_cmp_eq_u32_e64 s[4:5], 1, v26
	s_xor_b64 s[4:5], s[4:5], -1
	s_and_b64 s[4:5], s[4:5], exec
	s_or_b64 s[10:11], s[10:11], s[4:5]
.LBB78_53:
	s_or_b64 exec, exec, s[12:13]
	v_mov_b32_e32 v29, s14
	s_and_saveexec_b64 s[4:5], s[10:11]
	s_cbranch_execz .LBB78_55
; %bb.54:
	ds_read_u8 v26, v24 offset:8
	s_waitcnt lgkmcnt(0)
	v_xor_b32_e32 v29, 1, v26
.LBB78_55:
	s_or_b64 exec, exec, s[4:5]
	v_bfe_u32 v26, v4, 3, 1
	v_lshl_add_u32 v25, v25, 3, v15
	v_cmp_eq_u32_e64 s[4:5], v29, v26
	s_and_saveexec_b64 s[10:11], s[4:5]
	s_cbranch_execz .LBB78_57
; %bb.56:
	ds_read2_b64 v[30:33], v25 offset1:8
	ds_read_u8 v29, v24 offset:8
	ds_read_u8 v34, v24
	ds_write_b8 v23, v28
	ds_write_b8 v23, v27 offset:8
	s_waitcnt lgkmcnt(4)
	ds_write2_b64 v25, v[32:33], v[30:31] offset1:8
	s_waitcnt lgkmcnt(4)
	ds_write_b8 v24, v29
	s_waitcnt lgkmcnt(4)
	ds_write_b8 v24, v34 offset:8
.LBB78_57:
	s_or_b64 exec, exec, s[10:11]
	s_waitcnt lgkmcnt(0)
	s_barrier
	ds_read_u8 v27, v20
	ds_read_u8 v28, v20 offset:4
                                        ; implicit-def: $sgpr14
	s_waitcnt lgkmcnt(0)
	v_cmp_ge_u16_e64 s[10:11], v27, v28
	v_cmp_lt_u16_e64 s[4:5], v27, v28
	s_and_saveexec_b64 s[12:13], s[4:5]
	s_cbranch_execnz .LBB78_106
; %bb.58:
	s_or_b64 exec, exec, s[12:13]
	v_mov_b32_e32 v29, s14
	s_and_saveexec_b64 s[4:5], s[10:11]
	s_cbranch_execnz .LBB78_107
.LBB78_59:
	s_or_b64 exec, exec, s[4:5]
	v_cmp_eq_u32_e64 s[4:5], v29, v26
	s_and_saveexec_b64 s[10:11], s[4:5]
	s_cbranch_execz .LBB78_61
.LBB78_60:
	ds_read2_b64 v[30:33], v22 offset1:4
	ds_read_u8 v29, v21 offset:4
	ds_read_u8 v34, v21
	ds_write_b8 v20, v28
	ds_write_b8 v20, v27 offset:4
	s_waitcnt lgkmcnt(4)
	ds_write2_b64 v22, v[32:33], v[30:31] offset1:4
	s_waitcnt lgkmcnt(4)
	ds_write_b8 v21, v29
	s_waitcnt lgkmcnt(4)
	ds_write_b8 v21, v34 offset:4
.LBB78_61:
	s_or_b64 exec, exec, s[10:11]
	s_waitcnt lgkmcnt(0)
	s_barrier
	ds_read_u8 v27, v13
	ds_read_u8 v28, v13 offset:2
                                        ; implicit-def: $sgpr14
	s_waitcnt lgkmcnt(0)
	v_cmp_ge_u16_e64 s[10:11], v27, v28
	v_cmp_lt_u16_e64 s[4:5], v27, v28
	s_and_saveexec_b64 s[12:13], s[4:5]
	s_cbranch_execnz .LBB78_108
; %bb.62:
	s_or_b64 exec, exec, s[12:13]
	v_mov_b32_e32 v29, s14
	s_and_saveexec_b64 s[4:5], s[10:11]
	s_cbranch_execnz .LBB78_109
.LBB78_63:
	s_or_b64 exec, exec, s[4:5]
	v_cmp_eq_u32_e64 s[4:5], v29, v26
	s_and_saveexec_b64 s[10:11], s[4:5]
	s_cbranch_execz .LBB78_65
.LBB78_64:
	ds_read2_b64 v[30:33], v16 offset1:2
	ds_read_u8 v29, v14 offset:2
	ds_read_u8 v34, v14
	ds_write_b8 v13, v28
	ds_write_b8 v13, v27 offset:2
	s_waitcnt lgkmcnt(4)
	ds_write2_b64 v16, v[32:33], v[30:31] offset1:2
	s_waitcnt lgkmcnt(4)
	ds_write_b8 v14, v29
	s_waitcnt lgkmcnt(4)
	ds_write_b8 v14, v34 offset:2
.LBB78_65:
	s_or_b64 exec, exec, s[10:11]
	s_waitcnt lgkmcnt(0)
	s_barrier
	ds_read_u16 v27, v7
                                        ; implicit-def: $sgpr14
	s_waitcnt lgkmcnt(0)
	v_cmp_ge_u16_sdwa s[10:11], v27, v27 src0_sel:BYTE_0 src1_sel:BYTE_1
	v_cmp_lt_u16_sdwa s[4:5], v27, v27 src0_sel:BYTE_0 src1_sel:BYTE_1
	s_and_saveexec_b64 s[12:13], s[4:5]
	s_cbranch_execnz .LBB78_110
; %bb.66:
	s_or_b64 exec, exec, s[12:13]
	v_mov_b32_e32 v28, s14
	s_and_saveexec_b64 s[4:5], s[10:11]
	s_cbranch_execnz .LBB78_111
.LBB78_67:
	s_or_b64 exec, exec, s[4:5]
	v_cmp_eq_u32_e64 s[4:5], v28, v26
	s_and_saveexec_b64 s[10:11], s[4:5]
	s_cbranch_execz .LBB78_69
.LBB78_68:
	v_add_u32_e32 v32, v5, v9
	ds_read_b128 v[28:31], v32
	ds_read_u16 v33, v6
	v_lshlrev_b16_e32 v26, 8, v27
	v_or_b32_sdwa v26, v27, v26 dst_sel:DWORD dst_unused:UNUSED_PAD src0_sel:BYTE_1 src1_sel:DWORD
	ds_write_b16 v7, v26
	s_waitcnt lgkmcnt(2)
	v_mov_b32_e32 v26, v30
	v_mov_b32_e32 v27, v31
	s_mov_b32 s4, 0xc0c0001
	ds_write_b128 v32, v[26:29]
	s_waitcnt lgkmcnt(2)
	v_perm_b32 v26, 0, v33, s4
	ds_write_b16 v6, v26
.LBB78_69:
	s_or_b64 exec, exec, s[10:11]
	v_and_b32_e32 v26, 15, v4
	v_sub_u32_e32 v27, v19, v26
	v_add_u32_e32 v18, v18, v27
	s_waitcnt lgkmcnt(0)
	s_barrier
	ds_read_u8 v19, v18
	ds_read_u8 v26, v18 offset:16
	v_add_u32_e32 v17, v17, v27
	s_waitcnt lgkmcnt(0)
	v_cmp_ge_u16_e64 s[12:13], v19, v26
	v_cmp_lt_u16_e64 s[4:5], v19, v26
	s_and_saveexec_b64 s[10:11], s[4:5]
	s_cbranch_execz .LBB78_71
; %bb.70:
	ds_read_u8 v28, v17
	s_andn2_b64 s[12:13], s[12:13], exec
	s_waitcnt lgkmcnt(0)
	v_and_b32_e32 v28, 1, v28
	v_cmp_eq_u32_e64 s[4:5], 1, v28
	s_xor_b64 s[4:5], s[4:5], -1
	s_and_b64 s[4:5], s[4:5], exec
	s_or_b64 s[12:13], s[12:13], s[4:5]
.LBB78_71:
	s_or_b64 exec, exec, s[10:11]
	s_and_saveexec_b64 s[10:11], s[12:13]
	s_cbranch_execz .LBB78_74
; %bb.72:
	ds_read_u8 v28, v17 offset:16
	s_waitcnt lgkmcnt(0)
	v_cmp_ne_u16_e64 s[4:5], 0, v28
	s_and_b64 exec, exec, s[4:5]
	s_cbranch_execz .LBB78_74
; %bb.73:
	v_lshl_add_u32 v15, v27, 3, v15
	ds_read2_b64 v[30:33], v15 offset1:16
	ds_read_u8 v27, v17
	ds_write_b8 v18, v26
	ds_write_b8 v18, v19 offset:16
	ds_write_b8 v17, v28
	s_waitcnt lgkmcnt(4)
	ds_write2_b64 v15, v[32:33], v[30:31] offset1:16
	s_waitcnt lgkmcnt(4)
	ds_write_b8 v17, v27 offset:16
.LBB78_74:
	s_or_b64 exec, exec, s[10:11]
	s_waitcnt lgkmcnt(0)
	s_barrier
	ds_read_u8 v15, v23
	ds_read_u8 v17, v23 offset:8
	s_waitcnt lgkmcnt(0)
	v_cmp_ge_u16_e64 s[12:13], v15, v17
	v_cmp_lt_u16_e64 s[4:5], v15, v17
	s_and_saveexec_b64 s[10:11], s[4:5]
	s_cbranch_execz .LBB78_76
; %bb.75:
	ds_read_u8 v18, v24
	s_andn2_b64 s[12:13], s[12:13], exec
	s_waitcnt lgkmcnt(0)
	v_and_b32_e32 v18, 1, v18
	v_cmp_eq_u32_e64 s[4:5], 1, v18
	s_xor_b64 s[4:5], s[4:5], -1
	s_and_b64 s[4:5], s[4:5], exec
	s_or_b64 s[12:13], s[12:13], s[4:5]
.LBB78_76:
	s_or_b64 exec, exec, s[10:11]
	s_and_saveexec_b64 s[10:11], s[12:13]
	s_cbranch_execz .LBB78_79
; %bb.77:
	ds_read_u8 v18, v24 offset:8
	s_waitcnt lgkmcnt(0)
	v_cmp_ne_u16_e64 s[4:5], 0, v18
	s_and_b64 exec, exec, s[4:5]
	s_cbranch_execz .LBB78_79
; %bb.78:
	ds_read2_b64 v[26:29], v25 offset1:8
	ds_read_u8 v19, v24
	ds_write_b8 v23, v17
	ds_write_b8 v23, v15 offset:8
	ds_write_b8 v24, v18
	s_waitcnt lgkmcnt(4)
	ds_write2_b64 v25, v[28:29], v[26:27] offset1:8
	s_waitcnt lgkmcnt(4)
	ds_write_b8 v24, v19 offset:8
.LBB78_79:
	s_or_b64 exec, exec, s[10:11]
	s_waitcnt lgkmcnt(0)
	s_barrier
	ds_read_u8 v15, v20
	ds_read_u8 v17, v20 offset:4
	s_waitcnt lgkmcnt(0)
	v_cmp_ge_u16_e64 s[12:13], v15, v17
	v_cmp_lt_u16_e64 s[4:5], v15, v17
	s_and_saveexec_b64 s[10:11], s[4:5]
	s_cbranch_execz .LBB78_81
; %bb.80:
	ds_read_u8 v18, v21
	s_andn2_b64 s[12:13], s[12:13], exec
	s_waitcnt lgkmcnt(0)
	v_and_b32_e32 v18, 1, v18
	v_cmp_eq_u32_e64 s[4:5], 1, v18
	s_xor_b64 s[4:5], s[4:5], -1
	s_and_b64 s[4:5], s[4:5], exec
	s_or_b64 s[12:13], s[12:13], s[4:5]
.LBB78_81:
	s_or_b64 exec, exec, s[10:11]
	s_and_saveexec_b64 s[10:11], s[12:13]
	s_cbranch_execz .LBB78_84
; %bb.82:
	ds_read_u8 v18, v21 offset:4
	s_waitcnt lgkmcnt(0)
	v_cmp_ne_u16_e64 s[4:5], 0, v18
	s_and_b64 exec, exec, s[4:5]
	s_cbranch_execz .LBB78_84
; %bb.83:
	ds_read2_b64 v[24:27], v22 offset1:4
	ds_read_u8 v19, v21
	ds_write_b8 v20, v17
	ds_write_b8 v20, v15 offset:4
	ds_write_b8 v21, v18
	s_waitcnt lgkmcnt(4)
	ds_write2_b64 v22, v[26:27], v[24:25] offset1:4
	s_waitcnt lgkmcnt(4)
	ds_write_b8 v21, v19 offset:4
.LBB78_84:
	;; [unrolled: 40-line block ×3, first 2 shown]
	s_or_b64 exec, exec, s[10:11]
	s_waitcnt lgkmcnt(0)
	s_barrier
	ds_read_u16 v13, v7
	s_waitcnt lgkmcnt(0)
	v_cmp_ge_u16_sdwa s[12:13], v13, v13 src0_sel:BYTE_0 src1_sel:BYTE_1
	v_cmp_lt_u16_sdwa s[4:5], v13, v13 src0_sel:BYTE_0 src1_sel:BYTE_1
	s_and_saveexec_b64 s[10:11], s[4:5]
	s_cbranch_execz .LBB78_91
; %bb.90:
	ds_read_u8 v14, v6
	s_andn2_b64 s[12:13], s[12:13], exec
	s_waitcnt lgkmcnt(0)
	v_and_b32_e32 v14, 1, v14
	v_cmp_eq_u32_e64 s[4:5], 1, v14
	s_xor_b64 s[4:5], s[4:5], -1
	s_and_b64 s[4:5], s[4:5], exec
	s_or_b64 s[12:13], s[12:13], s[4:5]
.LBB78_91:
	s_or_b64 exec, exec, s[10:11]
	s_and_saveexec_b64 s[10:11], s[12:13]
	s_cbranch_execz .LBB78_94
; %bb.92:
	ds_read_u8 v14, v6 offset:1
	s_waitcnt lgkmcnt(0)
	v_cmp_ne_u16_e64 s[4:5], 0, v14
	s_and_b64 exec, exec, s[4:5]
	s_cbranch_execz .LBB78_94
; %bb.93:
	v_add_u32_e32 v9, v5, v9
	v_lshlrev_b16_e32 v15, 8, v13
	ds_read_b128 v[16:19], v9
	v_or_b32_sdwa v13, v13, v15 dst_sel:DWORD dst_unused:UNUSED_PAD src0_sel:BYTE_1 src1_sel:DWORD
	ds_read_u8 v15, v6
	ds_write_b16 v7, v13
	s_waitcnt lgkmcnt(2)
	v_mov_b32_e32 v20, v16
	v_mov_b32_e32 v21, v17
	s_waitcnt lgkmcnt(1)
	v_lshlrev_b16_e32 v7, 8, v15
	v_or_b32_e32 v7, v14, v7
	ds_write_b128 v9, v[18:21]
	ds_write_b16 v6, v7
.LBB78_94:
	s_or_b64 exec, exec, s[10:11]
	s_waitcnt lgkmcnt(0)
	s_barrier
	s_and_saveexec_b64 s[4:5], vcc
	s_cbranch_execz .LBB78_99
; %bb.95:
	s_and_saveexec_b64 s[4:5], s[0:1]
	s_cbranch_execz .LBB78_97
; %bb.96:
	ds_read_u8 v9, v12
	v_mad_u64_u32 v[6:7], s[0:1], v4, s6, v[2:3]
	v_mov_b32_e32 v14, v7
	v_mad_u64_u32 v[12:13], s[0:1], v4, s7, v[14:15]
	v_mov_b32_e32 v7, v12
	s_waitcnt lgkmcnt(0)
	global_store_byte v[6:7], v9, off
	v_mad_u64_u32 v[6:7], s[0:1], v4, s8, 0
	v_mov_b32_e32 v14, v7
	ds_read_b64 v[12:13], v5
	v_mad_u64_u32 v[4:5], s[0:1], v4, s9, v[14:15]
	v_mov_b32_e32 v7, v4
	v_lshlrev_b64 v[4:5], 3, v[6:7]
	v_add_co_u32_e32 v4, vcc, v10, v4
	v_addc_co_u32_e32 v5, vcc, v11, v5, vcc
	s_waitcnt lgkmcnt(0)
	global_store_dwordx2 v[4:5], v[12:13], off
.LBB78_97:
	s_or_b64 exec, exec, s[4:5]
	s_and_b64 exec, exec, s[2:3]
	s_cbranch_execz .LBB78_99
; %bb.98:
	ds_read_u8 v6, v8
	v_mad_u64_u32 v[2:3], s[0:1], v0, s6, v[2:3]
	v_mov_b32_e32 v4, v3
	v_mad_u64_u32 v[4:5], s[0:1], v0, s7, v[4:5]
	v_mov_b32_e32 v3, v4
	ds_read_b64 v[4:5], v1
	s_waitcnt lgkmcnt(1)
	global_store_byte v[2:3], v6, off
	v_mad_u64_u32 v[2:3], s[0:1], v0, s8, 0
	v_mov_b32_e32 v6, v3
	v_mad_u64_u32 v[0:1], s[0:1], v0, s9, v[6:7]
	v_mov_b32_e32 v3, v0
	v_lshlrev_b64 v[0:1], 3, v[2:3]
	v_add_co_u32_e32 v0, vcc, v10, v0
	v_addc_co_u32_e32 v1, vcc, v11, v1, vcc
	s_waitcnt lgkmcnt(0)
	global_store_dwordx2 v[0:1], v[4:5], off
.LBB78_99:
	s_endpgm
.LBB78_100:
	ds_read_u8 v22, v6
	s_andn2_b64 s[10:11], s[10:11], exec
	s_mov_b32 s14, 1
	s_waitcnt lgkmcnt(0)
	v_and_b32_e32 v22, 1, v22
	v_cmp_eq_u32_e64 s[4:5], 1, v22
	s_xor_b64 s[4:5], s[4:5], -1
	s_and_b64 s[4:5], s[4:5], exec
	s_or_b64 s[10:11], s[10:11], s[4:5]
	s_or_b64 exec, exec, s[12:13]
	v_mov_b32_e32 v22, s14
	s_and_saveexec_b64 s[4:5], s[10:11]
	s_cbranch_execz .LBB78_35
.LBB78_101:
	ds_read_u8 v22, v6 offset:1
	s_waitcnt lgkmcnt(0)
	v_xor_b32_e32 v22, 1, v22
	s_or_b64 exec, exec, s[4:5]
	v_cmp_eq_u32_e64 s[4:5], v22, v20
	s_and_saveexec_b64 s[10:11], s[4:5]
	s_cbranch_execnz .LBB78_36
	s_branch .LBB78_37
.LBB78_102:
	ds_read_u8 v26, v14
	s_andn2_b64 s[10:11], s[10:11], exec
	s_mov_b32 s14, 1
	s_waitcnt lgkmcnt(0)
	v_and_b32_e32 v26, 1, v26
	v_cmp_eq_u32_e64 s[4:5], 1, v26
	s_xor_b64 s[4:5], s[4:5], -1
	s_and_b64 s[4:5], s[4:5], exec
	s_or_b64 s[10:11], s[10:11], s[4:5]
	s_or_b64 exec, exec, s[12:13]
	v_mov_b32_e32 v26, s14
	s_and_saveexec_b64 s[4:5], s[10:11]
	s_cbranch_execz .LBB78_45
.LBB78_103:
	ds_read_u8 v26, v14 offset:2
	s_waitcnt lgkmcnt(0)
	v_xor_b32_e32 v26, 1, v26
	s_or_b64 exec, exec, s[4:5]
	v_cmp_eq_u32_e64 s[4:5], v26, v23
	s_and_saveexec_b64 s[10:11], s[4:5]
	s_cbranch_execnz .LBB78_46
	s_branch .LBB78_47
.LBB78_104:
	ds_read_u8 v25, v6
	s_andn2_b64 s[10:11], s[10:11], exec
	s_mov_b32 s14, 1
	s_waitcnt lgkmcnt(0)
	v_and_b32_e32 v25, 1, v25
	v_cmp_eq_u32_e64 s[4:5], 1, v25
	s_xor_b64 s[4:5], s[4:5], -1
	s_and_b64 s[4:5], s[4:5], exec
	s_or_b64 s[10:11], s[10:11], s[4:5]
	s_or_b64 exec, exec, s[12:13]
	v_mov_b32_e32 v25, s14
	s_and_saveexec_b64 s[4:5], s[10:11]
	s_cbranch_execz .LBB78_49
.LBB78_105:
	ds_read_u8 v25, v6 offset:1
	s_waitcnt lgkmcnt(0)
	v_xor_b32_e32 v25, 1, v25
	s_or_b64 exec, exec, s[4:5]
	v_cmp_eq_u32_e64 s[4:5], v25, v23
	s_and_saveexec_b64 s[10:11], s[4:5]
	s_cbranch_execnz .LBB78_50
	s_branch .LBB78_51
.LBB78_106:
	ds_read_u8 v29, v21
	s_andn2_b64 s[10:11], s[10:11], exec
	s_mov_b32 s14, 1
	s_waitcnt lgkmcnt(0)
	v_and_b32_e32 v29, 1, v29
	v_cmp_eq_u32_e64 s[4:5], 1, v29
	s_xor_b64 s[4:5], s[4:5], -1
	s_and_b64 s[4:5], s[4:5], exec
	s_or_b64 s[10:11], s[10:11], s[4:5]
	s_or_b64 exec, exec, s[12:13]
	v_mov_b32_e32 v29, s14
	s_and_saveexec_b64 s[4:5], s[10:11]
	s_cbranch_execz .LBB78_59
.LBB78_107:
	ds_read_u8 v29, v21 offset:4
	s_waitcnt lgkmcnt(0)
	v_xor_b32_e32 v29, 1, v29
	s_or_b64 exec, exec, s[4:5]
	v_cmp_eq_u32_e64 s[4:5], v29, v26
	s_and_saveexec_b64 s[10:11], s[4:5]
	s_cbranch_execnz .LBB78_60
	s_branch .LBB78_61
.LBB78_108:
	ds_read_u8 v29, v14
	s_andn2_b64 s[10:11], s[10:11], exec
	s_mov_b32 s14, 1
	s_waitcnt lgkmcnt(0)
	v_and_b32_e32 v29, 1, v29
	v_cmp_eq_u32_e64 s[4:5], 1, v29
	s_xor_b64 s[4:5], s[4:5], -1
	s_and_b64 s[4:5], s[4:5], exec
	s_or_b64 s[10:11], s[10:11], s[4:5]
	s_or_b64 exec, exec, s[12:13]
	v_mov_b32_e32 v29, s14
	s_and_saveexec_b64 s[4:5], s[10:11]
	s_cbranch_execz .LBB78_63
.LBB78_109:
	ds_read_u8 v29, v14 offset:2
	s_waitcnt lgkmcnt(0)
	v_xor_b32_e32 v29, 1, v29
	s_or_b64 exec, exec, s[4:5]
	v_cmp_eq_u32_e64 s[4:5], v29, v26
	s_and_saveexec_b64 s[10:11], s[4:5]
	s_cbranch_execnz .LBB78_64
	s_branch .LBB78_65
.LBB78_110:
	ds_read_u8 v28, v6
	s_andn2_b64 s[10:11], s[10:11], exec
	s_mov_b32 s14, 1
	s_waitcnt lgkmcnt(0)
	v_and_b32_e32 v28, 1, v28
	v_cmp_eq_u32_e64 s[4:5], 1, v28
	s_xor_b64 s[4:5], s[4:5], -1
	s_and_b64 s[4:5], s[4:5], exec
	s_or_b64 s[10:11], s[10:11], s[4:5]
	s_or_b64 exec, exec, s[12:13]
	v_mov_b32_e32 v28, s14
	s_and_saveexec_b64 s[4:5], s[10:11]
	s_cbranch_execz .LBB78_67
.LBB78_111:
	ds_read_u8 v28, v6 offset:1
	s_waitcnt lgkmcnt(0)
	v_xor_b32_e32 v28, 1, v28
	s_or_b64 exec, exec, s[4:5]
	v_cmp_eq_u32_e64 s[4:5], v28, v26
	s_and_saveexec_b64 s[10:11], s[4:5]
	s_cbranch_execnz .LBB78_68
	s_branch .LBB78_69
	.section	.rodata,"a",@progbits
	.p2align	6, 0x0
	.amdhsa_kernel _ZN2at6native20bitonicSortKVInPlaceILin1ELin1ELi16ELi16EblNS0_4LTOpIbLb1EEEmEEvNS_4cuda6detail10TensorInfoIT3_T6_EES8_S8_S8_NS6_IT4_S8_EES8_T5_
		.amdhsa_group_segment_fixed_size 5120
		.amdhsa_private_segment_fixed_size 0
		.amdhsa_kernarg_size 1128
		.amdhsa_user_sgpr_count 6
		.amdhsa_user_sgpr_private_segment_buffer 1
		.amdhsa_user_sgpr_dispatch_ptr 0
		.amdhsa_user_sgpr_queue_ptr 0
		.amdhsa_user_sgpr_kernarg_segment_ptr 1
		.amdhsa_user_sgpr_dispatch_id 0
		.amdhsa_user_sgpr_flat_scratch_init 0
		.amdhsa_user_sgpr_kernarg_preload_length 0
		.amdhsa_user_sgpr_kernarg_preload_offset 0
		.amdhsa_user_sgpr_private_segment_size 0
		.amdhsa_uses_dynamic_stack 0
		.amdhsa_system_sgpr_private_segment_wavefront_offset 0
		.amdhsa_system_sgpr_workgroup_id_x 1
		.amdhsa_system_sgpr_workgroup_id_y 1
		.amdhsa_system_sgpr_workgroup_id_z 1
		.amdhsa_system_sgpr_workgroup_info 0
		.amdhsa_system_vgpr_workitem_id 1
		.amdhsa_next_free_vgpr 35
		.amdhsa_next_free_sgpr 21
		.amdhsa_accum_offset 36
		.amdhsa_reserve_vcc 1
		.amdhsa_reserve_flat_scratch 0
		.amdhsa_float_round_mode_32 0
		.amdhsa_float_round_mode_16_64 0
		.amdhsa_float_denorm_mode_32 3
		.amdhsa_float_denorm_mode_16_64 3
		.amdhsa_dx10_clamp 1
		.amdhsa_ieee_mode 1
		.amdhsa_fp16_overflow 0
		.amdhsa_tg_split 0
		.amdhsa_exception_fp_ieee_invalid_op 0
		.amdhsa_exception_fp_denorm_src 0
		.amdhsa_exception_fp_ieee_div_zero 0
		.amdhsa_exception_fp_ieee_overflow 0
		.amdhsa_exception_fp_ieee_underflow 0
		.amdhsa_exception_fp_ieee_inexact 0
		.amdhsa_exception_int_div_zero 0
	.end_amdhsa_kernel
	.section	.text._ZN2at6native20bitonicSortKVInPlaceILin1ELin1ELi16ELi16EblNS0_4LTOpIbLb1EEEmEEvNS_4cuda6detail10TensorInfoIT3_T6_EES8_S8_S8_NS6_IT4_S8_EES8_T5_,"axG",@progbits,_ZN2at6native20bitonicSortKVInPlaceILin1ELin1ELi16ELi16EblNS0_4LTOpIbLb1EEEmEEvNS_4cuda6detail10TensorInfoIT3_T6_EES8_S8_S8_NS6_IT4_S8_EES8_T5_,comdat
.Lfunc_end78:
	.size	_ZN2at6native20bitonicSortKVInPlaceILin1ELin1ELi16ELi16EblNS0_4LTOpIbLb1EEEmEEvNS_4cuda6detail10TensorInfoIT3_T6_EES8_S8_S8_NS6_IT4_S8_EES8_T5_, .Lfunc_end78-_ZN2at6native20bitonicSortKVInPlaceILin1ELin1ELi16ELi16EblNS0_4LTOpIbLb1EEEmEEvNS_4cuda6detail10TensorInfoIT3_T6_EES8_S8_S8_NS6_IT4_S8_EES8_T5_
                                        ; -- End function
	.section	.AMDGPU.csdata,"",@progbits
; Kernel info:
; codeLenInByte = 6556
; NumSgprs: 25
; NumVgprs: 35
; NumAgprs: 0
; TotalNumVgprs: 35
; ScratchSize: 0
; MemoryBound: 0
; FloatMode: 240
; IeeeMode: 1
; LDSByteSize: 5120 bytes/workgroup (compile time only)
; SGPRBlocks: 3
; VGPRBlocks: 4
; NumSGPRsForWavesPerEU: 25
; NumVGPRsForWavesPerEU: 35
; AccumOffset: 36
; Occupancy: 8
; WaveLimiterHint : 1
; COMPUTE_PGM_RSRC2:SCRATCH_EN: 0
; COMPUTE_PGM_RSRC2:USER_SGPR: 6
; COMPUTE_PGM_RSRC2:TRAP_HANDLER: 0
; COMPUTE_PGM_RSRC2:TGID_X_EN: 1
; COMPUTE_PGM_RSRC2:TGID_Y_EN: 1
; COMPUTE_PGM_RSRC2:TGID_Z_EN: 1
; COMPUTE_PGM_RSRC2:TIDIG_COMP_CNT: 1
; COMPUTE_PGM_RSRC3_GFX90A:ACCUM_OFFSET: 8
; COMPUTE_PGM_RSRC3_GFX90A:TG_SPLIT: 0
	.section	.text._ZN2at6native20bitonicSortKVInPlaceILin1ELin1ELi16ELi16EblNS0_4GTOpIbLb1EEEmEEvNS_4cuda6detail10TensorInfoIT3_T6_EES8_S8_S8_NS6_IT4_S8_EES8_T5_,"axG",@progbits,_ZN2at6native20bitonicSortKVInPlaceILin1ELin1ELi16ELi16EblNS0_4GTOpIbLb1EEEmEEvNS_4cuda6detail10TensorInfoIT3_T6_EES8_S8_S8_NS6_IT4_S8_EES8_T5_,comdat
	.protected	_ZN2at6native20bitonicSortKVInPlaceILin1ELin1ELi16ELi16EblNS0_4GTOpIbLb1EEEmEEvNS_4cuda6detail10TensorInfoIT3_T6_EES8_S8_S8_NS6_IT4_S8_EES8_T5_ ; -- Begin function _ZN2at6native20bitonicSortKVInPlaceILin1ELin1ELi16ELi16EblNS0_4GTOpIbLb1EEEmEEvNS_4cuda6detail10TensorInfoIT3_T6_EES8_S8_S8_NS6_IT4_S8_EES8_T5_
	.globl	_ZN2at6native20bitonicSortKVInPlaceILin1ELin1ELi16ELi16EblNS0_4GTOpIbLb1EEEmEEvNS_4cuda6detail10TensorInfoIT3_T6_EES8_S8_S8_NS6_IT4_S8_EES8_T5_
	.p2align	8
	.type	_ZN2at6native20bitonicSortKVInPlaceILin1ELin1ELi16ELi16EblNS0_4GTOpIbLb1EEEmEEvNS_4cuda6detail10TensorInfoIT3_T6_EES8_S8_S8_NS6_IT4_S8_EES8_T5_,@function
_ZN2at6native20bitonicSortKVInPlaceILin1ELin1ELi16ELi16EblNS0_4GTOpIbLb1EEEmEEvNS_4cuda6detail10TensorInfoIT3_T6_EES8_S8_S8_NS6_IT4_S8_EES8_T5_: ; @_ZN2at6native20bitonicSortKVInPlaceILin1ELin1ELi16ELi16EblNS0_4GTOpIbLb1EEEmEEvNS_4cuda6detail10TensorInfoIT3_T6_EES8_S8_S8_NS6_IT4_S8_EES8_T5_
; %bb.0:
	s_load_dwordx2 s[0:1], s[4:5], 0x368
	s_load_dwordx4 s[12:15], s[4:5], 0x1a0
	s_load_dword s9, s[4:5], 0x374
	s_add_u32 s2, s4, 0x368
	s_addc_u32 s3, s5, 0
	s_waitcnt lgkmcnt(0)
	s_mul_i32 s1, s1, s8
	s_add_i32 s1, s1, s7
	s_mul_i32 s0, s1, s0
	s_add_i32 s0, s0, s6
	s_lshr_b32 s6, s9, 16
	s_mul_hi_u32 s1, s0, s6
	s_mul_i32 s0, s0, s6
	v_pk_mov_b32 v[2:3], s[12:13], s[12:13] op_sel:[0,1]
	v_cmp_ge_u64_e32 vcc, s[0:1], v[2:3]
	s_cbranch_vccnz .LBB79_99
; %bb.1:
	v_mov_b32_e32 v1, s1
	s_load_dwordx2 s[6:7], s[4:5], 0x1b0
	s_load_dword s1, s[4:5], 0x198
	v_bfe_u32 v16, v0, 10, 10
	v_add_co_u32_e32 v4, vcc, s0, v16
	v_addc_co_u32_e32 v5, vcc, 0, v1, vcc
	v_mov_b32_e32 v8, 0
	s_waitcnt lgkmcnt(0)
	s_cmp_lt_i32 s1, 2
	v_pk_mov_b32 v[2:3], 0, 0
	v_pk_mov_b32 v[6:7], v[4:5], v[4:5] op_sel:[0,1]
	s_cbranch_scc1 .LBB79_9
; %bb.2:
	s_add_i32 s18, s1, 1
	s_add_i32 s0, s1, -1
	s_mov_b32 s1, 0
	s_lshl_b64 s[0:1], s[0:1], 3
	s_add_u32 s0, s0, s4
	s_addc_u32 s1, s1, s5
	s_add_u32 s8, s0, 8
	s_addc_u32 s9, s1, 0
	v_pk_mov_b32 v[2:3], 0, 0
	v_pk_mov_b32 v[10:11], v[4:5], v[4:5] op_sel:[0,1]
.LBB79_3:                               ; =>This Inner Loop Header: Depth=1
	s_load_dwordx2 s[10:11], s[8:9], 0x0
                                        ; implicit-def: $vgpr6_vgpr7
	s_waitcnt lgkmcnt(0)
	v_or_b32_e32 v9, s11, v11
	v_cmp_ne_u64_e32 vcc, 0, v[8:9]
	s_and_saveexec_b64 s[0:1], vcc
	s_xor_b64 s[16:17], exec, s[0:1]
	s_cbranch_execz .LBB79_5
; %bb.4:                                ;   in Loop: Header=BB79_3 Depth=1
	v_cvt_f32_u32_e32 v1, s10
	v_cvt_f32_u32_e32 v6, s11
	s_sub_u32 s0, 0, s10
	s_subb_u32 s1, 0, s11
	v_mac_f32_e32 v1, 0x4f800000, v6
	v_rcp_f32_e32 v1, v1
	v_mul_f32_e32 v1, 0x5f7ffffc, v1
	v_mul_f32_e32 v6, 0x2f800000, v1
	v_trunc_f32_e32 v6, v6
	v_mac_f32_e32 v1, 0xcf800000, v6
	v_cvt_u32_f32_e32 v6, v6
	v_cvt_u32_f32_e32 v1, v1
	v_mul_lo_u32 v7, s0, v6
	v_mul_hi_u32 v12, s0, v1
	v_mul_lo_u32 v9, s1, v1
	v_add_u32_e32 v7, v12, v7
	v_mul_lo_u32 v13, s0, v1
	v_add_u32_e32 v7, v7, v9
	v_mul_hi_u32 v12, v1, v13
	v_mul_lo_u32 v14, v1, v7
	v_mul_hi_u32 v9, v1, v7
	v_add_co_u32_e32 v12, vcc, v12, v14
	v_addc_co_u32_e32 v9, vcc, 0, v9, vcc
	v_mul_hi_u32 v15, v6, v13
	v_mul_lo_u32 v13, v6, v13
	v_add_co_u32_e32 v12, vcc, v12, v13
	v_mul_hi_u32 v14, v6, v7
	v_addc_co_u32_e32 v9, vcc, v9, v15, vcc
	v_addc_co_u32_e32 v12, vcc, 0, v14, vcc
	v_mul_lo_u32 v7, v6, v7
	v_add_co_u32_e32 v7, vcc, v9, v7
	v_addc_co_u32_e32 v9, vcc, 0, v12, vcc
	v_add_co_u32_e32 v1, vcc, v1, v7
	v_addc_co_u32_e32 v6, vcc, v6, v9, vcc
	v_mul_lo_u32 v7, s0, v6
	v_mul_hi_u32 v9, s0, v1
	v_add_u32_e32 v7, v9, v7
	v_mul_lo_u32 v9, s1, v1
	v_add_u32_e32 v7, v7, v9
	v_mul_lo_u32 v12, s0, v1
	v_mul_hi_u32 v13, v6, v12
	v_mul_lo_u32 v14, v6, v12
	v_mul_lo_u32 v17, v1, v7
	v_mul_hi_u32 v12, v1, v12
	v_mul_hi_u32 v15, v1, v7
	v_add_co_u32_e32 v12, vcc, v12, v17
	v_addc_co_u32_e32 v15, vcc, 0, v15, vcc
	v_add_co_u32_e32 v12, vcc, v12, v14
	v_mul_hi_u32 v9, v6, v7
	v_addc_co_u32_e32 v12, vcc, v15, v13, vcc
	v_addc_co_u32_e32 v9, vcc, 0, v9, vcc
	v_mul_lo_u32 v7, v6, v7
	v_add_co_u32_e32 v7, vcc, v12, v7
	v_addc_co_u32_e32 v9, vcc, 0, v9, vcc
	v_add_co_u32_e32 v1, vcc, v1, v7
	v_addc_co_u32_e32 v9, vcc, v6, v9, vcc
	v_mad_u64_u32 v[6:7], s[0:1], v10, v9, 0
	v_mul_hi_u32 v12, v10, v1
	v_add_co_u32_e32 v14, vcc, v12, v6
	v_addc_co_u32_e32 v15, vcc, 0, v7, vcc
	v_mad_u64_u32 v[12:13], s[0:1], v11, v1, 0
	v_add_co_u32_e32 v1, vcc, v14, v12
	v_mad_u64_u32 v[6:7], s[0:1], v11, v9, 0
	v_addc_co_u32_e32 v1, vcc, v15, v13, vcc
	v_addc_co_u32_e32 v7, vcc, 0, v7, vcc
	v_add_co_u32_e32 v1, vcc, v1, v6
	v_addc_co_u32_e32 v9, vcc, 0, v7, vcc
	v_mul_lo_u32 v12, s11, v1
	v_mul_lo_u32 v13, s10, v9
	v_mad_u64_u32 v[6:7], s[0:1], s10, v1, 0
	v_add3_u32 v7, v7, v13, v12
	v_sub_u32_e32 v12, v11, v7
	v_mov_b32_e32 v13, s11
	v_sub_co_u32_e32 v6, vcc, v10, v6
	v_subb_co_u32_e64 v12, s[0:1], v12, v13, vcc
	v_subrev_co_u32_e64 v13, s[0:1], s10, v6
	v_subbrev_co_u32_e64 v12, s[0:1], 0, v12, s[0:1]
	v_cmp_le_u32_e64 s[0:1], s11, v12
	v_cndmask_b32_e64 v14, 0, -1, s[0:1]
	v_cmp_le_u32_e64 s[0:1], s10, v13
	v_cndmask_b32_e64 v13, 0, -1, s[0:1]
	v_cmp_eq_u32_e64 s[0:1], s11, v12
	v_cndmask_b32_e64 v12, v14, v13, s[0:1]
	v_add_co_u32_e64 v13, s[0:1], 2, v1
	v_addc_co_u32_e64 v14, s[0:1], 0, v9, s[0:1]
	v_add_co_u32_e64 v15, s[0:1], 1, v1
	v_addc_co_u32_e64 v17, s[0:1], 0, v9, s[0:1]
	v_subb_co_u32_e32 v7, vcc, v11, v7, vcc
	v_cmp_ne_u32_e64 s[0:1], 0, v12
	v_cmp_le_u32_e32 vcc, s11, v7
	v_cndmask_b32_e64 v12, v17, v14, s[0:1]
	v_cndmask_b32_e64 v14, 0, -1, vcc
	v_cmp_le_u32_e32 vcc, s10, v6
	v_cndmask_b32_e64 v6, 0, -1, vcc
	v_cmp_eq_u32_e32 vcc, s11, v7
	v_cndmask_b32_e32 v6, v14, v6, vcc
	v_cmp_ne_u32_e32 vcc, 0, v6
	v_cndmask_b32_e64 v6, v15, v13, s[0:1]
	v_cndmask_b32_e32 v7, v9, v12, vcc
	v_cndmask_b32_e32 v6, v1, v6, vcc
.LBB79_5:                               ;   in Loop: Header=BB79_3 Depth=1
	s_andn2_saveexec_b64 s[0:1], s[16:17]
	s_cbranch_execz .LBB79_7
; %bb.6:                                ;   in Loop: Header=BB79_3 Depth=1
	v_cvt_f32_u32_e32 v1, s10
	s_sub_i32 s16, 0, s10
	v_rcp_iflag_f32_e32 v1, v1
	v_mul_f32_e32 v1, 0x4f7ffffe, v1
	v_cvt_u32_f32_e32 v1, v1
	v_mul_lo_u32 v6, s16, v1
	v_mul_hi_u32 v6, v1, v6
	v_add_u32_e32 v1, v1, v6
	v_mul_hi_u32 v1, v10, v1
	v_mul_lo_u32 v6, v1, s10
	v_sub_u32_e32 v6, v10, v6
	v_add_u32_e32 v7, 1, v1
	v_subrev_u32_e32 v9, s10, v6
	v_cmp_le_u32_e32 vcc, s10, v6
	v_cndmask_b32_e32 v6, v6, v9, vcc
	v_cndmask_b32_e32 v1, v1, v7, vcc
	v_add_u32_e32 v7, 1, v1
	v_cmp_le_u32_e32 vcc, s10, v6
	v_cndmask_b32_e32 v6, v1, v7, vcc
	v_mov_b32_e32 v7, v8
.LBB79_7:                               ;   in Loop: Header=BB79_3 Depth=1
	s_or_b64 exec, exec, s[0:1]
	v_mad_u64_u32 v[12:13], s[0:1], v6, s10, 0
	s_load_dwordx2 s[0:1], s[8:9], 0xc8
	v_mul_lo_u32 v1, v7, s10
	v_mul_lo_u32 v9, v6, s11
	v_add3_u32 v1, v13, v9, v1
	v_sub_co_u32_e32 v9, vcc, v10, v12
	s_add_i32 s18, s18, -1
	v_subb_co_u32_e32 v1, vcc, v11, v1, vcc
	s_add_u32 s8, s8, -8
	s_waitcnt lgkmcnt(0)
	v_mul_lo_u32 v1, s0, v1
	v_mul_lo_u32 v10, s1, v9
	v_mad_u64_u32 v[2:3], s[0:1], s0, v9, v[2:3]
	s_addc_u32 s9, s9, -1
	s_cmp_gt_u32 s18, 2
	v_add3_u32 v3, v10, v3, v1
	s_cbranch_scc0 .LBB79_9
; %bb.8:                                ;   in Loop: Header=BB79_3 Depth=1
	v_pk_mov_b32 v[10:11], v[6:7], v[6:7] op_sel:[0,1]
	s_branch .LBB79_3
.LBB79_9:
	s_load_dword s0, s[4:5], 0x350
	s_load_dwordx2 s[10:11], s[4:5], 0xd0
	v_pk_mov_b32 v[8:9], 0, 0
	v_pk_mov_b32 v[14:15], v[4:5], v[4:5] op_sel:[0,1]
	s_waitcnt lgkmcnt(0)
	s_cmp_lt_i32 s0, 2
	s_cbranch_scc1 .LBB79_17
; %bb.10:
	s_add_i32 s20, s0, 1
	s_add_i32 s0, s0, -1
	s_mov_b32 s1, 0
	s_lshl_b64 s[0:1], s[0:1], 3
	s_add_u32 s0, s0, s4
	s_addc_u32 s1, s1, s5
	s_add_u32 s8, s0, 0x1c0
	s_addc_u32 s9, s1, 0
	v_pk_mov_b32 v[8:9], 0, 0
	v_mov_b32_e32 v10, 0
	v_pk_mov_b32 v[12:13], v[4:5], v[4:5] op_sel:[0,1]
.LBB79_11:                              ; =>This Inner Loop Header: Depth=1
	s_load_dwordx2 s[16:17], s[8:9], 0x0
                                        ; implicit-def: $vgpr14_vgpr15
	s_waitcnt lgkmcnt(0)
	v_or_b32_e32 v11, s17, v13
	v_cmp_ne_u64_e32 vcc, 0, v[10:11]
	s_and_saveexec_b64 s[0:1], vcc
	s_xor_b64 s[18:19], exec, s[0:1]
	s_cbranch_execz .LBB79_13
; %bb.12:                               ;   in Loop: Header=BB79_11 Depth=1
	v_cvt_f32_u32_e32 v1, s16
	v_cvt_f32_u32_e32 v11, s17
	s_sub_u32 s0, 0, s16
	s_subb_u32 s1, 0, s17
	v_mac_f32_e32 v1, 0x4f800000, v11
	v_rcp_f32_e32 v1, v1
	v_mul_f32_e32 v1, 0x5f7ffffc, v1
	v_mul_f32_e32 v11, 0x2f800000, v1
	v_trunc_f32_e32 v11, v11
	v_mac_f32_e32 v1, 0xcf800000, v11
	v_cvt_u32_f32_e32 v11, v11
	v_cvt_u32_f32_e32 v1, v1
	v_mul_lo_u32 v14, s0, v11
	v_mul_hi_u32 v17, s0, v1
	v_mul_lo_u32 v15, s1, v1
	v_add_u32_e32 v14, v17, v14
	v_mul_lo_u32 v18, s0, v1
	v_add_u32_e32 v14, v14, v15
	v_mul_hi_u32 v17, v1, v18
	v_mul_lo_u32 v19, v1, v14
	v_mul_hi_u32 v15, v1, v14
	v_add_co_u32_e32 v17, vcc, v17, v19
	v_addc_co_u32_e32 v15, vcc, 0, v15, vcc
	v_mul_hi_u32 v20, v11, v18
	v_mul_lo_u32 v18, v11, v18
	v_add_co_u32_e32 v17, vcc, v17, v18
	v_mul_hi_u32 v19, v11, v14
	v_addc_co_u32_e32 v15, vcc, v15, v20, vcc
	v_addc_co_u32_e32 v17, vcc, 0, v19, vcc
	v_mul_lo_u32 v14, v11, v14
	v_add_co_u32_e32 v14, vcc, v15, v14
	v_addc_co_u32_e32 v15, vcc, 0, v17, vcc
	v_add_co_u32_e32 v1, vcc, v1, v14
	v_addc_co_u32_e32 v11, vcc, v11, v15, vcc
	v_mul_lo_u32 v14, s0, v11
	v_mul_hi_u32 v15, s0, v1
	v_add_u32_e32 v14, v15, v14
	v_mul_lo_u32 v15, s1, v1
	v_add_u32_e32 v14, v14, v15
	v_mul_lo_u32 v17, s0, v1
	v_mul_hi_u32 v18, v11, v17
	v_mul_lo_u32 v19, v11, v17
	v_mul_lo_u32 v21, v1, v14
	v_mul_hi_u32 v17, v1, v17
	v_mul_hi_u32 v20, v1, v14
	v_add_co_u32_e32 v17, vcc, v17, v21
	v_addc_co_u32_e32 v20, vcc, 0, v20, vcc
	v_add_co_u32_e32 v17, vcc, v17, v19
	v_mul_hi_u32 v15, v11, v14
	v_addc_co_u32_e32 v17, vcc, v20, v18, vcc
	v_addc_co_u32_e32 v15, vcc, 0, v15, vcc
	v_mul_lo_u32 v14, v11, v14
	v_add_co_u32_e32 v14, vcc, v17, v14
	v_addc_co_u32_e32 v15, vcc, 0, v15, vcc
	v_add_co_u32_e32 v1, vcc, v1, v14
	v_addc_co_u32_e32 v11, vcc, v11, v15, vcc
	v_mad_u64_u32 v[14:15], s[0:1], v12, v11, 0
	v_mul_hi_u32 v17, v12, v1
	v_add_co_u32_e32 v17, vcc, v17, v14
	v_addc_co_u32_e32 v20, vcc, 0, v15, vcc
	v_mad_u64_u32 v[18:19], s[0:1], v13, v1, 0
	v_add_co_u32_e32 v1, vcc, v17, v18
	v_mad_u64_u32 v[14:15], s[0:1], v13, v11, 0
	v_addc_co_u32_e32 v1, vcc, v20, v19, vcc
	v_addc_co_u32_e32 v11, vcc, 0, v15, vcc
	v_add_co_u32_e32 v1, vcc, v1, v14
	v_addc_co_u32_e32 v11, vcc, 0, v11, vcc
	v_mul_lo_u32 v17, s17, v1
	v_mul_lo_u32 v18, s16, v11
	v_mad_u64_u32 v[14:15], s[0:1], s16, v1, 0
	v_add3_u32 v15, v15, v18, v17
	v_sub_u32_e32 v17, v13, v15
	v_mov_b32_e32 v18, s17
	v_sub_co_u32_e32 v14, vcc, v12, v14
	v_subb_co_u32_e64 v17, s[0:1], v17, v18, vcc
	v_subrev_co_u32_e64 v18, s[0:1], s16, v14
	v_subbrev_co_u32_e64 v17, s[0:1], 0, v17, s[0:1]
	v_cmp_le_u32_e64 s[0:1], s17, v17
	v_cndmask_b32_e64 v19, 0, -1, s[0:1]
	v_cmp_le_u32_e64 s[0:1], s16, v18
	v_cndmask_b32_e64 v18, 0, -1, s[0:1]
	v_cmp_eq_u32_e64 s[0:1], s17, v17
	v_cndmask_b32_e64 v17, v19, v18, s[0:1]
	v_add_co_u32_e64 v18, s[0:1], 2, v1
	v_addc_co_u32_e64 v19, s[0:1], 0, v11, s[0:1]
	v_add_co_u32_e64 v20, s[0:1], 1, v1
	v_addc_co_u32_e64 v21, s[0:1], 0, v11, s[0:1]
	v_subb_co_u32_e32 v15, vcc, v13, v15, vcc
	v_cmp_ne_u32_e64 s[0:1], 0, v17
	v_cmp_le_u32_e32 vcc, s17, v15
	v_cndmask_b32_e64 v17, v21, v19, s[0:1]
	v_cndmask_b32_e64 v19, 0, -1, vcc
	v_cmp_le_u32_e32 vcc, s16, v14
	v_cndmask_b32_e64 v14, 0, -1, vcc
	v_cmp_eq_u32_e32 vcc, s17, v15
	v_cndmask_b32_e32 v14, v19, v14, vcc
	v_cmp_ne_u32_e32 vcc, 0, v14
	v_cndmask_b32_e32 v15, v11, v17, vcc
	v_cndmask_b32_e64 v11, v20, v18, s[0:1]
	v_cndmask_b32_e32 v14, v1, v11, vcc
.LBB79_13:                              ;   in Loop: Header=BB79_11 Depth=1
	s_andn2_saveexec_b64 s[0:1], s[18:19]
	s_cbranch_execz .LBB79_15
; %bb.14:                               ;   in Loop: Header=BB79_11 Depth=1
	v_cvt_f32_u32_e32 v1, s16
	s_sub_i32 s18, 0, s16
	v_rcp_iflag_f32_e32 v1, v1
	v_mul_f32_e32 v1, 0x4f7ffffe, v1
	v_cvt_u32_f32_e32 v1, v1
	v_mul_lo_u32 v11, s18, v1
	v_mul_hi_u32 v11, v1, v11
	v_add_u32_e32 v1, v1, v11
	v_mul_hi_u32 v1, v12, v1
	v_mul_lo_u32 v11, v1, s16
	v_sub_u32_e32 v11, v12, v11
	v_add_u32_e32 v14, 1, v1
	v_subrev_u32_e32 v15, s16, v11
	v_cmp_le_u32_e32 vcc, s16, v11
	v_cndmask_b32_e32 v11, v11, v15, vcc
	v_cndmask_b32_e32 v1, v1, v14, vcc
	v_add_u32_e32 v14, 1, v1
	v_cmp_le_u32_e32 vcc, s16, v11
	v_cndmask_b32_e32 v14, v1, v14, vcc
	v_mov_b32_e32 v15, v10
.LBB79_15:                              ;   in Loop: Header=BB79_11 Depth=1
	s_or_b64 exec, exec, s[0:1]
	v_mad_u64_u32 v[18:19], s[0:1], v14, s16, 0
	s_load_dwordx2 s[0:1], s[8:9], 0xc8
	v_mul_lo_u32 v1, v15, s16
	v_mul_lo_u32 v11, v14, s17
	v_add3_u32 v1, v19, v11, v1
	v_sub_co_u32_e32 v11, vcc, v12, v18
	s_add_i32 s20, s20, -1
	v_subb_co_u32_e32 v1, vcc, v13, v1, vcc
	s_add_u32 s8, s8, -8
	s_waitcnt lgkmcnt(0)
	v_mul_lo_u32 v1, s0, v1
	v_mul_lo_u32 v12, s1, v11
	v_mad_u64_u32 v[8:9], s[0:1], s0, v11, v[8:9]
	s_addc_u32 s9, s9, -1
	s_cmp_gt_u32 s20, 2
	v_add3_u32 v9, v12, v9, v1
	s_cbranch_scc0 .LBB79_17
; %bb.16:                               ;   in Loop: Header=BB79_11 Depth=1
	v_pk_mov_b32 v[12:13], v[14:15], v[14:15] op_sel:[0,1]
	s_branch .LBB79_11
.LBB79_17:
	s_load_dwordx2 s[0:1], s[4:5], 0x288
	s_load_dwordx2 s[8:9], s[4:5], 0x358
	s_load_dwordx2 s[16:17], s[4:5], 0x0
	s_load_dwordx2 s[18:19], s[4:5], 0x1b8
	v_cmp_gt_u64_e32 vcc, s[12:13], v[4:5]
	s_load_dword s12, s[2:3], 0xc
	s_waitcnt lgkmcnt(0)
	v_mul_lo_u32 v1, s1, v14
	v_mul_lo_u32 v10, s0, v15
	v_mad_u64_u32 v[4:5], s[0:1], s0, v14, 0
	v_add3_u32 v5, v5, v10, v1
	v_pk_mov_b32 v[10:11], s[16:17], s[16:17] op_sel:[0,1]
	v_mad_u64_u32 v[10:11], s[0:1], s10, v6, v[10:11]
	v_mul_lo_u32 v1, s10, v7
	v_mul_lo_u32 v6, s11, v6
	v_add3_u32 v1, v6, v11, v1
	v_add_co_u32_e64 v2, s[0:1], v10, v2
	v_addc_co_u32_e64 v3, s[0:1], v1, v3, s[0:1]
	v_lshlrev_b64 v[4:5], 3, v[4:5]
	v_mov_b32_e32 v1, s19
	v_add_co_u32_e64 v6, s[0:1], s18, v4
	v_addc_co_u32_e64 v1, s[0:1], v1, v5, s[0:1]
	v_lshlrev_b64 v[4:5], 3, v[8:9]
	v_add_co_u32_e64 v10, s[0:1], v6, v4
	v_addc_co_u32_e64 v11, s[0:1], v1, v5, s[0:1]
	v_mov_b32_e32 v1, 0
	v_and_b32_e32 v4, 0x3ff, v0
	v_mov_b32_e32 v5, v1
	v_cmp_gt_u64_e64 s[0:1], s[14:15], v[4:5]
	v_pk_mov_b32 v[6:7], 0, 0
	s_and_b64 s[4:5], vcc, s[0:1]
	v_mov_b32_e32 v0, 0
	v_pk_mov_b32 v[8:9], v[6:7], v[6:7] op_sel:[0,1]
	s_and_saveexec_b64 s[10:11], s[4:5]
	s_cbranch_execz .LBB79_19
; %bb.18:
	v_mad_u64_u32 v[8:9], s[2:3], v4, s6, v[2:3]
	v_mov_b32_e32 v0, v9
	v_mad_u64_u32 v[12:13], s[2:3], v4, s7, v[0:1]
	v_mov_b32_e32 v9, v12
	global_load_ubyte v0, v[8:9], off
	v_mad_u64_u32 v[8:9], s[2:3], v4, s8, 0
	v_mov_b32_e32 v12, v9
	v_mad_u64_u32 v[12:13], s[2:3], v4, s9, v[12:13]
	v_mov_b32_e32 v9, v12
	v_lshlrev_b64 v[8:9], 3, v[8:9]
	v_add_co_u32_e64 v8, s[2:3], v10, v8
	v_addc_co_u32_e64 v9, s[2:3], v11, v9, s[2:3]
	global_load_dwordx2 v[8:9], v[8:9], off
.LBB79_19:
	s_or_b64 exec, exec, s[10:11]
	v_lshlrev_b32_e32 v5, 5, v16
	v_add_u32_e32 v18, 0x1000, v5
	v_add_u32_e32 v17, 0x1200, v5
	;; [unrolled: 1-line block ×3, first 2 shown]
	s_and_b32 s16, 0xffff, s12
	v_cndmask_b32_e64 v13, 0, 1, s[4:5]
	s_waitcnt vmcnt(1)
	ds_write_b8 v12, v0
	v_add_u32_e32 v0, v17, v4
	ds_write_b8 v0, v13
	v_add_u32_e32 v0, s16, v4
	v_lshlrev_b32_e32 v15, 8, v16
	v_cmp_gt_u64_e64 s[2:3], s[14:15], v[0:1]
	v_lshl_add_u32 v5, v4, 3, v15
	s_and_b64 s[10:11], vcc, s[2:3]
	s_waitcnt vmcnt(0)
	ds_write_b64 v5, v[8:9]
	s_and_saveexec_b64 s[12:13], s[10:11]
	s_cbranch_execz .LBB79_21
; %bb.20:
	v_mad_u64_u32 v[6:7], s[4:5], v0, s6, v[2:3]
	v_mov_b32_e32 v8, v7
	v_mad_u64_u32 v[8:9], s[4:5], v0, s7, v[8:9]
	v_mov_b32_e32 v7, v8
	global_load_ubyte v1, v[6:7], off
	v_mad_u64_u32 v[6:7], s[4:5], v0, s8, 0
	v_mov_b32_e32 v8, v7
	v_mad_u64_u32 v[8:9], s[4:5], v0, s9, v[8:9]
	v_mov_b32_e32 v7, v8
	v_lshlrev_b64 v[6:7], 3, v[6:7]
	v_add_co_u32_e64 v6, s[4:5], v10, v6
	v_addc_co_u32_e64 v7, s[4:5], v11, v7, s[4:5]
	global_load_dwordx2 v[6:7], v[6:7], off
.LBB79_21:
	s_or_b64 exec, exec, s[12:13]
	v_add_u32_e32 v8, v18, v0
	s_waitcnt vmcnt(1)
	ds_write_b8 v8, v1
	v_lshl_add_u32 v1, s16, 3, v5
	v_lshlrev_b32_e32 v19, 1, v4
	v_cndmask_b32_e64 v9, 0, 1, s[10:11]
	s_waitcnt vmcnt(0)
	ds_write_b64 v1, v[6:7]
	v_add_u32_e32 v6, v17, v0
	v_add_u32_e32 v7, v18, v19
	ds_write_b8 v6, v9
	s_waitcnt lgkmcnt(0)
	s_barrier
	ds_read_u16 v13, v7
	s_mov_b32 s14, 1
	v_add_u32_e32 v6, v17, v19
	s_waitcnt lgkmcnt(0)
	v_cmp_le_u16_sdwa s[10:11], v13, v13 src0_sel:BYTE_0 src1_sel:BYTE_1
	v_cmp_gt_u16_sdwa s[4:5], v13, v13 src0_sel:BYTE_0 src1_sel:BYTE_1
	s_and_saveexec_b64 s[12:13], s[4:5]
	s_xor_b64 s[12:13], exec, s[12:13]
	s_cbranch_execz .LBB79_23
; %bb.22:
	ds_read_u8 v9, v6
	s_andn2_b64 s[10:11], s[10:11], exec
	s_waitcnt lgkmcnt(0)
	v_and_b32_e32 v9, 1, v9
	v_cmp_eq_u32_e64 s[4:5], 1, v9
	s_xor_b64 s[4:5], s[4:5], -1
	s_and_b64 s[4:5], s[4:5], exec
	s_or_b64 s[10:11], s[10:11], s[4:5]
.LBB79_23:
	s_or_b64 exec, exec, s[12:13]
	v_mov_b32_e32 v16, s14
	s_and_saveexec_b64 s[4:5], s[10:11]
	s_cbranch_execz .LBB79_25
; %bb.24:
	ds_read_u8 v9, v6 offset:1
	s_waitcnt lgkmcnt(0)
	v_xor_b32_e32 v16, 1, v9
.LBB79_25:
	s_or_b64 exec, exec, s[4:5]
	v_and_b32_e32 v14, 1, v4
	v_lshlrev_b32_e32 v9, 3, v4
	v_cmp_eq_u32_e64 s[4:5], v16, v14
	s_and_saveexec_b64 s[10:11], s[4:5]
	s_cbranch_execz .LBB79_27
; %bb.26:
	v_add_u32_e32 v16, v5, v9
	ds_read_b128 v[20:23], v16
	ds_read_u16 v26, v6
	v_lshlrev_b16_e32 v24, 8, v13
	v_or_b32_sdwa v13, v13, v24 dst_sel:DWORD dst_unused:UNUSED_PAD src0_sel:BYTE_1 src1_sel:DWORD
	s_mov_b32 s4, 0xc0c0001
	ds_write_b16 v7, v13
	s_waitcnt lgkmcnt(2)
	v_mov_b32_e32 v24, v20
	v_mov_b32_e32 v25, v21
	s_waitcnt lgkmcnt(1)
	v_perm_b32 v13, 0, v26, s4
	ds_write_b128 v16, v[22:25]
	ds_write_b16 v6, v13
.LBB79_27:
	s_or_b64 exec, exec, s[10:11]
	v_sub_u32_e32 v16, v19, v14
	v_add_u32_e32 v13, v18, v16
	s_waitcnt lgkmcnt(0)
	s_barrier
	ds_read_u8 v21, v13
	ds_read_u8 v22, v13 offset:2
	s_mov_b64 s[10:11], -1
	v_add_u32_e32 v14, v17, v16
                                        ; implicit-def: $sgpr14
	s_waitcnt lgkmcnt(0)
	v_cmp_gt_u16_e64 s[4:5], v21, v22
	s_and_saveexec_b64 s[12:13], s[4:5]
	s_xor_b64 s[12:13], exec, s[12:13]
	s_cbranch_execz .LBB79_29
; %bb.28:
	ds_read_u8 v20, v14
	s_mov_b32 s14, 1
	s_waitcnt lgkmcnt(0)
	v_and_b32_e32 v20, 1, v20
	v_cmp_eq_u32_e64 s[4:5], 1, v20
	s_xor_b64 s[4:5], s[4:5], -1
	s_orn2_b64 s[10:11], s[4:5], exec
.LBB79_29:
	s_or_b64 exec, exec, s[12:13]
	v_mov_b32_e32 v23, s14
	s_and_saveexec_b64 s[4:5], s[10:11]
	s_cbranch_execz .LBB79_31
; %bb.30:
	ds_read_u8 v20, v14 offset:2
	s_waitcnt lgkmcnt(0)
	v_xor_b32_e32 v23, 1, v20
.LBB79_31:
	s_or_b64 exec, exec, s[4:5]
	v_bfe_u32 v20, v4, 1, 1
	v_lshl_add_u32 v16, v16, 3, v15
	v_cmp_eq_u32_e64 s[4:5], v23, v20
	s_and_saveexec_b64 s[10:11], s[4:5]
	s_cbranch_execz .LBB79_33
; %bb.32:
	ds_read2_b64 v[24:27], v16 offset1:2
	ds_read_u8 v23, v14 offset:2
	ds_read_u8 v28, v14
	ds_write_b8 v13, v22
	ds_write_b8 v13, v21 offset:2
	s_waitcnt lgkmcnt(4)
	ds_write2_b64 v16, v[26:27], v[24:25] offset1:2
	s_waitcnt lgkmcnt(4)
	ds_write_b8 v14, v23
	s_waitcnt lgkmcnt(4)
	ds_write_b8 v14, v28 offset:2
.LBB79_33:
	s_or_b64 exec, exec, s[10:11]
	s_waitcnt lgkmcnt(0)
	s_barrier
	ds_read_u16 v21, v7
                                        ; implicit-def: $sgpr14
	s_waitcnt lgkmcnt(0)
	v_cmp_le_u16_sdwa s[10:11], v21, v21 src0_sel:BYTE_0 src1_sel:BYTE_1
	v_cmp_gt_u16_sdwa s[4:5], v21, v21 src0_sel:BYTE_0 src1_sel:BYTE_1
	s_and_saveexec_b64 s[12:13], s[4:5]
	s_cbranch_execnz .LBB79_100
; %bb.34:
	s_or_b64 exec, exec, s[12:13]
	v_mov_b32_e32 v22, s14
	s_and_saveexec_b64 s[4:5], s[10:11]
	s_cbranch_execnz .LBB79_101
.LBB79_35:
	s_or_b64 exec, exec, s[4:5]
	v_cmp_eq_u32_e64 s[4:5], v22, v20
	s_and_saveexec_b64 s[10:11], s[4:5]
	s_cbranch_execz .LBB79_37
.LBB79_36:
	v_add_u32_e32 v26, v5, v9
	ds_read_b128 v[22:25], v26
	ds_read_u16 v27, v6
	v_lshlrev_b16_e32 v20, 8, v21
	v_or_b32_sdwa v20, v21, v20 dst_sel:DWORD dst_unused:UNUSED_PAD src0_sel:BYTE_1 src1_sel:DWORD
	ds_write_b16 v7, v20
	s_waitcnt lgkmcnt(2)
	v_mov_b32_e32 v20, v24
	v_mov_b32_e32 v21, v25
	s_mov_b32 s4, 0xc0c0001
	ds_write_b128 v26, v[20:23]
	s_waitcnt lgkmcnt(2)
	v_perm_b32 v20, 0, v27, s4
	ds_write_b16 v6, v20
.LBB79_37:
	s_or_b64 exec, exec, s[10:11]
	v_and_b32_e32 v20, 3, v4
	v_sub_u32_e32 v22, v19, v20
	v_add_u32_e32 v20, v18, v22
	s_waitcnt lgkmcnt(0)
	s_barrier
	ds_read_u8 v24, v20
	ds_read_u8 v25, v20 offset:4
	v_add_u32_e32 v21, v17, v22
                                        ; implicit-def: $sgpr14
	s_waitcnt lgkmcnt(0)
	v_cmp_le_u16_e64 s[10:11], v24, v25
	v_cmp_gt_u16_e64 s[4:5], v24, v25
	s_and_saveexec_b64 s[12:13], s[4:5]
	s_cbranch_execz .LBB79_39
; %bb.38:
	ds_read_u8 v23, v21
	s_andn2_b64 s[10:11], s[10:11], exec
	s_mov_b32 s14, 1
	s_waitcnt lgkmcnt(0)
	v_and_b32_e32 v23, 1, v23
	v_cmp_eq_u32_e64 s[4:5], 1, v23
	s_xor_b64 s[4:5], s[4:5], -1
	s_and_b64 s[4:5], s[4:5], exec
	s_or_b64 s[10:11], s[10:11], s[4:5]
.LBB79_39:
	s_or_b64 exec, exec, s[12:13]
	v_mov_b32_e32 v26, s14
	s_and_saveexec_b64 s[4:5], s[10:11]
	s_cbranch_execz .LBB79_41
; %bb.40:
	ds_read_u8 v23, v21 offset:4
	s_waitcnt lgkmcnt(0)
	v_xor_b32_e32 v26, 1, v23
.LBB79_41:
	s_or_b64 exec, exec, s[4:5]
	v_bfe_u32 v23, v4, 2, 1
	v_lshl_add_u32 v22, v22, 3, v15
	v_cmp_eq_u32_e64 s[4:5], v26, v23
	s_and_saveexec_b64 s[10:11], s[4:5]
	s_cbranch_execz .LBB79_43
; %bb.42:
	ds_read2_b64 v[26:29], v22 offset1:4
	ds_read_u8 v30, v21 offset:4
	ds_read_u8 v31, v21
	ds_write_b8 v20, v25
	ds_write_b8 v20, v24 offset:4
	s_waitcnt lgkmcnt(4)
	ds_write2_b64 v22, v[28:29], v[26:27] offset1:4
	s_waitcnt lgkmcnt(4)
	ds_write_b8 v21, v30
	s_waitcnt lgkmcnt(4)
	ds_write_b8 v21, v31 offset:4
.LBB79_43:
	s_or_b64 exec, exec, s[10:11]
	s_waitcnt lgkmcnt(0)
	s_barrier
	ds_read_u8 v24, v13
	ds_read_u8 v25, v13 offset:2
                                        ; implicit-def: $sgpr14
	s_waitcnt lgkmcnt(0)
	v_cmp_le_u16_e64 s[10:11], v24, v25
	v_cmp_gt_u16_e64 s[4:5], v24, v25
	s_and_saveexec_b64 s[12:13], s[4:5]
	s_cbranch_execnz .LBB79_102
; %bb.44:
	s_or_b64 exec, exec, s[12:13]
	v_mov_b32_e32 v26, s14
	s_and_saveexec_b64 s[4:5], s[10:11]
	s_cbranch_execnz .LBB79_103
.LBB79_45:
	s_or_b64 exec, exec, s[4:5]
	v_cmp_eq_u32_e64 s[4:5], v26, v23
	s_and_saveexec_b64 s[10:11], s[4:5]
	s_cbranch_execz .LBB79_47
.LBB79_46:
	ds_read2_b64 v[26:29], v16 offset1:2
	ds_read_u8 v30, v14 offset:2
	ds_read_u8 v31, v14
	ds_write_b8 v13, v25
	ds_write_b8 v13, v24 offset:2
	s_waitcnt lgkmcnt(4)
	ds_write2_b64 v16, v[28:29], v[26:27] offset1:2
	s_waitcnt lgkmcnt(4)
	ds_write_b8 v14, v30
	s_waitcnt lgkmcnt(4)
	ds_write_b8 v14, v31 offset:2
.LBB79_47:
	s_or_b64 exec, exec, s[10:11]
	s_waitcnt lgkmcnt(0)
	s_barrier
	ds_read_u16 v24, v7
                                        ; implicit-def: $sgpr14
	s_waitcnt lgkmcnt(0)
	v_cmp_le_u16_sdwa s[10:11], v24, v24 src0_sel:BYTE_0 src1_sel:BYTE_1
	v_cmp_gt_u16_sdwa s[4:5], v24, v24 src0_sel:BYTE_0 src1_sel:BYTE_1
	s_and_saveexec_b64 s[12:13], s[4:5]
	s_cbranch_execnz .LBB79_104
; %bb.48:
	s_or_b64 exec, exec, s[12:13]
	v_mov_b32_e32 v25, s14
	s_and_saveexec_b64 s[4:5], s[10:11]
	s_cbranch_execnz .LBB79_105
.LBB79_49:
	s_or_b64 exec, exec, s[4:5]
	v_cmp_eq_u32_e64 s[4:5], v25, v23
	s_and_saveexec_b64 s[10:11], s[4:5]
	s_cbranch_execz .LBB79_51
.LBB79_50:
	v_add_u32_e32 v23, v5, v9
	ds_read_b128 v[26:29], v23
	ds_read_u16 v30, v6
	v_lshlrev_b16_e32 v25, 8, v24
	v_or_b32_sdwa v24, v24, v25 dst_sel:DWORD dst_unused:UNUSED_PAD src0_sel:BYTE_1 src1_sel:DWORD
	ds_write_b16 v7, v24
	s_waitcnt lgkmcnt(2)
	v_mov_b32_e32 v24, v28
	v_mov_b32_e32 v25, v29
	s_mov_b32 s4, 0xc0c0001
	ds_write_b128 v23, v[24:27]
	s_waitcnt lgkmcnt(2)
	v_perm_b32 v23, 0, v30, s4
	ds_write_b16 v6, v23
.LBB79_51:
	s_or_b64 exec, exec, s[10:11]
	v_and_b32_e32 v23, 7, v4
	v_sub_u32_e32 v25, v19, v23
	v_add_u32_e32 v23, v18, v25
	s_waitcnt lgkmcnt(0)
	s_barrier
	ds_read_u8 v27, v23
	ds_read_u8 v28, v23 offset:8
	v_add_u32_e32 v24, v17, v25
                                        ; implicit-def: $sgpr14
	s_waitcnt lgkmcnt(0)
	v_cmp_le_u16_e64 s[10:11], v27, v28
	v_cmp_gt_u16_e64 s[4:5], v27, v28
	s_and_saveexec_b64 s[12:13], s[4:5]
	s_cbranch_execz .LBB79_53
; %bb.52:
	ds_read_u8 v26, v24
	s_andn2_b64 s[10:11], s[10:11], exec
	s_mov_b32 s14, 1
	s_waitcnt lgkmcnt(0)
	v_and_b32_e32 v26, 1, v26
	v_cmp_eq_u32_e64 s[4:5], 1, v26
	s_xor_b64 s[4:5], s[4:5], -1
	s_and_b64 s[4:5], s[4:5], exec
	s_or_b64 s[10:11], s[10:11], s[4:5]
.LBB79_53:
	s_or_b64 exec, exec, s[12:13]
	v_mov_b32_e32 v29, s14
	s_and_saveexec_b64 s[4:5], s[10:11]
	s_cbranch_execz .LBB79_55
; %bb.54:
	ds_read_u8 v26, v24 offset:8
	s_waitcnt lgkmcnt(0)
	v_xor_b32_e32 v29, 1, v26
.LBB79_55:
	s_or_b64 exec, exec, s[4:5]
	v_bfe_u32 v26, v4, 3, 1
	v_lshl_add_u32 v25, v25, 3, v15
	v_cmp_eq_u32_e64 s[4:5], v29, v26
	s_and_saveexec_b64 s[10:11], s[4:5]
	s_cbranch_execz .LBB79_57
; %bb.56:
	ds_read2_b64 v[30:33], v25 offset1:8
	ds_read_u8 v29, v24 offset:8
	ds_read_u8 v34, v24
	ds_write_b8 v23, v28
	ds_write_b8 v23, v27 offset:8
	s_waitcnt lgkmcnt(4)
	ds_write2_b64 v25, v[32:33], v[30:31] offset1:8
	s_waitcnt lgkmcnt(4)
	ds_write_b8 v24, v29
	s_waitcnt lgkmcnt(4)
	ds_write_b8 v24, v34 offset:8
.LBB79_57:
	s_or_b64 exec, exec, s[10:11]
	s_waitcnt lgkmcnt(0)
	s_barrier
	ds_read_u8 v27, v20
	ds_read_u8 v28, v20 offset:4
                                        ; implicit-def: $sgpr14
	s_waitcnt lgkmcnt(0)
	v_cmp_le_u16_e64 s[10:11], v27, v28
	v_cmp_gt_u16_e64 s[4:5], v27, v28
	s_and_saveexec_b64 s[12:13], s[4:5]
	s_cbranch_execnz .LBB79_106
; %bb.58:
	s_or_b64 exec, exec, s[12:13]
	v_mov_b32_e32 v29, s14
	s_and_saveexec_b64 s[4:5], s[10:11]
	s_cbranch_execnz .LBB79_107
.LBB79_59:
	s_or_b64 exec, exec, s[4:5]
	v_cmp_eq_u32_e64 s[4:5], v29, v26
	s_and_saveexec_b64 s[10:11], s[4:5]
	s_cbranch_execz .LBB79_61
.LBB79_60:
	ds_read2_b64 v[30:33], v22 offset1:4
	ds_read_u8 v29, v21 offset:4
	ds_read_u8 v34, v21
	ds_write_b8 v20, v28
	ds_write_b8 v20, v27 offset:4
	s_waitcnt lgkmcnt(4)
	ds_write2_b64 v22, v[32:33], v[30:31] offset1:4
	s_waitcnt lgkmcnt(4)
	ds_write_b8 v21, v29
	s_waitcnt lgkmcnt(4)
	ds_write_b8 v21, v34 offset:4
.LBB79_61:
	s_or_b64 exec, exec, s[10:11]
	s_waitcnt lgkmcnt(0)
	s_barrier
	ds_read_u8 v27, v13
	ds_read_u8 v28, v13 offset:2
                                        ; implicit-def: $sgpr14
	s_waitcnt lgkmcnt(0)
	v_cmp_le_u16_e64 s[10:11], v27, v28
	v_cmp_gt_u16_e64 s[4:5], v27, v28
	s_and_saveexec_b64 s[12:13], s[4:5]
	s_cbranch_execnz .LBB79_108
; %bb.62:
	s_or_b64 exec, exec, s[12:13]
	v_mov_b32_e32 v29, s14
	s_and_saveexec_b64 s[4:5], s[10:11]
	s_cbranch_execnz .LBB79_109
.LBB79_63:
	s_or_b64 exec, exec, s[4:5]
	v_cmp_eq_u32_e64 s[4:5], v29, v26
	s_and_saveexec_b64 s[10:11], s[4:5]
	s_cbranch_execz .LBB79_65
.LBB79_64:
	ds_read2_b64 v[30:33], v16 offset1:2
	ds_read_u8 v29, v14 offset:2
	ds_read_u8 v34, v14
	ds_write_b8 v13, v28
	ds_write_b8 v13, v27 offset:2
	s_waitcnt lgkmcnt(4)
	ds_write2_b64 v16, v[32:33], v[30:31] offset1:2
	s_waitcnt lgkmcnt(4)
	ds_write_b8 v14, v29
	s_waitcnt lgkmcnt(4)
	ds_write_b8 v14, v34 offset:2
.LBB79_65:
	s_or_b64 exec, exec, s[10:11]
	s_waitcnt lgkmcnt(0)
	s_barrier
	ds_read_u16 v27, v7
                                        ; implicit-def: $sgpr14
	s_waitcnt lgkmcnt(0)
	v_cmp_le_u16_sdwa s[10:11], v27, v27 src0_sel:BYTE_0 src1_sel:BYTE_1
	v_cmp_gt_u16_sdwa s[4:5], v27, v27 src0_sel:BYTE_0 src1_sel:BYTE_1
	s_and_saveexec_b64 s[12:13], s[4:5]
	s_cbranch_execnz .LBB79_110
; %bb.66:
	s_or_b64 exec, exec, s[12:13]
	v_mov_b32_e32 v28, s14
	s_and_saveexec_b64 s[4:5], s[10:11]
	s_cbranch_execnz .LBB79_111
.LBB79_67:
	s_or_b64 exec, exec, s[4:5]
	v_cmp_eq_u32_e64 s[4:5], v28, v26
	s_and_saveexec_b64 s[10:11], s[4:5]
	s_cbranch_execz .LBB79_69
.LBB79_68:
	v_add_u32_e32 v32, v5, v9
	ds_read_b128 v[28:31], v32
	ds_read_u16 v33, v6
	v_lshlrev_b16_e32 v26, 8, v27
	v_or_b32_sdwa v26, v27, v26 dst_sel:DWORD dst_unused:UNUSED_PAD src0_sel:BYTE_1 src1_sel:DWORD
	ds_write_b16 v7, v26
	s_waitcnt lgkmcnt(2)
	v_mov_b32_e32 v26, v30
	v_mov_b32_e32 v27, v31
	s_mov_b32 s4, 0xc0c0001
	ds_write_b128 v32, v[26:29]
	s_waitcnt lgkmcnt(2)
	v_perm_b32 v26, 0, v33, s4
	ds_write_b16 v6, v26
.LBB79_69:
	s_or_b64 exec, exec, s[10:11]
	v_and_b32_e32 v26, 15, v4
	v_sub_u32_e32 v27, v19, v26
	v_add_u32_e32 v18, v18, v27
	s_waitcnt lgkmcnt(0)
	s_barrier
	ds_read_u8 v19, v18
	ds_read_u8 v26, v18 offset:16
	v_add_u32_e32 v17, v17, v27
	s_waitcnt lgkmcnt(0)
	v_cmp_le_u16_e64 s[12:13], v19, v26
	v_cmp_gt_u16_e64 s[4:5], v19, v26
	s_and_saveexec_b64 s[10:11], s[4:5]
	s_cbranch_execz .LBB79_71
; %bb.70:
	ds_read_u8 v28, v17
	s_andn2_b64 s[12:13], s[12:13], exec
	s_waitcnt lgkmcnt(0)
	v_and_b32_e32 v28, 1, v28
	v_cmp_eq_u32_e64 s[4:5], 1, v28
	s_xor_b64 s[4:5], s[4:5], -1
	s_and_b64 s[4:5], s[4:5], exec
	s_or_b64 s[12:13], s[12:13], s[4:5]
.LBB79_71:
	s_or_b64 exec, exec, s[10:11]
	s_and_saveexec_b64 s[10:11], s[12:13]
	s_cbranch_execz .LBB79_74
; %bb.72:
	ds_read_u8 v28, v17 offset:16
	s_waitcnt lgkmcnt(0)
	v_cmp_ne_u16_e64 s[4:5], 0, v28
	s_and_b64 exec, exec, s[4:5]
	s_cbranch_execz .LBB79_74
; %bb.73:
	v_lshl_add_u32 v15, v27, 3, v15
	ds_read2_b64 v[30:33], v15 offset1:16
	ds_read_u8 v27, v17
	ds_write_b8 v18, v26
	ds_write_b8 v18, v19 offset:16
	ds_write_b8 v17, v28
	s_waitcnt lgkmcnt(4)
	ds_write2_b64 v15, v[32:33], v[30:31] offset1:16
	s_waitcnt lgkmcnt(4)
	ds_write_b8 v17, v27 offset:16
.LBB79_74:
	s_or_b64 exec, exec, s[10:11]
	s_waitcnt lgkmcnt(0)
	s_barrier
	ds_read_u8 v15, v23
	ds_read_u8 v17, v23 offset:8
	s_waitcnt lgkmcnt(0)
	v_cmp_le_u16_e64 s[12:13], v15, v17
	v_cmp_gt_u16_e64 s[4:5], v15, v17
	s_and_saveexec_b64 s[10:11], s[4:5]
	s_cbranch_execz .LBB79_76
; %bb.75:
	ds_read_u8 v18, v24
	s_andn2_b64 s[12:13], s[12:13], exec
	s_waitcnt lgkmcnt(0)
	v_and_b32_e32 v18, 1, v18
	v_cmp_eq_u32_e64 s[4:5], 1, v18
	s_xor_b64 s[4:5], s[4:5], -1
	s_and_b64 s[4:5], s[4:5], exec
	s_or_b64 s[12:13], s[12:13], s[4:5]
.LBB79_76:
	s_or_b64 exec, exec, s[10:11]
	s_and_saveexec_b64 s[10:11], s[12:13]
	s_cbranch_execz .LBB79_79
; %bb.77:
	ds_read_u8 v18, v24 offset:8
	s_waitcnt lgkmcnt(0)
	v_cmp_ne_u16_e64 s[4:5], 0, v18
	s_and_b64 exec, exec, s[4:5]
	s_cbranch_execz .LBB79_79
; %bb.78:
	ds_read2_b64 v[26:29], v25 offset1:8
	ds_read_u8 v19, v24
	ds_write_b8 v23, v17
	ds_write_b8 v23, v15 offset:8
	ds_write_b8 v24, v18
	s_waitcnt lgkmcnt(4)
	ds_write2_b64 v25, v[28:29], v[26:27] offset1:8
	s_waitcnt lgkmcnt(4)
	ds_write_b8 v24, v19 offset:8
.LBB79_79:
	s_or_b64 exec, exec, s[10:11]
	s_waitcnt lgkmcnt(0)
	s_barrier
	ds_read_u8 v15, v20
	ds_read_u8 v17, v20 offset:4
	s_waitcnt lgkmcnt(0)
	v_cmp_le_u16_e64 s[12:13], v15, v17
	v_cmp_gt_u16_e64 s[4:5], v15, v17
	s_and_saveexec_b64 s[10:11], s[4:5]
	s_cbranch_execz .LBB79_81
; %bb.80:
	ds_read_u8 v18, v21
	s_andn2_b64 s[12:13], s[12:13], exec
	s_waitcnt lgkmcnt(0)
	v_and_b32_e32 v18, 1, v18
	v_cmp_eq_u32_e64 s[4:5], 1, v18
	s_xor_b64 s[4:5], s[4:5], -1
	s_and_b64 s[4:5], s[4:5], exec
	s_or_b64 s[12:13], s[12:13], s[4:5]
.LBB79_81:
	s_or_b64 exec, exec, s[10:11]
	s_and_saveexec_b64 s[10:11], s[12:13]
	s_cbranch_execz .LBB79_84
; %bb.82:
	ds_read_u8 v18, v21 offset:4
	s_waitcnt lgkmcnt(0)
	v_cmp_ne_u16_e64 s[4:5], 0, v18
	s_and_b64 exec, exec, s[4:5]
	s_cbranch_execz .LBB79_84
; %bb.83:
	ds_read2_b64 v[24:27], v22 offset1:4
	ds_read_u8 v19, v21
	ds_write_b8 v20, v17
	ds_write_b8 v20, v15 offset:4
	ds_write_b8 v21, v18
	s_waitcnt lgkmcnt(4)
	ds_write2_b64 v22, v[26:27], v[24:25] offset1:4
	s_waitcnt lgkmcnt(4)
	ds_write_b8 v21, v19 offset:4
.LBB79_84:
	;; [unrolled: 40-line block ×3, first 2 shown]
	s_or_b64 exec, exec, s[10:11]
	s_waitcnt lgkmcnt(0)
	s_barrier
	ds_read_u16 v13, v7
	s_waitcnt lgkmcnt(0)
	v_cmp_le_u16_sdwa s[12:13], v13, v13 src0_sel:BYTE_0 src1_sel:BYTE_1
	v_cmp_gt_u16_sdwa s[4:5], v13, v13 src0_sel:BYTE_0 src1_sel:BYTE_1
	s_and_saveexec_b64 s[10:11], s[4:5]
	s_cbranch_execz .LBB79_91
; %bb.90:
	ds_read_u8 v14, v6
	s_andn2_b64 s[12:13], s[12:13], exec
	s_waitcnt lgkmcnt(0)
	v_and_b32_e32 v14, 1, v14
	v_cmp_eq_u32_e64 s[4:5], 1, v14
	s_xor_b64 s[4:5], s[4:5], -1
	s_and_b64 s[4:5], s[4:5], exec
	s_or_b64 s[12:13], s[12:13], s[4:5]
.LBB79_91:
	s_or_b64 exec, exec, s[10:11]
	s_and_saveexec_b64 s[10:11], s[12:13]
	s_cbranch_execz .LBB79_94
; %bb.92:
	ds_read_u8 v14, v6 offset:1
	s_waitcnt lgkmcnt(0)
	v_cmp_ne_u16_e64 s[4:5], 0, v14
	s_and_b64 exec, exec, s[4:5]
	s_cbranch_execz .LBB79_94
; %bb.93:
	v_add_u32_e32 v9, v5, v9
	v_lshlrev_b16_e32 v15, 8, v13
	ds_read_b128 v[16:19], v9
	v_or_b32_sdwa v13, v13, v15 dst_sel:DWORD dst_unused:UNUSED_PAD src0_sel:BYTE_1 src1_sel:DWORD
	ds_read_u8 v15, v6
	ds_write_b16 v7, v13
	s_waitcnt lgkmcnt(2)
	v_mov_b32_e32 v20, v16
	v_mov_b32_e32 v21, v17
	s_waitcnt lgkmcnt(1)
	v_lshlrev_b16_e32 v7, 8, v15
	v_or_b32_e32 v7, v14, v7
	ds_write_b128 v9, v[18:21]
	ds_write_b16 v6, v7
.LBB79_94:
	s_or_b64 exec, exec, s[10:11]
	s_waitcnt lgkmcnt(0)
	s_barrier
	s_and_saveexec_b64 s[4:5], vcc
	s_cbranch_execz .LBB79_99
; %bb.95:
	s_and_saveexec_b64 s[4:5], s[0:1]
	s_cbranch_execz .LBB79_97
; %bb.96:
	ds_read_u8 v9, v12
	v_mad_u64_u32 v[6:7], s[0:1], v4, s6, v[2:3]
	v_mov_b32_e32 v14, v7
	v_mad_u64_u32 v[12:13], s[0:1], v4, s7, v[14:15]
	v_mov_b32_e32 v7, v12
	s_waitcnt lgkmcnt(0)
	global_store_byte v[6:7], v9, off
	v_mad_u64_u32 v[6:7], s[0:1], v4, s8, 0
	v_mov_b32_e32 v14, v7
	ds_read_b64 v[12:13], v5
	v_mad_u64_u32 v[4:5], s[0:1], v4, s9, v[14:15]
	v_mov_b32_e32 v7, v4
	v_lshlrev_b64 v[4:5], 3, v[6:7]
	v_add_co_u32_e32 v4, vcc, v10, v4
	v_addc_co_u32_e32 v5, vcc, v11, v5, vcc
	s_waitcnt lgkmcnt(0)
	global_store_dwordx2 v[4:5], v[12:13], off
.LBB79_97:
	s_or_b64 exec, exec, s[4:5]
	s_and_b64 exec, exec, s[2:3]
	s_cbranch_execz .LBB79_99
; %bb.98:
	ds_read_u8 v6, v8
	v_mad_u64_u32 v[2:3], s[0:1], v0, s6, v[2:3]
	v_mov_b32_e32 v4, v3
	v_mad_u64_u32 v[4:5], s[0:1], v0, s7, v[4:5]
	v_mov_b32_e32 v3, v4
	ds_read_b64 v[4:5], v1
	s_waitcnt lgkmcnt(1)
	global_store_byte v[2:3], v6, off
	v_mad_u64_u32 v[2:3], s[0:1], v0, s8, 0
	v_mov_b32_e32 v6, v3
	v_mad_u64_u32 v[0:1], s[0:1], v0, s9, v[6:7]
	v_mov_b32_e32 v3, v0
	v_lshlrev_b64 v[0:1], 3, v[2:3]
	v_add_co_u32_e32 v0, vcc, v10, v0
	v_addc_co_u32_e32 v1, vcc, v11, v1, vcc
	s_waitcnt lgkmcnt(0)
	global_store_dwordx2 v[0:1], v[4:5], off
.LBB79_99:
	s_endpgm
.LBB79_100:
	ds_read_u8 v22, v6
	s_andn2_b64 s[10:11], s[10:11], exec
	s_mov_b32 s14, 1
	s_waitcnt lgkmcnt(0)
	v_and_b32_e32 v22, 1, v22
	v_cmp_eq_u32_e64 s[4:5], 1, v22
	s_xor_b64 s[4:5], s[4:5], -1
	s_and_b64 s[4:5], s[4:5], exec
	s_or_b64 s[10:11], s[10:11], s[4:5]
	s_or_b64 exec, exec, s[12:13]
	v_mov_b32_e32 v22, s14
	s_and_saveexec_b64 s[4:5], s[10:11]
	s_cbranch_execz .LBB79_35
.LBB79_101:
	ds_read_u8 v22, v6 offset:1
	s_waitcnt lgkmcnt(0)
	v_xor_b32_e32 v22, 1, v22
	s_or_b64 exec, exec, s[4:5]
	v_cmp_eq_u32_e64 s[4:5], v22, v20
	s_and_saveexec_b64 s[10:11], s[4:5]
	s_cbranch_execnz .LBB79_36
	s_branch .LBB79_37
.LBB79_102:
	ds_read_u8 v26, v14
	s_andn2_b64 s[10:11], s[10:11], exec
	s_mov_b32 s14, 1
	s_waitcnt lgkmcnt(0)
	v_and_b32_e32 v26, 1, v26
	v_cmp_eq_u32_e64 s[4:5], 1, v26
	s_xor_b64 s[4:5], s[4:5], -1
	s_and_b64 s[4:5], s[4:5], exec
	s_or_b64 s[10:11], s[10:11], s[4:5]
	s_or_b64 exec, exec, s[12:13]
	v_mov_b32_e32 v26, s14
	s_and_saveexec_b64 s[4:5], s[10:11]
	s_cbranch_execz .LBB79_45
.LBB79_103:
	ds_read_u8 v26, v14 offset:2
	s_waitcnt lgkmcnt(0)
	v_xor_b32_e32 v26, 1, v26
	s_or_b64 exec, exec, s[4:5]
	v_cmp_eq_u32_e64 s[4:5], v26, v23
	s_and_saveexec_b64 s[10:11], s[4:5]
	s_cbranch_execnz .LBB79_46
	s_branch .LBB79_47
.LBB79_104:
	ds_read_u8 v25, v6
	s_andn2_b64 s[10:11], s[10:11], exec
	s_mov_b32 s14, 1
	s_waitcnt lgkmcnt(0)
	v_and_b32_e32 v25, 1, v25
	v_cmp_eq_u32_e64 s[4:5], 1, v25
	s_xor_b64 s[4:5], s[4:5], -1
	s_and_b64 s[4:5], s[4:5], exec
	s_or_b64 s[10:11], s[10:11], s[4:5]
	s_or_b64 exec, exec, s[12:13]
	v_mov_b32_e32 v25, s14
	s_and_saveexec_b64 s[4:5], s[10:11]
	s_cbranch_execz .LBB79_49
.LBB79_105:
	ds_read_u8 v25, v6 offset:1
	s_waitcnt lgkmcnt(0)
	v_xor_b32_e32 v25, 1, v25
	s_or_b64 exec, exec, s[4:5]
	v_cmp_eq_u32_e64 s[4:5], v25, v23
	s_and_saveexec_b64 s[10:11], s[4:5]
	s_cbranch_execnz .LBB79_50
	s_branch .LBB79_51
.LBB79_106:
	ds_read_u8 v29, v21
	s_andn2_b64 s[10:11], s[10:11], exec
	s_mov_b32 s14, 1
	s_waitcnt lgkmcnt(0)
	v_and_b32_e32 v29, 1, v29
	v_cmp_eq_u32_e64 s[4:5], 1, v29
	s_xor_b64 s[4:5], s[4:5], -1
	s_and_b64 s[4:5], s[4:5], exec
	s_or_b64 s[10:11], s[10:11], s[4:5]
	s_or_b64 exec, exec, s[12:13]
	v_mov_b32_e32 v29, s14
	s_and_saveexec_b64 s[4:5], s[10:11]
	s_cbranch_execz .LBB79_59
.LBB79_107:
	ds_read_u8 v29, v21 offset:4
	s_waitcnt lgkmcnt(0)
	v_xor_b32_e32 v29, 1, v29
	s_or_b64 exec, exec, s[4:5]
	v_cmp_eq_u32_e64 s[4:5], v29, v26
	s_and_saveexec_b64 s[10:11], s[4:5]
	s_cbranch_execnz .LBB79_60
	s_branch .LBB79_61
.LBB79_108:
	ds_read_u8 v29, v14
	s_andn2_b64 s[10:11], s[10:11], exec
	s_mov_b32 s14, 1
	s_waitcnt lgkmcnt(0)
	v_and_b32_e32 v29, 1, v29
	v_cmp_eq_u32_e64 s[4:5], 1, v29
	s_xor_b64 s[4:5], s[4:5], -1
	s_and_b64 s[4:5], s[4:5], exec
	s_or_b64 s[10:11], s[10:11], s[4:5]
	s_or_b64 exec, exec, s[12:13]
	v_mov_b32_e32 v29, s14
	s_and_saveexec_b64 s[4:5], s[10:11]
	s_cbranch_execz .LBB79_63
.LBB79_109:
	ds_read_u8 v29, v14 offset:2
	s_waitcnt lgkmcnt(0)
	v_xor_b32_e32 v29, 1, v29
	s_or_b64 exec, exec, s[4:5]
	v_cmp_eq_u32_e64 s[4:5], v29, v26
	s_and_saveexec_b64 s[10:11], s[4:5]
	s_cbranch_execnz .LBB79_64
	s_branch .LBB79_65
.LBB79_110:
	ds_read_u8 v28, v6
	s_andn2_b64 s[10:11], s[10:11], exec
	s_mov_b32 s14, 1
	s_waitcnt lgkmcnt(0)
	v_and_b32_e32 v28, 1, v28
	v_cmp_eq_u32_e64 s[4:5], 1, v28
	s_xor_b64 s[4:5], s[4:5], -1
	s_and_b64 s[4:5], s[4:5], exec
	s_or_b64 s[10:11], s[10:11], s[4:5]
	s_or_b64 exec, exec, s[12:13]
	v_mov_b32_e32 v28, s14
	s_and_saveexec_b64 s[4:5], s[10:11]
	s_cbranch_execz .LBB79_67
.LBB79_111:
	ds_read_u8 v28, v6 offset:1
	s_waitcnt lgkmcnt(0)
	v_xor_b32_e32 v28, 1, v28
	s_or_b64 exec, exec, s[4:5]
	v_cmp_eq_u32_e64 s[4:5], v28, v26
	s_and_saveexec_b64 s[10:11], s[4:5]
	s_cbranch_execnz .LBB79_68
	s_branch .LBB79_69
	.section	.rodata,"a",@progbits
	.p2align	6, 0x0
	.amdhsa_kernel _ZN2at6native20bitonicSortKVInPlaceILin1ELin1ELi16ELi16EblNS0_4GTOpIbLb1EEEmEEvNS_4cuda6detail10TensorInfoIT3_T6_EES8_S8_S8_NS6_IT4_S8_EES8_T5_
		.amdhsa_group_segment_fixed_size 5120
		.amdhsa_private_segment_fixed_size 0
		.amdhsa_kernarg_size 1128
		.amdhsa_user_sgpr_count 6
		.amdhsa_user_sgpr_private_segment_buffer 1
		.amdhsa_user_sgpr_dispatch_ptr 0
		.amdhsa_user_sgpr_queue_ptr 0
		.amdhsa_user_sgpr_kernarg_segment_ptr 1
		.amdhsa_user_sgpr_dispatch_id 0
		.amdhsa_user_sgpr_flat_scratch_init 0
		.amdhsa_user_sgpr_kernarg_preload_length 0
		.amdhsa_user_sgpr_kernarg_preload_offset 0
		.amdhsa_user_sgpr_private_segment_size 0
		.amdhsa_uses_dynamic_stack 0
		.amdhsa_system_sgpr_private_segment_wavefront_offset 0
		.amdhsa_system_sgpr_workgroup_id_x 1
		.amdhsa_system_sgpr_workgroup_id_y 1
		.amdhsa_system_sgpr_workgroup_id_z 1
		.amdhsa_system_sgpr_workgroup_info 0
		.amdhsa_system_vgpr_workitem_id 1
		.amdhsa_next_free_vgpr 35
		.amdhsa_next_free_sgpr 21
		.amdhsa_accum_offset 36
		.amdhsa_reserve_vcc 1
		.amdhsa_reserve_flat_scratch 0
		.amdhsa_float_round_mode_32 0
		.amdhsa_float_round_mode_16_64 0
		.amdhsa_float_denorm_mode_32 3
		.amdhsa_float_denorm_mode_16_64 3
		.amdhsa_dx10_clamp 1
		.amdhsa_ieee_mode 1
		.amdhsa_fp16_overflow 0
		.amdhsa_tg_split 0
		.amdhsa_exception_fp_ieee_invalid_op 0
		.amdhsa_exception_fp_denorm_src 0
		.amdhsa_exception_fp_ieee_div_zero 0
		.amdhsa_exception_fp_ieee_overflow 0
		.amdhsa_exception_fp_ieee_underflow 0
		.amdhsa_exception_fp_ieee_inexact 0
		.amdhsa_exception_int_div_zero 0
	.end_amdhsa_kernel
	.section	.text._ZN2at6native20bitonicSortKVInPlaceILin1ELin1ELi16ELi16EblNS0_4GTOpIbLb1EEEmEEvNS_4cuda6detail10TensorInfoIT3_T6_EES8_S8_S8_NS6_IT4_S8_EES8_T5_,"axG",@progbits,_ZN2at6native20bitonicSortKVInPlaceILin1ELin1ELi16ELi16EblNS0_4GTOpIbLb1EEEmEEvNS_4cuda6detail10TensorInfoIT3_T6_EES8_S8_S8_NS6_IT4_S8_EES8_T5_,comdat
.Lfunc_end79:
	.size	_ZN2at6native20bitonicSortKVInPlaceILin1ELin1ELi16ELi16EblNS0_4GTOpIbLb1EEEmEEvNS_4cuda6detail10TensorInfoIT3_T6_EES8_S8_S8_NS6_IT4_S8_EES8_T5_, .Lfunc_end79-_ZN2at6native20bitonicSortKVInPlaceILin1ELin1ELi16ELi16EblNS0_4GTOpIbLb1EEEmEEvNS_4cuda6detail10TensorInfoIT3_T6_EES8_S8_S8_NS6_IT4_S8_EES8_T5_
                                        ; -- End function
	.section	.AMDGPU.csdata,"",@progbits
; Kernel info:
; codeLenInByte = 6556
; NumSgprs: 25
; NumVgprs: 35
; NumAgprs: 0
; TotalNumVgprs: 35
; ScratchSize: 0
; MemoryBound: 0
; FloatMode: 240
; IeeeMode: 1
; LDSByteSize: 5120 bytes/workgroup (compile time only)
; SGPRBlocks: 3
; VGPRBlocks: 4
; NumSGPRsForWavesPerEU: 25
; NumVGPRsForWavesPerEU: 35
; AccumOffset: 36
; Occupancy: 8
; WaveLimiterHint : 1
; COMPUTE_PGM_RSRC2:SCRATCH_EN: 0
; COMPUTE_PGM_RSRC2:USER_SGPR: 6
; COMPUTE_PGM_RSRC2:TRAP_HANDLER: 0
; COMPUTE_PGM_RSRC2:TGID_X_EN: 1
; COMPUTE_PGM_RSRC2:TGID_Y_EN: 1
; COMPUTE_PGM_RSRC2:TGID_Z_EN: 1
; COMPUTE_PGM_RSRC2:TIDIG_COMP_CNT: 1
; COMPUTE_PGM_RSRC3_GFX90A:ACCUM_OFFSET: 8
; COMPUTE_PGM_RSRC3_GFX90A:TG_SPLIT: 0
	.section	.text._ZN2at6native18radixSortKVInPlaceILin2ELin1ELi512ELi8EhljEEvNS_4cuda6detail10TensorInfoIT3_T5_EES6_S6_S6_NS4_IT4_S6_EES6_b,"axG",@progbits,_ZN2at6native18radixSortKVInPlaceILin2ELin1ELi512ELi8EhljEEvNS_4cuda6detail10TensorInfoIT3_T5_EES6_S6_S6_NS4_IT4_S6_EES6_b,comdat
	.protected	_ZN2at6native18radixSortKVInPlaceILin2ELin1ELi512ELi8EhljEEvNS_4cuda6detail10TensorInfoIT3_T5_EES6_S6_S6_NS4_IT4_S6_EES6_b ; -- Begin function _ZN2at6native18radixSortKVInPlaceILin2ELin1ELi512ELi8EhljEEvNS_4cuda6detail10TensorInfoIT3_T5_EES6_S6_S6_NS4_IT4_S6_EES6_b
	.globl	_ZN2at6native18radixSortKVInPlaceILin2ELin1ELi512ELi8EhljEEvNS_4cuda6detail10TensorInfoIT3_T5_EES6_S6_S6_NS4_IT4_S6_EES6_b
	.p2align	8
	.type	_ZN2at6native18radixSortKVInPlaceILin2ELin1ELi512ELi8EhljEEvNS_4cuda6detail10TensorInfoIT3_T5_EES6_S6_S6_NS4_IT4_S6_EES6_b,@function
_ZN2at6native18radixSortKVInPlaceILin2ELin1ELi512ELi8EhljEEvNS_4cuda6detail10TensorInfoIT3_T5_EES6_S6_S6_NS4_IT4_S6_EES6_b: ; @_ZN2at6native18radixSortKVInPlaceILin2ELin1ELi512ELi8EhljEEvNS_4cuda6detail10TensorInfoIT3_T5_EES6_S6_S6_NS4_IT4_S6_EES6_b
; %bb.0:
	s_load_dwordx2 s[0:1], s[4:5], 0x1c8
	s_load_dwordx4 s[36:39], s[4:5], 0xd8
	s_add_u32 s42, s4, 0x1c8
	s_addc_u32 s43, s5, 0
	s_waitcnt lgkmcnt(0)
	s_mul_i32 s1, s1, s8
	s_add_i32 s1, s1, s7
	s_mul_i32 s0, s1, s0
	s_add_i32 s6, s0, s6
	s_cmp_ge_u32 s6, s36
	s_cbranch_scc1 .LBB80_102
; %bb.1:
	s_load_dword s2, s[4:5], 0x1b8
	s_load_dwordx2 s[0:1], s[4:5], 0x0
	s_add_u32 s14, s4, 0xe8
	s_addc_u32 s15, s5, 0
	s_mov_b32 s17, 0
	s_waitcnt lgkmcnt(0)
	s_cmp_lt_i32 s2, 2
	s_mov_b32 s16, s6
	s_cbranch_scc1 .LBB80_4
; %bb.2:
	s_add_i32 s16, s2, -1
	s_add_i32 s7, s2, 1
	s_lshl_b64 s[2:3], s[16:17], 2
	s_add_u32 s2, s2, s14
	s_addc_u32 s3, s3, s15
	s_add_u32 s2, s2, 8
	s_addc_u32 s3, s3, 0
	s_mov_b32 s16, s6
.LBB80_3:                               ; =>This Inner Loop Header: Depth=1
	s_load_dword s8, s[2:3], 0x0
	s_load_dword s10, s[2:3], 0x64
	s_mov_b32 s9, s16
	s_waitcnt lgkmcnt(0)
	v_cvt_f32_u32_e32 v1, s8
	s_sub_i32 s11, 0, s8
	v_rcp_iflag_f32_e32 v1, v1
	v_mul_f32_e32 v1, 0x4f7ffffe, v1
	v_cvt_u32_f32_e32 v1, v1
	v_readfirstlane_b32 s12, v1
	s_mul_i32 s11, s11, s12
	s_mul_hi_u32 s11, s12, s11
	s_add_i32 s12, s12, s11
	s_mul_hi_u32 s11, s16, s12
	s_mul_i32 s12, s11, s8
	s_sub_i32 s12, s16, s12
	s_add_i32 s13, s11, 1
	s_sub_i32 s16, s12, s8
	s_cmp_ge_u32 s12, s8
	s_cselect_b32 s11, s13, s11
	s_cselect_b32 s12, s16, s12
	s_add_i32 s13, s11, 1
	s_cmp_ge_u32 s12, s8
	s_cselect_b32 s16, s13, s11
	s_mul_i32 s8, s16, s8
	s_sub_i32 s8, s9, s8
	s_mul_i32 s8, s10, s8
	s_add_i32 s7, s7, -1
	s_add_i32 s17, s8, s17
	s_add_u32 s2, s2, -4
	s_addc_u32 s3, s3, -1
	s_cmp_gt_u32 s7, 2
	s_cbranch_scc1 .LBB80_3
.LBB80_4:
	s_load_dword s2, s[4:5], 0x6c
	s_load_dwordx2 s[34:35], s[4:5], 0x1c0
	v_and_b32_e32 v36, 0x3ff, v0
	v_mul_lo_u32 v37, v36, s38
	s_waitcnt lgkmcnt(0)
	s_mul_i32 s4, s2, s6
	s_bitcmp1_b32 s35, 0
	s_cselect_b64 s[2:3], -1, 0
	s_add_u32 s40, s0, s4
	s_addc_u32 s41, s1, 0
	s_xor_b64 s[44:45], s[2:3], -1
	v_cndmask_b32_e64 v1, 0, -1, s[44:45]
	v_lshlrev_b16_e32 v2, 8, v1
	v_or_b32_sdwa v2, v1, v2 dst_sel:DWORD dst_unused:UNUSED_PAD src0_sel:BYTE_0 src1_sel:DWORD
	v_lshlrev_b32_e32 v3, 16, v2
	v_or_b32_sdwa v2, v2, v3 dst_sel:DWORD dst_unused:UNUSED_PAD src0_sel:WORD_0 src1_sel:DWORD
	v_mov_b32_e32 v3, v2
	v_cmp_gt_u32_e64 s[0:1], s37, v36
	s_and_saveexec_b64 s[2:3], s[0:1]
	s_cbranch_execz .LBB80_6
; %bb.5:
	global_load_ubyte v1, v37, s[40:41]
	s_mov_b32 s4, 0x3020104
	v_mov_b32_e32 v5, v2
	s_waitcnt vmcnt(0)
	v_perm_b32 v4, v1, v2, s4
	v_pk_mov_b32 v[2:3], v[4:5], v[4:5] op_sel:[0,1]
.LBB80_6:
	s_or_b64 exec, exec, s[2:3]
	v_add_u32_e32 v32, 0x200, v36
	v_cmp_gt_u32_e64 s[2:3], s37, v32
	s_and_saveexec_b64 s[4:5], s[2:3]
	s_cbranch_execz .LBB80_8
; %bb.7:
	v_mul_lo_u32 v4, v32, s38
	global_load_ubyte v4, v4, s[40:41]
	s_mov_b32 s6, 0x7060004
	s_waitcnt vmcnt(0)
	v_perm_b32 v2, v2, v4, s6
.LBB80_8:
	s_or_b64 exec, exec, s[4:5]
	v_or_b32_e32 v31, 0x400, v36
	v_cmp_gt_u32_e64 s[4:5], s37, v31
	s_and_saveexec_b64 s[6:7], s[4:5]
	s_cbranch_execz .LBB80_10
; %bb.9:
	v_mul_lo_u32 v4, v31, s38
	global_load_ubyte v4, v4, s[40:41]
	s_movk_i32 s8, 0xff00
	v_and_b32_sdwa v5, v2, s8 dst_sel:DWORD dst_unused:UNUSED_PAD src0_sel:WORD_1 src1_sel:DWORD
	s_mov_b32 s8, 0xffff
	s_waitcnt vmcnt(0)
	v_or_b32_sdwa v4, v4, v5 dst_sel:WORD_1 dst_unused:UNUSED_PAD src0_sel:DWORD src1_sel:DWORD
	v_and_or_b32 v2, v2, s8, v4
.LBB80_10:
	s_or_b64 exec, exec, s[6:7]
	v_add_u32_e32 v30, 0x600, v36
	v_cmp_gt_u32_e64 s[6:7], s37, v30
	s_and_saveexec_b64 s[8:9], s[6:7]
	s_cbranch_execz .LBB80_12
; %bb.11:
	v_mul_lo_u32 v4, v30, s38
	global_load_ubyte v4, v4, s[40:41]
	s_movk_i32 s10, 0xff
	v_and_b32_sdwa v5, v2, s10 dst_sel:DWORD dst_unused:UNUSED_PAD src0_sel:WORD_1 src1_sel:DWORD
	s_mov_b32 s10, 0xffff
	s_waitcnt vmcnt(0)
	v_lshlrev_b16_e32 v4, 8, v4
	v_or_b32_sdwa v4, v5, v4 dst_sel:WORD_1 dst_unused:UNUSED_PAD src0_sel:DWORD src1_sel:DWORD
	v_and_or_b32 v2, v2, s10, v4
.LBB80_12:
	s_or_b64 exec, exec, s[8:9]
	v_or_b32_e32 v29, 0x800, v36
	v_cmp_gt_u32_e64 s[8:9], s37, v29
	s_and_saveexec_b64 s[10:11], s[8:9]
	s_cbranch_execz .LBB80_14
; %bb.13:
	v_mul_lo_u32 v4, v29, s38
	global_load_ubyte v4, v4, s[40:41]
	s_mov_b32 s12, 0x3020104
	s_waitcnt vmcnt(0)
	v_perm_b32 v3, v4, v3, s12
.LBB80_14:
	s_or_b64 exec, exec, s[10:11]
	v_add_u32_e32 v28, 0xa00, v36
	v_cmp_gt_u32_e64 s[10:11], s37, v28
	s_and_saveexec_b64 s[12:13], s[10:11]
	s_cbranch_execz .LBB80_16
; %bb.15:
	v_mul_lo_u32 v4, v28, s38
	global_load_ubyte v4, v4, s[40:41]
	s_mov_b32 s18, 0x7060004
	s_waitcnt vmcnt(0)
	v_perm_b32 v3, v3, v4, s18
.LBB80_16:
	s_or_b64 exec, exec, s[12:13]
	s_load_dwordx2 s[18:19], s[14:15], 0x0
	v_or_b32_e32 v27, 0xc00, v36
	v_cmp_gt_u32_e64 s[12:13], s37, v27
	s_and_saveexec_b64 s[20:21], s[12:13]
	s_cbranch_execz .LBB80_18
; %bb.17:
	v_mul_lo_u32 v4, v27, s38
	global_load_ubyte v4, v4, s[40:41]
	s_mov_b32 s22, 0x7000504
	s_waitcnt vmcnt(0)
	v_perm_b32 v3, v3, v4, s22
.LBB80_18:
	s_or_b64 exec, exec, s[20:21]
	s_load_dword s22, s[14:15], 0x6c
	v_add_u32_e32 v22, 0xe00, v36
	v_cmp_gt_u32_e64 s[14:15], s37, v22
	s_and_saveexec_b64 s[20:21], s[14:15]
	s_cbranch_execz .LBB80_20
; %bb.19:
	v_mul_lo_u32 v4, v22, s38
	global_load_ubyte v4, v4, s[40:41]
	s_mov_b32 s23, 0x60504
	s_waitcnt vmcnt(0)
	v_perm_b32 v3, v3, v4, s23
.LBB80_20:
	s_or_b64 exec, exec, s[20:21]
	v_lshrrev_b32_e32 v26, 5, v36
	v_and_b32_e32 v4, 28, v26
	v_add_u32_e32 v44, v4, v36
	v_lshrrev_b32_e32 v25, 5, v32
	ds_write_b8 v44, v1
	v_and_b32_e32 v1, 60, v25
	v_lshrrev_b32_e32 v24, 5, v31
	v_add_u32_e32 v45, v1, v36
	v_and_b32_e32 v1, 60, v24
	v_lshrrev_b32_e32 v23, 5, v30
	v_add_u32_e32 v46, v1, v36
	;; [unrolled: 3-line block ×3, first 2 shown]
	v_and_b32_e32 v1, 0x5c, v21
	v_lshrrev_b32_e32 v19, 5, v28
	v_lshrrev_b32_e32 v4, 8, v2
	v_add_u32_e32 v48, v1, v36
	v_and_b32_e32 v1, 0x7c, v19
	v_lshrrev_b32_e32 v18, 5, v27
	ds_write_b8 v45, v4 offset:512
	ds_write_b8_d16_hi v46, v2 offset:1024
	v_lshrrev_b32_e32 v2, 24, v2
	v_add_u32_e32 v49, v1, v36
	v_and_b32_e32 v1, 0x7c, v18
	ds_write_b8 v47, v2 offset:1536
	v_lshrrev_b32_e32 v2, 8, v3
	v_add_u32_e32 v50, v1, v36
	v_lshrrev_b32_e32 v1, 5, v22
	ds_write_b8 v48, v3 offset:2048
	ds_write_b8 v49, v2 offset:2560
	v_and_b32_e32 v2, 0xfc, v1
	v_lshrrev_b32_e32 v20, 2, v36
	v_add_u32_e32 v51, v2, v36
	v_lshlrev_b32_e32 v53, 3, v36
	v_and_b32_e32 v2, 0xfc, v20
	s_waitcnt lgkmcnt(0)
	s_mul_i32 s16, s22, s16
	ds_write_b8_d16_hi v50, v3 offset:3072
	v_lshrrev_b32_e32 v3, 24, v3
	v_add_u32_e32 v52, v2, v53
	s_add_i32 s16, s16, s17
	s_mov_b32 s17, 0
	ds_write_b8 v51, v3 offset:3584
	s_waitcnt lgkmcnt(0)
	s_barrier
	ds_read_b64 v[38:39], v52
	s_lshl_b64 s[20:21], s[16:17], 3
	s_add_u32 s33, s18, s20
	s_mov_b32 s16, s17
	s_addc_u32 s35, s19, s21
	s_mov_b32 s18, s17
	s_mov_b32 s19, s17
	;; [unrolled: 1-line block ×14, first 2 shown]
	v_pk_mov_b32 v[2:3], s[16:17], s[16:17] op_sel:[0,1]
	v_pk_mov_b32 v[4:5], s[18:19], s[18:19] op_sel:[0,1]
	;; [unrolled: 1-line block ×8, first 2 shown]
	v_pk_mov_b32 v[2:3], 0, 0
	v_mul_lo_u32 v34, v36, s34
	s_waitcnt lgkmcnt(0)
	s_barrier
	s_and_saveexec_b64 s[16:17], s[0:1]
	s_cbranch_execnz .LBB80_53
; %bb.21:
	s_or_b64 exec, exec, s[16:17]
	s_and_saveexec_b64 s[16:17], s[2:3]
	s_cbranch_execnz .LBB80_54
.LBB80_22:
	s_or_b64 exec, exec, s[16:17]
	s_and_saveexec_b64 s[16:17], s[4:5]
	s_cbranch_execnz .LBB80_55
.LBB80_23:
	s_or_b64 exec, exec, s[16:17]
	s_and_saveexec_b64 s[16:17], s[6:7]
	s_cbranch_execnz .LBB80_56
.LBB80_24:
	s_or_b64 exec, exec, s[16:17]
	s_and_saveexec_b64 s[16:17], s[8:9]
	s_cbranch_execnz .LBB80_57
.LBB80_25:
	s_or_b64 exec, exec, s[16:17]
	s_and_saveexec_b64 s[16:17], s[10:11]
	s_cbranch_execnz .LBB80_58
.LBB80_26:
	s_or_b64 exec, exec, s[16:17]
	s_and_saveexec_b64 s[16:17], s[12:13]
	s_cbranch_execnz .LBB80_59
.LBB80_27:
	s_or_b64 exec, exec, s[16:17]
	s_and_saveexec_b64 s[16:17], s[14:15]
	s_cbranch_execz .LBB80_29
.LBB80_28:
	v_mul_lo_u32 v16, v22, s34
	v_mov_b32_e32 v17, 0
	v_lshlrev_b64 v[16:17], 3, v[16:17]
	v_mov_b32_e32 v22, s35
	v_add_co_u32_e32 v16, vcc, s33, v16
	v_addc_co_u32_e32 v17, vcc, v22, v17, vcc
	global_load_dwordx2 v[16:17], v[16:17], off
.LBB80_29:
	s_or_b64 exec, exec, s[16:17]
	v_lshrrev_b64 v[40:41], 24, v[38:39]
	v_add_lshl_u32 v41, v26, v36, 3
	v_add_lshl_u32 v35, v25, v36, 3
	v_add_lshl_u32 v54, v24, v36, 3
	v_add_lshl_u32 v55, v23, v36, 3
	v_add_lshl_u32 v56, v21, v36, 3
	v_add_lshl_u32 v57, v19, v36, 3
	v_add_lshl_u32 v58, v18, v36, 3
	v_add_lshl_u32 v59, v1, v36, 3
	v_add_lshl_u32 v60, v20, v53, 3
	s_waitcnt vmcnt(0)
	ds_write_b64 v41, v[2:3]
	ds_write_b64 v35, v[4:5] offset:4096
	ds_write_b64 v54, v[6:7] offset:8192
	;; [unrolled: 1-line block ×7, first 2 shown]
	s_waitcnt lgkmcnt(0)
	s_barrier
	ds_read2_b64 v[14:17], v60 offset1:1
	ds_read2_b64 v[10:13], v60 offset0:2 offset1:3
	ds_read2_b64 v[6:9], v60 offset0:4 offset1:5
	;; [unrolled: 1-line block ×3, first 2 shown]
	v_lshrrev_b32_e32 v64, 8, v38
	v_lshrrev_b32_e32 v65, 8, v39
	s_and_b64 vcc, exec, s[44:45]
	v_bfe_u32 v62, v0, 10, 10
	v_bfe_u32 v63, v0, 20, 10
	v_mbcnt_lo_u32_b32 v66, -1, 0
	v_lshlrev_b32_e32 v61, 4, v36
	s_waitcnt lgkmcnt(0)
	s_barrier
	s_cbranch_vccz .LBB80_60
; %bb.30:
	s_movk_i32 s16, 0xff
	v_mov_b32_e32 v1, 8
	v_lshlrev_b16_e32 v0, 8, v65
	v_lshlrev_b16_sdwa v1, v1, v39 dst_sel:DWORD dst_unused:UNUSED_PAD src0_sel:DWORD src1_sel:BYTE_3
	v_and_b32_sdwa v20, v39, s16 dst_sel:DWORD dst_unused:UNUSED_PAD src0_sel:WORD_1 src1_sel:DWORD
	v_or_b32_sdwa v0, v39, v0 dst_sel:DWORD dst_unused:UNUSED_PAD src0_sel:BYTE_0 src1_sel:DWORD
	v_or_b32_sdwa v1, v20, v1 dst_sel:WORD_1 dst_unused:UNUSED_PAD src0_sel:DWORD src1_sel:DWORD
	v_mbcnt_hi_u32_b32 v75, -1, v66
	v_and_b32_e32 v76, 0x3c0, v36
	v_or_b32_sdwa v1, v0, v1 dst_sel:DWORD dst_unused:UNUSED_PAD src0_sel:WORD_0 src1_sel:DWORD
	v_lshlrev_b16_e32 v0, 8, v64
	v_lshlrev_b16_e32 v20, 8, v40
	v_and_b32_sdwa v21, v38, s16 dst_sel:DWORD dst_unused:UNUSED_PAD src0_sel:WORD_1 src1_sel:DWORD
	v_add_u32_e32 v18, v75, v76
	v_or_b32_sdwa v0, v38, v0 dst_sel:DWORD dst_unused:UNUSED_PAD src0_sel:BYTE_0 src1_sel:DWORD
	v_or_b32_sdwa v20, v21, v20 dst_sel:WORD_1 dst_unused:UNUSED_PAD src0_sel:DWORD src1_sel:DWORD
	v_lshlrev_b32_e32 v19, 3, v18
	v_or_b32_sdwa v0, v0, v20 dst_sel:DWORD dst_unused:UNUSED_PAD src0_sel:WORD_0 src1_sel:DWORD
	s_movk_i32 s16, 0x1e00
	ds_write_b64 v19, v[0:1]
	v_and_or_b32 v0, v53, s16, v75
	; wave barrier
	ds_read_u8 v67, v0
	ds_read_u8 v68, v0 offset:64
	ds_read_u8 v69, v0 offset:128
	;; [unrolled: 1-line block ×7, first 2 shown]
	v_lshlrev_b32_e32 v1, 6, v18
	v_lshlrev_b32_e32 v0, 3, v0
	s_getpc_b64 s[16:17]
	s_add_u32 s16, s16, _ZN7rocprim17ROCPRIM_400000_NS16block_radix_sortIhLj512ELj8ElLj1ELj1ELj0ELNS0_26block_radix_rank_algorithmE1ELNS0_18block_padding_hintE2ELNS0_4arch9wavefront6targetE1EE19radix_bits_per_passE@rel32@lo+4
	s_addc_u32 s17, s17, _ZN7rocprim17ROCPRIM_400000_NS16block_radix_sortIhLj512ELj8ElLj1ELj1ELj0ELNS0_26block_radix_rank_algorithmE1ELNS0_18block_padding_hintE2ELNS0_4arch9wavefront6targetE1EE19radix_bits_per_passE@rel32@hi+12
	s_waitcnt lgkmcnt(0)
	s_barrier
	ds_write2_b64 v1, v[14:15], v[16:17] offset1:1
	ds_write2_b64 v1, v[10:11], v[12:13] offset0:2 offset1:3
	ds_write2_b64 v1, v[6:7], v[8:9] offset0:4 offset1:5
	;; [unrolled: 1-line block ×3, first 2 shown]
	; wave barrier
	ds_read2st64_b64 v[30:33], v0 offset1:1
	ds_read2st64_b64 v[26:29], v0 offset0:2 offset1:3
	ds_read2st64_b64 v[22:25], v0 offset0:4 offset1:5
	;; [unrolled: 1-line block ×3, first 2 shown]
	s_waitcnt lgkmcnt(0)
	s_barrier
	s_load_dword s18, s[16:17], 0x0
	s_load_dword s19, s[42:43], 0xc
	v_mov_b32_e32 v79, 3
	v_mov_b32_e32 v0, 0
	ds_write2_b32 v61, v0, v0 offset0:8 offset1:9
	ds_write2_b32 v61, v0, v0 offset0:10 offset1:11
	s_waitcnt lgkmcnt(0)
	s_min_u32 s18, s18, 8
	s_lshr_b32 s16, s19, 16
	s_and_b32 s17, s19, 0xffff
	v_mad_u32_u24 v1, v63, s16, v62
	v_mad_u64_u32 v[42:43], s[16:17], v1, s17, v[36:37]
	s_lshl_b32 s16, -1, s18
	s_not_b32 s18, s16
	v_lshrrev_b32_e32 v83, 6, v42
	v_and_b32_e32 v42, s18, v67
	v_lshlrev_b32_sdwa v1, v79, v42 dst_sel:DWORD dst_unused:UNUSED_PAD src0_sel:DWORD src1_sel:BYTE_0
	v_add_lshl_u32 v77, v83, v1, 2
	v_and_b32_e32 v1, 1, v42
	v_add_co_u32_e32 v43, vcc, -1, v1
	v_addc_co_u32_e64 v78, s[16:17], 0, -1, vcc
	v_cmp_ne_u32_e32 vcc, 0, v1
	v_xor_b32_e32 v1, vcc_hi, v78
	v_and_b32_e32 v78, exec_hi, v1
	v_lshlrev_b32_e32 v1, 30, v42
	v_xor_b32_e32 v43, vcc_lo, v43
	v_cmp_gt_i64_e32 vcc, 0, v[0:1]
	v_not_b32_e32 v1, v1
	v_ashrrev_i32_e32 v1, 31, v1
	v_and_b32_e32 v43, exec_lo, v43
	v_xor_b32_e32 v80, vcc_hi, v1
	v_xor_b32_e32 v1, vcc_lo, v1
	v_and_b32_e32 v43, v43, v1
	v_lshlrev_b32_e32 v1, 29, v42
	v_cmp_gt_i64_e32 vcc, 0, v[0:1]
	v_not_b32_e32 v1, v1
	v_ashrrev_i32_e32 v1, 31, v1
	v_and_b32_e32 v78, v78, v80
	v_xor_b32_e32 v80, vcc_hi, v1
	v_xor_b32_e32 v1, vcc_lo, v1
	v_and_b32_e32 v43, v43, v1
	v_lshlrev_b32_e32 v1, 28, v42
	v_cmp_gt_i64_e32 vcc, 0, v[0:1]
	v_not_b32_e32 v1, v1
	v_ashrrev_i32_e32 v1, 31, v1
	v_and_b32_e32 v78, v78, v80
	;; [unrolled: 8-line block ×5, first 2 shown]
	v_xor_b32_e32 v80, vcc_hi, v1
	v_xor_b32_e32 v1, vcc_lo, v1
	v_and_b32_e32 v78, v78, v80
	v_and_b32_e32 v80, v43, v1
	v_lshlrev_b32_e32 v1, 24, v42
	v_cmp_gt_i64_e32 vcc, 0, v[0:1]
	v_not_b32_e32 v1, v1
	v_ashrrev_i32_e32 v1, 31, v1
	v_xor_b32_e32 v42, vcc_hi, v1
	v_xor_b32_e32 v1, vcc_lo, v1
	v_and_b32_e32 v43, v78, v42
	v_and_b32_e32 v42, v80, v1
	v_mbcnt_lo_u32_b32 v1, v42, 0
	v_mbcnt_hi_u32_b32 v78, v43, v1
	v_cmp_eq_u32_e32 vcc, 0, v78
	v_cmp_ne_u64_e64 s[16:17], 0, v[42:43]
	s_and_b64 s[20:21], s[16:17], vcc
	s_barrier
	s_waitcnt lgkmcnt(0)
	; wave barrier
	s_and_saveexec_b64 s[16:17], s[20:21]
	s_cbranch_execz .LBB80_32
; %bb.31:
	v_bcnt_u32_b32 v1, v42, 0
	v_bcnt_u32_b32 v1, v43, v1
	ds_write_b32 v77, v1 offset:32
.LBB80_32:
	s_or_b64 exec, exec, s[16:17]
	v_and_b32_e32 v42, s18, v68
	v_lshlrev_b32_sdwa v1, v79, v42 dst_sel:DWORD dst_unused:UNUSED_PAD src0_sel:DWORD src1_sel:BYTE_0
	v_add_lshl_u32 v80, v83, v1, 2
	v_and_b32_e32 v1, 1, v42
	v_add_co_u32_e32 v43, vcc, -1, v1
	v_addc_co_u32_e64 v81, s[16:17], 0, -1, vcc
	v_cmp_ne_u32_e32 vcc, 0, v1
	v_xor_b32_e32 v1, vcc_hi, v81
	v_and_b32_e32 v81, exec_hi, v1
	v_lshlrev_b32_e32 v1, 30, v42
	v_xor_b32_e32 v43, vcc_lo, v43
	v_cmp_gt_i64_e32 vcc, 0, v[0:1]
	v_not_b32_e32 v1, v1
	v_ashrrev_i32_e32 v1, 31, v1
	v_and_b32_e32 v43, exec_lo, v43
	v_xor_b32_e32 v82, vcc_hi, v1
	v_xor_b32_e32 v1, vcc_lo, v1
	v_and_b32_e32 v43, v43, v1
	v_lshlrev_b32_e32 v1, 29, v42
	v_cmp_gt_i64_e32 vcc, 0, v[0:1]
	v_not_b32_e32 v1, v1
	v_ashrrev_i32_e32 v1, 31, v1
	v_and_b32_e32 v81, v81, v82
	v_xor_b32_e32 v82, vcc_hi, v1
	v_xor_b32_e32 v1, vcc_lo, v1
	v_and_b32_e32 v43, v43, v1
	v_lshlrev_b32_e32 v1, 28, v42
	v_cmp_gt_i64_e32 vcc, 0, v[0:1]
	v_not_b32_e32 v1, v1
	v_ashrrev_i32_e32 v1, 31, v1
	v_and_b32_e32 v81, v81, v82
	v_xor_b32_e32 v82, vcc_hi, v1
	v_xor_b32_e32 v1, vcc_lo, v1
	v_and_b32_e32 v43, v43, v1
	v_lshlrev_b32_e32 v1, 27, v42
	v_cmp_gt_i64_e32 vcc, 0, v[0:1]
	v_not_b32_e32 v1, v1
	v_ashrrev_i32_e32 v1, 31, v1
	v_and_b32_e32 v81, v81, v82
	v_xor_b32_e32 v82, vcc_hi, v1
	v_xor_b32_e32 v1, vcc_lo, v1
	v_and_b32_e32 v43, v43, v1
	v_lshlrev_b32_e32 v1, 26, v42
	v_cmp_gt_i64_e32 vcc, 0, v[0:1]
	v_not_b32_e32 v1, v1
	v_ashrrev_i32_e32 v1, 31, v1
	v_and_b32_e32 v81, v81, v82
	v_xor_b32_e32 v82, vcc_hi, v1
	v_xor_b32_e32 v1, vcc_lo, v1
	v_and_b32_e32 v43, v43, v1
	v_lshlrev_b32_e32 v1, 25, v42
	v_cmp_gt_i64_e32 vcc, 0, v[0:1]
	v_not_b32_e32 v1, v1
	v_ashrrev_i32_e32 v1, 31, v1
	v_and_b32_e32 v81, v81, v82
	v_xor_b32_e32 v82, vcc_hi, v1
	v_xor_b32_e32 v1, vcc_lo, v1
	v_and_b32_e32 v43, v43, v1
	v_lshlrev_b32_e32 v1, 24, v42
	v_cmp_gt_i64_e32 vcc, 0, v[0:1]
	v_not_b32_e32 v0, v1
	v_ashrrev_i32_e32 v0, 31, v0
	v_xor_b32_e32 v1, vcc_hi, v0
	v_xor_b32_e32 v0, vcc_lo, v0
	; wave barrier
	ds_read_b32 v79, v80 offset:32
	v_and_b32_e32 v81, v81, v82
	v_and_b32_e32 v0, v43, v0
	;; [unrolled: 1-line block ×3, first 2 shown]
	v_mbcnt_lo_u32_b32 v42, v0, 0
	v_mbcnt_hi_u32_b32 v81, v1, v42
	v_cmp_eq_u32_e32 vcc, 0, v81
	v_cmp_ne_u64_e64 s[16:17], 0, v[0:1]
	s_and_b64 s[20:21], s[16:17], vcc
	; wave barrier
	s_and_saveexec_b64 s[16:17], s[20:21]
	s_cbranch_execz .LBB80_34
; %bb.33:
	v_bcnt_u32_b32 v0, v0, 0
	v_bcnt_u32_b32 v0, v1, v0
	s_waitcnt lgkmcnt(0)
	v_add_u32_e32 v0, v79, v0
	ds_write_b32 v80, v0 offset:32
.LBB80_34:
	s_or_b64 exec, exec, s[16:17]
	v_and_b32_e32 v42, s18, v69
	v_and_b32_e32 v1, 1, v42
	v_add_co_u32_e32 v43, vcc, -1, v1
	v_mov_b32_e32 v86, 3
	v_addc_co_u32_e64 v85, s[16:17], 0, -1, vcc
	v_cmp_ne_u32_e32 vcc, 0, v1
	v_lshlrev_b32_sdwa v0, v86, v42 dst_sel:DWORD dst_unused:UNUSED_PAD src0_sel:DWORD src1_sel:BYTE_0
	v_xor_b32_e32 v1, vcc_hi, v85
	v_add_lshl_u32 v84, v83, v0, 2
	v_mov_b32_e32 v0, 0
	v_and_b32_e32 v85, exec_hi, v1
	v_lshlrev_b32_e32 v1, 30, v42
	v_xor_b32_e32 v43, vcc_lo, v43
	v_cmp_gt_i64_e32 vcc, 0, v[0:1]
	v_not_b32_e32 v1, v1
	v_ashrrev_i32_e32 v1, 31, v1
	v_and_b32_e32 v43, exec_lo, v43
	v_xor_b32_e32 v87, vcc_hi, v1
	v_xor_b32_e32 v1, vcc_lo, v1
	v_and_b32_e32 v43, v43, v1
	v_lshlrev_b32_e32 v1, 29, v42
	v_cmp_gt_i64_e32 vcc, 0, v[0:1]
	v_not_b32_e32 v1, v1
	v_ashrrev_i32_e32 v1, 31, v1
	v_and_b32_e32 v85, v85, v87
	v_xor_b32_e32 v87, vcc_hi, v1
	v_xor_b32_e32 v1, vcc_lo, v1
	v_and_b32_e32 v43, v43, v1
	v_lshlrev_b32_e32 v1, 28, v42
	v_cmp_gt_i64_e32 vcc, 0, v[0:1]
	v_not_b32_e32 v1, v1
	v_ashrrev_i32_e32 v1, 31, v1
	v_and_b32_e32 v85, v85, v87
	;; [unrolled: 8-line block ×5, first 2 shown]
	v_xor_b32_e32 v87, vcc_hi, v1
	v_xor_b32_e32 v1, vcc_lo, v1
	v_and_b32_e32 v85, v85, v87
	v_and_b32_e32 v87, v43, v1
	v_lshlrev_b32_e32 v1, 24, v42
	v_cmp_gt_i64_e32 vcc, 0, v[0:1]
	v_not_b32_e32 v1, v1
	v_ashrrev_i32_e32 v1, 31, v1
	v_xor_b32_e32 v42, vcc_hi, v1
	v_xor_b32_e32 v1, vcc_lo, v1
	; wave barrier
	ds_read_b32 v82, v84 offset:32
	v_and_b32_e32 v43, v85, v42
	v_and_b32_e32 v42, v87, v1
	v_mbcnt_lo_u32_b32 v1, v42, 0
	v_mbcnt_hi_u32_b32 v85, v43, v1
	v_cmp_eq_u32_e32 vcc, 0, v85
	v_cmp_ne_u64_e64 s[16:17], 0, v[42:43]
	s_and_b64 s[20:21], s[16:17], vcc
	; wave barrier
	s_and_saveexec_b64 s[16:17], s[20:21]
	s_cbranch_execz .LBB80_36
; %bb.35:
	v_bcnt_u32_b32 v1, v42, 0
	v_bcnt_u32_b32 v1, v43, v1
	s_waitcnt lgkmcnt(0)
	v_add_u32_e32 v1, v82, v1
	ds_write_b32 v84, v1 offset:32
.LBB80_36:
	s_or_b64 exec, exec, s[16:17]
	v_and_b32_e32 v42, s18, v70
	v_lshlrev_b32_sdwa v1, v86, v42 dst_sel:DWORD dst_unused:UNUSED_PAD src0_sel:DWORD src1_sel:BYTE_0
	v_add_lshl_u32 v87, v83, v1, 2
	v_and_b32_e32 v1, 1, v42
	v_add_co_u32_e32 v43, vcc, -1, v1
	v_addc_co_u32_e64 v88, s[16:17], 0, -1, vcc
	v_cmp_ne_u32_e32 vcc, 0, v1
	v_xor_b32_e32 v1, vcc_hi, v88
	v_and_b32_e32 v88, exec_hi, v1
	v_lshlrev_b32_e32 v1, 30, v42
	v_xor_b32_e32 v43, vcc_lo, v43
	v_cmp_gt_i64_e32 vcc, 0, v[0:1]
	v_not_b32_e32 v1, v1
	v_ashrrev_i32_e32 v1, 31, v1
	v_and_b32_e32 v43, exec_lo, v43
	v_xor_b32_e32 v89, vcc_hi, v1
	v_xor_b32_e32 v1, vcc_lo, v1
	v_and_b32_e32 v43, v43, v1
	v_lshlrev_b32_e32 v1, 29, v42
	v_cmp_gt_i64_e32 vcc, 0, v[0:1]
	v_not_b32_e32 v1, v1
	v_ashrrev_i32_e32 v1, 31, v1
	v_and_b32_e32 v88, v88, v89
	v_xor_b32_e32 v89, vcc_hi, v1
	v_xor_b32_e32 v1, vcc_lo, v1
	v_and_b32_e32 v43, v43, v1
	v_lshlrev_b32_e32 v1, 28, v42
	v_cmp_gt_i64_e32 vcc, 0, v[0:1]
	v_not_b32_e32 v1, v1
	v_ashrrev_i32_e32 v1, 31, v1
	v_and_b32_e32 v88, v88, v89
	v_xor_b32_e32 v89, vcc_hi, v1
	v_xor_b32_e32 v1, vcc_lo, v1
	v_and_b32_e32 v43, v43, v1
	v_lshlrev_b32_e32 v1, 27, v42
	v_cmp_gt_i64_e32 vcc, 0, v[0:1]
	v_not_b32_e32 v1, v1
	v_ashrrev_i32_e32 v1, 31, v1
	v_and_b32_e32 v88, v88, v89
	v_xor_b32_e32 v89, vcc_hi, v1
	v_xor_b32_e32 v1, vcc_lo, v1
	v_and_b32_e32 v43, v43, v1
	v_lshlrev_b32_e32 v1, 26, v42
	v_cmp_gt_i64_e32 vcc, 0, v[0:1]
	v_not_b32_e32 v1, v1
	v_ashrrev_i32_e32 v1, 31, v1
	v_and_b32_e32 v88, v88, v89
	v_xor_b32_e32 v89, vcc_hi, v1
	v_xor_b32_e32 v1, vcc_lo, v1
	v_and_b32_e32 v43, v43, v1
	v_lshlrev_b32_e32 v1, 25, v42
	v_cmp_gt_i64_e32 vcc, 0, v[0:1]
	v_not_b32_e32 v1, v1
	v_ashrrev_i32_e32 v1, 31, v1
	v_and_b32_e32 v88, v88, v89
	v_xor_b32_e32 v89, vcc_hi, v1
	v_xor_b32_e32 v1, vcc_lo, v1
	v_and_b32_e32 v43, v43, v1
	v_lshlrev_b32_e32 v1, 24, v42
	v_cmp_gt_i64_e32 vcc, 0, v[0:1]
	v_not_b32_e32 v0, v1
	v_ashrrev_i32_e32 v0, 31, v0
	v_xor_b32_e32 v1, vcc_hi, v0
	v_xor_b32_e32 v0, vcc_lo, v0
	; wave barrier
	ds_read_b32 v86, v87 offset:32
	v_and_b32_e32 v88, v88, v89
	v_and_b32_e32 v0, v43, v0
	;; [unrolled: 1-line block ×3, first 2 shown]
	v_mbcnt_lo_u32_b32 v42, v0, 0
	v_mbcnt_hi_u32_b32 v88, v1, v42
	v_cmp_eq_u32_e32 vcc, 0, v88
	v_cmp_ne_u64_e64 s[16:17], 0, v[0:1]
	s_and_b64 s[20:21], s[16:17], vcc
	; wave barrier
	s_and_saveexec_b64 s[16:17], s[20:21]
	s_cbranch_execz .LBB80_38
; %bb.37:
	v_bcnt_u32_b32 v0, v0, 0
	v_bcnt_u32_b32 v0, v1, v0
	s_waitcnt lgkmcnt(0)
	v_add_u32_e32 v0, v86, v0
	ds_write_b32 v87, v0 offset:32
.LBB80_38:
	s_or_b64 exec, exec, s[16:17]
	v_and_b32_e32 v42, s18, v71
	v_and_b32_e32 v1, 1, v42
	v_add_co_u32_e32 v43, vcc, -1, v1
	v_mov_b32_e32 v92, 3
	v_addc_co_u32_e64 v91, s[16:17], 0, -1, vcc
	v_cmp_ne_u32_e32 vcc, 0, v1
	v_lshlrev_b32_sdwa v0, v92, v42 dst_sel:DWORD dst_unused:UNUSED_PAD src0_sel:DWORD src1_sel:BYTE_0
	v_xor_b32_e32 v1, vcc_hi, v91
	v_add_lshl_u32 v90, v83, v0, 2
	v_mov_b32_e32 v0, 0
	v_and_b32_e32 v91, exec_hi, v1
	v_lshlrev_b32_e32 v1, 30, v42
	v_xor_b32_e32 v43, vcc_lo, v43
	v_cmp_gt_i64_e32 vcc, 0, v[0:1]
	v_not_b32_e32 v1, v1
	v_ashrrev_i32_e32 v1, 31, v1
	v_and_b32_e32 v43, exec_lo, v43
	v_xor_b32_e32 v93, vcc_hi, v1
	v_xor_b32_e32 v1, vcc_lo, v1
	v_and_b32_e32 v43, v43, v1
	v_lshlrev_b32_e32 v1, 29, v42
	v_cmp_gt_i64_e32 vcc, 0, v[0:1]
	v_not_b32_e32 v1, v1
	v_ashrrev_i32_e32 v1, 31, v1
	v_and_b32_e32 v91, v91, v93
	v_xor_b32_e32 v93, vcc_hi, v1
	v_xor_b32_e32 v1, vcc_lo, v1
	v_and_b32_e32 v43, v43, v1
	v_lshlrev_b32_e32 v1, 28, v42
	v_cmp_gt_i64_e32 vcc, 0, v[0:1]
	v_not_b32_e32 v1, v1
	v_ashrrev_i32_e32 v1, 31, v1
	v_and_b32_e32 v91, v91, v93
	;; [unrolled: 8-line block ×5, first 2 shown]
	v_xor_b32_e32 v93, vcc_hi, v1
	v_xor_b32_e32 v1, vcc_lo, v1
	v_and_b32_e32 v91, v91, v93
	v_and_b32_e32 v93, v43, v1
	v_lshlrev_b32_e32 v1, 24, v42
	v_cmp_gt_i64_e32 vcc, 0, v[0:1]
	v_not_b32_e32 v1, v1
	v_ashrrev_i32_e32 v1, 31, v1
	v_xor_b32_e32 v42, vcc_hi, v1
	v_xor_b32_e32 v1, vcc_lo, v1
	; wave barrier
	ds_read_b32 v89, v90 offset:32
	v_and_b32_e32 v43, v91, v42
	v_and_b32_e32 v42, v93, v1
	v_mbcnt_lo_u32_b32 v1, v42, 0
	v_mbcnt_hi_u32_b32 v91, v43, v1
	v_cmp_eq_u32_e32 vcc, 0, v91
	v_cmp_ne_u64_e64 s[16:17], 0, v[42:43]
	s_and_b64 s[20:21], s[16:17], vcc
	; wave barrier
	s_and_saveexec_b64 s[16:17], s[20:21]
	s_cbranch_execz .LBB80_40
; %bb.39:
	v_bcnt_u32_b32 v1, v42, 0
	v_bcnt_u32_b32 v1, v43, v1
	s_waitcnt lgkmcnt(0)
	v_add_u32_e32 v1, v89, v1
	ds_write_b32 v90, v1 offset:32
.LBB80_40:
	s_or_b64 exec, exec, s[16:17]
	v_and_b32_e32 v42, s18, v72
	v_lshlrev_b32_sdwa v1, v92, v42 dst_sel:DWORD dst_unused:UNUSED_PAD src0_sel:DWORD src1_sel:BYTE_0
	v_add_lshl_u32 v93, v83, v1, 2
	v_and_b32_e32 v1, 1, v42
	v_add_co_u32_e32 v43, vcc, -1, v1
	v_addc_co_u32_e64 v94, s[16:17], 0, -1, vcc
	v_cmp_ne_u32_e32 vcc, 0, v1
	v_xor_b32_e32 v1, vcc_hi, v94
	v_and_b32_e32 v94, exec_hi, v1
	v_lshlrev_b32_e32 v1, 30, v42
	v_xor_b32_e32 v43, vcc_lo, v43
	v_cmp_gt_i64_e32 vcc, 0, v[0:1]
	v_not_b32_e32 v1, v1
	v_ashrrev_i32_e32 v1, 31, v1
	v_and_b32_e32 v43, exec_lo, v43
	v_xor_b32_e32 v95, vcc_hi, v1
	v_xor_b32_e32 v1, vcc_lo, v1
	v_and_b32_e32 v43, v43, v1
	v_lshlrev_b32_e32 v1, 29, v42
	v_cmp_gt_i64_e32 vcc, 0, v[0:1]
	v_not_b32_e32 v1, v1
	v_ashrrev_i32_e32 v1, 31, v1
	v_and_b32_e32 v94, v94, v95
	v_xor_b32_e32 v95, vcc_hi, v1
	v_xor_b32_e32 v1, vcc_lo, v1
	v_and_b32_e32 v43, v43, v1
	v_lshlrev_b32_e32 v1, 28, v42
	v_cmp_gt_i64_e32 vcc, 0, v[0:1]
	v_not_b32_e32 v1, v1
	v_ashrrev_i32_e32 v1, 31, v1
	v_and_b32_e32 v94, v94, v95
	;; [unrolled: 8-line block ×5, first 2 shown]
	v_xor_b32_e32 v95, vcc_hi, v1
	v_xor_b32_e32 v1, vcc_lo, v1
	v_and_b32_e32 v43, v43, v1
	v_lshlrev_b32_e32 v1, 24, v42
	v_cmp_gt_i64_e32 vcc, 0, v[0:1]
	v_not_b32_e32 v0, v1
	v_ashrrev_i32_e32 v0, 31, v0
	v_xor_b32_e32 v1, vcc_hi, v0
	v_xor_b32_e32 v0, vcc_lo, v0
	; wave barrier
	ds_read_b32 v92, v93 offset:32
	v_and_b32_e32 v94, v94, v95
	v_and_b32_e32 v0, v43, v0
	;; [unrolled: 1-line block ×3, first 2 shown]
	v_mbcnt_lo_u32_b32 v42, v0, 0
	v_mbcnt_hi_u32_b32 v94, v1, v42
	v_cmp_eq_u32_e32 vcc, 0, v94
	v_cmp_ne_u64_e64 s[16:17], 0, v[0:1]
	s_and_b64 s[20:21], s[16:17], vcc
	; wave barrier
	s_and_saveexec_b64 s[16:17], s[20:21]
	s_cbranch_execz .LBB80_42
; %bb.41:
	v_bcnt_u32_b32 v0, v0, 0
	v_bcnt_u32_b32 v0, v1, v0
	s_waitcnt lgkmcnt(0)
	v_add_u32_e32 v0, v92, v0
	ds_write_b32 v93, v0 offset:32
.LBB80_42:
	s_or_b64 exec, exec, s[16:17]
	v_and_b32_e32 v42, s18, v73
	v_and_b32_e32 v1, 1, v42
	v_add_co_u32_e32 v43, vcc, -1, v1
	v_mov_b32_e32 v98, 3
	v_addc_co_u32_e64 v97, s[16:17], 0, -1, vcc
	v_cmp_ne_u32_e32 vcc, 0, v1
	v_lshlrev_b32_sdwa v0, v98, v42 dst_sel:DWORD dst_unused:UNUSED_PAD src0_sel:DWORD src1_sel:BYTE_0
	v_xor_b32_e32 v1, vcc_hi, v97
	v_add_lshl_u32 v96, v83, v0, 2
	v_mov_b32_e32 v0, 0
	v_and_b32_e32 v97, exec_hi, v1
	v_lshlrev_b32_e32 v1, 30, v42
	v_xor_b32_e32 v43, vcc_lo, v43
	v_cmp_gt_i64_e32 vcc, 0, v[0:1]
	v_not_b32_e32 v1, v1
	v_ashrrev_i32_e32 v1, 31, v1
	v_and_b32_e32 v43, exec_lo, v43
	v_xor_b32_e32 v99, vcc_hi, v1
	v_xor_b32_e32 v1, vcc_lo, v1
	v_and_b32_e32 v43, v43, v1
	v_lshlrev_b32_e32 v1, 29, v42
	v_cmp_gt_i64_e32 vcc, 0, v[0:1]
	v_not_b32_e32 v1, v1
	v_ashrrev_i32_e32 v1, 31, v1
	v_and_b32_e32 v97, v97, v99
	v_xor_b32_e32 v99, vcc_hi, v1
	v_xor_b32_e32 v1, vcc_lo, v1
	v_and_b32_e32 v43, v43, v1
	v_lshlrev_b32_e32 v1, 28, v42
	v_cmp_gt_i64_e32 vcc, 0, v[0:1]
	v_not_b32_e32 v1, v1
	v_ashrrev_i32_e32 v1, 31, v1
	v_and_b32_e32 v97, v97, v99
	;; [unrolled: 8-line block ×5, first 2 shown]
	v_xor_b32_e32 v99, vcc_hi, v1
	v_xor_b32_e32 v1, vcc_lo, v1
	v_and_b32_e32 v97, v97, v99
	v_and_b32_e32 v99, v43, v1
	v_lshlrev_b32_e32 v1, 24, v42
	v_cmp_gt_i64_e32 vcc, 0, v[0:1]
	v_not_b32_e32 v1, v1
	v_ashrrev_i32_e32 v1, 31, v1
	v_xor_b32_e32 v42, vcc_hi, v1
	v_xor_b32_e32 v1, vcc_lo, v1
	; wave barrier
	ds_read_b32 v95, v96 offset:32
	v_and_b32_e32 v43, v97, v42
	v_and_b32_e32 v42, v99, v1
	v_mbcnt_lo_u32_b32 v1, v42, 0
	v_mbcnt_hi_u32_b32 v97, v43, v1
	v_cmp_eq_u32_e32 vcc, 0, v97
	v_cmp_ne_u64_e64 s[16:17], 0, v[42:43]
	s_and_b64 s[20:21], s[16:17], vcc
	; wave barrier
	s_and_saveexec_b64 s[16:17], s[20:21]
	s_cbranch_execz .LBB80_44
; %bb.43:
	v_bcnt_u32_b32 v1, v42, 0
	v_bcnt_u32_b32 v1, v43, v1
	s_waitcnt lgkmcnt(0)
	v_add_u32_e32 v1, v95, v1
	ds_write_b32 v96, v1 offset:32
.LBB80_44:
	s_or_b64 exec, exec, s[16:17]
	v_and_b32_e32 v42, s18, v74
	v_lshlrev_b32_sdwa v1, v98, v42 dst_sel:DWORD dst_unused:UNUSED_PAD src0_sel:DWORD src1_sel:BYTE_0
	v_add_lshl_u32 v98, v83, v1, 2
	v_and_b32_e32 v1, 1, v42
	v_add_co_u32_e32 v43, vcc, -1, v1
	v_addc_co_u32_e64 v100, s[16:17], 0, -1, vcc
	v_cmp_ne_u32_e32 vcc, 0, v1
	v_xor_b32_e32 v1, vcc_hi, v100
	v_and_b32_e32 v100, exec_hi, v1
	v_lshlrev_b32_e32 v1, 30, v42
	v_xor_b32_e32 v43, vcc_lo, v43
	v_cmp_gt_i64_e32 vcc, 0, v[0:1]
	v_not_b32_e32 v1, v1
	v_ashrrev_i32_e32 v1, 31, v1
	v_and_b32_e32 v43, exec_lo, v43
	v_xor_b32_e32 v101, vcc_hi, v1
	v_xor_b32_e32 v1, vcc_lo, v1
	v_and_b32_e32 v43, v43, v1
	v_lshlrev_b32_e32 v1, 29, v42
	v_cmp_gt_i64_e32 vcc, 0, v[0:1]
	v_not_b32_e32 v1, v1
	v_ashrrev_i32_e32 v1, 31, v1
	v_and_b32_e32 v100, v100, v101
	v_xor_b32_e32 v101, vcc_hi, v1
	v_xor_b32_e32 v1, vcc_lo, v1
	v_and_b32_e32 v43, v43, v1
	v_lshlrev_b32_e32 v1, 28, v42
	v_cmp_gt_i64_e32 vcc, 0, v[0:1]
	v_not_b32_e32 v1, v1
	v_ashrrev_i32_e32 v1, 31, v1
	v_and_b32_e32 v100, v100, v101
	v_xor_b32_e32 v101, vcc_hi, v1
	v_xor_b32_e32 v1, vcc_lo, v1
	v_and_b32_e32 v43, v43, v1
	v_lshlrev_b32_e32 v1, 27, v42
	v_cmp_gt_i64_e32 vcc, 0, v[0:1]
	v_not_b32_e32 v1, v1
	v_ashrrev_i32_e32 v1, 31, v1
	v_and_b32_e32 v100, v100, v101
	v_xor_b32_e32 v101, vcc_hi, v1
	v_xor_b32_e32 v1, vcc_lo, v1
	v_and_b32_e32 v43, v43, v1
	v_lshlrev_b32_e32 v1, 26, v42
	v_cmp_gt_i64_e32 vcc, 0, v[0:1]
	v_not_b32_e32 v1, v1
	v_ashrrev_i32_e32 v1, 31, v1
	v_and_b32_e32 v100, v100, v101
	v_xor_b32_e32 v101, vcc_hi, v1
	v_xor_b32_e32 v1, vcc_lo, v1
	v_and_b32_e32 v43, v43, v1
	v_lshlrev_b32_e32 v1, 25, v42
	v_cmp_gt_i64_e32 vcc, 0, v[0:1]
	v_not_b32_e32 v1, v1
	v_ashrrev_i32_e32 v1, 31, v1
	v_and_b32_e32 v100, v100, v101
	v_xor_b32_e32 v101, vcc_hi, v1
	v_xor_b32_e32 v1, vcc_lo, v1
	v_and_b32_e32 v43, v43, v1
	v_lshlrev_b32_e32 v1, 24, v42
	v_cmp_gt_i64_e32 vcc, 0, v[0:1]
	v_not_b32_e32 v0, v1
	v_ashrrev_i32_e32 v0, 31, v0
	v_xor_b32_e32 v1, vcc_hi, v0
	v_xor_b32_e32 v0, vcc_lo, v0
	; wave barrier
	ds_read_b32 v83, v98 offset:32
	v_and_b32_e32 v100, v100, v101
	v_and_b32_e32 v0, v43, v0
	;; [unrolled: 1-line block ×3, first 2 shown]
	v_mbcnt_lo_u32_b32 v42, v0, 0
	v_mbcnt_hi_u32_b32 v100, v1, v42
	v_cmp_eq_u32_e32 vcc, 0, v100
	v_cmp_ne_u64_e64 s[16:17], 0, v[0:1]
	v_add_u32_e32 v99, 32, v61
	s_and_b64 s[18:19], s[16:17], vcc
	; wave barrier
	s_and_saveexec_b64 s[16:17], s[18:19]
	s_cbranch_execz .LBB80_46
; %bb.45:
	v_bcnt_u32_b32 v0, v0, 0
	v_bcnt_u32_b32 v0, v1, v0
	s_waitcnt lgkmcnt(0)
	v_add_u32_e32 v0, v83, v0
	ds_write_b32 v98, v0 offset:32
.LBB80_46:
	s_or_b64 exec, exec, s[16:17]
	; wave barrier
	s_waitcnt lgkmcnt(0)
	s_barrier
	ds_read2_b32 v[0:1], v61 offset0:8 offset1:9
	ds_read2_b32 v[42:43], v99 offset0:2 offset1:3
	v_min_u32_e32 v76, 0x1c0, v76
	v_or_b32_e32 v76, 63, v76
	s_waitcnt lgkmcnt(1)
	v_add_u32_e32 v101, v1, v0
	s_waitcnt lgkmcnt(0)
	v_add3_u32 v43, v101, v42, v43
	v_and_b32_e32 v101, 15, v75
	v_cmp_ne_u32_e32 vcc, 0, v101
	v_mov_b32_dpp v102, v43 row_shr:1 row_mask:0xf bank_mask:0xf
	v_cndmask_b32_e32 v102, 0, v102, vcc
	v_add_u32_e32 v43, v102, v43
	v_cmp_lt_u32_e32 vcc, 1, v101
	s_nop 0
	v_mov_b32_dpp v102, v43 row_shr:2 row_mask:0xf bank_mask:0xf
	v_cndmask_b32_e32 v102, 0, v102, vcc
	v_add_u32_e32 v43, v43, v102
	v_cmp_lt_u32_e32 vcc, 3, v101
	s_nop 0
	;; [unrolled: 5-line block ×3, first 2 shown]
	v_mov_b32_dpp v102, v43 row_shr:8 row_mask:0xf bank_mask:0xf
	v_cndmask_b32_e32 v101, 0, v102, vcc
	v_add_u32_e32 v43, v43, v101
	v_bfe_i32 v102, v75, 4, 1
	v_cmp_lt_u32_e32 vcc, 31, v75
	v_mov_b32_dpp v101, v43 row_bcast:15 row_mask:0xf bank_mask:0xf
	v_and_b32_e32 v101, v102, v101
	v_add_u32_e32 v43, v43, v101
	s_nop 1
	v_mov_b32_dpp v101, v43 row_bcast:31 row_mask:0xf bank_mask:0xf
	v_cndmask_b32_e32 v101, 0, v101, vcc
	v_add_u32_e32 v43, v43, v101
	v_lshrrev_b32_e32 v101, 6, v36
	v_cmp_eq_u32_e32 vcc, v76, v36
	s_and_saveexec_b64 s[16:17], vcc
	s_cbranch_execz .LBB80_48
; %bb.47:
	v_lshlrev_b32_e32 v76, 2, v101
	ds_write_b32 v76, v43
.LBB80_48:
	s_or_b64 exec, exec, s[16:17]
	v_cmp_gt_u32_e32 vcc, 8, v36
	s_waitcnt lgkmcnt(0)
	s_barrier
	s_and_saveexec_b64 s[16:17], vcc
	s_cbranch_execz .LBB80_50
; %bb.49:
	v_lshlrev_b32_e32 v76, 2, v36
	ds_read_b32 v102, v76
	v_and_b32_e32 v103, 7, v75
	v_cmp_ne_u32_e32 vcc, 0, v103
	s_waitcnt lgkmcnt(0)
	v_mov_b32_dpp v104, v102 row_shr:1 row_mask:0xf bank_mask:0xf
	v_cndmask_b32_e32 v104, 0, v104, vcc
	v_add_u32_e32 v102, v104, v102
	v_cmp_lt_u32_e32 vcc, 1, v103
	s_nop 0
	v_mov_b32_dpp v104, v102 row_shr:2 row_mask:0xf bank_mask:0xf
	v_cndmask_b32_e32 v104, 0, v104, vcc
	v_add_u32_e32 v102, v102, v104
	v_cmp_lt_u32_e32 vcc, 3, v103
	s_nop 0
	v_mov_b32_dpp v104, v102 row_shr:4 row_mask:0xf bank_mask:0xf
	v_cndmask_b32_e32 v103, 0, v104, vcc
	v_add_u32_e32 v102, v102, v103
	ds_write_b32 v76, v102
.LBB80_50:
	s_or_b64 exec, exec, s[16:17]
	v_cmp_lt_u32_e32 vcc, 63, v36
	v_mov_b32_e32 v76, 0
	s_waitcnt lgkmcnt(0)
	s_barrier
	s_and_saveexec_b64 s[16:17], vcc
	s_cbranch_execz .LBB80_52
; %bb.51:
	v_lshl_add_u32 v76, v101, 2, -4
	ds_read_b32 v76, v76
.LBB80_52:
	s_or_b64 exec, exec, s[16:17]
	v_add_u32_e32 v101, -1, v75
	v_and_b32_e32 v102, 64, v75
	v_cmp_lt_i32_e32 vcc, v101, v102
	v_cndmask_b32_e32 v101, v101, v75, vcc
	s_waitcnt lgkmcnt(0)
	v_add_u32_e32 v43, v76, v43
	v_lshlrev_b32_e32 v101, 2, v101
	ds_bpermute_b32 v43, v101, v43
	v_cmp_eq_u32_e32 vcc, 0, v75
	s_waitcnt lgkmcnt(0)
	v_cndmask_b32_e32 v43, v43, v76, vcc
	v_cmp_ne_u32_e32 vcc, 0, v36
	v_cndmask_b32_e32 v43, 0, v43, vcc
	v_add_u32_e32 v0, v43, v0
	v_add_u32_e32 v1, v0, v1
	v_add_u32_e32 v42, v1, v42
	ds_write2_b32 v61, v43, v0 offset0:8 offset1:9
	ds_write2_b32 v99, v1, v42 offset0:2 offset1:3
	s_waitcnt lgkmcnt(0)
	s_barrier
	ds_read_b32 v0, v77 offset:32
	ds_read_b32 v1, v80 offset:32
	;; [unrolled: 1-line block ×8, first 2 shown]
	s_waitcnt lgkmcnt(7)
	v_add_u32_e32 v78, v0, v78
	s_waitcnt lgkmcnt(6)
	v_add3_u32 v79, v81, v79, v1
	s_waitcnt lgkmcnt(5)
	v_add3_u32 v42, v85, v82, v42
	;; [unrolled: 2-line block ×7, first 2 shown]
	s_barrier
	ds_write_b8 v78, v67
	ds_write_b8 v79, v68
	ds_write_b8 v42, v69
	ds_write_b8 v43, v70
	ds_write_b8 v75, v71
	ds_write_b8 v76, v72
	ds_write_b8 v77, v73
	ds_write_b8 v80, v74
	v_lshlrev_b32_e32 v67, 3, v78
	s_waitcnt lgkmcnt(0)
	s_barrier
	ds_read_b64 v[0:1], v53
	s_waitcnt lgkmcnt(0)
	s_barrier
	ds_write_b64 v67, v[30:31]
	v_lshlrev_b32_e32 v30, 3, v79
	ds_write_b64 v30, v[32:33]
	v_lshlrev_b32_e32 v30, 3, v42
	;; [unrolled: 2-line block ×7, first 2 shown]
	v_lshlrev_b32_e32 v30, 3, v53
	ds_write_b64 v18, v[20:21]
	s_waitcnt lgkmcnt(0)
	s_barrier
	ds_read2_b64 v[18:21], v30 offset1:1
	ds_read2_b64 v[22:25], v30 offset0:2 offset1:3
	ds_read2_b64 v[26:29], v30 offset0:4 offset1:5
	;; [unrolled: 1-line block ×3, first 2 shown]
	s_branch .LBB80_84
.LBB80_53:
	v_mov_b32_e32 v35, 0
	v_lshlrev_b64 v[2:3], 3, v[34:35]
	v_mov_b32_e32 v4, s35
	v_add_co_u32_e32 v2, vcc, s33, v2
	v_addc_co_u32_e32 v3, vcc, v4, v3, vcc
	global_load_dwordx2 v[2:3], v[2:3], off
	v_mov_b32_e32 v4, v35
	v_mov_b32_e32 v5, v35
	;; [unrolled: 1-line block ×14, first 2 shown]
	s_or_b64 exec, exec, s[16:17]
	s_and_saveexec_b64 s[16:17], s[2:3]
	s_cbranch_execz .LBB80_22
.LBB80_54:
	v_mul_lo_u32 v4, v32, s34
	v_mov_b32_e32 v5, 0
	v_lshlrev_b64 v[4:5], 3, v[4:5]
	v_mov_b32_e32 v32, s35
	v_add_co_u32_e32 v4, vcc, s33, v4
	v_addc_co_u32_e32 v5, vcc, v32, v5, vcc
	global_load_dwordx2 v[4:5], v[4:5], off
	s_or_b64 exec, exec, s[16:17]
	s_and_saveexec_b64 s[16:17], s[4:5]
	s_cbranch_execz .LBB80_23
.LBB80_55:
	v_mul_lo_u32 v6, v31, s34
	v_mov_b32_e32 v7, 0
	v_lshlrev_b64 v[6:7], 3, v[6:7]
	v_mov_b32_e32 v31, s35
	v_add_co_u32_e32 v6, vcc, s33, v6
	v_addc_co_u32_e32 v7, vcc, v31, v7, vcc
	global_load_dwordx2 v[6:7], v[6:7], off
	s_or_b64 exec, exec, s[16:17]
	s_and_saveexec_b64 s[16:17], s[6:7]
	s_cbranch_execz .LBB80_24
.LBB80_56:
	v_mul_lo_u32 v8, v30, s34
	v_mov_b32_e32 v9, 0
	v_lshlrev_b64 v[8:9], 3, v[8:9]
	v_mov_b32_e32 v30, s35
	v_add_co_u32_e32 v8, vcc, s33, v8
	v_addc_co_u32_e32 v9, vcc, v30, v9, vcc
	global_load_dwordx2 v[8:9], v[8:9], off
	s_or_b64 exec, exec, s[16:17]
	s_and_saveexec_b64 s[16:17], s[8:9]
	s_cbranch_execz .LBB80_25
.LBB80_57:
	v_mul_lo_u32 v10, v29, s34
	v_mov_b32_e32 v11, 0
	v_lshlrev_b64 v[10:11], 3, v[10:11]
	v_mov_b32_e32 v29, s35
	v_add_co_u32_e32 v10, vcc, s33, v10
	v_addc_co_u32_e32 v11, vcc, v29, v11, vcc
	global_load_dwordx2 v[10:11], v[10:11], off
	s_or_b64 exec, exec, s[16:17]
	s_and_saveexec_b64 s[16:17], s[10:11]
	s_cbranch_execz .LBB80_26
.LBB80_58:
	v_mul_lo_u32 v12, v28, s34
	v_mov_b32_e32 v13, 0
	v_lshlrev_b64 v[12:13], 3, v[12:13]
	v_mov_b32_e32 v28, s35
	v_add_co_u32_e32 v12, vcc, s33, v12
	v_addc_co_u32_e32 v13, vcc, v28, v13, vcc
	global_load_dwordx2 v[12:13], v[12:13], off
	s_or_b64 exec, exec, s[16:17]
	s_and_saveexec_b64 s[16:17], s[12:13]
	s_cbranch_execz .LBB80_27
.LBB80_59:
	v_mul_lo_u32 v14, v27, s34
	v_mov_b32_e32 v15, 0
	v_lshlrev_b64 v[14:15], 3, v[14:15]
	v_mov_b32_e32 v27, s35
	v_add_co_u32_e32 v14, vcc, s33, v14
	v_addc_co_u32_e32 v15, vcc, v27, v15, vcc
	global_load_dwordx2 v[14:15], v[14:15], off
	s_or_b64 exec, exec, s[16:17]
	s_and_saveexec_b64 s[16:17], s[14:15]
	s_cbranch_execnz .LBB80_28
	s_branch .LBB80_29
.LBB80_60:
                                        ; implicit-def: $vgpr1
                                        ; implicit-def: $vgpr32_vgpr33
                                        ; implicit-def: $vgpr28_vgpr29
                                        ; implicit-def: $vgpr24_vgpr25
                                        ; implicit-def: $vgpr20_vgpr21
	s_cbranch_execz .LBB80_84
; %bb.61:
	v_mov_b32_e32 v0, -1
	v_xor_b32_sdwa v1, v65, v0 dst_sel:BYTE_1 dst_unused:UNUSED_PAD src0_sel:DWORD src1_sel:DWORD
	s_waitcnt lgkmcnt(3)
	v_xor_b32_e32 v18, -1, v39
	v_or_b32_sdwa v1, v18, v1 dst_sel:DWORD dst_unused:UNUSED_PAD src0_sel:BYTE_0 src1_sel:DWORD
	v_xor_b32_sdwa v18, v39, v0 dst_sel:DWORD dst_unused:UNUSED_PAD src0_sel:BYTE_3 src1_sel:DWORD
	v_lshlrev_b16_e32 v18, 8, v18
	v_xor_b32_sdwa v19, v39, v0 dst_sel:DWORD dst_unused:UNUSED_PAD src0_sel:WORD_1 src1_sel:DWORD
	v_or_b32_sdwa v18, v19, v18 dst_sel:WORD_1 dst_unused:UNUSED_PAD src0_sel:BYTE_0 src1_sel:DWORD
	v_or_b32_sdwa v1, v1, v18 dst_sel:DWORD dst_unused:UNUSED_PAD src0_sel:WORD_0 src1_sel:DWORD
	v_xor_b32_sdwa v18, v64, v0 dst_sel:BYTE_1 dst_unused:UNUSED_PAD src0_sel:DWORD src1_sel:DWORD
	v_xor_b32_e32 v19, -1, v38
	v_or_b32_sdwa v18, v19, v18 dst_sel:DWORD dst_unused:UNUSED_PAD src0_sel:BYTE_0 src1_sel:DWORD
	v_xor_b32_sdwa v19, v40, v0 dst_sel:BYTE_1 dst_unused:UNUSED_PAD src0_sel:DWORD src1_sel:DWORD
	v_xor_b32_sdwa v0, v38, v0 dst_sel:DWORD dst_unused:UNUSED_PAD src0_sel:WORD_1 src1_sel:DWORD
	v_or_b32_sdwa v0, v0, v19 dst_sel:WORD_1 dst_unused:UNUSED_PAD src0_sel:BYTE_0 src1_sel:DWORD
	s_waitcnt lgkmcnt(1)
	v_mbcnt_hi_u32_b32 v28, -1, v66
	s_waitcnt lgkmcnt(0)
	v_and_b32_e32 v30, 0x3c0, v36
	v_or_b32_sdwa v0, v18, v0 dst_sel:DWORD dst_unused:UNUSED_PAD src0_sel:WORD_0 src1_sel:DWORD
	v_add_u32_e32 v18, v28, v30
	v_lshlrev_b32_e32 v19, 3, v18
	s_movk_i32 s16, 0x1e00
	ds_write_b64 v19, v[0:1]
	v_and_or_b32 v0, v53, s16, v28
	; wave barrier
	ds_read_u8 v20, v0
	ds_read_u8 v21, v0 offset:64
	ds_read_u8 v22, v0 offset:128
	;; [unrolled: 1-line block ×7, first 2 shown]
	v_lshlrev_b32_e32 v1, 6, v18
	v_lshlrev_b32_e32 v0, 3, v0
	s_getpc_b64 s[16:17]
	s_add_u32 s16, s16, _ZN7rocprim17ROCPRIM_400000_NS16block_radix_sortIhLj512ELj8ElLj1ELj1ELj0ELNS0_26block_radix_rank_algorithmE1ELNS0_18block_padding_hintE2ELNS0_4arch9wavefront6targetE1EE19radix_bits_per_passE@rel32@lo+4
	s_addc_u32 s17, s17, _ZN7rocprim17ROCPRIM_400000_NS16block_radix_sortIhLj512ELj8ElLj1ELj1ELj0ELNS0_26block_radix_rank_algorithmE1ELNS0_18block_padding_hintE2ELNS0_4arch9wavefront6targetE1EE19radix_bits_per_passE@rel32@hi+12
	s_waitcnt lgkmcnt(0)
	s_barrier
	ds_write2_b64 v1, v[14:15], v[16:17] offset1:1
	ds_write2_b64 v1, v[10:11], v[12:13] offset0:2 offset1:3
	ds_write2_b64 v1, v[6:7], v[8:9] offset0:4 offset1:5
	;; [unrolled: 1-line block ×3, first 2 shown]
	; wave barrier
	ds_read2st64_b64 v[12:15], v0 offset1:1
	ds_read2st64_b64 v[8:11], v0 offset0:2 offset1:3
	ds_read2st64_b64 v[4:7], v0 offset0:4 offset1:5
	;; [unrolled: 1-line block ×3, first 2 shown]
	s_waitcnt lgkmcnt(0)
	s_barrier
	s_load_dword s18, s[16:17], 0x0
	s_load_dword s19, s[42:43], 0xc
	v_mov_b32_e32 v32, 3
	v_mov_b32_e32 v16, 0
	ds_write2_b32 v61, v16, v16 offset0:8 offset1:9
	ds_write2_b32 v61, v16, v16 offset0:10 offset1:11
	s_waitcnt lgkmcnt(0)
	s_min_u32 s18, s18, 8
	s_lshr_b32 s16, s19, 16
	s_and_b32 s17, s19, 0xffff
	v_mad_u32_u24 v17, v63, s16, v62
	v_mad_u64_u32 v[18:19], s[16:17], v17, s17, v[36:37]
	s_lshl_b32 s16, -1, s18
	s_not_b32 s18, s16
	v_lshrrev_b32_e32 v40, 6, v18
	v_and_b32_e32 v18, s18, v20
	v_lshlrev_b32_sdwa v17, v32, v18 dst_sel:DWORD dst_unused:UNUSED_PAD src0_sel:DWORD src1_sel:BYTE_0
	v_add_lshl_u32 v29, v40, v17, 2
	v_and_b32_e32 v17, 1, v18
	v_add_co_u32_e32 v19, vcc, -1, v17
	v_addc_co_u32_e64 v31, s[16:17], 0, -1, vcc
	v_cmp_ne_u32_e32 vcc, 0, v17
	v_xor_b32_e32 v17, vcc_hi, v31
	v_and_b32_e32 v31, exec_hi, v17
	v_lshlrev_b32_e32 v17, 30, v18
	v_xor_b32_e32 v19, vcc_lo, v19
	v_cmp_gt_i64_e32 vcc, 0, v[16:17]
	v_not_b32_e32 v17, v17
	v_ashrrev_i32_e32 v17, 31, v17
	v_and_b32_e32 v19, exec_lo, v19
	v_xor_b32_e32 v33, vcc_hi, v17
	v_xor_b32_e32 v17, vcc_lo, v17
	v_and_b32_e32 v19, v19, v17
	v_lshlrev_b32_e32 v17, 29, v18
	v_cmp_gt_i64_e32 vcc, 0, v[16:17]
	v_not_b32_e32 v17, v17
	v_ashrrev_i32_e32 v17, 31, v17
	v_and_b32_e32 v31, v31, v33
	v_xor_b32_e32 v33, vcc_hi, v17
	v_xor_b32_e32 v17, vcc_lo, v17
	v_and_b32_e32 v19, v19, v17
	v_lshlrev_b32_e32 v17, 28, v18
	v_cmp_gt_i64_e32 vcc, 0, v[16:17]
	v_not_b32_e32 v17, v17
	v_ashrrev_i32_e32 v17, 31, v17
	v_and_b32_e32 v31, v31, v33
	;; [unrolled: 8-line block ×5, first 2 shown]
	v_xor_b32_e32 v33, vcc_hi, v17
	v_xor_b32_e32 v17, vcc_lo, v17
	v_and_b32_e32 v31, v31, v33
	v_and_b32_e32 v33, v19, v17
	v_lshlrev_b32_e32 v17, 24, v18
	v_cmp_gt_i64_e32 vcc, 0, v[16:17]
	v_not_b32_e32 v17, v17
	v_ashrrev_i32_e32 v17, 31, v17
	v_xor_b32_e32 v18, vcc_hi, v17
	v_xor_b32_e32 v17, vcc_lo, v17
	v_and_b32_e32 v19, v31, v18
	v_and_b32_e32 v18, v33, v17
	v_mbcnt_lo_u32_b32 v17, v18, 0
	v_mbcnt_hi_u32_b32 v31, v19, v17
	v_cmp_eq_u32_e32 vcc, 0, v31
	v_cmp_ne_u64_e64 s[16:17], 0, v[18:19]
	s_and_b64 s[20:21], s[16:17], vcc
	s_barrier
	s_waitcnt lgkmcnt(0)
	; wave barrier
	s_and_saveexec_b64 s[16:17], s[20:21]
	s_cbranch_execz .LBB80_63
; %bb.62:
	v_bcnt_u32_b32 v17, v18, 0
	v_bcnt_u32_b32 v17, v19, v17
	ds_write_b32 v29, v17 offset:32
.LBB80_63:
	s_or_b64 exec, exec, s[16:17]
	v_and_b32_e32 v18, s18, v21
	v_lshlrev_b32_sdwa v17, v32, v18 dst_sel:DWORD dst_unused:UNUSED_PAD src0_sel:DWORD src1_sel:BYTE_0
	v_add_lshl_u32 v33, v40, v17, 2
	v_and_b32_e32 v17, 1, v18
	v_add_co_u32_e32 v19, vcc, -1, v17
	v_addc_co_u32_e64 v38, s[16:17], 0, -1, vcc
	v_cmp_ne_u32_e32 vcc, 0, v17
	v_xor_b32_e32 v17, vcc_hi, v38
	v_and_b32_e32 v38, exec_hi, v17
	v_lshlrev_b32_e32 v17, 30, v18
	v_xor_b32_e32 v19, vcc_lo, v19
	v_cmp_gt_i64_e32 vcc, 0, v[16:17]
	v_not_b32_e32 v17, v17
	v_ashrrev_i32_e32 v17, 31, v17
	v_and_b32_e32 v19, exec_lo, v19
	v_xor_b32_e32 v39, vcc_hi, v17
	v_xor_b32_e32 v17, vcc_lo, v17
	v_and_b32_e32 v19, v19, v17
	v_lshlrev_b32_e32 v17, 29, v18
	v_cmp_gt_i64_e32 vcc, 0, v[16:17]
	v_not_b32_e32 v17, v17
	v_ashrrev_i32_e32 v17, 31, v17
	v_and_b32_e32 v38, v38, v39
	v_xor_b32_e32 v39, vcc_hi, v17
	v_xor_b32_e32 v17, vcc_lo, v17
	v_and_b32_e32 v19, v19, v17
	v_lshlrev_b32_e32 v17, 28, v18
	v_cmp_gt_i64_e32 vcc, 0, v[16:17]
	v_not_b32_e32 v17, v17
	v_ashrrev_i32_e32 v17, 31, v17
	v_and_b32_e32 v38, v38, v39
	v_xor_b32_e32 v39, vcc_hi, v17
	v_xor_b32_e32 v17, vcc_lo, v17
	v_and_b32_e32 v19, v19, v17
	v_lshlrev_b32_e32 v17, 27, v18
	v_cmp_gt_i64_e32 vcc, 0, v[16:17]
	v_not_b32_e32 v17, v17
	v_ashrrev_i32_e32 v17, 31, v17
	v_and_b32_e32 v38, v38, v39
	v_xor_b32_e32 v39, vcc_hi, v17
	v_xor_b32_e32 v17, vcc_lo, v17
	v_and_b32_e32 v19, v19, v17
	v_lshlrev_b32_e32 v17, 26, v18
	v_cmp_gt_i64_e32 vcc, 0, v[16:17]
	v_not_b32_e32 v17, v17
	v_ashrrev_i32_e32 v17, 31, v17
	v_and_b32_e32 v38, v38, v39
	v_xor_b32_e32 v39, vcc_hi, v17
	v_xor_b32_e32 v17, vcc_lo, v17
	v_and_b32_e32 v19, v19, v17
	v_lshlrev_b32_e32 v17, 25, v18
	v_cmp_gt_i64_e32 vcc, 0, v[16:17]
	v_not_b32_e32 v17, v17
	v_ashrrev_i32_e32 v17, 31, v17
	v_and_b32_e32 v38, v38, v39
	v_xor_b32_e32 v39, vcc_hi, v17
	v_xor_b32_e32 v17, vcc_lo, v17
	v_and_b32_e32 v19, v19, v17
	v_lshlrev_b32_e32 v17, 24, v18
	v_cmp_gt_i64_e32 vcc, 0, v[16:17]
	v_not_b32_e32 v16, v17
	v_ashrrev_i32_e32 v16, 31, v16
	v_xor_b32_e32 v17, vcc_hi, v16
	v_xor_b32_e32 v16, vcc_lo, v16
	; wave barrier
	ds_read_b32 v32, v33 offset:32
	v_and_b32_e32 v38, v38, v39
	v_and_b32_e32 v16, v19, v16
	;; [unrolled: 1-line block ×3, first 2 shown]
	v_mbcnt_lo_u32_b32 v18, v16, 0
	v_mbcnt_hi_u32_b32 v38, v17, v18
	v_cmp_eq_u32_e32 vcc, 0, v38
	v_cmp_ne_u64_e64 s[16:17], 0, v[16:17]
	s_and_b64 s[20:21], s[16:17], vcc
	; wave barrier
	s_and_saveexec_b64 s[16:17], s[20:21]
	s_cbranch_execz .LBB80_65
; %bb.64:
	v_bcnt_u32_b32 v16, v16, 0
	v_bcnt_u32_b32 v16, v17, v16
	s_waitcnt lgkmcnt(0)
	v_add_u32_e32 v16, v32, v16
	ds_write_b32 v33, v16 offset:32
.LBB80_65:
	s_or_b64 exec, exec, s[16:17]
	v_and_b32_e32 v18, s18, v22
	v_and_b32_e32 v17, 1, v18
	v_add_co_u32_e32 v19, vcc, -1, v17
	v_mov_b32_e32 v62, 3
	v_addc_co_u32_e64 v43, s[16:17], 0, -1, vcc
	v_cmp_ne_u32_e32 vcc, 0, v17
	v_lshlrev_b32_sdwa v16, v62, v18 dst_sel:DWORD dst_unused:UNUSED_PAD src0_sel:DWORD src1_sel:BYTE_0
	v_xor_b32_e32 v17, vcc_hi, v43
	v_add_lshl_u32 v42, v40, v16, 2
	v_mov_b32_e32 v16, 0
	v_and_b32_e32 v43, exec_hi, v17
	v_lshlrev_b32_e32 v17, 30, v18
	v_xor_b32_e32 v19, vcc_lo, v19
	v_cmp_gt_i64_e32 vcc, 0, v[16:17]
	v_not_b32_e32 v17, v17
	v_ashrrev_i32_e32 v17, 31, v17
	v_and_b32_e32 v19, exec_lo, v19
	v_xor_b32_e32 v63, vcc_hi, v17
	v_xor_b32_e32 v17, vcc_lo, v17
	v_and_b32_e32 v19, v19, v17
	v_lshlrev_b32_e32 v17, 29, v18
	v_cmp_gt_i64_e32 vcc, 0, v[16:17]
	v_not_b32_e32 v17, v17
	v_ashrrev_i32_e32 v17, 31, v17
	v_and_b32_e32 v43, v43, v63
	v_xor_b32_e32 v63, vcc_hi, v17
	v_xor_b32_e32 v17, vcc_lo, v17
	v_and_b32_e32 v19, v19, v17
	v_lshlrev_b32_e32 v17, 28, v18
	v_cmp_gt_i64_e32 vcc, 0, v[16:17]
	v_not_b32_e32 v17, v17
	v_ashrrev_i32_e32 v17, 31, v17
	v_and_b32_e32 v43, v43, v63
	v_xor_b32_e32 v63, vcc_hi, v17
	v_xor_b32_e32 v17, vcc_lo, v17
	v_and_b32_e32 v19, v19, v17
	v_lshlrev_b32_e32 v17, 27, v18
	v_cmp_gt_i64_e32 vcc, 0, v[16:17]
	v_not_b32_e32 v17, v17
	v_ashrrev_i32_e32 v17, 31, v17
	v_and_b32_e32 v43, v43, v63
	v_xor_b32_e32 v63, vcc_hi, v17
	v_xor_b32_e32 v17, vcc_lo, v17
	v_and_b32_e32 v19, v19, v17
	v_lshlrev_b32_e32 v17, 26, v18
	v_cmp_gt_i64_e32 vcc, 0, v[16:17]
	v_not_b32_e32 v17, v17
	v_ashrrev_i32_e32 v17, 31, v17
	v_and_b32_e32 v43, v43, v63
	v_xor_b32_e32 v63, vcc_hi, v17
	v_xor_b32_e32 v17, vcc_lo, v17
	v_and_b32_e32 v19, v19, v17
	v_lshlrev_b32_e32 v17, 25, v18
	v_cmp_gt_i64_e32 vcc, 0, v[16:17]
	v_not_b32_e32 v17, v17
	v_ashrrev_i32_e32 v17, 31, v17
	v_and_b32_e32 v43, v43, v63
	v_xor_b32_e32 v63, vcc_hi, v17
	v_xor_b32_e32 v17, vcc_lo, v17
	v_and_b32_e32 v43, v43, v63
	v_and_b32_e32 v63, v19, v17
	v_lshlrev_b32_e32 v17, 24, v18
	v_cmp_gt_i64_e32 vcc, 0, v[16:17]
	v_not_b32_e32 v17, v17
	v_ashrrev_i32_e32 v17, 31, v17
	v_xor_b32_e32 v18, vcc_hi, v17
	v_xor_b32_e32 v17, vcc_lo, v17
	; wave barrier
	ds_read_b32 v39, v42 offset:32
	v_and_b32_e32 v19, v43, v18
	v_and_b32_e32 v18, v63, v17
	v_mbcnt_lo_u32_b32 v17, v18, 0
	v_mbcnt_hi_u32_b32 v43, v19, v17
	v_cmp_eq_u32_e32 vcc, 0, v43
	v_cmp_ne_u64_e64 s[16:17], 0, v[18:19]
	s_and_b64 s[20:21], s[16:17], vcc
	; wave barrier
	s_and_saveexec_b64 s[16:17], s[20:21]
	s_cbranch_execz .LBB80_67
; %bb.66:
	v_bcnt_u32_b32 v17, v18, 0
	v_bcnt_u32_b32 v17, v19, v17
	s_waitcnt lgkmcnt(0)
	v_add_u32_e32 v17, v39, v17
	ds_write_b32 v42, v17 offset:32
.LBB80_67:
	s_or_b64 exec, exec, s[16:17]
	v_and_b32_e32 v18, s18, v23
	v_lshlrev_b32_sdwa v17, v62, v18 dst_sel:DWORD dst_unused:UNUSED_PAD src0_sel:DWORD src1_sel:BYTE_0
	v_add_lshl_u32 v63, v40, v17, 2
	v_and_b32_e32 v17, 1, v18
	v_add_co_u32_e32 v19, vcc, -1, v17
	v_addc_co_u32_e64 v64, s[16:17], 0, -1, vcc
	v_cmp_ne_u32_e32 vcc, 0, v17
	v_xor_b32_e32 v17, vcc_hi, v64
	v_and_b32_e32 v64, exec_hi, v17
	v_lshlrev_b32_e32 v17, 30, v18
	v_xor_b32_e32 v19, vcc_lo, v19
	v_cmp_gt_i64_e32 vcc, 0, v[16:17]
	v_not_b32_e32 v17, v17
	v_ashrrev_i32_e32 v17, 31, v17
	v_and_b32_e32 v19, exec_lo, v19
	v_xor_b32_e32 v65, vcc_hi, v17
	v_xor_b32_e32 v17, vcc_lo, v17
	v_and_b32_e32 v19, v19, v17
	v_lshlrev_b32_e32 v17, 29, v18
	v_cmp_gt_i64_e32 vcc, 0, v[16:17]
	v_not_b32_e32 v17, v17
	v_ashrrev_i32_e32 v17, 31, v17
	v_and_b32_e32 v64, v64, v65
	v_xor_b32_e32 v65, vcc_hi, v17
	v_xor_b32_e32 v17, vcc_lo, v17
	v_and_b32_e32 v19, v19, v17
	v_lshlrev_b32_e32 v17, 28, v18
	v_cmp_gt_i64_e32 vcc, 0, v[16:17]
	v_not_b32_e32 v17, v17
	v_ashrrev_i32_e32 v17, 31, v17
	v_and_b32_e32 v64, v64, v65
	;; [unrolled: 8-line block ×5, first 2 shown]
	v_xor_b32_e32 v65, vcc_hi, v17
	v_xor_b32_e32 v17, vcc_lo, v17
	v_and_b32_e32 v19, v19, v17
	v_lshlrev_b32_e32 v17, 24, v18
	v_cmp_gt_i64_e32 vcc, 0, v[16:17]
	v_not_b32_e32 v16, v17
	v_ashrrev_i32_e32 v16, 31, v16
	v_xor_b32_e32 v17, vcc_hi, v16
	v_xor_b32_e32 v16, vcc_lo, v16
	; wave barrier
	ds_read_b32 v62, v63 offset:32
	v_and_b32_e32 v64, v64, v65
	v_and_b32_e32 v16, v19, v16
	;; [unrolled: 1-line block ×3, first 2 shown]
	v_mbcnt_lo_u32_b32 v18, v16, 0
	v_mbcnt_hi_u32_b32 v64, v17, v18
	v_cmp_eq_u32_e32 vcc, 0, v64
	v_cmp_ne_u64_e64 s[16:17], 0, v[16:17]
	s_and_b64 s[20:21], s[16:17], vcc
	; wave barrier
	s_and_saveexec_b64 s[16:17], s[20:21]
	s_cbranch_execz .LBB80_69
; %bb.68:
	v_bcnt_u32_b32 v16, v16, 0
	v_bcnt_u32_b32 v16, v17, v16
	s_waitcnt lgkmcnt(0)
	v_add_u32_e32 v16, v62, v16
	ds_write_b32 v63, v16 offset:32
.LBB80_69:
	s_or_b64 exec, exec, s[16:17]
	v_and_b32_e32 v18, s18, v24
	v_and_b32_e32 v17, 1, v18
	v_add_co_u32_e32 v19, vcc, -1, v17
	v_mov_b32_e32 v68, 3
	v_addc_co_u32_e64 v67, s[16:17], 0, -1, vcc
	v_cmp_ne_u32_e32 vcc, 0, v17
	v_lshlrev_b32_sdwa v16, v68, v18 dst_sel:DWORD dst_unused:UNUSED_PAD src0_sel:DWORD src1_sel:BYTE_0
	v_xor_b32_e32 v17, vcc_hi, v67
	v_add_lshl_u32 v66, v40, v16, 2
	v_mov_b32_e32 v16, 0
	v_and_b32_e32 v67, exec_hi, v17
	v_lshlrev_b32_e32 v17, 30, v18
	v_xor_b32_e32 v19, vcc_lo, v19
	v_cmp_gt_i64_e32 vcc, 0, v[16:17]
	v_not_b32_e32 v17, v17
	v_ashrrev_i32_e32 v17, 31, v17
	v_and_b32_e32 v19, exec_lo, v19
	v_xor_b32_e32 v69, vcc_hi, v17
	v_xor_b32_e32 v17, vcc_lo, v17
	v_and_b32_e32 v19, v19, v17
	v_lshlrev_b32_e32 v17, 29, v18
	v_cmp_gt_i64_e32 vcc, 0, v[16:17]
	v_not_b32_e32 v17, v17
	v_ashrrev_i32_e32 v17, 31, v17
	v_and_b32_e32 v67, v67, v69
	v_xor_b32_e32 v69, vcc_hi, v17
	v_xor_b32_e32 v17, vcc_lo, v17
	v_and_b32_e32 v19, v19, v17
	v_lshlrev_b32_e32 v17, 28, v18
	v_cmp_gt_i64_e32 vcc, 0, v[16:17]
	v_not_b32_e32 v17, v17
	v_ashrrev_i32_e32 v17, 31, v17
	v_and_b32_e32 v67, v67, v69
	;; [unrolled: 8-line block ×5, first 2 shown]
	v_xor_b32_e32 v69, vcc_hi, v17
	v_xor_b32_e32 v17, vcc_lo, v17
	v_and_b32_e32 v67, v67, v69
	v_and_b32_e32 v69, v19, v17
	v_lshlrev_b32_e32 v17, 24, v18
	v_cmp_gt_i64_e32 vcc, 0, v[16:17]
	v_not_b32_e32 v17, v17
	v_ashrrev_i32_e32 v17, 31, v17
	v_xor_b32_e32 v18, vcc_hi, v17
	v_xor_b32_e32 v17, vcc_lo, v17
	; wave barrier
	ds_read_b32 v65, v66 offset:32
	v_and_b32_e32 v19, v67, v18
	v_and_b32_e32 v18, v69, v17
	v_mbcnt_lo_u32_b32 v17, v18, 0
	v_mbcnt_hi_u32_b32 v67, v19, v17
	v_cmp_eq_u32_e32 vcc, 0, v67
	v_cmp_ne_u64_e64 s[16:17], 0, v[18:19]
	s_and_b64 s[20:21], s[16:17], vcc
	; wave barrier
	s_and_saveexec_b64 s[16:17], s[20:21]
	s_cbranch_execz .LBB80_71
; %bb.70:
	v_bcnt_u32_b32 v17, v18, 0
	v_bcnt_u32_b32 v17, v19, v17
	s_waitcnt lgkmcnt(0)
	v_add_u32_e32 v17, v65, v17
	ds_write_b32 v66, v17 offset:32
.LBB80_71:
	s_or_b64 exec, exec, s[16:17]
	v_and_b32_e32 v18, s18, v25
	v_lshlrev_b32_sdwa v17, v68, v18 dst_sel:DWORD dst_unused:UNUSED_PAD src0_sel:DWORD src1_sel:BYTE_0
	v_add_lshl_u32 v69, v40, v17, 2
	v_and_b32_e32 v17, 1, v18
	v_add_co_u32_e32 v19, vcc, -1, v17
	v_addc_co_u32_e64 v70, s[16:17], 0, -1, vcc
	v_cmp_ne_u32_e32 vcc, 0, v17
	v_xor_b32_e32 v17, vcc_hi, v70
	v_and_b32_e32 v70, exec_hi, v17
	v_lshlrev_b32_e32 v17, 30, v18
	v_xor_b32_e32 v19, vcc_lo, v19
	v_cmp_gt_i64_e32 vcc, 0, v[16:17]
	v_not_b32_e32 v17, v17
	v_ashrrev_i32_e32 v17, 31, v17
	v_and_b32_e32 v19, exec_lo, v19
	v_xor_b32_e32 v71, vcc_hi, v17
	v_xor_b32_e32 v17, vcc_lo, v17
	v_and_b32_e32 v19, v19, v17
	v_lshlrev_b32_e32 v17, 29, v18
	v_cmp_gt_i64_e32 vcc, 0, v[16:17]
	v_not_b32_e32 v17, v17
	v_ashrrev_i32_e32 v17, 31, v17
	v_and_b32_e32 v70, v70, v71
	v_xor_b32_e32 v71, vcc_hi, v17
	v_xor_b32_e32 v17, vcc_lo, v17
	v_and_b32_e32 v19, v19, v17
	v_lshlrev_b32_e32 v17, 28, v18
	v_cmp_gt_i64_e32 vcc, 0, v[16:17]
	v_not_b32_e32 v17, v17
	v_ashrrev_i32_e32 v17, 31, v17
	v_and_b32_e32 v70, v70, v71
	v_xor_b32_e32 v71, vcc_hi, v17
	v_xor_b32_e32 v17, vcc_lo, v17
	v_and_b32_e32 v19, v19, v17
	v_lshlrev_b32_e32 v17, 27, v18
	v_cmp_gt_i64_e32 vcc, 0, v[16:17]
	v_not_b32_e32 v17, v17
	v_ashrrev_i32_e32 v17, 31, v17
	v_and_b32_e32 v70, v70, v71
	v_xor_b32_e32 v71, vcc_hi, v17
	v_xor_b32_e32 v17, vcc_lo, v17
	v_and_b32_e32 v19, v19, v17
	v_lshlrev_b32_e32 v17, 26, v18
	v_cmp_gt_i64_e32 vcc, 0, v[16:17]
	v_not_b32_e32 v17, v17
	v_ashrrev_i32_e32 v17, 31, v17
	v_and_b32_e32 v70, v70, v71
	v_xor_b32_e32 v71, vcc_hi, v17
	v_xor_b32_e32 v17, vcc_lo, v17
	v_and_b32_e32 v19, v19, v17
	v_lshlrev_b32_e32 v17, 25, v18
	v_cmp_gt_i64_e32 vcc, 0, v[16:17]
	v_not_b32_e32 v17, v17
	v_ashrrev_i32_e32 v17, 31, v17
	v_and_b32_e32 v70, v70, v71
	v_xor_b32_e32 v71, vcc_hi, v17
	v_xor_b32_e32 v17, vcc_lo, v17
	v_and_b32_e32 v19, v19, v17
	v_lshlrev_b32_e32 v17, 24, v18
	v_cmp_gt_i64_e32 vcc, 0, v[16:17]
	v_not_b32_e32 v16, v17
	v_ashrrev_i32_e32 v16, 31, v16
	v_xor_b32_e32 v17, vcc_hi, v16
	v_xor_b32_e32 v16, vcc_lo, v16
	; wave barrier
	ds_read_b32 v68, v69 offset:32
	v_and_b32_e32 v70, v70, v71
	v_and_b32_e32 v16, v19, v16
	v_and_b32_e32 v17, v70, v17
	v_mbcnt_lo_u32_b32 v18, v16, 0
	v_mbcnt_hi_u32_b32 v70, v17, v18
	v_cmp_eq_u32_e32 vcc, 0, v70
	v_cmp_ne_u64_e64 s[16:17], 0, v[16:17]
	s_and_b64 s[20:21], s[16:17], vcc
	; wave barrier
	s_and_saveexec_b64 s[16:17], s[20:21]
	s_cbranch_execz .LBB80_73
; %bb.72:
	v_bcnt_u32_b32 v16, v16, 0
	v_bcnt_u32_b32 v16, v17, v16
	s_waitcnt lgkmcnt(0)
	v_add_u32_e32 v16, v68, v16
	ds_write_b32 v69, v16 offset:32
.LBB80_73:
	s_or_b64 exec, exec, s[16:17]
	v_and_b32_e32 v18, s18, v26
	v_and_b32_e32 v17, 1, v18
	v_add_co_u32_e32 v19, vcc, -1, v17
	v_mov_b32_e32 v74, 3
	v_addc_co_u32_e64 v73, s[16:17], 0, -1, vcc
	v_cmp_ne_u32_e32 vcc, 0, v17
	v_lshlrev_b32_sdwa v16, v74, v18 dst_sel:DWORD dst_unused:UNUSED_PAD src0_sel:DWORD src1_sel:BYTE_0
	v_xor_b32_e32 v17, vcc_hi, v73
	v_add_lshl_u32 v72, v40, v16, 2
	v_mov_b32_e32 v16, 0
	v_and_b32_e32 v73, exec_hi, v17
	v_lshlrev_b32_e32 v17, 30, v18
	v_xor_b32_e32 v19, vcc_lo, v19
	v_cmp_gt_i64_e32 vcc, 0, v[16:17]
	v_not_b32_e32 v17, v17
	v_ashrrev_i32_e32 v17, 31, v17
	v_and_b32_e32 v19, exec_lo, v19
	v_xor_b32_e32 v75, vcc_hi, v17
	v_xor_b32_e32 v17, vcc_lo, v17
	v_and_b32_e32 v19, v19, v17
	v_lshlrev_b32_e32 v17, 29, v18
	v_cmp_gt_i64_e32 vcc, 0, v[16:17]
	v_not_b32_e32 v17, v17
	v_ashrrev_i32_e32 v17, 31, v17
	v_and_b32_e32 v73, v73, v75
	v_xor_b32_e32 v75, vcc_hi, v17
	v_xor_b32_e32 v17, vcc_lo, v17
	v_and_b32_e32 v19, v19, v17
	v_lshlrev_b32_e32 v17, 28, v18
	v_cmp_gt_i64_e32 vcc, 0, v[16:17]
	v_not_b32_e32 v17, v17
	v_ashrrev_i32_e32 v17, 31, v17
	v_and_b32_e32 v73, v73, v75
	;; [unrolled: 8-line block ×5, first 2 shown]
	v_xor_b32_e32 v75, vcc_hi, v17
	v_xor_b32_e32 v17, vcc_lo, v17
	v_and_b32_e32 v73, v73, v75
	v_and_b32_e32 v75, v19, v17
	v_lshlrev_b32_e32 v17, 24, v18
	v_cmp_gt_i64_e32 vcc, 0, v[16:17]
	v_not_b32_e32 v17, v17
	v_ashrrev_i32_e32 v17, 31, v17
	v_xor_b32_e32 v18, vcc_hi, v17
	v_xor_b32_e32 v17, vcc_lo, v17
	; wave barrier
	ds_read_b32 v71, v72 offset:32
	v_and_b32_e32 v19, v73, v18
	v_and_b32_e32 v18, v75, v17
	v_mbcnt_lo_u32_b32 v17, v18, 0
	v_mbcnt_hi_u32_b32 v73, v19, v17
	v_cmp_eq_u32_e32 vcc, 0, v73
	v_cmp_ne_u64_e64 s[16:17], 0, v[18:19]
	s_and_b64 s[20:21], s[16:17], vcc
	; wave barrier
	s_and_saveexec_b64 s[16:17], s[20:21]
	s_cbranch_execz .LBB80_75
; %bb.74:
	v_bcnt_u32_b32 v17, v18, 0
	v_bcnt_u32_b32 v17, v19, v17
	s_waitcnt lgkmcnt(0)
	v_add_u32_e32 v17, v71, v17
	ds_write_b32 v72, v17 offset:32
.LBB80_75:
	s_or_b64 exec, exec, s[16:17]
	v_and_b32_e32 v18, s18, v27
	v_lshlrev_b32_sdwa v17, v74, v18 dst_sel:DWORD dst_unused:UNUSED_PAD src0_sel:DWORD src1_sel:BYTE_0
	v_add_lshl_u32 v74, v40, v17, 2
	v_and_b32_e32 v17, 1, v18
	v_add_co_u32_e32 v19, vcc, -1, v17
	v_addc_co_u32_e64 v76, s[16:17], 0, -1, vcc
	v_cmp_ne_u32_e32 vcc, 0, v17
	v_xor_b32_e32 v17, vcc_hi, v76
	v_and_b32_e32 v76, exec_hi, v17
	v_lshlrev_b32_e32 v17, 30, v18
	v_xor_b32_e32 v19, vcc_lo, v19
	v_cmp_gt_i64_e32 vcc, 0, v[16:17]
	v_not_b32_e32 v17, v17
	v_ashrrev_i32_e32 v17, 31, v17
	v_and_b32_e32 v19, exec_lo, v19
	v_xor_b32_e32 v77, vcc_hi, v17
	v_xor_b32_e32 v17, vcc_lo, v17
	v_and_b32_e32 v19, v19, v17
	v_lshlrev_b32_e32 v17, 29, v18
	v_cmp_gt_i64_e32 vcc, 0, v[16:17]
	v_not_b32_e32 v17, v17
	v_ashrrev_i32_e32 v17, 31, v17
	v_and_b32_e32 v76, v76, v77
	v_xor_b32_e32 v77, vcc_hi, v17
	v_xor_b32_e32 v17, vcc_lo, v17
	v_and_b32_e32 v19, v19, v17
	v_lshlrev_b32_e32 v17, 28, v18
	v_cmp_gt_i64_e32 vcc, 0, v[16:17]
	v_not_b32_e32 v17, v17
	v_ashrrev_i32_e32 v17, 31, v17
	v_and_b32_e32 v76, v76, v77
	;; [unrolled: 8-line block ×5, first 2 shown]
	v_xor_b32_e32 v77, vcc_hi, v17
	v_xor_b32_e32 v17, vcc_lo, v17
	v_and_b32_e32 v19, v19, v17
	v_lshlrev_b32_e32 v17, 24, v18
	v_cmp_gt_i64_e32 vcc, 0, v[16:17]
	v_not_b32_e32 v16, v17
	v_ashrrev_i32_e32 v16, 31, v16
	v_xor_b32_e32 v17, vcc_hi, v16
	v_xor_b32_e32 v16, vcc_lo, v16
	; wave barrier
	ds_read_b32 v40, v74 offset:32
	v_and_b32_e32 v76, v76, v77
	v_and_b32_e32 v16, v19, v16
	;; [unrolled: 1-line block ×3, first 2 shown]
	v_mbcnt_lo_u32_b32 v18, v16, 0
	v_mbcnt_hi_u32_b32 v76, v17, v18
	v_cmp_eq_u32_e32 vcc, 0, v76
	v_cmp_ne_u64_e64 s[16:17], 0, v[16:17]
	v_add_u32_e32 v75, 32, v61
	s_and_b64 s[18:19], s[16:17], vcc
	; wave barrier
	s_and_saveexec_b64 s[16:17], s[18:19]
	s_cbranch_execz .LBB80_77
; %bb.76:
	v_bcnt_u32_b32 v16, v16, 0
	v_bcnt_u32_b32 v16, v17, v16
	s_waitcnt lgkmcnt(0)
	v_add_u32_e32 v16, v40, v16
	ds_write_b32 v74, v16 offset:32
.LBB80_77:
	s_or_b64 exec, exec, s[16:17]
	; wave barrier
	s_waitcnt lgkmcnt(0)
	s_barrier
	ds_read2_b32 v[16:17], v61 offset0:8 offset1:9
	ds_read2_b32 v[18:19], v75 offset0:2 offset1:3
	v_min_u32_e32 v30, 0x1c0, v30
	v_or_b32_e32 v30, 63, v30
	s_waitcnt lgkmcnt(1)
	v_add_u32_e32 v77, v17, v16
	s_waitcnt lgkmcnt(0)
	v_add3_u32 v19, v77, v18, v19
	v_and_b32_e32 v77, 15, v28
	v_cmp_ne_u32_e32 vcc, 0, v77
	v_mov_b32_dpp v78, v19 row_shr:1 row_mask:0xf bank_mask:0xf
	v_cndmask_b32_e32 v78, 0, v78, vcc
	v_add_u32_e32 v19, v78, v19
	v_cmp_lt_u32_e32 vcc, 1, v77
	s_nop 0
	v_mov_b32_dpp v78, v19 row_shr:2 row_mask:0xf bank_mask:0xf
	v_cndmask_b32_e32 v78, 0, v78, vcc
	v_add_u32_e32 v19, v19, v78
	v_cmp_lt_u32_e32 vcc, 3, v77
	s_nop 0
	;; [unrolled: 5-line block ×3, first 2 shown]
	v_mov_b32_dpp v78, v19 row_shr:8 row_mask:0xf bank_mask:0xf
	v_cndmask_b32_e32 v77, 0, v78, vcc
	v_add_u32_e32 v19, v19, v77
	v_bfe_i32 v78, v28, 4, 1
	v_cmp_lt_u32_e32 vcc, 31, v28
	v_mov_b32_dpp v77, v19 row_bcast:15 row_mask:0xf bank_mask:0xf
	v_and_b32_e32 v77, v78, v77
	v_add_u32_e32 v19, v19, v77
	s_nop 1
	v_mov_b32_dpp v77, v19 row_bcast:31 row_mask:0xf bank_mask:0xf
	v_cndmask_b32_e32 v77, 0, v77, vcc
	v_add_u32_e32 v19, v19, v77
	v_lshrrev_b32_e32 v77, 6, v36
	v_cmp_eq_u32_e32 vcc, v30, v36
	s_and_saveexec_b64 s[16:17], vcc
	s_cbranch_execz .LBB80_79
; %bb.78:
	v_lshlrev_b32_e32 v30, 2, v77
	ds_write_b32 v30, v19
.LBB80_79:
	s_or_b64 exec, exec, s[16:17]
	v_cmp_gt_u32_e32 vcc, 8, v36
	s_waitcnt lgkmcnt(0)
	s_barrier
	s_and_saveexec_b64 s[16:17], vcc
	s_cbranch_execz .LBB80_81
; %bb.80:
	v_lshlrev_b32_e32 v30, 2, v36
	ds_read_b32 v78, v30
	v_and_b32_e32 v79, 7, v28
	v_cmp_ne_u32_e32 vcc, 0, v79
	s_waitcnt lgkmcnt(0)
	v_mov_b32_dpp v80, v78 row_shr:1 row_mask:0xf bank_mask:0xf
	v_cndmask_b32_e32 v80, 0, v80, vcc
	v_add_u32_e32 v78, v80, v78
	v_cmp_lt_u32_e32 vcc, 1, v79
	s_nop 0
	v_mov_b32_dpp v80, v78 row_shr:2 row_mask:0xf bank_mask:0xf
	v_cndmask_b32_e32 v80, 0, v80, vcc
	v_add_u32_e32 v78, v78, v80
	v_cmp_lt_u32_e32 vcc, 3, v79
	s_nop 0
	v_mov_b32_dpp v80, v78 row_shr:4 row_mask:0xf bank_mask:0xf
	v_cndmask_b32_e32 v79, 0, v80, vcc
	v_add_u32_e32 v78, v78, v79
	ds_write_b32 v30, v78
.LBB80_81:
	s_or_b64 exec, exec, s[16:17]
	v_cmp_lt_u32_e32 vcc, 63, v36
	v_mov_b32_e32 v30, 0
	s_waitcnt lgkmcnt(0)
	s_barrier
	s_and_saveexec_b64 s[16:17], vcc
	s_cbranch_execz .LBB80_83
; %bb.82:
	v_lshl_add_u32 v30, v77, 2, -4
	ds_read_b32 v30, v30
.LBB80_83:
	s_or_b64 exec, exec, s[16:17]
	v_add_u32_e32 v77, -1, v28
	v_and_b32_e32 v78, 64, v28
	v_cmp_lt_i32_e32 vcc, v77, v78
	v_cndmask_b32_e32 v77, v77, v28, vcc
	s_waitcnt lgkmcnt(0)
	v_add_u32_e32 v19, v30, v19
	v_lshlrev_b32_e32 v77, 2, v77
	ds_bpermute_b32 v19, v77, v19
	v_cmp_eq_u32_e32 vcc, 0, v28
	s_waitcnt lgkmcnt(0)
	v_cndmask_b32_e32 v19, v19, v30, vcc
	v_cmp_ne_u32_e32 vcc, 0, v36
	v_cndmask_b32_e32 v19, 0, v19, vcc
	v_add_u32_e32 v16, v19, v16
	v_add_u32_e32 v17, v16, v17
	;; [unrolled: 1-line block ×3, first 2 shown]
	ds_write2_b32 v61, v19, v16 offset0:8 offset1:9
	ds_write2_b32 v75, v17, v18 offset0:2 offset1:3
	s_waitcnt lgkmcnt(0)
	s_barrier
	ds_read_b32 v16, v29 offset:32
	ds_read_b32 v17, v33 offset:32
	;; [unrolled: 1-line block ×8, first 2 shown]
	s_waitcnt lgkmcnt(7)
	v_add_u32_e32 v31, v16, v31
	s_waitcnt lgkmcnt(6)
	v_add3_u32 v32, v38, v32, v17
	s_waitcnt lgkmcnt(5)
	v_add3_u32 v18, v43, v39, v18
	;; [unrolled: 2-line block ×7, first 2 shown]
	s_barrier
	ds_write_b8 v31, v20
	ds_write_b8 v32, v21
	ds_write_b8 v18, v22
	ds_write_b8 v19, v23
	ds_write_b8 v28, v24
	ds_write_b8 v29, v25
	ds_write_b8 v30, v26
	ds_write_b8 v33, v27
	v_lshlrev_b32_e32 v20, 3, v31
	s_waitcnt lgkmcnt(0)
	s_barrier
	ds_read_b64 v[16:17], v53
	s_waitcnt lgkmcnt(0)
	s_barrier
	ds_write_b64 v20, v[12:13]
	v_lshlrev_b32_e32 v12, 3, v32
	ds_write_b64 v12, v[14:15]
	v_lshlrev_b32_e32 v12, 3, v18
	;; [unrolled: 2-line block ×8, first 2 shown]
	s_waitcnt lgkmcnt(0)
	s_barrier
	ds_read2_b64 v[18:21], v0 offset1:1
	ds_read2_b64 v[22:25], v0 offset0:2 offset1:3
	ds_read2_b64 v[26:29], v0 offset0:4 offset1:5
	;; [unrolled: 1-line block ×3, first 2 shown]
	v_lshrrev_b32_e32 v36, 8, v16
	v_mov_b32_e32 v1, -1
	v_lshrrev_b32_e32 v38, 8, v17
	v_xor_b32_e32 v0, -1, v16
	v_xor_b32_sdwa v2, v36, v1 dst_sel:BYTE_1 dst_unused:UNUSED_PAD src0_sel:DWORD src1_sel:DWORD
	v_xor_b32_sdwa v3, v16, v1 dst_sel:DWORD dst_unused:UNUSED_PAD src0_sel:WORD_1 src1_sel:DWORD
	v_xor_b32_sdwa v4, v16, v1 dst_sel:BYTE_1 dst_unused:UNUSED_PAD src0_sel:BYTE_3 src1_sel:DWORD
	v_xor_b32_e32 v5, -1, v17
	v_xor_b32_sdwa v6, v38, v1 dst_sel:BYTE_1 dst_unused:UNUSED_PAD src0_sel:DWORD src1_sel:DWORD
	v_xor_b32_sdwa v7, v17, v1 dst_sel:DWORD dst_unused:UNUSED_PAD src0_sel:WORD_1 src1_sel:DWORD
	v_xor_b32_sdwa v1, v17, v1 dst_sel:BYTE_1 dst_unused:UNUSED_PAD src0_sel:BYTE_3 src1_sel:DWORD
	v_or_b32_sdwa v0, v0, v2 dst_sel:DWORD dst_unused:UNUSED_PAD src0_sel:BYTE_0 src1_sel:DWORD
	v_or_b32_sdwa v2, v3, v4 dst_sel:WORD_1 dst_unused:UNUSED_PAD src0_sel:BYTE_0 src1_sel:DWORD
	v_or_b32_sdwa v0, v0, v2 dst_sel:DWORD dst_unused:UNUSED_PAD src0_sel:WORD_0 src1_sel:DWORD
	v_or_b32_sdwa v2, v5, v6 dst_sel:DWORD dst_unused:UNUSED_PAD src0_sel:BYTE_0 src1_sel:DWORD
	v_or_b32_sdwa v1, v7, v1 dst_sel:WORD_1 dst_unused:UNUSED_PAD src0_sel:BYTE_0 src1_sel:DWORD
	v_or_b32_sdwa v1, v2, v1 dst_sel:DWORD dst_unused:UNUSED_PAD src0_sel:WORD_0 src1_sel:DWORD
.LBB80_84:
	s_waitcnt lgkmcnt(0)
	s_barrier
	ds_write_b64 v52, v[0:1]
	s_waitcnt lgkmcnt(0)
	s_barrier
	ds_read_u8 v8, v45 offset:512
	ds_read_u8 v7, v46 offset:1024
	ds_read_u8 v6, v47 offset:1536
	ds_read_u8 v5, v48 offset:2048
	ds_read_u8 v4, v49 offset:2560
	ds_read_u8 v3, v50 offset:3072
	ds_read_u8 v2, v51 offset:3584
	v_mov_b32_e32 v1, s41
	v_add_co_u32_e32 v0, vcc, s40, v37
	v_addc_co_u32_e32 v1, vcc, 0, v1, vcc
	s_and_saveexec_b64 s[16:17], s[0:1]
	s_cbranch_execnz .LBB80_103
; %bb.85:
	s_or_b64 exec, exec, s[16:17]
	s_and_saveexec_b64 s[16:17], s[2:3]
	s_cbranch_execnz .LBB80_104
.LBB80_86:
	s_or_b64 exec, exec, s[16:17]
	s_and_saveexec_b64 s[16:17], s[4:5]
	s_cbranch_execnz .LBB80_105
.LBB80_87:
	s_or_b64 exec, exec, s[16:17]
	s_and_saveexec_b64 s[16:17], s[6:7]
	s_cbranch_execnz .LBB80_106
.LBB80_88:
	s_or_b64 exec, exec, s[16:17]
	s_and_saveexec_b64 s[16:17], s[8:9]
	s_cbranch_execnz .LBB80_107
.LBB80_89:
	s_or_b64 exec, exec, s[16:17]
	s_and_saveexec_b64 s[16:17], s[10:11]
	s_cbranch_execnz .LBB80_108
.LBB80_90:
	s_or_b64 exec, exec, s[16:17]
	s_and_saveexec_b64 s[16:17], s[12:13]
	s_cbranch_execnz .LBB80_109
.LBB80_91:
	s_or_b64 exec, exec, s[16:17]
	s_and_saveexec_b64 s[16:17], s[14:15]
	s_cbranch_execz .LBB80_93
.LBB80_92:
	s_mul_i32 s18, s38, 0xe00
	v_add_co_u32_e32 v0, vcc, s18, v0
	v_addc_co_u32_e32 v1, vcc, 0, v1, vcc
	s_waitcnt lgkmcnt(0)
	global_store_byte v[0:1], v2, off
.LBB80_93:
	s_or_b64 exec, exec, s[16:17]
	s_waitcnt lgkmcnt(0)
	s_barrier
	ds_write2_b64 v60, v[18:19], v[20:21] offset1:1
	ds_write2_b64 v60, v[22:23], v[24:25] offset0:2 offset1:3
	ds_write2_b64 v60, v[26:27], v[28:29] offset0:4 offset1:5
	;; [unrolled: 1-line block ×3, first 2 shown]
	s_waitcnt lgkmcnt(0)
	s_barrier
	ds_read_b64 v[14:15], v35 offset:4096
	ds_read_b64 v[12:13], v54 offset:8192
	;; [unrolled: 1-line block ×7, first 2 shown]
	v_mov_b32_e32 v35, 0
	v_lshlrev_b64 v[2:3], 3, v[34:35]
	v_mov_b32_e32 v16, s35
	v_add_co_u32_e32 v2, vcc, s33, v2
	v_addc_co_u32_e32 v3, vcc, v16, v3, vcc
	s_and_saveexec_b64 s[16:17], s[0:1]
	s_cbranch_execnz .LBB80_110
; %bb.94:
	s_or_b64 exec, exec, s[16:17]
	s_and_saveexec_b64 s[0:1], s[2:3]
	s_cbranch_execnz .LBB80_111
.LBB80_95:
	s_or_b64 exec, exec, s[0:1]
	s_and_saveexec_b64 s[0:1], s[4:5]
	s_cbranch_execnz .LBB80_112
.LBB80_96:
	s_or_b64 exec, exec, s[0:1]
	s_and_saveexec_b64 s[0:1], s[6:7]
	s_cbranch_execnz .LBB80_113
.LBB80_97:
	s_or_b64 exec, exec, s[0:1]
	s_and_saveexec_b64 s[0:1], s[8:9]
	s_cbranch_execnz .LBB80_114
.LBB80_98:
	s_or_b64 exec, exec, s[0:1]
	s_and_saveexec_b64 s[0:1], s[10:11]
	s_cbranch_execnz .LBB80_115
.LBB80_99:
	s_or_b64 exec, exec, s[0:1]
	s_and_saveexec_b64 s[0:1], s[12:13]
	s_cbranch_execnz .LBB80_116
.LBB80_100:
	s_or_b64 exec, exec, s[0:1]
	s_and_saveexec_b64 s[0:1], s[14:15]
	s_cbranch_execz .LBB80_102
.LBB80_101:
	s_mul_i32 s0, s34, 0xe00
	s_mov_b32 s1, 0
	s_lshl_b64 s[0:1], s[0:1], 3
	s_waitcnt lgkmcnt(1)
	v_mov_b32_e32 v4, s1
	v_add_co_u32_e32 v2, vcc, s0, v2
	v_addc_co_u32_e32 v3, vcc, v3, v4, vcc
	s_waitcnt lgkmcnt(0)
	global_store_dwordx2 v[2:3], v[0:1], off
.LBB80_102:
	s_endpgm
.LBB80_103:
	ds_read_u8 v9, v44
	s_waitcnt lgkmcnt(0)
	global_store_byte v[0:1], v9, off
	s_or_b64 exec, exec, s[16:17]
	s_and_saveexec_b64 s[16:17], s[2:3]
	s_cbranch_execz .LBB80_86
.LBB80_104:
	s_lshl_b32 s18, s38, 9
	v_add_co_u32_e32 v10, vcc, s18, v0
	v_addc_co_u32_e32 v11, vcc, 0, v1, vcc
	s_waitcnt lgkmcnt(6)
	global_store_byte v[10:11], v8, off
	s_or_b64 exec, exec, s[16:17]
	s_and_saveexec_b64 s[16:17], s[4:5]
	s_cbranch_execz .LBB80_87
.LBB80_105:
	s_lshl_b32 s18, s38, 10
	s_waitcnt lgkmcnt(6)
	v_add_co_u32_e32 v8, vcc, s18, v0
	v_addc_co_u32_e32 v9, vcc, 0, v1, vcc
	s_waitcnt lgkmcnt(5)
	global_store_byte v[8:9], v7, off
	s_or_b64 exec, exec, s[16:17]
	s_and_saveexec_b64 s[16:17], s[6:7]
	s_cbranch_execz .LBB80_88
.LBB80_106:
	s_mul_i32 s18, s38, 0x600
	s_waitcnt lgkmcnt(6)
	v_add_co_u32_e32 v8, vcc, s18, v0
	v_addc_co_u32_e32 v9, vcc, 0, v1, vcc
	s_waitcnt lgkmcnt(4)
	global_store_byte v[8:9], v6, off
	s_or_b64 exec, exec, s[16:17]
	s_and_saveexec_b64 s[16:17], s[8:9]
	s_cbranch_execz .LBB80_89
.LBB80_107:
	s_lshl_b32 s18, s38, 11
	s_waitcnt lgkmcnt(4)
	v_add_co_u32_e32 v6, vcc, s18, v0
	v_addc_co_u32_e32 v7, vcc, 0, v1, vcc
	s_waitcnt lgkmcnt(3)
	global_store_byte v[6:7], v5, off
	s_or_b64 exec, exec, s[16:17]
	s_and_saveexec_b64 s[16:17], s[10:11]
	s_cbranch_execz .LBB80_90
.LBB80_108:
	s_mul_i32 s18, s38, 0xa00
	s_waitcnt lgkmcnt(4)
	v_add_co_u32_e32 v6, vcc, s18, v0
	v_addc_co_u32_e32 v7, vcc, 0, v1, vcc
	s_waitcnt lgkmcnt(2)
	global_store_byte v[6:7], v4, off
	s_or_b64 exec, exec, s[16:17]
	s_and_saveexec_b64 s[16:17], s[12:13]
	s_cbranch_execz .LBB80_91
.LBB80_109:
	s_mul_i32 s18, s38, 0xc00
	s_waitcnt lgkmcnt(2)
	v_add_co_u32_e32 v4, vcc, s18, v0
	v_addc_co_u32_e32 v5, vcc, 0, v1, vcc
	s_waitcnt lgkmcnt(1)
	global_store_byte v[4:5], v3, off
	s_or_b64 exec, exec, s[16:17]
	s_and_saveexec_b64 s[16:17], s[14:15]
	s_cbranch_execnz .LBB80_92
	s_branch .LBB80_93
.LBB80_110:
	ds_read_b64 v[16:17], v41
	s_waitcnt lgkmcnt(0)
	global_store_dwordx2 v[2:3], v[16:17], off
	s_or_b64 exec, exec, s[16:17]
	s_and_saveexec_b64 s[0:1], s[2:3]
	s_cbranch_execz .LBB80_95
.LBB80_111:
	s_lshl_b32 s2, s34, 9
	s_mov_b32 s3, 0
	s_lshl_b64 s[2:3], s[2:3], 3
	v_mov_b32_e32 v17, s3
	v_add_co_u32_e32 v16, vcc, s2, v2
	v_addc_co_u32_e32 v17, vcc, v3, v17, vcc
	s_waitcnt lgkmcnt(6)
	global_store_dwordx2 v[16:17], v[14:15], off
	s_or_b64 exec, exec, s[0:1]
	s_and_saveexec_b64 s[0:1], s[4:5]
	s_cbranch_execz .LBB80_96
.LBB80_112:
	s_lshl_b32 s2, s34, 10
	s_mov_b32 s3, 0
	s_lshl_b64 s[2:3], s[2:3], 3
	s_waitcnt lgkmcnt(6)
	v_mov_b32_e32 v15, s3
	v_add_co_u32_e32 v14, vcc, s2, v2
	v_addc_co_u32_e32 v15, vcc, v3, v15, vcc
	s_waitcnt lgkmcnt(5)
	global_store_dwordx2 v[14:15], v[12:13], off
	s_or_b64 exec, exec, s[0:1]
	s_and_saveexec_b64 s[0:1], s[6:7]
	s_cbranch_execz .LBB80_97
.LBB80_113:
	s_mul_i32 s2, s34, 0x600
	s_mov_b32 s3, 0
	s_lshl_b64 s[2:3], s[2:3], 3
	s_waitcnt lgkmcnt(5)
	v_mov_b32_e32 v13, s3
	v_add_co_u32_e32 v12, vcc, s2, v2
	v_addc_co_u32_e32 v13, vcc, v3, v13, vcc
	s_waitcnt lgkmcnt(4)
	global_store_dwordx2 v[12:13], v[10:11], off
	s_or_b64 exec, exec, s[0:1]
	s_and_saveexec_b64 s[0:1], s[8:9]
	s_cbranch_execz .LBB80_98
.LBB80_114:
	s_lshl_b32 s2, s34, 11
	s_mov_b32 s3, 0
	s_lshl_b64 s[2:3], s[2:3], 3
	s_waitcnt lgkmcnt(4)
	v_mov_b32_e32 v11, s3
	v_add_co_u32_e32 v10, vcc, s2, v2
	v_addc_co_u32_e32 v11, vcc, v3, v11, vcc
	s_waitcnt lgkmcnt(3)
	global_store_dwordx2 v[10:11], v[8:9], off
	s_or_b64 exec, exec, s[0:1]
	s_and_saveexec_b64 s[0:1], s[10:11]
	s_cbranch_execz .LBB80_99
.LBB80_115:
	s_mul_i32 s2, s34, 0xa00
	s_mov_b32 s3, 0
	s_lshl_b64 s[2:3], s[2:3], 3
	s_waitcnt lgkmcnt(3)
	v_mov_b32_e32 v9, s3
	v_add_co_u32_e32 v8, vcc, s2, v2
	v_addc_co_u32_e32 v9, vcc, v3, v9, vcc
	s_waitcnt lgkmcnt(2)
	global_store_dwordx2 v[8:9], v[6:7], off
	s_or_b64 exec, exec, s[0:1]
	s_and_saveexec_b64 s[0:1], s[12:13]
	s_cbranch_execz .LBB80_100
.LBB80_116:
	s_mul_i32 s2, s34, 0xc00
	s_mov_b32 s3, 0
	s_lshl_b64 s[2:3], s[2:3], 3
	s_waitcnt lgkmcnt(2)
	v_mov_b32_e32 v7, s3
	v_add_co_u32_e32 v6, vcc, s2, v2
	v_addc_co_u32_e32 v7, vcc, v3, v7, vcc
	s_waitcnt lgkmcnt(1)
	global_store_dwordx2 v[6:7], v[4:5], off
	s_or_b64 exec, exec, s[0:1]
	s_and_saveexec_b64 s[0:1], s[14:15]
	s_cbranch_execnz .LBB80_101
	s_branch .LBB80_102
	.section	.rodata,"a",@progbits
	.p2align	6, 0x0
	.amdhsa_kernel _ZN2at6native18radixSortKVInPlaceILin2ELin1ELi512ELi8EhljEEvNS_4cuda6detail10TensorInfoIT3_T5_EES6_S6_S6_NS4_IT4_S6_EES6_b
		.amdhsa_group_segment_fixed_size 33792
		.amdhsa_private_segment_fixed_size 0
		.amdhsa_kernarg_size 712
		.amdhsa_user_sgpr_count 6
		.amdhsa_user_sgpr_private_segment_buffer 1
		.amdhsa_user_sgpr_dispatch_ptr 0
		.amdhsa_user_sgpr_queue_ptr 0
		.amdhsa_user_sgpr_kernarg_segment_ptr 1
		.amdhsa_user_sgpr_dispatch_id 0
		.amdhsa_user_sgpr_flat_scratch_init 0
		.amdhsa_user_sgpr_kernarg_preload_length 0
		.amdhsa_user_sgpr_kernarg_preload_offset 0
		.amdhsa_user_sgpr_private_segment_size 0
		.amdhsa_uses_dynamic_stack 0
		.amdhsa_system_sgpr_private_segment_wavefront_offset 0
		.amdhsa_system_sgpr_workgroup_id_x 1
		.amdhsa_system_sgpr_workgroup_id_y 1
		.amdhsa_system_sgpr_workgroup_id_z 1
		.amdhsa_system_sgpr_workgroup_info 0
		.amdhsa_system_vgpr_workitem_id 2
		.amdhsa_next_free_vgpr 105
		.amdhsa_next_free_sgpr 46
		.amdhsa_accum_offset 108
		.amdhsa_reserve_vcc 1
		.amdhsa_reserve_flat_scratch 0
		.amdhsa_float_round_mode_32 0
		.amdhsa_float_round_mode_16_64 0
		.amdhsa_float_denorm_mode_32 3
		.amdhsa_float_denorm_mode_16_64 3
		.amdhsa_dx10_clamp 1
		.amdhsa_ieee_mode 1
		.amdhsa_fp16_overflow 0
		.amdhsa_tg_split 0
		.amdhsa_exception_fp_ieee_invalid_op 0
		.amdhsa_exception_fp_denorm_src 0
		.amdhsa_exception_fp_ieee_div_zero 0
		.amdhsa_exception_fp_ieee_overflow 0
		.amdhsa_exception_fp_ieee_underflow 0
		.amdhsa_exception_fp_ieee_inexact 0
		.amdhsa_exception_int_div_zero 0
	.end_amdhsa_kernel
	.section	.text._ZN2at6native18radixSortKVInPlaceILin2ELin1ELi512ELi8EhljEEvNS_4cuda6detail10TensorInfoIT3_T5_EES6_S6_S6_NS4_IT4_S6_EES6_b,"axG",@progbits,_ZN2at6native18radixSortKVInPlaceILin2ELin1ELi512ELi8EhljEEvNS_4cuda6detail10TensorInfoIT3_T5_EES6_S6_S6_NS4_IT4_S6_EES6_b,comdat
.Lfunc_end80:
	.size	_ZN2at6native18radixSortKVInPlaceILin2ELin1ELi512ELi8EhljEEvNS_4cuda6detail10TensorInfoIT3_T5_EES6_S6_S6_NS4_IT4_S6_EES6_b, .Lfunc_end80-_ZN2at6native18radixSortKVInPlaceILin2ELin1ELi512ELi8EhljEEvNS_4cuda6detail10TensorInfoIT3_T5_EES6_S6_S6_NS4_IT4_S6_EES6_b
                                        ; -- End function
	.section	.AMDGPU.csdata,"",@progbits
; Kernel info:
; codeLenInByte = 11832
; NumSgprs: 50
; NumVgprs: 105
; NumAgprs: 0
; TotalNumVgprs: 105
; ScratchSize: 0
; MemoryBound: 0
; FloatMode: 240
; IeeeMode: 1
; LDSByteSize: 33792 bytes/workgroup (compile time only)
; SGPRBlocks: 6
; VGPRBlocks: 13
; NumSGPRsForWavesPerEU: 50
; NumVGPRsForWavesPerEU: 105
; AccumOffset: 108
; Occupancy: 2
; WaveLimiterHint : 1
; COMPUTE_PGM_RSRC2:SCRATCH_EN: 0
; COMPUTE_PGM_RSRC2:USER_SGPR: 6
; COMPUTE_PGM_RSRC2:TRAP_HANDLER: 0
; COMPUTE_PGM_RSRC2:TGID_X_EN: 1
; COMPUTE_PGM_RSRC2:TGID_Y_EN: 1
; COMPUTE_PGM_RSRC2:TGID_Z_EN: 1
; COMPUTE_PGM_RSRC2:TIDIG_COMP_CNT: 2
; COMPUTE_PGM_RSRC3_GFX90A:ACCUM_OFFSET: 26
; COMPUTE_PGM_RSRC3_GFX90A:TG_SPLIT: 0
	.section	.text._ZN2at6native18radixSortKVInPlaceILin2ELin1ELi256ELi8EhljEEvNS_4cuda6detail10TensorInfoIT3_T5_EES6_S6_S6_NS4_IT4_S6_EES6_b,"axG",@progbits,_ZN2at6native18radixSortKVInPlaceILin2ELin1ELi256ELi8EhljEEvNS_4cuda6detail10TensorInfoIT3_T5_EES6_S6_S6_NS4_IT4_S6_EES6_b,comdat
	.protected	_ZN2at6native18radixSortKVInPlaceILin2ELin1ELi256ELi8EhljEEvNS_4cuda6detail10TensorInfoIT3_T5_EES6_S6_S6_NS4_IT4_S6_EES6_b ; -- Begin function _ZN2at6native18radixSortKVInPlaceILin2ELin1ELi256ELi8EhljEEvNS_4cuda6detail10TensorInfoIT3_T5_EES6_S6_S6_NS4_IT4_S6_EES6_b
	.globl	_ZN2at6native18radixSortKVInPlaceILin2ELin1ELi256ELi8EhljEEvNS_4cuda6detail10TensorInfoIT3_T5_EES6_S6_S6_NS4_IT4_S6_EES6_b
	.p2align	8
	.type	_ZN2at6native18radixSortKVInPlaceILin2ELin1ELi256ELi8EhljEEvNS_4cuda6detail10TensorInfoIT3_T5_EES6_S6_S6_NS4_IT4_S6_EES6_b,@function
_ZN2at6native18radixSortKVInPlaceILin2ELin1ELi256ELi8EhljEEvNS_4cuda6detail10TensorInfoIT3_T5_EES6_S6_S6_NS4_IT4_S6_EES6_b: ; @_ZN2at6native18radixSortKVInPlaceILin2ELin1ELi256ELi8EhljEEvNS_4cuda6detail10TensorInfoIT3_T5_EES6_S6_S6_NS4_IT4_S6_EES6_b
; %bb.0:
	s_load_dwordx2 s[0:1], s[4:5], 0x1c8
	s_load_dwordx4 s[36:39], s[4:5], 0xd8
	s_add_u32 s42, s4, 0x1c8
	s_addc_u32 s43, s5, 0
	s_waitcnt lgkmcnt(0)
	s_mul_i32 s1, s1, s8
	s_add_i32 s1, s1, s7
	s_mul_i32 s0, s1, s0
	s_add_i32 s6, s0, s6
	s_cmp_ge_u32 s6, s36
	s_cbranch_scc1 .LBB81_102
; %bb.1:
	s_load_dword s2, s[4:5], 0x1b8
	s_load_dwordx2 s[0:1], s[4:5], 0x0
	s_add_u32 s14, s4, 0xe8
	s_addc_u32 s15, s5, 0
	s_mov_b32 s17, 0
	s_waitcnt lgkmcnt(0)
	s_cmp_lt_i32 s2, 2
	s_mov_b32 s16, s6
	s_cbranch_scc1 .LBB81_4
; %bb.2:
	s_add_i32 s16, s2, -1
	s_add_i32 s7, s2, 1
	s_lshl_b64 s[2:3], s[16:17], 2
	s_add_u32 s2, s2, s14
	s_addc_u32 s3, s3, s15
	s_add_u32 s2, s2, 8
	s_addc_u32 s3, s3, 0
	s_mov_b32 s16, s6
.LBB81_3:                               ; =>This Inner Loop Header: Depth=1
	s_load_dword s8, s[2:3], 0x0
	s_load_dword s10, s[2:3], 0x64
	s_mov_b32 s9, s16
	s_waitcnt lgkmcnt(0)
	v_cvt_f32_u32_e32 v1, s8
	s_sub_i32 s11, 0, s8
	v_rcp_iflag_f32_e32 v1, v1
	v_mul_f32_e32 v1, 0x4f7ffffe, v1
	v_cvt_u32_f32_e32 v1, v1
	v_readfirstlane_b32 s12, v1
	s_mul_i32 s11, s11, s12
	s_mul_hi_u32 s11, s12, s11
	s_add_i32 s12, s12, s11
	s_mul_hi_u32 s11, s16, s12
	s_mul_i32 s12, s11, s8
	s_sub_i32 s12, s16, s12
	s_add_i32 s13, s11, 1
	s_sub_i32 s16, s12, s8
	s_cmp_ge_u32 s12, s8
	s_cselect_b32 s11, s13, s11
	s_cselect_b32 s12, s16, s12
	s_add_i32 s13, s11, 1
	s_cmp_ge_u32 s12, s8
	s_cselect_b32 s16, s13, s11
	s_mul_i32 s8, s16, s8
	s_sub_i32 s8, s9, s8
	s_mul_i32 s8, s10, s8
	s_add_i32 s7, s7, -1
	s_add_i32 s17, s8, s17
	s_add_u32 s2, s2, -4
	s_addc_u32 s3, s3, -1
	s_cmp_gt_u32 s7, 2
	s_cbranch_scc1 .LBB81_3
.LBB81_4:
	s_load_dword s2, s[4:5], 0x6c
	s_load_dwordx2 s[34:35], s[4:5], 0x1c0
	v_and_b32_e32 v36, 0x3ff, v0
	v_mul_lo_u32 v37, v36, s38
	s_waitcnt lgkmcnt(0)
	s_mul_i32 s4, s2, s6
	s_bitcmp1_b32 s35, 0
	s_cselect_b64 s[2:3], -1, 0
	s_add_u32 s40, s0, s4
	s_addc_u32 s41, s1, 0
	s_xor_b64 s[44:45], s[2:3], -1
	v_cndmask_b32_e64 v1, 0, -1, s[44:45]
	v_lshlrev_b16_e32 v2, 8, v1
	v_or_b32_sdwa v2, v1, v2 dst_sel:DWORD dst_unused:UNUSED_PAD src0_sel:BYTE_0 src1_sel:DWORD
	v_lshlrev_b32_e32 v3, 16, v2
	v_or_b32_sdwa v2, v2, v3 dst_sel:DWORD dst_unused:UNUSED_PAD src0_sel:WORD_0 src1_sel:DWORD
	v_mov_b32_e32 v3, v2
	v_cmp_gt_u32_e64 s[0:1], s37, v36
	s_and_saveexec_b64 s[2:3], s[0:1]
	s_cbranch_execz .LBB81_6
; %bb.5:
	global_load_ubyte v1, v37, s[40:41]
	s_mov_b32 s4, 0x3020104
	v_mov_b32_e32 v5, v2
	s_waitcnt vmcnt(0)
	v_perm_b32 v4, v1, v2, s4
	v_pk_mov_b32 v[2:3], v[4:5], v[4:5] op_sel:[0,1]
.LBB81_6:
	s_or_b64 exec, exec, s[2:3]
	v_add_u32_e32 v32, 0x100, v36
	v_cmp_gt_u32_e64 s[2:3], s37, v32
	s_and_saveexec_b64 s[4:5], s[2:3]
	s_cbranch_execz .LBB81_8
; %bb.7:
	v_mul_lo_u32 v4, v32, s38
	global_load_ubyte v4, v4, s[40:41]
	s_mov_b32 s6, 0x7060004
	s_waitcnt vmcnt(0)
	v_perm_b32 v2, v2, v4, s6
.LBB81_8:
	s_or_b64 exec, exec, s[4:5]
	v_add_u32_e32 v31, 0x200, v36
	v_cmp_gt_u32_e64 s[4:5], s37, v31
	s_and_saveexec_b64 s[6:7], s[4:5]
	s_cbranch_execz .LBB81_10
; %bb.9:
	v_mul_lo_u32 v4, v31, s38
	global_load_ubyte v4, v4, s[40:41]
	s_movk_i32 s8, 0xff00
	v_and_b32_sdwa v5, v2, s8 dst_sel:DWORD dst_unused:UNUSED_PAD src0_sel:WORD_1 src1_sel:DWORD
	s_mov_b32 s8, 0xffff
	s_waitcnt vmcnt(0)
	v_or_b32_sdwa v4, v4, v5 dst_sel:WORD_1 dst_unused:UNUSED_PAD src0_sel:DWORD src1_sel:DWORD
	v_and_or_b32 v2, v2, s8, v4
.LBB81_10:
	s_or_b64 exec, exec, s[6:7]
	v_add_u32_e32 v30, 0x300, v36
	v_cmp_gt_u32_e64 s[6:7], s37, v30
	s_and_saveexec_b64 s[8:9], s[6:7]
	s_cbranch_execz .LBB81_12
; %bb.11:
	v_mul_lo_u32 v4, v30, s38
	global_load_ubyte v4, v4, s[40:41]
	s_movk_i32 s10, 0xff
	v_and_b32_sdwa v5, v2, s10 dst_sel:DWORD dst_unused:UNUSED_PAD src0_sel:WORD_1 src1_sel:DWORD
	s_mov_b32 s10, 0xffff
	s_waitcnt vmcnt(0)
	v_lshlrev_b16_e32 v4, 8, v4
	v_or_b32_sdwa v4, v5, v4 dst_sel:WORD_1 dst_unused:UNUSED_PAD src0_sel:DWORD src1_sel:DWORD
	v_and_or_b32 v2, v2, s10, v4
.LBB81_12:
	s_or_b64 exec, exec, s[8:9]
	v_or_b32_e32 v29, 0x400, v36
	v_cmp_gt_u32_e64 s[8:9], s37, v29
	s_and_saveexec_b64 s[10:11], s[8:9]
	s_cbranch_execz .LBB81_14
; %bb.13:
	v_mul_lo_u32 v4, v29, s38
	global_load_ubyte v4, v4, s[40:41]
	s_mov_b32 s12, 0x3020104
	s_waitcnt vmcnt(0)
	v_perm_b32 v3, v4, v3, s12
.LBB81_14:
	s_or_b64 exec, exec, s[10:11]
	v_add_u32_e32 v28, 0x500, v36
	v_cmp_gt_u32_e64 s[10:11], s37, v28
	s_and_saveexec_b64 s[12:13], s[10:11]
	s_cbranch_execz .LBB81_16
; %bb.15:
	v_mul_lo_u32 v4, v28, s38
	global_load_ubyte v4, v4, s[40:41]
	s_mov_b32 s18, 0x7060004
	s_waitcnt vmcnt(0)
	v_perm_b32 v3, v3, v4, s18
.LBB81_16:
	s_or_b64 exec, exec, s[12:13]
	s_load_dwordx2 s[18:19], s[14:15], 0x0
	v_add_u32_e32 v27, 0x600, v36
	v_cmp_gt_u32_e64 s[12:13], s37, v27
	s_and_saveexec_b64 s[20:21], s[12:13]
	s_cbranch_execz .LBB81_18
; %bb.17:
	v_mul_lo_u32 v4, v27, s38
	global_load_ubyte v4, v4, s[40:41]
	s_mov_b32 s22, 0x7000504
	s_waitcnt vmcnt(0)
	v_perm_b32 v3, v3, v4, s22
.LBB81_18:
	s_or_b64 exec, exec, s[20:21]
	s_load_dword s22, s[14:15], 0x6c
	v_add_u32_e32 v22, 0x700, v36
	v_cmp_gt_u32_e64 s[14:15], s37, v22
	s_and_saveexec_b64 s[20:21], s[14:15]
	s_cbranch_execz .LBB81_20
; %bb.19:
	v_mul_lo_u32 v4, v22, s38
	global_load_ubyte v4, v4, s[40:41]
	s_mov_b32 s23, 0x60504
	s_waitcnt vmcnt(0)
	v_perm_b32 v3, v3, v4, s23
.LBB81_20:
	s_or_b64 exec, exec, s[20:21]
	v_lshrrev_b32_e32 v26, 5, v36
	v_and_b32_e32 v4, 28, v26
	v_add_u32_e32 v44, v4, v36
	v_lshrrev_b32_e32 v25, 5, v32
	ds_write_b8 v44, v1
	v_and_b32_e32 v1, 60, v25
	v_lshrrev_b32_e32 v24, 5, v31
	v_add_u32_e32 v45, v1, v36
	v_and_b32_e32 v1, 60, v24
	v_lshrrev_b32_e32 v23, 5, v30
	v_add_u32_e32 v46, v1, v36
	;; [unrolled: 3-line block ×3, first 2 shown]
	v_and_b32_e32 v1, 60, v21
	v_lshrrev_b32_e32 v19, 5, v28
	v_lshrrev_b32_e32 v4, 8, v2
	v_add_u32_e32 v48, v1, v36
	v_and_b32_e32 v1, 0x7c, v19
	v_lshrrev_b32_e32 v18, 5, v27
	ds_write_b8 v45, v4 offset:256
	ds_write_b8_d16_hi v46, v2 offset:512
	v_lshrrev_b32_e32 v2, 24, v2
	v_add_u32_e32 v49, v1, v36
	v_and_b32_e32 v1, 0x7c, v18
	ds_write_b8 v47, v2 offset:768
	v_lshrrev_b32_e32 v2, 8, v3
	v_add_u32_e32 v50, v1, v36
	v_lshrrev_b32_e32 v1, 5, v22
	ds_write_b8 v48, v3 offset:1024
	ds_write_b8 v49, v2 offset:1280
	v_and_b32_e32 v2, 0x7c, v1
	v_lshrrev_b32_e32 v20, 2, v36
	v_add_u32_e32 v51, v2, v36
	v_lshlrev_b32_e32 v53, 3, v36
	v_and_b32_e32 v2, 0xfc, v20
	s_waitcnt lgkmcnt(0)
	s_mul_i32 s16, s22, s16
	ds_write_b8_d16_hi v50, v3 offset:1536
	v_lshrrev_b32_e32 v3, 24, v3
	v_add_u32_e32 v52, v2, v53
	s_add_i32 s16, s16, s17
	s_mov_b32 s17, 0
	ds_write_b8 v51, v3 offset:1792
	s_waitcnt lgkmcnt(0)
	s_barrier
	ds_read_b64 v[38:39], v52
	s_lshl_b64 s[20:21], s[16:17], 3
	s_add_u32 s33, s18, s20
	s_mov_b32 s16, s17
	s_addc_u32 s35, s19, s21
	s_mov_b32 s18, s17
	s_mov_b32 s19, s17
	;; [unrolled: 1-line block ×14, first 2 shown]
	v_pk_mov_b32 v[2:3], s[16:17], s[16:17] op_sel:[0,1]
	v_pk_mov_b32 v[4:5], s[18:19], s[18:19] op_sel:[0,1]
	;; [unrolled: 1-line block ×8, first 2 shown]
	v_pk_mov_b32 v[2:3], 0, 0
	v_mul_lo_u32 v34, v36, s34
	s_waitcnt lgkmcnt(0)
	s_barrier
	s_and_saveexec_b64 s[16:17], s[0:1]
	s_cbranch_execnz .LBB81_53
; %bb.21:
	s_or_b64 exec, exec, s[16:17]
	s_and_saveexec_b64 s[16:17], s[2:3]
	s_cbranch_execnz .LBB81_54
.LBB81_22:
	s_or_b64 exec, exec, s[16:17]
	s_and_saveexec_b64 s[16:17], s[4:5]
	s_cbranch_execnz .LBB81_55
.LBB81_23:
	s_or_b64 exec, exec, s[16:17]
	s_and_saveexec_b64 s[16:17], s[6:7]
	s_cbranch_execnz .LBB81_56
.LBB81_24:
	s_or_b64 exec, exec, s[16:17]
	s_and_saveexec_b64 s[16:17], s[8:9]
	s_cbranch_execnz .LBB81_57
.LBB81_25:
	s_or_b64 exec, exec, s[16:17]
	s_and_saveexec_b64 s[16:17], s[10:11]
	s_cbranch_execnz .LBB81_58
.LBB81_26:
	s_or_b64 exec, exec, s[16:17]
	s_and_saveexec_b64 s[16:17], s[12:13]
	s_cbranch_execnz .LBB81_59
.LBB81_27:
	s_or_b64 exec, exec, s[16:17]
	s_and_saveexec_b64 s[16:17], s[14:15]
	s_cbranch_execz .LBB81_29
.LBB81_28:
	v_mul_lo_u32 v16, v22, s34
	v_mov_b32_e32 v17, 0
	v_lshlrev_b64 v[16:17], 3, v[16:17]
	v_mov_b32_e32 v22, s35
	v_add_co_u32_e32 v16, vcc, s33, v16
	v_addc_co_u32_e32 v17, vcc, v22, v17, vcc
	global_load_dwordx2 v[16:17], v[16:17], off
.LBB81_29:
	s_or_b64 exec, exec, s[16:17]
	v_lshrrev_b64 v[40:41], 24, v[38:39]
	v_add_lshl_u32 v41, v26, v36, 3
	v_add_lshl_u32 v35, v25, v36, 3
	;; [unrolled: 1-line block ×9, first 2 shown]
	s_waitcnt vmcnt(0)
	ds_write_b64 v41, v[2:3]
	ds_write_b64 v35, v[4:5] offset:2048
	ds_write_b64 v54, v[6:7] offset:4096
	;; [unrolled: 1-line block ×7, first 2 shown]
	s_waitcnt lgkmcnt(0)
	s_barrier
	ds_read2_b64 v[14:17], v60 offset1:1
	ds_read2_b64 v[10:13], v60 offset0:2 offset1:3
	ds_read2_b64 v[6:9], v60 offset0:4 offset1:5
	;; [unrolled: 1-line block ×3, first 2 shown]
	v_lshrrev_b32_e32 v64, 8, v38
	v_lshrrev_b32_e32 v65, 8, v39
	s_and_b64 vcc, exec, s[44:45]
	v_bfe_u32 v62, v0, 10, 10
	v_bfe_u32 v63, v0, 20, 10
	v_mbcnt_lo_u32_b32 v66, -1, 0
	v_lshlrev_b32_e32 v61, 4, v36
	s_waitcnt lgkmcnt(0)
	s_barrier
	s_cbranch_vccz .LBB81_60
; %bb.30:
	s_movk_i32 s16, 0xff
	v_mov_b32_e32 v1, 8
	v_lshlrev_b16_e32 v0, 8, v65
	v_lshlrev_b16_sdwa v1, v1, v39 dst_sel:DWORD dst_unused:UNUSED_PAD src0_sel:DWORD src1_sel:BYTE_3
	v_and_b32_sdwa v20, v39, s16 dst_sel:DWORD dst_unused:UNUSED_PAD src0_sel:WORD_1 src1_sel:DWORD
	v_or_b32_sdwa v0, v39, v0 dst_sel:DWORD dst_unused:UNUSED_PAD src0_sel:BYTE_0 src1_sel:DWORD
	v_or_b32_sdwa v1, v20, v1 dst_sel:WORD_1 dst_unused:UNUSED_PAD src0_sel:DWORD src1_sel:DWORD
	v_mbcnt_hi_u32_b32 v75, -1, v66
	v_and_b32_e32 v76, 0x3c0, v36
	v_or_b32_sdwa v1, v0, v1 dst_sel:DWORD dst_unused:UNUSED_PAD src0_sel:WORD_0 src1_sel:DWORD
	v_lshlrev_b16_e32 v0, 8, v64
	v_lshlrev_b16_e32 v20, 8, v40
	v_and_b32_sdwa v21, v38, s16 dst_sel:DWORD dst_unused:UNUSED_PAD src0_sel:WORD_1 src1_sel:DWORD
	v_add_u32_e32 v18, v75, v76
	v_or_b32_sdwa v0, v38, v0 dst_sel:DWORD dst_unused:UNUSED_PAD src0_sel:BYTE_0 src1_sel:DWORD
	v_or_b32_sdwa v20, v21, v20 dst_sel:WORD_1 dst_unused:UNUSED_PAD src0_sel:DWORD src1_sel:DWORD
	v_lshlrev_b32_e32 v19, 3, v18
	v_or_b32_sdwa v0, v0, v20 dst_sel:DWORD dst_unused:UNUSED_PAD src0_sel:WORD_0 src1_sel:DWORD
	s_movk_i32 s16, 0x1e00
	ds_write_b64 v19, v[0:1]
	v_and_or_b32 v0, v53, s16, v75
	; wave barrier
	ds_read_u8 v67, v0
	ds_read_u8 v68, v0 offset:64
	ds_read_u8 v69, v0 offset:128
	;; [unrolled: 1-line block ×7, first 2 shown]
	v_lshlrev_b32_e32 v1, 6, v18
	v_lshlrev_b32_e32 v0, 3, v0
	s_getpc_b64 s[16:17]
	s_add_u32 s16, s16, _ZN7rocprim17ROCPRIM_400000_NS16block_radix_sortIhLj256ELj8ElLj1ELj1ELj0ELNS0_26block_radix_rank_algorithmE1ELNS0_18block_padding_hintE2ELNS0_4arch9wavefront6targetE1EE19radix_bits_per_passE@rel32@lo+4
	s_addc_u32 s17, s17, _ZN7rocprim17ROCPRIM_400000_NS16block_radix_sortIhLj256ELj8ElLj1ELj1ELj0ELNS0_26block_radix_rank_algorithmE1ELNS0_18block_padding_hintE2ELNS0_4arch9wavefront6targetE1EE19radix_bits_per_passE@rel32@hi+12
	s_waitcnt lgkmcnt(0)
	s_barrier
	ds_write2_b64 v1, v[14:15], v[16:17] offset1:1
	ds_write2_b64 v1, v[10:11], v[12:13] offset0:2 offset1:3
	ds_write2_b64 v1, v[6:7], v[8:9] offset0:4 offset1:5
	;; [unrolled: 1-line block ×3, first 2 shown]
	; wave barrier
	ds_read2st64_b64 v[30:33], v0 offset1:1
	ds_read2st64_b64 v[26:29], v0 offset0:2 offset1:3
	ds_read2st64_b64 v[22:25], v0 offset0:4 offset1:5
	;; [unrolled: 1-line block ×3, first 2 shown]
	s_waitcnt lgkmcnt(0)
	s_barrier
	s_load_dword s18, s[16:17], 0x0
	s_load_dword s19, s[42:43], 0xc
	v_mov_b32_e32 v79, 2
	v_mov_b32_e32 v0, 0
	ds_write2_b32 v61, v0, v0 offset0:4 offset1:5
	ds_write2_b32 v61, v0, v0 offset0:6 offset1:7
	s_waitcnt lgkmcnt(0)
	s_min_u32 s18, s18, 8
	s_lshr_b32 s16, s19, 16
	s_and_b32 s17, s19, 0xffff
	v_mad_u32_u24 v1, v63, s16, v62
	v_mad_u64_u32 v[42:43], s[16:17], v1, s17, v[36:37]
	s_lshl_b32 s16, -1, s18
	s_not_b32 s18, s16
	v_lshrrev_b32_e32 v83, 6, v42
	v_and_b32_e32 v42, s18, v67
	v_lshlrev_b32_sdwa v1, v79, v42 dst_sel:DWORD dst_unused:UNUSED_PAD src0_sel:DWORD src1_sel:BYTE_0
	v_add_lshl_u32 v77, v83, v1, 2
	v_and_b32_e32 v1, 1, v42
	v_add_co_u32_e32 v43, vcc, -1, v1
	v_addc_co_u32_e64 v78, s[16:17], 0, -1, vcc
	v_cmp_ne_u32_e32 vcc, 0, v1
	v_xor_b32_e32 v1, vcc_hi, v78
	v_and_b32_e32 v78, exec_hi, v1
	v_lshlrev_b32_e32 v1, 30, v42
	v_xor_b32_e32 v43, vcc_lo, v43
	v_cmp_gt_i64_e32 vcc, 0, v[0:1]
	v_not_b32_e32 v1, v1
	v_ashrrev_i32_e32 v1, 31, v1
	v_and_b32_e32 v43, exec_lo, v43
	v_xor_b32_e32 v80, vcc_hi, v1
	v_xor_b32_e32 v1, vcc_lo, v1
	v_and_b32_e32 v43, v43, v1
	v_lshlrev_b32_e32 v1, 29, v42
	v_cmp_gt_i64_e32 vcc, 0, v[0:1]
	v_not_b32_e32 v1, v1
	v_ashrrev_i32_e32 v1, 31, v1
	v_and_b32_e32 v78, v78, v80
	v_xor_b32_e32 v80, vcc_hi, v1
	v_xor_b32_e32 v1, vcc_lo, v1
	v_and_b32_e32 v43, v43, v1
	v_lshlrev_b32_e32 v1, 28, v42
	v_cmp_gt_i64_e32 vcc, 0, v[0:1]
	v_not_b32_e32 v1, v1
	v_ashrrev_i32_e32 v1, 31, v1
	v_and_b32_e32 v78, v78, v80
	;; [unrolled: 8-line block ×5, first 2 shown]
	v_xor_b32_e32 v80, vcc_hi, v1
	v_xor_b32_e32 v1, vcc_lo, v1
	v_and_b32_e32 v78, v78, v80
	v_and_b32_e32 v80, v43, v1
	v_lshlrev_b32_e32 v1, 24, v42
	v_cmp_gt_i64_e32 vcc, 0, v[0:1]
	v_not_b32_e32 v1, v1
	v_ashrrev_i32_e32 v1, 31, v1
	v_xor_b32_e32 v42, vcc_hi, v1
	v_xor_b32_e32 v1, vcc_lo, v1
	v_and_b32_e32 v43, v78, v42
	v_and_b32_e32 v42, v80, v1
	v_mbcnt_lo_u32_b32 v1, v42, 0
	v_mbcnt_hi_u32_b32 v78, v43, v1
	v_cmp_eq_u32_e32 vcc, 0, v78
	v_cmp_ne_u64_e64 s[16:17], 0, v[42:43]
	s_and_b64 s[20:21], s[16:17], vcc
	s_barrier
	s_waitcnt lgkmcnt(0)
	; wave barrier
	s_and_saveexec_b64 s[16:17], s[20:21]
	s_cbranch_execz .LBB81_32
; %bb.31:
	v_bcnt_u32_b32 v1, v42, 0
	v_bcnt_u32_b32 v1, v43, v1
	ds_write_b32 v77, v1 offset:16
.LBB81_32:
	s_or_b64 exec, exec, s[16:17]
	v_and_b32_e32 v42, s18, v68
	v_lshlrev_b32_sdwa v1, v79, v42 dst_sel:DWORD dst_unused:UNUSED_PAD src0_sel:DWORD src1_sel:BYTE_0
	v_add_lshl_u32 v80, v83, v1, 2
	v_and_b32_e32 v1, 1, v42
	v_add_co_u32_e32 v43, vcc, -1, v1
	v_addc_co_u32_e64 v81, s[16:17], 0, -1, vcc
	v_cmp_ne_u32_e32 vcc, 0, v1
	v_xor_b32_e32 v1, vcc_hi, v81
	v_and_b32_e32 v81, exec_hi, v1
	v_lshlrev_b32_e32 v1, 30, v42
	v_xor_b32_e32 v43, vcc_lo, v43
	v_cmp_gt_i64_e32 vcc, 0, v[0:1]
	v_not_b32_e32 v1, v1
	v_ashrrev_i32_e32 v1, 31, v1
	v_and_b32_e32 v43, exec_lo, v43
	v_xor_b32_e32 v82, vcc_hi, v1
	v_xor_b32_e32 v1, vcc_lo, v1
	v_and_b32_e32 v43, v43, v1
	v_lshlrev_b32_e32 v1, 29, v42
	v_cmp_gt_i64_e32 vcc, 0, v[0:1]
	v_not_b32_e32 v1, v1
	v_ashrrev_i32_e32 v1, 31, v1
	v_and_b32_e32 v81, v81, v82
	v_xor_b32_e32 v82, vcc_hi, v1
	v_xor_b32_e32 v1, vcc_lo, v1
	v_and_b32_e32 v43, v43, v1
	v_lshlrev_b32_e32 v1, 28, v42
	v_cmp_gt_i64_e32 vcc, 0, v[0:1]
	v_not_b32_e32 v1, v1
	v_ashrrev_i32_e32 v1, 31, v1
	v_and_b32_e32 v81, v81, v82
	;; [unrolled: 8-line block ×5, first 2 shown]
	v_xor_b32_e32 v82, vcc_hi, v1
	v_xor_b32_e32 v1, vcc_lo, v1
	v_and_b32_e32 v43, v43, v1
	v_lshlrev_b32_e32 v1, 24, v42
	v_cmp_gt_i64_e32 vcc, 0, v[0:1]
	v_not_b32_e32 v0, v1
	v_ashrrev_i32_e32 v0, 31, v0
	v_xor_b32_e32 v1, vcc_hi, v0
	v_xor_b32_e32 v0, vcc_lo, v0
	; wave barrier
	ds_read_b32 v79, v80 offset:16
	v_and_b32_e32 v81, v81, v82
	v_and_b32_e32 v0, v43, v0
	;; [unrolled: 1-line block ×3, first 2 shown]
	v_mbcnt_lo_u32_b32 v42, v0, 0
	v_mbcnt_hi_u32_b32 v81, v1, v42
	v_cmp_eq_u32_e32 vcc, 0, v81
	v_cmp_ne_u64_e64 s[16:17], 0, v[0:1]
	s_and_b64 s[20:21], s[16:17], vcc
	; wave barrier
	s_and_saveexec_b64 s[16:17], s[20:21]
	s_cbranch_execz .LBB81_34
; %bb.33:
	v_bcnt_u32_b32 v0, v0, 0
	v_bcnt_u32_b32 v0, v1, v0
	s_waitcnt lgkmcnt(0)
	v_add_u32_e32 v0, v79, v0
	ds_write_b32 v80, v0 offset:16
.LBB81_34:
	s_or_b64 exec, exec, s[16:17]
	v_and_b32_e32 v42, s18, v69
	v_and_b32_e32 v1, 1, v42
	v_add_co_u32_e32 v43, vcc, -1, v1
	v_mov_b32_e32 v86, 2
	v_addc_co_u32_e64 v85, s[16:17], 0, -1, vcc
	v_cmp_ne_u32_e32 vcc, 0, v1
	v_lshlrev_b32_sdwa v0, v86, v42 dst_sel:DWORD dst_unused:UNUSED_PAD src0_sel:DWORD src1_sel:BYTE_0
	v_xor_b32_e32 v1, vcc_hi, v85
	v_add_lshl_u32 v84, v83, v0, 2
	v_mov_b32_e32 v0, 0
	v_and_b32_e32 v85, exec_hi, v1
	v_lshlrev_b32_e32 v1, 30, v42
	v_xor_b32_e32 v43, vcc_lo, v43
	v_cmp_gt_i64_e32 vcc, 0, v[0:1]
	v_not_b32_e32 v1, v1
	v_ashrrev_i32_e32 v1, 31, v1
	v_and_b32_e32 v43, exec_lo, v43
	v_xor_b32_e32 v87, vcc_hi, v1
	v_xor_b32_e32 v1, vcc_lo, v1
	v_and_b32_e32 v43, v43, v1
	v_lshlrev_b32_e32 v1, 29, v42
	v_cmp_gt_i64_e32 vcc, 0, v[0:1]
	v_not_b32_e32 v1, v1
	v_ashrrev_i32_e32 v1, 31, v1
	v_and_b32_e32 v85, v85, v87
	v_xor_b32_e32 v87, vcc_hi, v1
	v_xor_b32_e32 v1, vcc_lo, v1
	v_and_b32_e32 v43, v43, v1
	v_lshlrev_b32_e32 v1, 28, v42
	v_cmp_gt_i64_e32 vcc, 0, v[0:1]
	v_not_b32_e32 v1, v1
	v_ashrrev_i32_e32 v1, 31, v1
	v_and_b32_e32 v85, v85, v87
	v_xor_b32_e32 v87, vcc_hi, v1
	v_xor_b32_e32 v1, vcc_lo, v1
	v_and_b32_e32 v43, v43, v1
	v_lshlrev_b32_e32 v1, 27, v42
	v_cmp_gt_i64_e32 vcc, 0, v[0:1]
	v_not_b32_e32 v1, v1
	v_ashrrev_i32_e32 v1, 31, v1
	v_and_b32_e32 v85, v85, v87
	v_xor_b32_e32 v87, vcc_hi, v1
	v_xor_b32_e32 v1, vcc_lo, v1
	v_and_b32_e32 v43, v43, v1
	v_lshlrev_b32_e32 v1, 26, v42
	v_cmp_gt_i64_e32 vcc, 0, v[0:1]
	v_not_b32_e32 v1, v1
	v_ashrrev_i32_e32 v1, 31, v1
	v_and_b32_e32 v85, v85, v87
	v_xor_b32_e32 v87, vcc_hi, v1
	v_xor_b32_e32 v1, vcc_lo, v1
	v_and_b32_e32 v43, v43, v1
	v_lshlrev_b32_e32 v1, 25, v42
	v_cmp_gt_i64_e32 vcc, 0, v[0:1]
	v_not_b32_e32 v1, v1
	v_ashrrev_i32_e32 v1, 31, v1
	v_and_b32_e32 v85, v85, v87
	v_xor_b32_e32 v87, vcc_hi, v1
	v_xor_b32_e32 v1, vcc_lo, v1
	v_and_b32_e32 v85, v85, v87
	v_and_b32_e32 v87, v43, v1
	v_lshlrev_b32_e32 v1, 24, v42
	v_cmp_gt_i64_e32 vcc, 0, v[0:1]
	v_not_b32_e32 v1, v1
	v_ashrrev_i32_e32 v1, 31, v1
	v_xor_b32_e32 v42, vcc_hi, v1
	v_xor_b32_e32 v1, vcc_lo, v1
	; wave barrier
	ds_read_b32 v82, v84 offset:16
	v_and_b32_e32 v43, v85, v42
	v_and_b32_e32 v42, v87, v1
	v_mbcnt_lo_u32_b32 v1, v42, 0
	v_mbcnt_hi_u32_b32 v85, v43, v1
	v_cmp_eq_u32_e32 vcc, 0, v85
	v_cmp_ne_u64_e64 s[16:17], 0, v[42:43]
	s_and_b64 s[20:21], s[16:17], vcc
	; wave barrier
	s_and_saveexec_b64 s[16:17], s[20:21]
	s_cbranch_execz .LBB81_36
; %bb.35:
	v_bcnt_u32_b32 v1, v42, 0
	v_bcnt_u32_b32 v1, v43, v1
	s_waitcnt lgkmcnt(0)
	v_add_u32_e32 v1, v82, v1
	ds_write_b32 v84, v1 offset:16
.LBB81_36:
	s_or_b64 exec, exec, s[16:17]
	v_and_b32_e32 v42, s18, v70
	v_lshlrev_b32_sdwa v1, v86, v42 dst_sel:DWORD dst_unused:UNUSED_PAD src0_sel:DWORD src1_sel:BYTE_0
	v_add_lshl_u32 v87, v83, v1, 2
	v_and_b32_e32 v1, 1, v42
	v_add_co_u32_e32 v43, vcc, -1, v1
	v_addc_co_u32_e64 v88, s[16:17], 0, -1, vcc
	v_cmp_ne_u32_e32 vcc, 0, v1
	v_xor_b32_e32 v1, vcc_hi, v88
	v_and_b32_e32 v88, exec_hi, v1
	v_lshlrev_b32_e32 v1, 30, v42
	v_xor_b32_e32 v43, vcc_lo, v43
	v_cmp_gt_i64_e32 vcc, 0, v[0:1]
	v_not_b32_e32 v1, v1
	v_ashrrev_i32_e32 v1, 31, v1
	v_and_b32_e32 v43, exec_lo, v43
	v_xor_b32_e32 v89, vcc_hi, v1
	v_xor_b32_e32 v1, vcc_lo, v1
	v_and_b32_e32 v43, v43, v1
	v_lshlrev_b32_e32 v1, 29, v42
	v_cmp_gt_i64_e32 vcc, 0, v[0:1]
	v_not_b32_e32 v1, v1
	v_ashrrev_i32_e32 v1, 31, v1
	v_and_b32_e32 v88, v88, v89
	v_xor_b32_e32 v89, vcc_hi, v1
	v_xor_b32_e32 v1, vcc_lo, v1
	v_and_b32_e32 v43, v43, v1
	v_lshlrev_b32_e32 v1, 28, v42
	v_cmp_gt_i64_e32 vcc, 0, v[0:1]
	v_not_b32_e32 v1, v1
	v_ashrrev_i32_e32 v1, 31, v1
	v_and_b32_e32 v88, v88, v89
	;; [unrolled: 8-line block ×5, first 2 shown]
	v_xor_b32_e32 v89, vcc_hi, v1
	v_xor_b32_e32 v1, vcc_lo, v1
	v_and_b32_e32 v43, v43, v1
	v_lshlrev_b32_e32 v1, 24, v42
	v_cmp_gt_i64_e32 vcc, 0, v[0:1]
	v_not_b32_e32 v0, v1
	v_ashrrev_i32_e32 v0, 31, v0
	v_xor_b32_e32 v1, vcc_hi, v0
	v_xor_b32_e32 v0, vcc_lo, v0
	; wave barrier
	ds_read_b32 v86, v87 offset:16
	v_and_b32_e32 v88, v88, v89
	v_and_b32_e32 v0, v43, v0
	;; [unrolled: 1-line block ×3, first 2 shown]
	v_mbcnt_lo_u32_b32 v42, v0, 0
	v_mbcnt_hi_u32_b32 v88, v1, v42
	v_cmp_eq_u32_e32 vcc, 0, v88
	v_cmp_ne_u64_e64 s[16:17], 0, v[0:1]
	s_and_b64 s[20:21], s[16:17], vcc
	; wave barrier
	s_and_saveexec_b64 s[16:17], s[20:21]
	s_cbranch_execz .LBB81_38
; %bb.37:
	v_bcnt_u32_b32 v0, v0, 0
	v_bcnt_u32_b32 v0, v1, v0
	s_waitcnt lgkmcnt(0)
	v_add_u32_e32 v0, v86, v0
	ds_write_b32 v87, v0 offset:16
.LBB81_38:
	s_or_b64 exec, exec, s[16:17]
	v_and_b32_e32 v42, s18, v71
	v_and_b32_e32 v1, 1, v42
	v_add_co_u32_e32 v43, vcc, -1, v1
	v_mov_b32_e32 v92, 2
	v_addc_co_u32_e64 v91, s[16:17], 0, -1, vcc
	v_cmp_ne_u32_e32 vcc, 0, v1
	v_lshlrev_b32_sdwa v0, v92, v42 dst_sel:DWORD dst_unused:UNUSED_PAD src0_sel:DWORD src1_sel:BYTE_0
	v_xor_b32_e32 v1, vcc_hi, v91
	v_add_lshl_u32 v90, v83, v0, 2
	v_mov_b32_e32 v0, 0
	v_and_b32_e32 v91, exec_hi, v1
	v_lshlrev_b32_e32 v1, 30, v42
	v_xor_b32_e32 v43, vcc_lo, v43
	v_cmp_gt_i64_e32 vcc, 0, v[0:1]
	v_not_b32_e32 v1, v1
	v_ashrrev_i32_e32 v1, 31, v1
	v_and_b32_e32 v43, exec_lo, v43
	v_xor_b32_e32 v93, vcc_hi, v1
	v_xor_b32_e32 v1, vcc_lo, v1
	v_and_b32_e32 v43, v43, v1
	v_lshlrev_b32_e32 v1, 29, v42
	v_cmp_gt_i64_e32 vcc, 0, v[0:1]
	v_not_b32_e32 v1, v1
	v_ashrrev_i32_e32 v1, 31, v1
	v_and_b32_e32 v91, v91, v93
	v_xor_b32_e32 v93, vcc_hi, v1
	v_xor_b32_e32 v1, vcc_lo, v1
	v_and_b32_e32 v43, v43, v1
	v_lshlrev_b32_e32 v1, 28, v42
	v_cmp_gt_i64_e32 vcc, 0, v[0:1]
	v_not_b32_e32 v1, v1
	v_ashrrev_i32_e32 v1, 31, v1
	v_and_b32_e32 v91, v91, v93
	;; [unrolled: 8-line block ×5, first 2 shown]
	v_xor_b32_e32 v93, vcc_hi, v1
	v_xor_b32_e32 v1, vcc_lo, v1
	v_and_b32_e32 v91, v91, v93
	v_and_b32_e32 v93, v43, v1
	v_lshlrev_b32_e32 v1, 24, v42
	v_cmp_gt_i64_e32 vcc, 0, v[0:1]
	v_not_b32_e32 v1, v1
	v_ashrrev_i32_e32 v1, 31, v1
	v_xor_b32_e32 v42, vcc_hi, v1
	v_xor_b32_e32 v1, vcc_lo, v1
	; wave barrier
	ds_read_b32 v89, v90 offset:16
	v_and_b32_e32 v43, v91, v42
	v_and_b32_e32 v42, v93, v1
	v_mbcnt_lo_u32_b32 v1, v42, 0
	v_mbcnt_hi_u32_b32 v91, v43, v1
	v_cmp_eq_u32_e32 vcc, 0, v91
	v_cmp_ne_u64_e64 s[16:17], 0, v[42:43]
	s_and_b64 s[20:21], s[16:17], vcc
	; wave barrier
	s_and_saveexec_b64 s[16:17], s[20:21]
	s_cbranch_execz .LBB81_40
; %bb.39:
	v_bcnt_u32_b32 v1, v42, 0
	v_bcnt_u32_b32 v1, v43, v1
	s_waitcnt lgkmcnt(0)
	v_add_u32_e32 v1, v89, v1
	ds_write_b32 v90, v1 offset:16
.LBB81_40:
	s_or_b64 exec, exec, s[16:17]
	v_and_b32_e32 v42, s18, v72
	v_lshlrev_b32_sdwa v1, v92, v42 dst_sel:DWORD dst_unused:UNUSED_PAD src0_sel:DWORD src1_sel:BYTE_0
	v_add_lshl_u32 v93, v83, v1, 2
	v_and_b32_e32 v1, 1, v42
	v_add_co_u32_e32 v43, vcc, -1, v1
	v_addc_co_u32_e64 v94, s[16:17], 0, -1, vcc
	v_cmp_ne_u32_e32 vcc, 0, v1
	v_xor_b32_e32 v1, vcc_hi, v94
	v_and_b32_e32 v94, exec_hi, v1
	v_lshlrev_b32_e32 v1, 30, v42
	v_xor_b32_e32 v43, vcc_lo, v43
	v_cmp_gt_i64_e32 vcc, 0, v[0:1]
	v_not_b32_e32 v1, v1
	v_ashrrev_i32_e32 v1, 31, v1
	v_and_b32_e32 v43, exec_lo, v43
	v_xor_b32_e32 v95, vcc_hi, v1
	v_xor_b32_e32 v1, vcc_lo, v1
	v_and_b32_e32 v43, v43, v1
	v_lshlrev_b32_e32 v1, 29, v42
	v_cmp_gt_i64_e32 vcc, 0, v[0:1]
	v_not_b32_e32 v1, v1
	v_ashrrev_i32_e32 v1, 31, v1
	v_and_b32_e32 v94, v94, v95
	v_xor_b32_e32 v95, vcc_hi, v1
	v_xor_b32_e32 v1, vcc_lo, v1
	v_and_b32_e32 v43, v43, v1
	v_lshlrev_b32_e32 v1, 28, v42
	v_cmp_gt_i64_e32 vcc, 0, v[0:1]
	v_not_b32_e32 v1, v1
	v_ashrrev_i32_e32 v1, 31, v1
	v_and_b32_e32 v94, v94, v95
	;; [unrolled: 8-line block ×5, first 2 shown]
	v_xor_b32_e32 v95, vcc_hi, v1
	v_xor_b32_e32 v1, vcc_lo, v1
	v_and_b32_e32 v43, v43, v1
	v_lshlrev_b32_e32 v1, 24, v42
	v_cmp_gt_i64_e32 vcc, 0, v[0:1]
	v_not_b32_e32 v0, v1
	v_ashrrev_i32_e32 v0, 31, v0
	v_xor_b32_e32 v1, vcc_hi, v0
	v_xor_b32_e32 v0, vcc_lo, v0
	; wave barrier
	ds_read_b32 v92, v93 offset:16
	v_and_b32_e32 v94, v94, v95
	v_and_b32_e32 v0, v43, v0
	;; [unrolled: 1-line block ×3, first 2 shown]
	v_mbcnt_lo_u32_b32 v42, v0, 0
	v_mbcnt_hi_u32_b32 v94, v1, v42
	v_cmp_eq_u32_e32 vcc, 0, v94
	v_cmp_ne_u64_e64 s[16:17], 0, v[0:1]
	s_and_b64 s[20:21], s[16:17], vcc
	; wave barrier
	s_and_saveexec_b64 s[16:17], s[20:21]
	s_cbranch_execz .LBB81_42
; %bb.41:
	v_bcnt_u32_b32 v0, v0, 0
	v_bcnt_u32_b32 v0, v1, v0
	s_waitcnt lgkmcnt(0)
	v_add_u32_e32 v0, v92, v0
	ds_write_b32 v93, v0 offset:16
.LBB81_42:
	s_or_b64 exec, exec, s[16:17]
	v_and_b32_e32 v42, s18, v73
	v_and_b32_e32 v1, 1, v42
	v_add_co_u32_e32 v43, vcc, -1, v1
	v_mov_b32_e32 v98, 2
	v_addc_co_u32_e64 v97, s[16:17], 0, -1, vcc
	v_cmp_ne_u32_e32 vcc, 0, v1
	v_lshlrev_b32_sdwa v0, v98, v42 dst_sel:DWORD dst_unused:UNUSED_PAD src0_sel:DWORD src1_sel:BYTE_0
	v_xor_b32_e32 v1, vcc_hi, v97
	v_add_lshl_u32 v96, v83, v0, 2
	v_mov_b32_e32 v0, 0
	v_and_b32_e32 v97, exec_hi, v1
	v_lshlrev_b32_e32 v1, 30, v42
	v_xor_b32_e32 v43, vcc_lo, v43
	v_cmp_gt_i64_e32 vcc, 0, v[0:1]
	v_not_b32_e32 v1, v1
	v_ashrrev_i32_e32 v1, 31, v1
	v_and_b32_e32 v43, exec_lo, v43
	v_xor_b32_e32 v99, vcc_hi, v1
	v_xor_b32_e32 v1, vcc_lo, v1
	v_and_b32_e32 v43, v43, v1
	v_lshlrev_b32_e32 v1, 29, v42
	v_cmp_gt_i64_e32 vcc, 0, v[0:1]
	v_not_b32_e32 v1, v1
	v_ashrrev_i32_e32 v1, 31, v1
	v_and_b32_e32 v97, v97, v99
	v_xor_b32_e32 v99, vcc_hi, v1
	v_xor_b32_e32 v1, vcc_lo, v1
	v_and_b32_e32 v43, v43, v1
	v_lshlrev_b32_e32 v1, 28, v42
	v_cmp_gt_i64_e32 vcc, 0, v[0:1]
	v_not_b32_e32 v1, v1
	v_ashrrev_i32_e32 v1, 31, v1
	v_and_b32_e32 v97, v97, v99
	;; [unrolled: 8-line block ×5, first 2 shown]
	v_xor_b32_e32 v99, vcc_hi, v1
	v_xor_b32_e32 v1, vcc_lo, v1
	v_and_b32_e32 v97, v97, v99
	v_and_b32_e32 v99, v43, v1
	v_lshlrev_b32_e32 v1, 24, v42
	v_cmp_gt_i64_e32 vcc, 0, v[0:1]
	v_not_b32_e32 v1, v1
	v_ashrrev_i32_e32 v1, 31, v1
	v_xor_b32_e32 v42, vcc_hi, v1
	v_xor_b32_e32 v1, vcc_lo, v1
	; wave barrier
	ds_read_b32 v95, v96 offset:16
	v_and_b32_e32 v43, v97, v42
	v_and_b32_e32 v42, v99, v1
	v_mbcnt_lo_u32_b32 v1, v42, 0
	v_mbcnt_hi_u32_b32 v97, v43, v1
	v_cmp_eq_u32_e32 vcc, 0, v97
	v_cmp_ne_u64_e64 s[16:17], 0, v[42:43]
	s_and_b64 s[20:21], s[16:17], vcc
	; wave barrier
	s_and_saveexec_b64 s[16:17], s[20:21]
	s_cbranch_execz .LBB81_44
; %bb.43:
	v_bcnt_u32_b32 v1, v42, 0
	v_bcnt_u32_b32 v1, v43, v1
	s_waitcnt lgkmcnt(0)
	v_add_u32_e32 v1, v95, v1
	ds_write_b32 v96, v1 offset:16
.LBB81_44:
	s_or_b64 exec, exec, s[16:17]
	v_and_b32_e32 v42, s18, v74
	v_lshlrev_b32_sdwa v1, v98, v42 dst_sel:DWORD dst_unused:UNUSED_PAD src0_sel:DWORD src1_sel:BYTE_0
	v_add_lshl_u32 v98, v83, v1, 2
	v_and_b32_e32 v1, 1, v42
	v_add_co_u32_e32 v43, vcc, -1, v1
	v_addc_co_u32_e64 v100, s[16:17], 0, -1, vcc
	v_cmp_ne_u32_e32 vcc, 0, v1
	v_xor_b32_e32 v1, vcc_hi, v100
	v_and_b32_e32 v100, exec_hi, v1
	v_lshlrev_b32_e32 v1, 30, v42
	v_xor_b32_e32 v43, vcc_lo, v43
	v_cmp_gt_i64_e32 vcc, 0, v[0:1]
	v_not_b32_e32 v1, v1
	v_ashrrev_i32_e32 v1, 31, v1
	v_and_b32_e32 v43, exec_lo, v43
	v_xor_b32_e32 v101, vcc_hi, v1
	v_xor_b32_e32 v1, vcc_lo, v1
	v_and_b32_e32 v43, v43, v1
	v_lshlrev_b32_e32 v1, 29, v42
	v_cmp_gt_i64_e32 vcc, 0, v[0:1]
	v_not_b32_e32 v1, v1
	v_ashrrev_i32_e32 v1, 31, v1
	v_and_b32_e32 v100, v100, v101
	v_xor_b32_e32 v101, vcc_hi, v1
	v_xor_b32_e32 v1, vcc_lo, v1
	v_and_b32_e32 v43, v43, v1
	v_lshlrev_b32_e32 v1, 28, v42
	v_cmp_gt_i64_e32 vcc, 0, v[0:1]
	v_not_b32_e32 v1, v1
	v_ashrrev_i32_e32 v1, 31, v1
	v_and_b32_e32 v100, v100, v101
	;; [unrolled: 8-line block ×5, first 2 shown]
	v_xor_b32_e32 v101, vcc_hi, v1
	v_xor_b32_e32 v1, vcc_lo, v1
	v_and_b32_e32 v43, v43, v1
	v_lshlrev_b32_e32 v1, 24, v42
	v_cmp_gt_i64_e32 vcc, 0, v[0:1]
	v_not_b32_e32 v0, v1
	v_ashrrev_i32_e32 v0, 31, v0
	v_xor_b32_e32 v1, vcc_hi, v0
	v_xor_b32_e32 v0, vcc_lo, v0
	; wave barrier
	ds_read_b32 v83, v98 offset:16
	v_and_b32_e32 v100, v100, v101
	v_and_b32_e32 v0, v43, v0
	;; [unrolled: 1-line block ×3, first 2 shown]
	v_mbcnt_lo_u32_b32 v42, v0, 0
	v_mbcnt_hi_u32_b32 v100, v1, v42
	v_cmp_eq_u32_e32 vcc, 0, v100
	v_cmp_ne_u64_e64 s[16:17], 0, v[0:1]
	v_add_u32_e32 v99, 16, v61
	s_and_b64 s[18:19], s[16:17], vcc
	; wave barrier
	s_and_saveexec_b64 s[16:17], s[18:19]
	s_cbranch_execz .LBB81_46
; %bb.45:
	v_bcnt_u32_b32 v0, v0, 0
	v_bcnt_u32_b32 v0, v1, v0
	s_waitcnt lgkmcnt(0)
	v_add_u32_e32 v0, v83, v0
	ds_write_b32 v98, v0 offset:16
.LBB81_46:
	s_or_b64 exec, exec, s[16:17]
	; wave barrier
	s_waitcnt lgkmcnt(0)
	s_barrier
	ds_read2_b32 v[0:1], v61 offset0:4 offset1:5
	ds_read2_b32 v[42:43], v99 offset0:2 offset1:3
	v_min_u32_e32 v76, 0xc0, v76
	v_or_b32_e32 v76, 63, v76
	s_waitcnt lgkmcnt(1)
	v_add_u32_e32 v101, v1, v0
	s_waitcnt lgkmcnt(0)
	v_add3_u32 v43, v101, v42, v43
	v_and_b32_e32 v101, 15, v75
	v_cmp_ne_u32_e32 vcc, 0, v101
	v_mov_b32_dpp v102, v43 row_shr:1 row_mask:0xf bank_mask:0xf
	v_cndmask_b32_e32 v102, 0, v102, vcc
	v_add_u32_e32 v43, v102, v43
	v_cmp_lt_u32_e32 vcc, 1, v101
	s_nop 0
	v_mov_b32_dpp v102, v43 row_shr:2 row_mask:0xf bank_mask:0xf
	v_cndmask_b32_e32 v102, 0, v102, vcc
	v_add_u32_e32 v43, v43, v102
	v_cmp_lt_u32_e32 vcc, 3, v101
	s_nop 0
	;; [unrolled: 5-line block ×3, first 2 shown]
	v_mov_b32_dpp v102, v43 row_shr:8 row_mask:0xf bank_mask:0xf
	v_cndmask_b32_e32 v101, 0, v102, vcc
	v_add_u32_e32 v43, v43, v101
	v_bfe_i32 v102, v75, 4, 1
	v_cmp_lt_u32_e32 vcc, 31, v75
	v_mov_b32_dpp v101, v43 row_bcast:15 row_mask:0xf bank_mask:0xf
	v_and_b32_e32 v101, v102, v101
	v_add_u32_e32 v43, v43, v101
	s_nop 1
	v_mov_b32_dpp v101, v43 row_bcast:31 row_mask:0xf bank_mask:0xf
	v_cndmask_b32_e32 v101, 0, v101, vcc
	v_add_u32_e32 v43, v43, v101
	v_lshrrev_b32_e32 v101, 6, v36
	v_cmp_eq_u32_e32 vcc, v76, v36
	s_and_saveexec_b64 s[16:17], vcc
	s_cbranch_execz .LBB81_48
; %bb.47:
	v_lshlrev_b32_e32 v76, 2, v101
	ds_write_b32 v76, v43
.LBB81_48:
	s_or_b64 exec, exec, s[16:17]
	v_cmp_gt_u32_e32 vcc, 4, v36
	s_waitcnt lgkmcnt(0)
	s_barrier
	s_and_saveexec_b64 s[16:17], vcc
	s_cbranch_execz .LBB81_50
; %bb.49:
	v_lshlrev_b32_e32 v76, 2, v36
	ds_read_b32 v102, v76
	v_and_b32_e32 v103, 3, v75
	v_cmp_ne_u32_e32 vcc, 0, v103
	s_waitcnt lgkmcnt(0)
	v_mov_b32_dpp v104, v102 row_shr:1 row_mask:0xf bank_mask:0xf
	v_cndmask_b32_e32 v104, 0, v104, vcc
	v_add_u32_e32 v102, v104, v102
	v_cmp_lt_u32_e32 vcc, 1, v103
	s_nop 0
	v_mov_b32_dpp v104, v102 row_shr:2 row_mask:0xf bank_mask:0xf
	v_cndmask_b32_e32 v103, 0, v104, vcc
	v_add_u32_e32 v102, v102, v103
	ds_write_b32 v76, v102
.LBB81_50:
	s_or_b64 exec, exec, s[16:17]
	v_cmp_lt_u32_e32 vcc, 63, v36
	v_mov_b32_e32 v76, 0
	s_waitcnt lgkmcnt(0)
	s_barrier
	s_and_saveexec_b64 s[16:17], vcc
	s_cbranch_execz .LBB81_52
; %bb.51:
	v_lshl_add_u32 v76, v101, 2, -4
	ds_read_b32 v76, v76
.LBB81_52:
	s_or_b64 exec, exec, s[16:17]
	v_add_u32_e32 v101, -1, v75
	v_and_b32_e32 v102, 64, v75
	v_cmp_lt_i32_e32 vcc, v101, v102
	v_cndmask_b32_e32 v101, v101, v75, vcc
	s_waitcnt lgkmcnt(0)
	v_add_u32_e32 v43, v76, v43
	v_lshlrev_b32_e32 v101, 2, v101
	ds_bpermute_b32 v43, v101, v43
	v_cmp_eq_u32_e32 vcc, 0, v75
	s_waitcnt lgkmcnt(0)
	v_cndmask_b32_e32 v43, v43, v76, vcc
	v_cmp_ne_u32_e32 vcc, 0, v36
	v_cndmask_b32_e32 v43, 0, v43, vcc
	v_add_u32_e32 v0, v43, v0
	v_add_u32_e32 v1, v0, v1
	;; [unrolled: 1-line block ×3, first 2 shown]
	ds_write2_b32 v61, v43, v0 offset0:4 offset1:5
	ds_write2_b32 v99, v1, v42 offset0:2 offset1:3
	s_waitcnt lgkmcnt(0)
	s_barrier
	ds_read_b32 v0, v77 offset:16
	ds_read_b32 v1, v80 offset:16
	;; [unrolled: 1-line block ×8, first 2 shown]
	s_waitcnt lgkmcnt(7)
	v_add_u32_e32 v78, v0, v78
	s_waitcnt lgkmcnt(6)
	v_add3_u32 v79, v81, v79, v1
	s_waitcnt lgkmcnt(5)
	v_add3_u32 v42, v85, v82, v42
	;; [unrolled: 2-line block ×7, first 2 shown]
	s_barrier
	ds_write_b8 v78, v67
	ds_write_b8 v79, v68
	;; [unrolled: 1-line block ×8, first 2 shown]
	v_lshlrev_b32_e32 v67, 3, v78
	s_waitcnt lgkmcnt(0)
	s_barrier
	ds_read_b64 v[0:1], v53
	s_waitcnt lgkmcnt(0)
	s_barrier
	ds_write_b64 v67, v[30:31]
	v_lshlrev_b32_e32 v30, 3, v79
	ds_write_b64 v30, v[32:33]
	v_lshlrev_b32_e32 v30, 3, v42
	;; [unrolled: 2-line block ×7, first 2 shown]
	v_lshlrev_b32_e32 v30, 3, v53
	ds_write_b64 v18, v[20:21]
	s_waitcnt lgkmcnt(0)
	s_barrier
	ds_read2_b64 v[18:21], v30 offset1:1
	ds_read2_b64 v[22:25], v30 offset0:2 offset1:3
	ds_read2_b64 v[26:29], v30 offset0:4 offset1:5
	;; [unrolled: 1-line block ×3, first 2 shown]
	s_branch .LBB81_84
.LBB81_53:
	v_mov_b32_e32 v35, 0
	v_lshlrev_b64 v[2:3], 3, v[34:35]
	v_mov_b32_e32 v4, s35
	v_add_co_u32_e32 v2, vcc, s33, v2
	v_addc_co_u32_e32 v3, vcc, v4, v3, vcc
	global_load_dwordx2 v[2:3], v[2:3], off
	v_mov_b32_e32 v4, v35
	v_mov_b32_e32 v5, v35
	;; [unrolled: 1-line block ×14, first 2 shown]
	s_or_b64 exec, exec, s[16:17]
	s_and_saveexec_b64 s[16:17], s[2:3]
	s_cbranch_execz .LBB81_22
.LBB81_54:
	v_mul_lo_u32 v4, v32, s34
	v_mov_b32_e32 v5, 0
	v_lshlrev_b64 v[4:5], 3, v[4:5]
	v_mov_b32_e32 v32, s35
	v_add_co_u32_e32 v4, vcc, s33, v4
	v_addc_co_u32_e32 v5, vcc, v32, v5, vcc
	global_load_dwordx2 v[4:5], v[4:5], off
	s_or_b64 exec, exec, s[16:17]
	s_and_saveexec_b64 s[16:17], s[4:5]
	s_cbranch_execz .LBB81_23
.LBB81_55:
	v_mul_lo_u32 v6, v31, s34
	v_mov_b32_e32 v7, 0
	v_lshlrev_b64 v[6:7], 3, v[6:7]
	v_mov_b32_e32 v31, s35
	v_add_co_u32_e32 v6, vcc, s33, v6
	v_addc_co_u32_e32 v7, vcc, v31, v7, vcc
	global_load_dwordx2 v[6:7], v[6:7], off
	s_or_b64 exec, exec, s[16:17]
	s_and_saveexec_b64 s[16:17], s[6:7]
	s_cbranch_execz .LBB81_24
.LBB81_56:
	v_mul_lo_u32 v8, v30, s34
	v_mov_b32_e32 v9, 0
	v_lshlrev_b64 v[8:9], 3, v[8:9]
	v_mov_b32_e32 v30, s35
	v_add_co_u32_e32 v8, vcc, s33, v8
	v_addc_co_u32_e32 v9, vcc, v30, v9, vcc
	global_load_dwordx2 v[8:9], v[8:9], off
	s_or_b64 exec, exec, s[16:17]
	s_and_saveexec_b64 s[16:17], s[8:9]
	s_cbranch_execz .LBB81_25
.LBB81_57:
	v_mul_lo_u32 v10, v29, s34
	v_mov_b32_e32 v11, 0
	v_lshlrev_b64 v[10:11], 3, v[10:11]
	v_mov_b32_e32 v29, s35
	v_add_co_u32_e32 v10, vcc, s33, v10
	v_addc_co_u32_e32 v11, vcc, v29, v11, vcc
	global_load_dwordx2 v[10:11], v[10:11], off
	s_or_b64 exec, exec, s[16:17]
	s_and_saveexec_b64 s[16:17], s[10:11]
	s_cbranch_execz .LBB81_26
.LBB81_58:
	v_mul_lo_u32 v12, v28, s34
	v_mov_b32_e32 v13, 0
	v_lshlrev_b64 v[12:13], 3, v[12:13]
	v_mov_b32_e32 v28, s35
	v_add_co_u32_e32 v12, vcc, s33, v12
	v_addc_co_u32_e32 v13, vcc, v28, v13, vcc
	global_load_dwordx2 v[12:13], v[12:13], off
	s_or_b64 exec, exec, s[16:17]
	s_and_saveexec_b64 s[16:17], s[12:13]
	s_cbranch_execz .LBB81_27
.LBB81_59:
	v_mul_lo_u32 v14, v27, s34
	v_mov_b32_e32 v15, 0
	v_lshlrev_b64 v[14:15], 3, v[14:15]
	v_mov_b32_e32 v27, s35
	v_add_co_u32_e32 v14, vcc, s33, v14
	v_addc_co_u32_e32 v15, vcc, v27, v15, vcc
	global_load_dwordx2 v[14:15], v[14:15], off
	s_or_b64 exec, exec, s[16:17]
	s_and_saveexec_b64 s[16:17], s[14:15]
	s_cbranch_execnz .LBB81_28
	s_branch .LBB81_29
.LBB81_60:
                                        ; implicit-def: $vgpr1
                                        ; implicit-def: $vgpr32_vgpr33
                                        ; implicit-def: $vgpr28_vgpr29
                                        ; implicit-def: $vgpr24_vgpr25
                                        ; implicit-def: $vgpr20_vgpr21
	s_cbranch_execz .LBB81_84
; %bb.61:
	v_mov_b32_e32 v0, -1
	v_xor_b32_sdwa v1, v65, v0 dst_sel:BYTE_1 dst_unused:UNUSED_PAD src0_sel:DWORD src1_sel:DWORD
	s_waitcnt lgkmcnt(3)
	v_xor_b32_e32 v18, -1, v39
	v_or_b32_sdwa v1, v18, v1 dst_sel:DWORD dst_unused:UNUSED_PAD src0_sel:BYTE_0 src1_sel:DWORD
	v_xor_b32_sdwa v18, v39, v0 dst_sel:DWORD dst_unused:UNUSED_PAD src0_sel:BYTE_3 src1_sel:DWORD
	v_lshlrev_b16_e32 v18, 8, v18
	v_xor_b32_sdwa v19, v39, v0 dst_sel:DWORD dst_unused:UNUSED_PAD src0_sel:WORD_1 src1_sel:DWORD
	v_or_b32_sdwa v18, v19, v18 dst_sel:WORD_1 dst_unused:UNUSED_PAD src0_sel:BYTE_0 src1_sel:DWORD
	v_or_b32_sdwa v1, v1, v18 dst_sel:DWORD dst_unused:UNUSED_PAD src0_sel:WORD_0 src1_sel:DWORD
	v_xor_b32_sdwa v18, v64, v0 dst_sel:BYTE_1 dst_unused:UNUSED_PAD src0_sel:DWORD src1_sel:DWORD
	v_xor_b32_e32 v19, -1, v38
	v_or_b32_sdwa v18, v19, v18 dst_sel:DWORD dst_unused:UNUSED_PAD src0_sel:BYTE_0 src1_sel:DWORD
	v_xor_b32_sdwa v19, v40, v0 dst_sel:BYTE_1 dst_unused:UNUSED_PAD src0_sel:DWORD src1_sel:DWORD
	v_xor_b32_sdwa v0, v38, v0 dst_sel:DWORD dst_unused:UNUSED_PAD src0_sel:WORD_1 src1_sel:DWORD
	v_or_b32_sdwa v0, v0, v19 dst_sel:WORD_1 dst_unused:UNUSED_PAD src0_sel:BYTE_0 src1_sel:DWORD
	s_waitcnt lgkmcnt(1)
	v_mbcnt_hi_u32_b32 v28, -1, v66
	v_and_b32_e32 v29, 0x3c0, v36
	v_or_b32_sdwa v0, v18, v0 dst_sel:DWORD dst_unused:UNUSED_PAD src0_sel:WORD_0 src1_sel:DWORD
	v_add_u32_e32 v18, v28, v29
	v_lshlrev_b32_e32 v19, 3, v18
	s_movk_i32 s16, 0x1e00
	ds_write_b64 v19, v[0:1]
	v_and_or_b32 v0, v53, s16, v28
	; wave barrier
	ds_read_u8 v20, v0
	ds_read_u8 v21, v0 offset:64
	ds_read_u8 v22, v0 offset:128
	;; [unrolled: 1-line block ×7, first 2 shown]
	v_lshlrev_b32_e32 v1, 6, v18
	v_lshlrev_b32_e32 v0, 3, v0
	s_getpc_b64 s[16:17]
	s_add_u32 s16, s16, _ZN7rocprim17ROCPRIM_400000_NS16block_radix_sortIhLj256ELj8ElLj1ELj1ELj0ELNS0_26block_radix_rank_algorithmE1ELNS0_18block_padding_hintE2ELNS0_4arch9wavefront6targetE1EE19radix_bits_per_passE@rel32@lo+4
	s_addc_u32 s17, s17, _ZN7rocprim17ROCPRIM_400000_NS16block_radix_sortIhLj256ELj8ElLj1ELj1ELj0ELNS0_26block_radix_rank_algorithmE1ELNS0_18block_padding_hintE2ELNS0_4arch9wavefront6targetE1EE19radix_bits_per_passE@rel32@hi+12
	s_waitcnt lgkmcnt(0)
	s_barrier
	ds_write2_b64 v1, v[14:15], v[16:17] offset1:1
	ds_write2_b64 v1, v[10:11], v[12:13] offset0:2 offset1:3
	ds_write2_b64 v1, v[6:7], v[8:9] offset0:4 offset1:5
	;; [unrolled: 1-line block ×3, first 2 shown]
	; wave barrier
	ds_read2st64_b64 v[12:15], v0 offset1:1
	ds_read2st64_b64 v[8:11], v0 offset0:2 offset1:3
	ds_read2st64_b64 v[4:7], v0 offset0:4 offset1:5
	;; [unrolled: 1-line block ×3, first 2 shown]
	s_waitcnt lgkmcnt(0)
	s_barrier
	s_load_dword s18, s[16:17], 0x0
	s_load_dword s19, s[42:43], 0xc
	v_mov_b32_e32 v32, 2
	v_mov_b32_e32 v16, 0
	ds_write2_b32 v61, v16, v16 offset0:4 offset1:5
	ds_write2_b32 v61, v16, v16 offset0:6 offset1:7
	s_waitcnt lgkmcnt(0)
	s_min_u32 s18, s18, 8
	s_lshr_b32 s16, s19, 16
	s_and_b32 s17, s19, 0xffff
	v_mad_u32_u24 v17, v63, s16, v62
	v_mad_u64_u32 v[18:19], s[16:17], v17, s17, v[36:37]
	s_lshl_b32 s16, -1, s18
	s_not_b32 s18, s16
	v_lshrrev_b32_e32 v40, 6, v18
	v_and_b32_e32 v18, s18, v20
	v_lshlrev_b32_sdwa v17, v32, v18 dst_sel:DWORD dst_unused:UNUSED_PAD src0_sel:DWORD src1_sel:BYTE_0
	v_add_lshl_u32 v30, v40, v17, 2
	v_and_b32_e32 v17, 1, v18
	v_add_co_u32_e32 v19, vcc, -1, v17
	v_addc_co_u32_e64 v31, s[16:17], 0, -1, vcc
	v_cmp_ne_u32_e32 vcc, 0, v17
	v_xor_b32_e32 v17, vcc_hi, v31
	v_and_b32_e32 v31, exec_hi, v17
	v_lshlrev_b32_e32 v17, 30, v18
	v_xor_b32_e32 v19, vcc_lo, v19
	v_cmp_gt_i64_e32 vcc, 0, v[16:17]
	v_not_b32_e32 v17, v17
	v_ashrrev_i32_e32 v17, 31, v17
	v_and_b32_e32 v19, exec_lo, v19
	v_xor_b32_e32 v33, vcc_hi, v17
	v_xor_b32_e32 v17, vcc_lo, v17
	v_and_b32_e32 v19, v19, v17
	v_lshlrev_b32_e32 v17, 29, v18
	v_cmp_gt_i64_e32 vcc, 0, v[16:17]
	v_not_b32_e32 v17, v17
	v_ashrrev_i32_e32 v17, 31, v17
	v_and_b32_e32 v31, v31, v33
	v_xor_b32_e32 v33, vcc_hi, v17
	v_xor_b32_e32 v17, vcc_lo, v17
	v_and_b32_e32 v19, v19, v17
	v_lshlrev_b32_e32 v17, 28, v18
	v_cmp_gt_i64_e32 vcc, 0, v[16:17]
	v_not_b32_e32 v17, v17
	v_ashrrev_i32_e32 v17, 31, v17
	v_and_b32_e32 v31, v31, v33
	;; [unrolled: 8-line block ×5, first 2 shown]
	v_xor_b32_e32 v33, vcc_hi, v17
	v_xor_b32_e32 v17, vcc_lo, v17
	v_and_b32_e32 v31, v31, v33
	v_and_b32_e32 v33, v19, v17
	v_lshlrev_b32_e32 v17, 24, v18
	v_cmp_gt_i64_e32 vcc, 0, v[16:17]
	v_not_b32_e32 v17, v17
	v_ashrrev_i32_e32 v17, 31, v17
	v_xor_b32_e32 v18, vcc_hi, v17
	v_xor_b32_e32 v17, vcc_lo, v17
	v_and_b32_e32 v19, v31, v18
	v_and_b32_e32 v18, v33, v17
	v_mbcnt_lo_u32_b32 v17, v18, 0
	v_mbcnt_hi_u32_b32 v31, v19, v17
	v_cmp_eq_u32_e32 vcc, 0, v31
	v_cmp_ne_u64_e64 s[16:17], 0, v[18:19]
	s_and_b64 s[20:21], s[16:17], vcc
	s_barrier
	s_waitcnt lgkmcnt(0)
	; wave barrier
	s_and_saveexec_b64 s[16:17], s[20:21]
	s_cbranch_execz .LBB81_63
; %bb.62:
	v_bcnt_u32_b32 v17, v18, 0
	v_bcnt_u32_b32 v17, v19, v17
	ds_write_b32 v30, v17 offset:16
.LBB81_63:
	s_or_b64 exec, exec, s[16:17]
	v_and_b32_e32 v18, s18, v21
	v_lshlrev_b32_sdwa v17, v32, v18 dst_sel:DWORD dst_unused:UNUSED_PAD src0_sel:DWORD src1_sel:BYTE_0
	v_add_lshl_u32 v33, v40, v17, 2
	v_and_b32_e32 v17, 1, v18
	v_add_co_u32_e32 v19, vcc, -1, v17
	v_addc_co_u32_e64 v38, s[16:17], 0, -1, vcc
	v_cmp_ne_u32_e32 vcc, 0, v17
	v_xor_b32_e32 v17, vcc_hi, v38
	v_and_b32_e32 v38, exec_hi, v17
	v_lshlrev_b32_e32 v17, 30, v18
	v_xor_b32_e32 v19, vcc_lo, v19
	v_cmp_gt_i64_e32 vcc, 0, v[16:17]
	v_not_b32_e32 v17, v17
	v_ashrrev_i32_e32 v17, 31, v17
	v_and_b32_e32 v19, exec_lo, v19
	v_xor_b32_e32 v39, vcc_hi, v17
	v_xor_b32_e32 v17, vcc_lo, v17
	v_and_b32_e32 v19, v19, v17
	v_lshlrev_b32_e32 v17, 29, v18
	v_cmp_gt_i64_e32 vcc, 0, v[16:17]
	v_not_b32_e32 v17, v17
	v_ashrrev_i32_e32 v17, 31, v17
	v_and_b32_e32 v38, v38, v39
	v_xor_b32_e32 v39, vcc_hi, v17
	v_xor_b32_e32 v17, vcc_lo, v17
	v_and_b32_e32 v19, v19, v17
	v_lshlrev_b32_e32 v17, 28, v18
	v_cmp_gt_i64_e32 vcc, 0, v[16:17]
	v_not_b32_e32 v17, v17
	v_ashrrev_i32_e32 v17, 31, v17
	v_and_b32_e32 v38, v38, v39
	v_xor_b32_e32 v39, vcc_hi, v17
	v_xor_b32_e32 v17, vcc_lo, v17
	v_and_b32_e32 v19, v19, v17
	v_lshlrev_b32_e32 v17, 27, v18
	v_cmp_gt_i64_e32 vcc, 0, v[16:17]
	v_not_b32_e32 v17, v17
	v_ashrrev_i32_e32 v17, 31, v17
	v_and_b32_e32 v38, v38, v39
	v_xor_b32_e32 v39, vcc_hi, v17
	v_xor_b32_e32 v17, vcc_lo, v17
	v_and_b32_e32 v19, v19, v17
	v_lshlrev_b32_e32 v17, 26, v18
	v_cmp_gt_i64_e32 vcc, 0, v[16:17]
	v_not_b32_e32 v17, v17
	v_ashrrev_i32_e32 v17, 31, v17
	v_and_b32_e32 v38, v38, v39
	v_xor_b32_e32 v39, vcc_hi, v17
	v_xor_b32_e32 v17, vcc_lo, v17
	v_and_b32_e32 v19, v19, v17
	v_lshlrev_b32_e32 v17, 25, v18
	v_cmp_gt_i64_e32 vcc, 0, v[16:17]
	v_not_b32_e32 v17, v17
	v_ashrrev_i32_e32 v17, 31, v17
	v_and_b32_e32 v38, v38, v39
	v_xor_b32_e32 v39, vcc_hi, v17
	v_xor_b32_e32 v17, vcc_lo, v17
	v_and_b32_e32 v19, v19, v17
	v_lshlrev_b32_e32 v17, 24, v18
	v_cmp_gt_i64_e32 vcc, 0, v[16:17]
	v_not_b32_e32 v16, v17
	v_ashrrev_i32_e32 v16, 31, v16
	v_xor_b32_e32 v17, vcc_hi, v16
	v_xor_b32_e32 v16, vcc_lo, v16
	; wave barrier
	ds_read_b32 v32, v33 offset:16
	v_and_b32_e32 v38, v38, v39
	v_and_b32_e32 v16, v19, v16
	v_and_b32_e32 v17, v38, v17
	v_mbcnt_lo_u32_b32 v18, v16, 0
	v_mbcnt_hi_u32_b32 v38, v17, v18
	v_cmp_eq_u32_e32 vcc, 0, v38
	v_cmp_ne_u64_e64 s[16:17], 0, v[16:17]
	s_and_b64 s[20:21], s[16:17], vcc
	; wave barrier
	s_and_saveexec_b64 s[16:17], s[20:21]
	s_cbranch_execz .LBB81_65
; %bb.64:
	v_bcnt_u32_b32 v16, v16, 0
	v_bcnt_u32_b32 v16, v17, v16
	s_waitcnt lgkmcnt(0)
	v_add_u32_e32 v16, v32, v16
	ds_write_b32 v33, v16 offset:16
.LBB81_65:
	s_or_b64 exec, exec, s[16:17]
	v_and_b32_e32 v18, s18, v22
	v_and_b32_e32 v17, 1, v18
	v_add_co_u32_e32 v19, vcc, -1, v17
	v_mov_b32_e32 v62, 2
	v_addc_co_u32_e64 v43, s[16:17], 0, -1, vcc
	v_cmp_ne_u32_e32 vcc, 0, v17
	v_lshlrev_b32_sdwa v16, v62, v18 dst_sel:DWORD dst_unused:UNUSED_PAD src0_sel:DWORD src1_sel:BYTE_0
	v_xor_b32_e32 v17, vcc_hi, v43
	v_add_lshl_u32 v42, v40, v16, 2
	v_mov_b32_e32 v16, 0
	v_and_b32_e32 v43, exec_hi, v17
	v_lshlrev_b32_e32 v17, 30, v18
	v_xor_b32_e32 v19, vcc_lo, v19
	v_cmp_gt_i64_e32 vcc, 0, v[16:17]
	v_not_b32_e32 v17, v17
	v_ashrrev_i32_e32 v17, 31, v17
	v_and_b32_e32 v19, exec_lo, v19
	v_xor_b32_e32 v63, vcc_hi, v17
	v_xor_b32_e32 v17, vcc_lo, v17
	v_and_b32_e32 v19, v19, v17
	v_lshlrev_b32_e32 v17, 29, v18
	v_cmp_gt_i64_e32 vcc, 0, v[16:17]
	v_not_b32_e32 v17, v17
	v_ashrrev_i32_e32 v17, 31, v17
	v_and_b32_e32 v43, v43, v63
	v_xor_b32_e32 v63, vcc_hi, v17
	v_xor_b32_e32 v17, vcc_lo, v17
	v_and_b32_e32 v19, v19, v17
	v_lshlrev_b32_e32 v17, 28, v18
	v_cmp_gt_i64_e32 vcc, 0, v[16:17]
	v_not_b32_e32 v17, v17
	v_ashrrev_i32_e32 v17, 31, v17
	v_and_b32_e32 v43, v43, v63
	;; [unrolled: 8-line block ×5, first 2 shown]
	v_xor_b32_e32 v63, vcc_hi, v17
	v_xor_b32_e32 v17, vcc_lo, v17
	v_and_b32_e32 v43, v43, v63
	v_and_b32_e32 v63, v19, v17
	v_lshlrev_b32_e32 v17, 24, v18
	v_cmp_gt_i64_e32 vcc, 0, v[16:17]
	v_not_b32_e32 v17, v17
	v_ashrrev_i32_e32 v17, 31, v17
	v_xor_b32_e32 v18, vcc_hi, v17
	v_xor_b32_e32 v17, vcc_lo, v17
	; wave barrier
	ds_read_b32 v39, v42 offset:16
	v_and_b32_e32 v19, v43, v18
	v_and_b32_e32 v18, v63, v17
	v_mbcnt_lo_u32_b32 v17, v18, 0
	v_mbcnt_hi_u32_b32 v43, v19, v17
	v_cmp_eq_u32_e32 vcc, 0, v43
	v_cmp_ne_u64_e64 s[16:17], 0, v[18:19]
	s_and_b64 s[20:21], s[16:17], vcc
	; wave barrier
	s_and_saveexec_b64 s[16:17], s[20:21]
	s_cbranch_execz .LBB81_67
; %bb.66:
	v_bcnt_u32_b32 v17, v18, 0
	v_bcnt_u32_b32 v17, v19, v17
	s_waitcnt lgkmcnt(0)
	v_add_u32_e32 v17, v39, v17
	ds_write_b32 v42, v17 offset:16
.LBB81_67:
	s_or_b64 exec, exec, s[16:17]
	v_and_b32_e32 v18, s18, v23
	v_lshlrev_b32_sdwa v17, v62, v18 dst_sel:DWORD dst_unused:UNUSED_PAD src0_sel:DWORD src1_sel:BYTE_0
	v_add_lshl_u32 v63, v40, v17, 2
	v_and_b32_e32 v17, 1, v18
	v_add_co_u32_e32 v19, vcc, -1, v17
	v_addc_co_u32_e64 v64, s[16:17], 0, -1, vcc
	v_cmp_ne_u32_e32 vcc, 0, v17
	v_xor_b32_e32 v17, vcc_hi, v64
	v_and_b32_e32 v64, exec_hi, v17
	v_lshlrev_b32_e32 v17, 30, v18
	v_xor_b32_e32 v19, vcc_lo, v19
	v_cmp_gt_i64_e32 vcc, 0, v[16:17]
	v_not_b32_e32 v17, v17
	v_ashrrev_i32_e32 v17, 31, v17
	v_and_b32_e32 v19, exec_lo, v19
	v_xor_b32_e32 v65, vcc_hi, v17
	v_xor_b32_e32 v17, vcc_lo, v17
	v_and_b32_e32 v19, v19, v17
	v_lshlrev_b32_e32 v17, 29, v18
	v_cmp_gt_i64_e32 vcc, 0, v[16:17]
	v_not_b32_e32 v17, v17
	v_ashrrev_i32_e32 v17, 31, v17
	v_and_b32_e32 v64, v64, v65
	v_xor_b32_e32 v65, vcc_hi, v17
	v_xor_b32_e32 v17, vcc_lo, v17
	v_and_b32_e32 v19, v19, v17
	v_lshlrev_b32_e32 v17, 28, v18
	v_cmp_gt_i64_e32 vcc, 0, v[16:17]
	v_not_b32_e32 v17, v17
	v_ashrrev_i32_e32 v17, 31, v17
	v_and_b32_e32 v64, v64, v65
	;; [unrolled: 8-line block ×5, first 2 shown]
	v_xor_b32_e32 v65, vcc_hi, v17
	v_xor_b32_e32 v17, vcc_lo, v17
	v_and_b32_e32 v19, v19, v17
	v_lshlrev_b32_e32 v17, 24, v18
	v_cmp_gt_i64_e32 vcc, 0, v[16:17]
	v_not_b32_e32 v16, v17
	v_ashrrev_i32_e32 v16, 31, v16
	v_xor_b32_e32 v17, vcc_hi, v16
	v_xor_b32_e32 v16, vcc_lo, v16
	; wave barrier
	ds_read_b32 v62, v63 offset:16
	v_and_b32_e32 v64, v64, v65
	v_and_b32_e32 v16, v19, v16
	v_and_b32_e32 v17, v64, v17
	v_mbcnt_lo_u32_b32 v18, v16, 0
	v_mbcnt_hi_u32_b32 v64, v17, v18
	v_cmp_eq_u32_e32 vcc, 0, v64
	v_cmp_ne_u64_e64 s[16:17], 0, v[16:17]
	s_and_b64 s[20:21], s[16:17], vcc
	; wave barrier
	s_and_saveexec_b64 s[16:17], s[20:21]
	s_cbranch_execz .LBB81_69
; %bb.68:
	v_bcnt_u32_b32 v16, v16, 0
	v_bcnt_u32_b32 v16, v17, v16
	s_waitcnt lgkmcnt(0)
	v_add_u32_e32 v16, v62, v16
	ds_write_b32 v63, v16 offset:16
.LBB81_69:
	s_or_b64 exec, exec, s[16:17]
	v_and_b32_e32 v18, s18, v24
	v_and_b32_e32 v17, 1, v18
	v_add_co_u32_e32 v19, vcc, -1, v17
	v_mov_b32_e32 v68, 2
	v_addc_co_u32_e64 v67, s[16:17], 0, -1, vcc
	v_cmp_ne_u32_e32 vcc, 0, v17
	v_lshlrev_b32_sdwa v16, v68, v18 dst_sel:DWORD dst_unused:UNUSED_PAD src0_sel:DWORD src1_sel:BYTE_0
	v_xor_b32_e32 v17, vcc_hi, v67
	v_add_lshl_u32 v66, v40, v16, 2
	v_mov_b32_e32 v16, 0
	v_and_b32_e32 v67, exec_hi, v17
	v_lshlrev_b32_e32 v17, 30, v18
	v_xor_b32_e32 v19, vcc_lo, v19
	v_cmp_gt_i64_e32 vcc, 0, v[16:17]
	v_not_b32_e32 v17, v17
	v_ashrrev_i32_e32 v17, 31, v17
	v_and_b32_e32 v19, exec_lo, v19
	v_xor_b32_e32 v69, vcc_hi, v17
	v_xor_b32_e32 v17, vcc_lo, v17
	v_and_b32_e32 v19, v19, v17
	v_lshlrev_b32_e32 v17, 29, v18
	v_cmp_gt_i64_e32 vcc, 0, v[16:17]
	v_not_b32_e32 v17, v17
	v_ashrrev_i32_e32 v17, 31, v17
	v_and_b32_e32 v67, v67, v69
	v_xor_b32_e32 v69, vcc_hi, v17
	v_xor_b32_e32 v17, vcc_lo, v17
	v_and_b32_e32 v19, v19, v17
	v_lshlrev_b32_e32 v17, 28, v18
	v_cmp_gt_i64_e32 vcc, 0, v[16:17]
	v_not_b32_e32 v17, v17
	v_ashrrev_i32_e32 v17, 31, v17
	v_and_b32_e32 v67, v67, v69
	;; [unrolled: 8-line block ×5, first 2 shown]
	v_xor_b32_e32 v69, vcc_hi, v17
	v_xor_b32_e32 v17, vcc_lo, v17
	v_and_b32_e32 v67, v67, v69
	v_and_b32_e32 v69, v19, v17
	v_lshlrev_b32_e32 v17, 24, v18
	v_cmp_gt_i64_e32 vcc, 0, v[16:17]
	v_not_b32_e32 v17, v17
	v_ashrrev_i32_e32 v17, 31, v17
	v_xor_b32_e32 v18, vcc_hi, v17
	v_xor_b32_e32 v17, vcc_lo, v17
	; wave barrier
	ds_read_b32 v65, v66 offset:16
	v_and_b32_e32 v19, v67, v18
	v_and_b32_e32 v18, v69, v17
	v_mbcnt_lo_u32_b32 v17, v18, 0
	v_mbcnt_hi_u32_b32 v67, v19, v17
	v_cmp_eq_u32_e32 vcc, 0, v67
	v_cmp_ne_u64_e64 s[16:17], 0, v[18:19]
	s_and_b64 s[20:21], s[16:17], vcc
	; wave barrier
	s_and_saveexec_b64 s[16:17], s[20:21]
	s_cbranch_execz .LBB81_71
; %bb.70:
	v_bcnt_u32_b32 v17, v18, 0
	v_bcnt_u32_b32 v17, v19, v17
	s_waitcnt lgkmcnt(0)
	v_add_u32_e32 v17, v65, v17
	ds_write_b32 v66, v17 offset:16
.LBB81_71:
	s_or_b64 exec, exec, s[16:17]
	v_and_b32_e32 v18, s18, v25
	v_lshlrev_b32_sdwa v17, v68, v18 dst_sel:DWORD dst_unused:UNUSED_PAD src0_sel:DWORD src1_sel:BYTE_0
	v_add_lshl_u32 v69, v40, v17, 2
	v_and_b32_e32 v17, 1, v18
	v_add_co_u32_e32 v19, vcc, -1, v17
	v_addc_co_u32_e64 v70, s[16:17], 0, -1, vcc
	v_cmp_ne_u32_e32 vcc, 0, v17
	v_xor_b32_e32 v17, vcc_hi, v70
	v_and_b32_e32 v70, exec_hi, v17
	v_lshlrev_b32_e32 v17, 30, v18
	v_xor_b32_e32 v19, vcc_lo, v19
	v_cmp_gt_i64_e32 vcc, 0, v[16:17]
	v_not_b32_e32 v17, v17
	v_ashrrev_i32_e32 v17, 31, v17
	v_and_b32_e32 v19, exec_lo, v19
	v_xor_b32_e32 v71, vcc_hi, v17
	v_xor_b32_e32 v17, vcc_lo, v17
	v_and_b32_e32 v19, v19, v17
	v_lshlrev_b32_e32 v17, 29, v18
	v_cmp_gt_i64_e32 vcc, 0, v[16:17]
	v_not_b32_e32 v17, v17
	v_ashrrev_i32_e32 v17, 31, v17
	v_and_b32_e32 v70, v70, v71
	v_xor_b32_e32 v71, vcc_hi, v17
	v_xor_b32_e32 v17, vcc_lo, v17
	v_and_b32_e32 v19, v19, v17
	v_lshlrev_b32_e32 v17, 28, v18
	v_cmp_gt_i64_e32 vcc, 0, v[16:17]
	v_not_b32_e32 v17, v17
	v_ashrrev_i32_e32 v17, 31, v17
	v_and_b32_e32 v70, v70, v71
	;; [unrolled: 8-line block ×5, first 2 shown]
	v_xor_b32_e32 v71, vcc_hi, v17
	v_xor_b32_e32 v17, vcc_lo, v17
	v_and_b32_e32 v19, v19, v17
	v_lshlrev_b32_e32 v17, 24, v18
	v_cmp_gt_i64_e32 vcc, 0, v[16:17]
	v_not_b32_e32 v16, v17
	v_ashrrev_i32_e32 v16, 31, v16
	v_xor_b32_e32 v17, vcc_hi, v16
	v_xor_b32_e32 v16, vcc_lo, v16
	; wave barrier
	ds_read_b32 v68, v69 offset:16
	v_and_b32_e32 v70, v70, v71
	v_and_b32_e32 v16, v19, v16
	;; [unrolled: 1-line block ×3, first 2 shown]
	v_mbcnt_lo_u32_b32 v18, v16, 0
	v_mbcnt_hi_u32_b32 v70, v17, v18
	v_cmp_eq_u32_e32 vcc, 0, v70
	v_cmp_ne_u64_e64 s[16:17], 0, v[16:17]
	s_and_b64 s[20:21], s[16:17], vcc
	; wave barrier
	s_and_saveexec_b64 s[16:17], s[20:21]
	s_cbranch_execz .LBB81_73
; %bb.72:
	v_bcnt_u32_b32 v16, v16, 0
	v_bcnt_u32_b32 v16, v17, v16
	s_waitcnt lgkmcnt(0)
	v_add_u32_e32 v16, v68, v16
	ds_write_b32 v69, v16 offset:16
.LBB81_73:
	s_or_b64 exec, exec, s[16:17]
	v_and_b32_e32 v18, s18, v26
	v_and_b32_e32 v17, 1, v18
	v_add_co_u32_e32 v19, vcc, -1, v17
	v_mov_b32_e32 v74, 2
	v_addc_co_u32_e64 v73, s[16:17], 0, -1, vcc
	v_cmp_ne_u32_e32 vcc, 0, v17
	v_lshlrev_b32_sdwa v16, v74, v18 dst_sel:DWORD dst_unused:UNUSED_PAD src0_sel:DWORD src1_sel:BYTE_0
	v_xor_b32_e32 v17, vcc_hi, v73
	v_add_lshl_u32 v72, v40, v16, 2
	v_mov_b32_e32 v16, 0
	v_and_b32_e32 v73, exec_hi, v17
	v_lshlrev_b32_e32 v17, 30, v18
	v_xor_b32_e32 v19, vcc_lo, v19
	v_cmp_gt_i64_e32 vcc, 0, v[16:17]
	v_not_b32_e32 v17, v17
	v_ashrrev_i32_e32 v17, 31, v17
	v_and_b32_e32 v19, exec_lo, v19
	v_xor_b32_e32 v75, vcc_hi, v17
	v_xor_b32_e32 v17, vcc_lo, v17
	v_and_b32_e32 v19, v19, v17
	v_lshlrev_b32_e32 v17, 29, v18
	v_cmp_gt_i64_e32 vcc, 0, v[16:17]
	v_not_b32_e32 v17, v17
	v_ashrrev_i32_e32 v17, 31, v17
	v_and_b32_e32 v73, v73, v75
	v_xor_b32_e32 v75, vcc_hi, v17
	v_xor_b32_e32 v17, vcc_lo, v17
	v_and_b32_e32 v19, v19, v17
	v_lshlrev_b32_e32 v17, 28, v18
	v_cmp_gt_i64_e32 vcc, 0, v[16:17]
	v_not_b32_e32 v17, v17
	v_ashrrev_i32_e32 v17, 31, v17
	v_and_b32_e32 v73, v73, v75
	;; [unrolled: 8-line block ×5, first 2 shown]
	v_xor_b32_e32 v75, vcc_hi, v17
	v_xor_b32_e32 v17, vcc_lo, v17
	v_and_b32_e32 v73, v73, v75
	v_and_b32_e32 v75, v19, v17
	v_lshlrev_b32_e32 v17, 24, v18
	v_cmp_gt_i64_e32 vcc, 0, v[16:17]
	v_not_b32_e32 v17, v17
	v_ashrrev_i32_e32 v17, 31, v17
	v_xor_b32_e32 v18, vcc_hi, v17
	v_xor_b32_e32 v17, vcc_lo, v17
	; wave barrier
	ds_read_b32 v71, v72 offset:16
	v_and_b32_e32 v19, v73, v18
	v_and_b32_e32 v18, v75, v17
	v_mbcnt_lo_u32_b32 v17, v18, 0
	v_mbcnt_hi_u32_b32 v73, v19, v17
	v_cmp_eq_u32_e32 vcc, 0, v73
	v_cmp_ne_u64_e64 s[16:17], 0, v[18:19]
	s_and_b64 s[20:21], s[16:17], vcc
	; wave barrier
	s_and_saveexec_b64 s[16:17], s[20:21]
	s_cbranch_execz .LBB81_75
; %bb.74:
	v_bcnt_u32_b32 v17, v18, 0
	v_bcnt_u32_b32 v17, v19, v17
	s_waitcnt lgkmcnt(0)
	v_add_u32_e32 v17, v71, v17
	ds_write_b32 v72, v17 offset:16
.LBB81_75:
	s_or_b64 exec, exec, s[16:17]
	v_and_b32_e32 v18, s18, v27
	v_lshlrev_b32_sdwa v17, v74, v18 dst_sel:DWORD dst_unused:UNUSED_PAD src0_sel:DWORD src1_sel:BYTE_0
	v_add_lshl_u32 v74, v40, v17, 2
	v_and_b32_e32 v17, 1, v18
	v_add_co_u32_e32 v19, vcc, -1, v17
	v_addc_co_u32_e64 v76, s[16:17], 0, -1, vcc
	v_cmp_ne_u32_e32 vcc, 0, v17
	v_xor_b32_e32 v17, vcc_hi, v76
	v_and_b32_e32 v76, exec_hi, v17
	v_lshlrev_b32_e32 v17, 30, v18
	v_xor_b32_e32 v19, vcc_lo, v19
	v_cmp_gt_i64_e32 vcc, 0, v[16:17]
	v_not_b32_e32 v17, v17
	v_ashrrev_i32_e32 v17, 31, v17
	v_and_b32_e32 v19, exec_lo, v19
	v_xor_b32_e32 v77, vcc_hi, v17
	v_xor_b32_e32 v17, vcc_lo, v17
	v_and_b32_e32 v19, v19, v17
	v_lshlrev_b32_e32 v17, 29, v18
	v_cmp_gt_i64_e32 vcc, 0, v[16:17]
	v_not_b32_e32 v17, v17
	v_ashrrev_i32_e32 v17, 31, v17
	v_and_b32_e32 v76, v76, v77
	v_xor_b32_e32 v77, vcc_hi, v17
	v_xor_b32_e32 v17, vcc_lo, v17
	v_and_b32_e32 v19, v19, v17
	v_lshlrev_b32_e32 v17, 28, v18
	v_cmp_gt_i64_e32 vcc, 0, v[16:17]
	v_not_b32_e32 v17, v17
	v_ashrrev_i32_e32 v17, 31, v17
	v_and_b32_e32 v76, v76, v77
	v_xor_b32_e32 v77, vcc_hi, v17
	v_xor_b32_e32 v17, vcc_lo, v17
	v_and_b32_e32 v19, v19, v17
	v_lshlrev_b32_e32 v17, 27, v18
	v_cmp_gt_i64_e32 vcc, 0, v[16:17]
	v_not_b32_e32 v17, v17
	v_ashrrev_i32_e32 v17, 31, v17
	v_and_b32_e32 v76, v76, v77
	v_xor_b32_e32 v77, vcc_hi, v17
	v_xor_b32_e32 v17, vcc_lo, v17
	v_and_b32_e32 v19, v19, v17
	v_lshlrev_b32_e32 v17, 26, v18
	v_cmp_gt_i64_e32 vcc, 0, v[16:17]
	v_not_b32_e32 v17, v17
	v_ashrrev_i32_e32 v17, 31, v17
	v_and_b32_e32 v76, v76, v77
	v_xor_b32_e32 v77, vcc_hi, v17
	v_xor_b32_e32 v17, vcc_lo, v17
	v_and_b32_e32 v19, v19, v17
	v_lshlrev_b32_e32 v17, 25, v18
	v_cmp_gt_i64_e32 vcc, 0, v[16:17]
	v_not_b32_e32 v17, v17
	v_ashrrev_i32_e32 v17, 31, v17
	v_and_b32_e32 v76, v76, v77
	v_xor_b32_e32 v77, vcc_hi, v17
	v_xor_b32_e32 v17, vcc_lo, v17
	v_and_b32_e32 v19, v19, v17
	v_lshlrev_b32_e32 v17, 24, v18
	v_cmp_gt_i64_e32 vcc, 0, v[16:17]
	v_not_b32_e32 v16, v17
	v_ashrrev_i32_e32 v16, 31, v16
	v_xor_b32_e32 v17, vcc_hi, v16
	v_xor_b32_e32 v16, vcc_lo, v16
	; wave barrier
	ds_read_b32 v40, v74 offset:16
	v_and_b32_e32 v76, v76, v77
	v_and_b32_e32 v16, v19, v16
	;; [unrolled: 1-line block ×3, first 2 shown]
	v_mbcnt_lo_u32_b32 v18, v16, 0
	v_mbcnt_hi_u32_b32 v76, v17, v18
	v_cmp_eq_u32_e32 vcc, 0, v76
	v_cmp_ne_u64_e64 s[16:17], 0, v[16:17]
	v_add_u32_e32 v75, 16, v61
	s_and_b64 s[18:19], s[16:17], vcc
	; wave barrier
	s_and_saveexec_b64 s[16:17], s[18:19]
	s_cbranch_execz .LBB81_77
; %bb.76:
	v_bcnt_u32_b32 v16, v16, 0
	v_bcnt_u32_b32 v16, v17, v16
	s_waitcnt lgkmcnt(0)
	v_add_u32_e32 v16, v40, v16
	ds_write_b32 v74, v16 offset:16
.LBB81_77:
	s_or_b64 exec, exec, s[16:17]
	; wave barrier
	s_waitcnt lgkmcnt(0)
	s_barrier
	ds_read2_b32 v[16:17], v61 offset0:4 offset1:5
	ds_read2_b32 v[18:19], v75 offset0:2 offset1:3
	v_min_u32_e32 v29, 0xc0, v29
	v_or_b32_e32 v29, 63, v29
	s_waitcnt lgkmcnt(1)
	v_add_u32_e32 v77, v17, v16
	s_waitcnt lgkmcnt(0)
	v_add3_u32 v19, v77, v18, v19
	v_and_b32_e32 v77, 15, v28
	v_cmp_ne_u32_e32 vcc, 0, v77
	v_mov_b32_dpp v78, v19 row_shr:1 row_mask:0xf bank_mask:0xf
	v_cndmask_b32_e32 v78, 0, v78, vcc
	v_add_u32_e32 v19, v78, v19
	v_cmp_lt_u32_e32 vcc, 1, v77
	s_nop 0
	v_mov_b32_dpp v78, v19 row_shr:2 row_mask:0xf bank_mask:0xf
	v_cndmask_b32_e32 v78, 0, v78, vcc
	v_add_u32_e32 v19, v19, v78
	v_cmp_lt_u32_e32 vcc, 3, v77
	s_nop 0
	;; [unrolled: 5-line block ×3, first 2 shown]
	v_mov_b32_dpp v78, v19 row_shr:8 row_mask:0xf bank_mask:0xf
	v_cndmask_b32_e32 v77, 0, v78, vcc
	v_add_u32_e32 v19, v19, v77
	v_bfe_i32 v78, v28, 4, 1
	v_cmp_lt_u32_e32 vcc, 31, v28
	v_mov_b32_dpp v77, v19 row_bcast:15 row_mask:0xf bank_mask:0xf
	v_and_b32_e32 v77, v78, v77
	v_add_u32_e32 v19, v19, v77
	s_nop 1
	v_mov_b32_dpp v77, v19 row_bcast:31 row_mask:0xf bank_mask:0xf
	v_cndmask_b32_e32 v77, 0, v77, vcc
	v_add_u32_e32 v19, v19, v77
	v_lshrrev_b32_e32 v77, 6, v36
	v_cmp_eq_u32_e32 vcc, v29, v36
	s_and_saveexec_b64 s[16:17], vcc
	s_cbranch_execz .LBB81_79
; %bb.78:
	v_lshlrev_b32_e32 v29, 2, v77
	ds_write_b32 v29, v19
.LBB81_79:
	s_or_b64 exec, exec, s[16:17]
	v_cmp_gt_u32_e32 vcc, 4, v36
	s_waitcnt lgkmcnt(0)
	s_barrier
	s_and_saveexec_b64 s[16:17], vcc
	s_cbranch_execz .LBB81_81
; %bb.80:
	v_lshlrev_b32_e32 v29, 2, v36
	ds_read_b32 v78, v29
	v_and_b32_e32 v79, 3, v28
	v_cmp_ne_u32_e32 vcc, 0, v79
	s_waitcnt lgkmcnt(0)
	v_mov_b32_dpp v80, v78 row_shr:1 row_mask:0xf bank_mask:0xf
	v_cndmask_b32_e32 v80, 0, v80, vcc
	v_add_u32_e32 v78, v80, v78
	v_cmp_lt_u32_e32 vcc, 1, v79
	s_nop 0
	v_mov_b32_dpp v80, v78 row_shr:2 row_mask:0xf bank_mask:0xf
	v_cndmask_b32_e32 v79, 0, v80, vcc
	v_add_u32_e32 v78, v78, v79
	ds_write_b32 v29, v78
.LBB81_81:
	s_or_b64 exec, exec, s[16:17]
	v_cmp_lt_u32_e32 vcc, 63, v36
	v_mov_b32_e32 v29, 0
	s_waitcnt lgkmcnt(0)
	s_barrier
	s_and_saveexec_b64 s[16:17], vcc
	s_cbranch_execz .LBB81_83
; %bb.82:
	v_lshl_add_u32 v29, v77, 2, -4
	ds_read_b32 v29, v29
.LBB81_83:
	s_or_b64 exec, exec, s[16:17]
	v_add_u32_e32 v77, -1, v28
	v_and_b32_e32 v78, 64, v28
	v_cmp_lt_i32_e32 vcc, v77, v78
	v_cndmask_b32_e32 v77, v77, v28, vcc
	s_waitcnt lgkmcnt(0)
	v_add_u32_e32 v19, v29, v19
	v_lshlrev_b32_e32 v77, 2, v77
	ds_bpermute_b32 v19, v77, v19
	v_cmp_eq_u32_e32 vcc, 0, v28
	s_waitcnt lgkmcnt(0)
	v_cndmask_b32_e32 v19, v19, v29, vcc
	v_cmp_ne_u32_e32 vcc, 0, v36
	v_cndmask_b32_e32 v19, 0, v19, vcc
	v_add_u32_e32 v16, v19, v16
	v_add_u32_e32 v17, v16, v17
	;; [unrolled: 1-line block ×3, first 2 shown]
	ds_write2_b32 v61, v19, v16 offset0:4 offset1:5
	ds_write2_b32 v75, v17, v18 offset0:2 offset1:3
	s_waitcnt lgkmcnt(0)
	s_barrier
	ds_read_b32 v16, v30 offset:16
	ds_read_b32 v17, v33 offset:16
	;; [unrolled: 1-line block ×8, first 2 shown]
	s_waitcnt lgkmcnt(7)
	v_add_u32_e32 v31, v16, v31
	s_waitcnt lgkmcnt(6)
	v_add3_u32 v32, v38, v32, v17
	s_waitcnt lgkmcnt(5)
	v_add3_u32 v18, v43, v39, v18
	;; [unrolled: 2-line block ×7, first 2 shown]
	s_barrier
	ds_write_b8 v31, v20
	ds_write_b8 v32, v21
	;; [unrolled: 1-line block ×8, first 2 shown]
	v_lshlrev_b32_e32 v20, 3, v31
	s_waitcnt lgkmcnt(0)
	s_barrier
	ds_read_b64 v[16:17], v53
	s_waitcnt lgkmcnt(0)
	s_barrier
	ds_write_b64 v20, v[12:13]
	v_lshlrev_b32_e32 v12, 3, v32
	ds_write_b64 v12, v[14:15]
	v_lshlrev_b32_e32 v12, 3, v18
	;; [unrolled: 2-line block ×8, first 2 shown]
	s_waitcnt lgkmcnt(0)
	s_barrier
	ds_read2_b64 v[18:21], v0 offset1:1
	ds_read2_b64 v[22:25], v0 offset0:2 offset1:3
	ds_read2_b64 v[26:29], v0 offset0:4 offset1:5
	;; [unrolled: 1-line block ×3, first 2 shown]
	v_lshrrev_b32_e32 v36, 8, v16
	v_mov_b32_e32 v1, -1
	v_lshrrev_b32_e32 v38, 8, v17
	v_xor_b32_e32 v0, -1, v16
	v_xor_b32_sdwa v2, v36, v1 dst_sel:BYTE_1 dst_unused:UNUSED_PAD src0_sel:DWORD src1_sel:DWORD
	v_xor_b32_sdwa v3, v16, v1 dst_sel:DWORD dst_unused:UNUSED_PAD src0_sel:WORD_1 src1_sel:DWORD
	v_xor_b32_sdwa v4, v16, v1 dst_sel:BYTE_1 dst_unused:UNUSED_PAD src0_sel:BYTE_3 src1_sel:DWORD
	v_xor_b32_e32 v5, -1, v17
	v_xor_b32_sdwa v6, v38, v1 dst_sel:BYTE_1 dst_unused:UNUSED_PAD src0_sel:DWORD src1_sel:DWORD
	v_xor_b32_sdwa v7, v17, v1 dst_sel:DWORD dst_unused:UNUSED_PAD src0_sel:WORD_1 src1_sel:DWORD
	v_xor_b32_sdwa v1, v17, v1 dst_sel:BYTE_1 dst_unused:UNUSED_PAD src0_sel:BYTE_3 src1_sel:DWORD
	v_or_b32_sdwa v0, v0, v2 dst_sel:DWORD dst_unused:UNUSED_PAD src0_sel:BYTE_0 src1_sel:DWORD
	v_or_b32_sdwa v2, v3, v4 dst_sel:WORD_1 dst_unused:UNUSED_PAD src0_sel:BYTE_0 src1_sel:DWORD
	v_or_b32_sdwa v0, v0, v2 dst_sel:DWORD dst_unused:UNUSED_PAD src0_sel:WORD_0 src1_sel:DWORD
	v_or_b32_sdwa v2, v5, v6 dst_sel:DWORD dst_unused:UNUSED_PAD src0_sel:BYTE_0 src1_sel:DWORD
	v_or_b32_sdwa v1, v7, v1 dst_sel:WORD_1 dst_unused:UNUSED_PAD src0_sel:BYTE_0 src1_sel:DWORD
	v_or_b32_sdwa v1, v2, v1 dst_sel:DWORD dst_unused:UNUSED_PAD src0_sel:WORD_0 src1_sel:DWORD
.LBB81_84:
	s_waitcnt lgkmcnt(0)
	s_barrier
	ds_write_b64 v52, v[0:1]
	s_waitcnt lgkmcnt(0)
	s_barrier
	ds_read_u8 v8, v45 offset:256
	ds_read_u8 v7, v46 offset:512
	;; [unrolled: 1-line block ×7, first 2 shown]
	v_mov_b32_e32 v1, s41
	v_add_co_u32_e32 v0, vcc, s40, v37
	v_addc_co_u32_e32 v1, vcc, 0, v1, vcc
	s_and_saveexec_b64 s[16:17], s[0:1]
	s_cbranch_execnz .LBB81_103
; %bb.85:
	s_or_b64 exec, exec, s[16:17]
	s_and_saveexec_b64 s[16:17], s[2:3]
	s_cbranch_execnz .LBB81_104
.LBB81_86:
	s_or_b64 exec, exec, s[16:17]
	s_and_saveexec_b64 s[16:17], s[4:5]
	s_cbranch_execnz .LBB81_105
.LBB81_87:
	s_or_b64 exec, exec, s[16:17]
	s_and_saveexec_b64 s[16:17], s[6:7]
	s_cbranch_execnz .LBB81_106
.LBB81_88:
	s_or_b64 exec, exec, s[16:17]
	s_and_saveexec_b64 s[16:17], s[8:9]
	s_cbranch_execnz .LBB81_107
.LBB81_89:
	s_or_b64 exec, exec, s[16:17]
	s_and_saveexec_b64 s[16:17], s[10:11]
	s_cbranch_execnz .LBB81_108
.LBB81_90:
	s_or_b64 exec, exec, s[16:17]
	s_and_saveexec_b64 s[16:17], s[12:13]
	s_cbranch_execnz .LBB81_109
.LBB81_91:
	s_or_b64 exec, exec, s[16:17]
	s_and_saveexec_b64 s[16:17], s[14:15]
	s_cbranch_execz .LBB81_93
.LBB81_92:
	s_mul_i32 s18, s38, 0x700
	v_add_co_u32_e32 v0, vcc, s18, v0
	v_addc_co_u32_e32 v1, vcc, 0, v1, vcc
	s_waitcnt lgkmcnt(0)
	global_store_byte v[0:1], v2, off
.LBB81_93:
	s_or_b64 exec, exec, s[16:17]
	s_waitcnt lgkmcnt(0)
	s_barrier
	ds_write2_b64 v60, v[18:19], v[20:21] offset1:1
	ds_write2_b64 v60, v[22:23], v[24:25] offset0:2 offset1:3
	ds_write2_b64 v60, v[26:27], v[28:29] offset0:4 offset1:5
	ds_write2_b64 v60, v[30:31], v[32:33] offset0:6 offset1:7
	s_waitcnt lgkmcnt(0)
	s_barrier
	ds_read_b64 v[14:15], v35 offset:2048
	ds_read_b64 v[12:13], v54 offset:4096
	;; [unrolled: 1-line block ×7, first 2 shown]
	v_mov_b32_e32 v35, 0
	v_lshlrev_b64 v[2:3], 3, v[34:35]
	v_mov_b32_e32 v16, s35
	v_add_co_u32_e32 v2, vcc, s33, v2
	v_addc_co_u32_e32 v3, vcc, v16, v3, vcc
	s_and_saveexec_b64 s[16:17], s[0:1]
	s_cbranch_execnz .LBB81_110
; %bb.94:
	s_or_b64 exec, exec, s[16:17]
	s_and_saveexec_b64 s[0:1], s[2:3]
	s_cbranch_execnz .LBB81_111
.LBB81_95:
	s_or_b64 exec, exec, s[0:1]
	s_and_saveexec_b64 s[0:1], s[4:5]
	s_cbranch_execnz .LBB81_112
.LBB81_96:
	s_or_b64 exec, exec, s[0:1]
	s_and_saveexec_b64 s[0:1], s[6:7]
	s_cbranch_execnz .LBB81_113
.LBB81_97:
	s_or_b64 exec, exec, s[0:1]
	s_and_saveexec_b64 s[0:1], s[8:9]
	s_cbranch_execnz .LBB81_114
.LBB81_98:
	s_or_b64 exec, exec, s[0:1]
	s_and_saveexec_b64 s[0:1], s[10:11]
	s_cbranch_execnz .LBB81_115
.LBB81_99:
	s_or_b64 exec, exec, s[0:1]
	s_and_saveexec_b64 s[0:1], s[12:13]
	s_cbranch_execnz .LBB81_116
.LBB81_100:
	s_or_b64 exec, exec, s[0:1]
	s_and_saveexec_b64 s[0:1], s[14:15]
	s_cbranch_execz .LBB81_102
.LBB81_101:
	s_mul_i32 s0, s34, 0x700
	s_mov_b32 s1, 0
	s_lshl_b64 s[0:1], s[0:1], 3
	s_waitcnt lgkmcnt(1)
	v_mov_b32_e32 v4, s1
	v_add_co_u32_e32 v2, vcc, s0, v2
	v_addc_co_u32_e32 v3, vcc, v3, v4, vcc
	s_waitcnt lgkmcnt(0)
	global_store_dwordx2 v[2:3], v[0:1], off
.LBB81_102:
	s_endpgm
.LBB81_103:
	ds_read_u8 v9, v44
	s_waitcnt lgkmcnt(0)
	global_store_byte v[0:1], v9, off
	s_or_b64 exec, exec, s[16:17]
	s_and_saveexec_b64 s[16:17], s[2:3]
	s_cbranch_execz .LBB81_86
.LBB81_104:
	s_lshl_b32 s18, s38, 8
	v_add_co_u32_e32 v10, vcc, s18, v0
	v_addc_co_u32_e32 v11, vcc, 0, v1, vcc
	s_waitcnt lgkmcnt(6)
	global_store_byte v[10:11], v8, off
	s_or_b64 exec, exec, s[16:17]
	s_and_saveexec_b64 s[16:17], s[4:5]
	s_cbranch_execz .LBB81_87
.LBB81_105:
	s_lshl_b32 s18, s38, 9
	s_waitcnt lgkmcnt(6)
	v_add_co_u32_e32 v8, vcc, s18, v0
	v_addc_co_u32_e32 v9, vcc, 0, v1, vcc
	s_waitcnt lgkmcnt(5)
	global_store_byte v[8:9], v7, off
	s_or_b64 exec, exec, s[16:17]
	s_and_saveexec_b64 s[16:17], s[6:7]
	s_cbranch_execz .LBB81_88
.LBB81_106:
	s_mul_i32 s18, s38, 0x300
	s_waitcnt lgkmcnt(6)
	v_add_co_u32_e32 v8, vcc, s18, v0
	v_addc_co_u32_e32 v9, vcc, 0, v1, vcc
	s_waitcnt lgkmcnt(4)
	global_store_byte v[8:9], v6, off
	s_or_b64 exec, exec, s[16:17]
	s_and_saveexec_b64 s[16:17], s[8:9]
	s_cbranch_execz .LBB81_89
.LBB81_107:
	s_lshl_b32 s18, s38, 10
	s_waitcnt lgkmcnt(4)
	v_add_co_u32_e32 v6, vcc, s18, v0
	v_addc_co_u32_e32 v7, vcc, 0, v1, vcc
	s_waitcnt lgkmcnt(3)
	global_store_byte v[6:7], v5, off
	s_or_b64 exec, exec, s[16:17]
	s_and_saveexec_b64 s[16:17], s[10:11]
	s_cbranch_execz .LBB81_90
.LBB81_108:
	s_mul_i32 s18, s38, 0x500
	s_waitcnt lgkmcnt(4)
	v_add_co_u32_e32 v6, vcc, s18, v0
	v_addc_co_u32_e32 v7, vcc, 0, v1, vcc
	s_waitcnt lgkmcnt(2)
	global_store_byte v[6:7], v4, off
	s_or_b64 exec, exec, s[16:17]
	s_and_saveexec_b64 s[16:17], s[12:13]
	s_cbranch_execz .LBB81_91
.LBB81_109:
	s_mul_i32 s18, s38, 0x600
	s_waitcnt lgkmcnt(2)
	v_add_co_u32_e32 v4, vcc, s18, v0
	v_addc_co_u32_e32 v5, vcc, 0, v1, vcc
	s_waitcnt lgkmcnt(1)
	global_store_byte v[4:5], v3, off
	s_or_b64 exec, exec, s[16:17]
	s_and_saveexec_b64 s[16:17], s[14:15]
	s_cbranch_execnz .LBB81_92
	s_branch .LBB81_93
.LBB81_110:
	ds_read_b64 v[16:17], v41
	s_waitcnt lgkmcnt(0)
	global_store_dwordx2 v[2:3], v[16:17], off
	s_or_b64 exec, exec, s[16:17]
	s_and_saveexec_b64 s[0:1], s[2:3]
	s_cbranch_execz .LBB81_95
.LBB81_111:
	s_lshl_b32 s2, s34, 8
	s_mov_b32 s3, 0
	s_lshl_b64 s[2:3], s[2:3], 3
	v_mov_b32_e32 v17, s3
	v_add_co_u32_e32 v16, vcc, s2, v2
	v_addc_co_u32_e32 v17, vcc, v3, v17, vcc
	s_waitcnt lgkmcnt(6)
	global_store_dwordx2 v[16:17], v[14:15], off
	s_or_b64 exec, exec, s[0:1]
	s_and_saveexec_b64 s[0:1], s[4:5]
	s_cbranch_execz .LBB81_96
.LBB81_112:
	s_lshl_b32 s2, s34, 9
	s_mov_b32 s3, 0
	s_lshl_b64 s[2:3], s[2:3], 3
	s_waitcnt lgkmcnt(6)
	v_mov_b32_e32 v15, s3
	v_add_co_u32_e32 v14, vcc, s2, v2
	v_addc_co_u32_e32 v15, vcc, v3, v15, vcc
	s_waitcnt lgkmcnt(5)
	global_store_dwordx2 v[14:15], v[12:13], off
	s_or_b64 exec, exec, s[0:1]
	s_and_saveexec_b64 s[0:1], s[6:7]
	s_cbranch_execz .LBB81_97
.LBB81_113:
	s_mul_i32 s2, s34, 0x300
	s_mov_b32 s3, 0
	s_lshl_b64 s[2:3], s[2:3], 3
	s_waitcnt lgkmcnt(5)
	v_mov_b32_e32 v13, s3
	v_add_co_u32_e32 v12, vcc, s2, v2
	v_addc_co_u32_e32 v13, vcc, v3, v13, vcc
	s_waitcnt lgkmcnt(4)
	global_store_dwordx2 v[12:13], v[10:11], off
	s_or_b64 exec, exec, s[0:1]
	s_and_saveexec_b64 s[0:1], s[8:9]
	s_cbranch_execz .LBB81_98
.LBB81_114:
	s_lshl_b32 s2, s34, 10
	s_mov_b32 s3, 0
	s_lshl_b64 s[2:3], s[2:3], 3
	s_waitcnt lgkmcnt(4)
	v_mov_b32_e32 v11, s3
	v_add_co_u32_e32 v10, vcc, s2, v2
	v_addc_co_u32_e32 v11, vcc, v3, v11, vcc
	s_waitcnt lgkmcnt(3)
	global_store_dwordx2 v[10:11], v[8:9], off
	s_or_b64 exec, exec, s[0:1]
	s_and_saveexec_b64 s[0:1], s[10:11]
	s_cbranch_execz .LBB81_99
.LBB81_115:
	s_mul_i32 s2, s34, 0x500
	s_mov_b32 s3, 0
	s_lshl_b64 s[2:3], s[2:3], 3
	s_waitcnt lgkmcnt(3)
	v_mov_b32_e32 v9, s3
	v_add_co_u32_e32 v8, vcc, s2, v2
	v_addc_co_u32_e32 v9, vcc, v3, v9, vcc
	s_waitcnt lgkmcnt(2)
	global_store_dwordx2 v[8:9], v[6:7], off
	s_or_b64 exec, exec, s[0:1]
	s_and_saveexec_b64 s[0:1], s[12:13]
	s_cbranch_execz .LBB81_100
.LBB81_116:
	s_mul_i32 s2, s34, 0x600
	s_mov_b32 s3, 0
	s_lshl_b64 s[2:3], s[2:3], 3
	s_waitcnt lgkmcnt(2)
	v_mov_b32_e32 v7, s3
	v_add_co_u32_e32 v6, vcc, s2, v2
	v_addc_co_u32_e32 v7, vcc, v3, v7, vcc
	s_waitcnt lgkmcnt(1)
	global_store_dwordx2 v[6:7], v[4:5], off
	s_or_b64 exec, exec, s[0:1]
	s_and_saveexec_b64 s[0:1], s[14:15]
	s_cbranch_execnz .LBB81_101
	s_branch .LBB81_102
	.section	.rodata,"a",@progbits
	.p2align	6, 0x0
	.amdhsa_kernel _ZN2at6native18radixSortKVInPlaceILin2ELin1ELi256ELi8EhljEEvNS_4cuda6detail10TensorInfoIT3_T5_EES6_S6_S6_NS4_IT4_S6_EES6_b
		.amdhsa_group_segment_fixed_size 16896
		.amdhsa_private_segment_fixed_size 0
		.amdhsa_kernarg_size 712
		.amdhsa_user_sgpr_count 6
		.amdhsa_user_sgpr_private_segment_buffer 1
		.amdhsa_user_sgpr_dispatch_ptr 0
		.amdhsa_user_sgpr_queue_ptr 0
		.amdhsa_user_sgpr_kernarg_segment_ptr 1
		.amdhsa_user_sgpr_dispatch_id 0
		.amdhsa_user_sgpr_flat_scratch_init 0
		.amdhsa_user_sgpr_kernarg_preload_length 0
		.amdhsa_user_sgpr_kernarg_preload_offset 0
		.amdhsa_user_sgpr_private_segment_size 0
		.amdhsa_uses_dynamic_stack 0
		.amdhsa_system_sgpr_private_segment_wavefront_offset 0
		.amdhsa_system_sgpr_workgroup_id_x 1
		.amdhsa_system_sgpr_workgroup_id_y 1
		.amdhsa_system_sgpr_workgroup_id_z 1
		.amdhsa_system_sgpr_workgroup_info 0
		.amdhsa_system_vgpr_workitem_id 2
		.amdhsa_next_free_vgpr 105
		.amdhsa_next_free_sgpr 46
		.amdhsa_accum_offset 108
		.amdhsa_reserve_vcc 1
		.amdhsa_reserve_flat_scratch 0
		.amdhsa_float_round_mode_32 0
		.amdhsa_float_round_mode_16_64 0
		.amdhsa_float_denorm_mode_32 3
		.amdhsa_float_denorm_mode_16_64 3
		.amdhsa_dx10_clamp 1
		.amdhsa_ieee_mode 1
		.amdhsa_fp16_overflow 0
		.amdhsa_tg_split 0
		.amdhsa_exception_fp_ieee_invalid_op 0
		.amdhsa_exception_fp_denorm_src 0
		.amdhsa_exception_fp_ieee_div_zero 0
		.amdhsa_exception_fp_ieee_overflow 0
		.amdhsa_exception_fp_ieee_underflow 0
		.amdhsa_exception_fp_ieee_inexact 0
		.amdhsa_exception_int_div_zero 0
	.end_amdhsa_kernel
	.section	.text._ZN2at6native18radixSortKVInPlaceILin2ELin1ELi256ELi8EhljEEvNS_4cuda6detail10TensorInfoIT3_T5_EES6_S6_S6_NS4_IT4_S6_EES6_b,"axG",@progbits,_ZN2at6native18radixSortKVInPlaceILin2ELin1ELi256ELi8EhljEEvNS_4cuda6detail10TensorInfoIT3_T5_EES6_S6_S6_NS4_IT4_S6_EES6_b,comdat
.Lfunc_end81:
	.size	_ZN2at6native18radixSortKVInPlaceILin2ELin1ELi256ELi8EhljEEvNS_4cuda6detail10TensorInfoIT3_T5_EES6_S6_S6_NS4_IT4_S6_EES6_b, .Lfunc_end81-_ZN2at6native18radixSortKVInPlaceILin2ELin1ELi256ELi8EhljEEvNS_4cuda6detail10TensorInfoIT3_T5_EES6_S6_S6_NS4_IT4_S6_EES6_b
                                        ; -- End function
	.section	.AMDGPU.csdata,"",@progbits
; Kernel info:
; codeLenInByte = 11772
; NumSgprs: 50
; NumVgprs: 105
; NumAgprs: 0
; TotalNumVgprs: 105
; ScratchSize: 0
; MemoryBound: 0
; FloatMode: 240
; IeeeMode: 1
; LDSByteSize: 16896 bytes/workgroup (compile time only)
; SGPRBlocks: 6
; VGPRBlocks: 13
; NumSGPRsForWavesPerEU: 50
; NumVGPRsForWavesPerEU: 105
; AccumOffset: 108
; Occupancy: 3
; WaveLimiterHint : 1
; COMPUTE_PGM_RSRC2:SCRATCH_EN: 0
; COMPUTE_PGM_RSRC2:USER_SGPR: 6
; COMPUTE_PGM_RSRC2:TRAP_HANDLER: 0
; COMPUTE_PGM_RSRC2:TGID_X_EN: 1
; COMPUTE_PGM_RSRC2:TGID_Y_EN: 1
; COMPUTE_PGM_RSRC2:TGID_Z_EN: 1
; COMPUTE_PGM_RSRC2:TIDIG_COMP_CNT: 2
; COMPUTE_PGM_RSRC3_GFX90A:ACCUM_OFFSET: 26
; COMPUTE_PGM_RSRC3_GFX90A:TG_SPLIT: 0
	.section	.text._ZN2at6native18radixSortKVInPlaceILin2ELin1ELi128ELi8EhljEEvNS_4cuda6detail10TensorInfoIT3_T5_EES6_S6_S6_NS4_IT4_S6_EES6_b,"axG",@progbits,_ZN2at6native18radixSortKVInPlaceILin2ELin1ELi128ELi8EhljEEvNS_4cuda6detail10TensorInfoIT3_T5_EES6_S6_S6_NS4_IT4_S6_EES6_b,comdat
	.protected	_ZN2at6native18radixSortKVInPlaceILin2ELin1ELi128ELi8EhljEEvNS_4cuda6detail10TensorInfoIT3_T5_EES6_S6_S6_NS4_IT4_S6_EES6_b ; -- Begin function _ZN2at6native18radixSortKVInPlaceILin2ELin1ELi128ELi8EhljEEvNS_4cuda6detail10TensorInfoIT3_T5_EES6_S6_S6_NS4_IT4_S6_EES6_b
	.globl	_ZN2at6native18radixSortKVInPlaceILin2ELin1ELi128ELi8EhljEEvNS_4cuda6detail10TensorInfoIT3_T5_EES6_S6_S6_NS4_IT4_S6_EES6_b
	.p2align	8
	.type	_ZN2at6native18radixSortKVInPlaceILin2ELin1ELi128ELi8EhljEEvNS_4cuda6detail10TensorInfoIT3_T5_EES6_S6_S6_NS4_IT4_S6_EES6_b,@function
_ZN2at6native18radixSortKVInPlaceILin2ELin1ELi128ELi8EhljEEvNS_4cuda6detail10TensorInfoIT3_T5_EES6_S6_S6_NS4_IT4_S6_EES6_b: ; @_ZN2at6native18radixSortKVInPlaceILin2ELin1ELi128ELi8EhljEEvNS_4cuda6detail10TensorInfoIT3_T5_EES6_S6_S6_NS4_IT4_S6_EES6_b
; %bb.0:
	s_load_dwordx2 s[0:1], s[4:5], 0x1c8
	s_load_dwordx4 s[36:39], s[4:5], 0xd8
	s_add_u32 s42, s4, 0x1c8
	s_addc_u32 s43, s5, 0
	s_waitcnt lgkmcnt(0)
	s_mul_i32 s1, s1, s8
	s_add_i32 s1, s1, s7
	s_mul_i32 s0, s1, s0
	s_add_i32 s6, s0, s6
	s_cmp_ge_u32 s6, s36
	s_cbranch_scc1 .LBB82_102
; %bb.1:
	s_load_dword s2, s[4:5], 0x1b8
	s_load_dwordx2 s[0:1], s[4:5], 0x0
	s_add_u32 s14, s4, 0xe8
	s_addc_u32 s15, s5, 0
	s_mov_b32 s17, 0
	s_waitcnt lgkmcnt(0)
	s_cmp_lt_i32 s2, 2
	s_mov_b32 s16, s6
	s_cbranch_scc1 .LBB82_4
; %bb.2:
	s_add_i32 s16, s2, -1
	s_add_i32 s7, s2, 1
	s_lshl_b64 s[2:3], s[16:17], 2
	s_add_u32 s2, s2, s14
	s_addc_u32 s3, s3, s15
	s_add_u32 s2, s2, 8
	s_addc_u32 s3, s3, 0
	s_mov_b32 s16, s6
.LBB82_3:                               ; =>This Inner Loop Header: Depth=1
	s_load_dword s8, s[2:3], 0x0
	s_load_dword s10, s[2:3], 0x64
	s_mov_b32 s9, s16
	s_waitcnt lgkmcnt(0)
	v_cvt_f32_u32_e32 v1, s8
	s_sub_i32 s11, 0, s8
	v_rcp_iflag_f32_e32 v1, v1
	v_mul_f32_e32 v1, 0x4f7ffffe, v1
	v_cvt_u32_f32_e32 v1, v1
	v_readfirstlane_b32 s12, v1
	s_mul_i32 s11, s11, s12
	s_mul_hi_u32 s11, s12, s11
	s_add_i32 s12, s12, s11
	s_mul_hi_u32 s11, s16, s12
	s_mul_i32 s12, s11, s8
	s_sub_i32 s12, s16, s12
	s_add_i32 s13, s11, 1
	s_sub_i32 s16, s12, s8
	s_cmp_ge_u32 s12, s8
	s_cselect_b32 s11, s13, s11
	s_cselect_b32 s12, s16, s12
	s_add_i32 s13, s11, 1
	s_cmp_ge_u32 s12, s8
	s_cselect_b32 s16, s13, s11
	s_mul_i32 s8, s16, s8
	s_sub_i32 s8, s9, s8
	s_mul_i32 s8, s10, s8
	s_add_i32 s7, s7, -1
	s_add_i32 s17, s8, s17
	s_add_u32 s2, s2, -4
	s_addc_u32 s3, s3, -1
	s_cmp_gt_u32 s7, 2
	s_cbranch_scc1 .LBB82_3
.LBB82_4:
	s_load_dword s2, s[4:5], 0x6c
	s_load_dwordx2 s[34:35], s[4:5], 0x1c0
	v_and_b32_e32 v36, 0x3ff, v0
	v_mul_lo_u32 v37, v36, s38
	s_waitcnt lgkmcnt(0)
	s_mul_i32 s4, s2, s6
	s_bitcmp1_b32 s35, 0
	s_cselect_b64 s[2:3], -1, 0
	s_add_u32 s40, s0, s4
	s_addc_u32 s41, s1, 0
	s_xor_b64 s[44:45], s[2:3], -1
	v_cndmask_b32_e64 v1, 0, -1, s[44:45]
	v_lshlrev_b16_e32 v2, 8, v1
	v_or_b32_sdwa v2, v1, v2 dst_sel:DWORD dst_unused:UNUSED_PAD src0_sel:BYTE_0 src1_sel:DWORD
	v_lshlrev_b32_e32 v3, 16, v2
	v_or_b32_sdwa v2, v2, v3 dst_sel:DWORD dst_unused:UNUSED_PAD src0_sel:WORD_0 src1_sel:DWORD
	v_mov_b32_e32 v3, v2
	v_cmp_gt_u32_e64 s[0:1], s37, v36
	s_and_saveexec_b64 s[2:3], s[0:1]
	s_cbranch_execz .LBB82_6
; %bb.5:
	global_load_ubyte v1, v37, s[40:41]
	s_mov_b32 s4, 0x3020104
	v_mov_b32_e32 v5, v2
	s_waitcnt vmcnt(0)
	v_perm_b32 v4, v1, v2, s4
	v_pk_mov_b32 v[2:3], v[4:5], v[4:5] op_sel:[0,1]
.LBB82_6:
	s_or_b64 exec, exec, s[2:3]
	v_add_u32_e32 v32, 0x80, v36
	v_cmp_gt_u32_e64 s[2:3], s37, v32
	s_and_saveexec_b64 s[4:5], s[2:3]
	s_cbranch_execz .LBB82_8
; %bb.7:
	v_mul_lo_u32 v4, v32, s38
	global_load_ubyte v4, v4, s[40:41]
	s_mov_b32 s6, 0x7060004
	s_waitcnt vmcnt(0)
	v_perm_b32 v2, v2, v4, s6
.LBB82_8:
	s_or_b64 exec, exec, s[4:5]
	v_add_u32_e32 v31, 0x100, v36
	v_cmp_gt_u32_e64 s[4:5], s37, v31
	s_and_saveexec_b64 s[6:7], s[4:5]
	s_cbranch_execz .LBB82_10
; %bb.9:
	v_mul_lo_u32 v4, v31, s38
	global_load_ubyte v4, v4, s[40:41]
	s_movk_i32 s8, 0xff00
	v_and_b32_sdwa v5, v2, s8 dst_sel:DWORD dst_unused:UNUSED_PAD src0_sel:WORD_1 src1_sel:DWORD
	s_mov_b32 s8, 0xffff
	s_waitcnt vmcnt(0)
	v_or_b32_sdwa v4, v4, v5 dst_sel:WORD_1 dst_unused:UNUSED_PAD src0_sel:DWORD src1_sel:DWORD
	v_and_or_b32 v2, v2, s8, v4
.LBB82_10:
	s_or_b64 exec, exec, s[6:7]
	v_add_u32_e32 v30, 0x180, v36
	v_cmp_gt_u32_e64 s[6:7], s37, v30
	s_and_saveexec_b64 s[8:9], s[6:7]
	s_cbranch_execz .LBB82_12
; %bb.11:
	v_mul_lo_u32 v4, v30, s38
	global_load_ubyte v4, v4, s[40:41]
	s_movk_i32 s10, 0xff
	v_and_b32_sdwa v5, v2, s10 dst_sel:DWORD dst_unused:UNUSED_PAD src0_sel:WORD_1 src1_sel:DWORD
	s_mov_b32 s10, 0xffff
	s_waitcnt vmcnt(0)
	v_lshlrev_b16_e32 v4, 8, v4
	v_or_b32_sdwa v4, v5, v4 dst_sel:WORD_1 dst_unused:UNUSED_PAD src0_sel:DWORD src1_sel:DWORD
	v_and_or_b32 v2, v2, s10, v4
.LBB82_12:
	s_or_b64 exec, exec, s[8:9]
	v_add_u32_e32 v29, 0x200, v36
	v_cmp_gt_u32_e64 s[8:9], s37, v29
	s_and_saveexec_b64 s[10:11], s[8:9]
	s_cbranch_execz .LBB82_14
; %bb.13:
	v_mul_lo_u32 v4, v29, s38
	global_load_ubyte v4, v4, s[40:41]
	s_mov_b32 s12, 0x3020104
	s_waitcnt vmcnt(0)
	v_perm_b32 v3, v4, v3, s12
.LBB82_14:
	s_or_b64 exec, exec, s[10:11]
	v_add_u32_e32 v28, 0x280, v36
	v_cmp_gt_u32_e64 s[10:11], s37, v28
	s_and_saveexec_b64 s[12:13], s[10:11]
	s_cbranch_execz .LBB82_16
; %bb.15:
	v_mul_lo_u32 v4, v28, s38
	global_load_ubyte v4, v4, s[40:41]
	s_mov_b32 s18, 0x7060004
	s_waitcnt vmcnt(0)
	v_perm_b32 v3, v3, v4, s18
.LBB82_16:
	s_or_b64 exec, exec, s[12:13]
	s_load_dwordx2 s[18:19], s[14:15], 0x0
	v_add_u32_e32 v27, 0x300, v36
	v_cmp_gt_u32_e64 s[12:13], s37, v27
	s_and_saveexec_b64 s[20:21], s[12:13]
	s_cbranch_execz .LBB82_18
; %bb.17:
	v_mul_lo_u32 v4, v27, s38
	global_load_ubyte v4, v4, s[40:41]
	s_mov_b32 s22, 0x7000504
	s_waitcnt vmcnt(0)
	v_perm_b32 v3, v3, v4, s22
.LBB82_18:
	s_or_b64 exec, exec, s[20:21]
	s_load_dword s22, s[14:15], 0x6c
	v_add_u32_e32 v22, 0x380, v36
	v_cmp_gt_u32_e64 s[14:15], s37, v22
	s_and_saveexec_b64 s[20:21], s[14:15]
	s_cbranch_execz .LBB82_20
; %bb.19:
	v_mul_lo_u32 v4, v22, s38
	global_load_ubyte v4, v4, s[40:41]
	s_mov_b32 s23, 0x60504
	s_waitcnt vmcnt(0)
	v_perm_b32 v3, v3, v4, s23
.LBB82_20:
	s_or_b64 exec, exec, s[20:21]
	v_lshrrev_b32_e32 v26, 5, v36
	v_and_b32_e32 v4, 28, v26
	v_add_u32_e32 v44, v4, v36
	v_lshrrev_b32_e32 v25, 5, v32
	ds_write_b8 v44, v1
	v_and_b32_e32 v1, 60, v25
	v_lshrrev_b32_e32 v24, 5, v31
	v_add_u32_e32 v45, v1, v36
	v_and_b32_e32 v1, 60, v24
	v_lshrrev_b32_e32 v23, 5, v30
	v_add_u32_e32 v46, v1, v36
	;; [unrolled: 3-line block ×3, first 2 shown]
	v_and_b32_e32 v1, 60, v21
	v_lshrrev_b32_e32 v19, 5, v28
	v_lshrrev_b32_e32 v4, 8, v2
	v_add_u32_e32 v48, v1, v36
	v_and_b32_e32 v1, 60, v19
	v_lshrrev_b32_e32 v18, 5, v27
	ds_write_b8 v45, v4 offset:128
	ds_write_b8_d16_hi v46, v2 offset:256
	v_lshrrev_b32_e32 v2, 24, v2
	v_add_u32_e32 v49, v1, v36
	v_and_b32_e32 v1, 60, v18
	ds_write_b8 v47, v2 offset:384
	v_lshrrev_b32_e32 v2, 8, v3
	v_add_u32_e32 v50, v1, v36
	v_lshrrev_b32_e32 v1, 5, v22
	ds_write_b8 v48, v3 offset:512
	ds_write_b8 v49, v2 offset:640
	v_and_b32_e32 v2, 60, v1
	v_lshrrev_b32_e32 v20, 2, v36
	v_add_u32_e32 v51, v2, v36
	v_lshlrev_b32_e32 v53, 3, v36
	v_and_b32_e32 v2, 0xfc, v20
	s_waitcnt lgkmcnt(0)
	s_mul_i32 s16, s22, s16
	ds_write_b8_d16_hi v50, v3 offset:768
	v_lshrrev_b32_e32 v3, 24, v3
	v_add_u32_e32 v52, v2, v53
	s_add_i32 s16, s16, s17
	s_mov_b32 s17, 0
	ds_write_b8 v51, v3 offset:896
	s_waitcnt lgkmcnt(0)
	s_barrier
	ds_read_b64 v[38:39], v52
	s_lshl_b64 s[20:21], s[16:17], 3
	s_add_u32 s33, s18, s20
	s_mov_b32 s16, s17
	s_addc_u32 s35, s19, s21
	s_mov_b32 s18, s17
	s_mov_b32 s19, s17
	;; [unrolled: 1-line block ×14, first 2 shown]
	v_pk_mov_b32 v[2:3], s[16:17], s[16:17] op_sel:[0,1]
	v_pk_mov_b32 v[4:5], s[18:19], s[18:19] op_sel:[0,1]
	;; [unrolled: 1-line block ×8, first 2 shown]
	v_pk_mov_b32 v[2:3], 0, 0
	v_mul_lo_u32 v34, v36, s34
	s_waitcnt lgkmcnt(0)
	s_barrier
	s_and_saveexec_b64 s[16:17], s[0:1]
	s_cbranch_execnz .LBB82_53
; %bb.21:
	s_or_b64 exec, exec, s[16:17]
	s_and_saveexec_b64 s[16:17], s[2:3]
	s_cbranch_execnz .LBB82_54
.LBB82_22:
	s_or_b64 exec, exec, s[16:17]
	s_and_saveexec_b64 s[16:17], s[4:5]
	s_cbranch_execnz .LBB82_55
.LBB82_23:
	s_or_b64 exec, exec, s[16:17]
	s_and_saveexec_b64 s[16:17], s[6:7]
	s_cbranch_execnz .LBB82_56
.LBB82_24:
	s_or_b64 exec, exec, s[16:17]
	s_and_saveexec_b64 s[16:17], s[8:9]
	s_cbranch_execnz .LBB82_57
.LBB82_25:
	s_or_b64 exec, exec, s[16:17]
	s_and_saveexec_b64 s[16:17], s[10:11]
	s_cbranch_execnz .LBB82_58
.LBB82_26:
	s_or_b64 exec, exec, s[16:17]
	s_and_saveexec_b64 s[16:17], s[12:13]
	s_cbranch_execnz .LBB82_59
.LBB82_27:
	s_or_b64 exec, exec, s[16:17]
	s_and_saveexec_b64 s[16:17], s[14:15]
	s_cbranch_execz .LBB82_29
.LBB82_28:
	v_mul_lo_u32 v16, v22, s34
	v_mov_b32_e32 v17, 0
	v_lshlrev_b64 v[16:17], 3, v[16:17]
	v_mov_b32_e32 v22, s35
	v_add_co_u32_e32 v16, vcc, s33, v16
	v_addc_co_u32_e32 v17, vcc, v22, v17, vcc
	global_load_dwordx2 v[16:17], v[16:17], off
.LBB82_29:
	s_or_b64 exec, exec, s[16:17]
	v_lshrrev_b64 v[40:41], 24, v[38:39]
	v_add_lshl_u32 v41, v26, v36, 3
	v_add_lshl_u32 v35, v25, v36, 3
	;; [unrolled: 1-line block ×9, first 2 shown]
	s_waitcnt vmcnt(0)
	ds_write_b64 v41, v[2:3]
	ds_write_b64 v35, v[4:5] offset:1024
	ds_write_b64 v54, v[6:7] offset:2048
	;; [unrolled: 1-line block ×7, first 2 shown]
	s_waitcnt lgkmcnt(0)
	s_barrier
	ds_read2_b64 v[14:17], v60 offset1:1
	ds_read2_b64 v[10:13], v60 offset0:2 offset1:3
	ds_read2_b64 v[6:9], v60 offset0:4 offset1:5
	;; [unrolled: 1-line block ×3, first 2 shown]
	v_lshrrev_b32_e32 v64, 8, v38
	v_lshrrev_b32_e32 v65, 8, v39
	s_and_b64 vcc, exec, s[44:45]
	v_bfe_u32 v62, v0, 10, 10
	v_bfe_u32 v63, v0, 20, 10
	v_mbcnt_lo_u32_b32 v66, -1, 0
	v_lshlrev_b32_e32 v61, 4, v36
	s_waitcnt lgkmcnt(0)
	s_barrier
	s_cbranch_vccz .LBB82_60
; %bb.30:
	s_movk_i32 s16, 0xff
	v_mov_b32_e32 v1, 8
	v_lshlrev_b16_e32 v0, 8, v65
	v_lshlrev_b16_sdwa v1, v1, v39 dst_sel:DWORD dst_unused:UNUSED_PAD src0_sel:DWORD src1_sel:BYTE_3
	v_and_b32_sdwa v20, v39, s16 dst_sel:DWORD dst_unused:UNUSED_PAD src0_sel:WORD_1 src1_sel:DWORD
	v_or_b32_sdwa v0, v39, v0 dst_sel:DWORD dst_unused:UNUSED_PAD src0_sel:BYTE_0 src1_sel:DWORD
	v_or_b32_sdwa v1, v20, v1 dst_sel:WORD_1 dst_unused:UNUSED_PAD src0_sel:DWORD src1_sel:DWORD
	v_mbcnt_hi_u32_b32 v75, -1, v66
	v_and_b32_e32 v76, 0x3c0, v36
	v_or_b32_sdwa v1, v0, v1 dst_sel:DWORD dst_unused:UNUSED_PAD src0_sel:WORD_0 src1_sel:DWORD
	v_lshlrev_b16_e32 v0, 8, v64
	v_lshlrev_b16_e32 v20, 8, v40
	v_and_b32_sdwa v21, v38, s16 dst_sel:DWORD dst_unused:UNUSED_PAD src0_sel:WORD_1 src1_sel:DWORD
	v_add_u32_e32 v18, v75, v76
	v_or_b32_sdwa v0, v38, v0 dst_sel:DWORD dst_unused:UNUSED_PAD src0_sel:BYTE_0 src1_sel:DWORD
	v_or_b32_sdwa v20, v21, v20 dst_sel:WORD_1 dst_unused:UNUSED_PAD src0_sel:DWORD src1_sel:DWORD
	v_lshlrev_b32_e32 v19, 3, v18
	v_or_b32_sdwa v0, v0, v20 dst_sel:DWORD dst_unused:UNUSED_PAD src0_sel:WORD_0 src1_sel:DWORD
	s_movk_i32 s16, 0x1e00
	ds_write_b64 v19, v[0:1]
	v_and_or_b32 v0, v53, s16, v75
	; wave barrier
	ds_read_u8 v67, v0
	ds_read_u8 v68, v0 offset:64
	ds_read_u8 v69, v0 offset:128
	;; [unrolled: 1-line block ×7, first 2 shown]
	v_lshlrev_b32_e32 v1, 6, v18
	v_lshlrev_b32_e32 v0, 3, v0
	s_getpc_b64 s[16:17]
	s_add_u32 s16, s16, _ZN7rocprim17ROCPRIM_400000_NS16block_radix_sortIhLj128ELj8ElLj1ELj1ELj0ELNS0_26block_radix_rank_algorithmE1ELNS0_18block_padding_hintE2ELNS0_4arch9wavefront6targetE1EE19radix_bits_per_passE@rel32@lo+4
	s_addc_u32 s17, s17, _ZN7rocprim17ROCPRIM_400000_NS16block_radix_sortIhLj128ELj8ElLj1ELj1ELj0ELNS0_26block_radix_rank_algorithmE1ELNS0_18block_padding_hintE2ELNS0_4arch9wavefront6targetE1EE19radix_bits_per_passE@rel32@hi+12
	s_waitcnt lgkmcnt(0)
	s_barrier
	ds_write2_b64 v1, v[14:15], v[16:17] offset1:1
	ds_write2_b64 v1, v[10:11], v[12:13] offset0:2 offset1:3
	ds_write2_b64 v1, v[6:7], v[8:9] offset0:4 offset1:5
	;; [unrolled: 1-line block ×3, first 2 shown]
	; wave barrier
	ds_read2st64_b64 v[30:33], v0 offset1:1
	ds_read2st64_b64 v[26:29], v0 offset0:2 offset1:3
	ds_read2st64_b64 v[22:25], v0 offset0:4 offset1:5
	;; [unrolled: 1-line block ×3, first 2 shown]
	s_waitcnt lgkmcnt(0)
	s_barrier
	s_load_dword s18, s[16:17], 0x0
	s_load_dword s19, s[42:43], 0xc
	v_mov_b32_e32 v79, 1
	v_mov_b32_e32 v0, 0
	ds_write2_b32 v61, v0, v0 offset0:2 offset1:3
	ds_write2_b32 v61, v0, v0 offset0:4 offset1:5
	s_waitcnt lgkmcnt(0)
	s_min_u32 s18, s18, 8
	s_lshr_b32 s16, s19, 16
	s_and_b32 s17, s19, 0xffff
	v_mad_u32_u24 v1, v63, s16, v62
	v_mad_u64_u32 v[42:43], s[16:17], v1, s17, v[36:37]
	s_lshl_b32 s16, -1, s18
	s_not_b32 s18, s16
	v_lshrrev_b32_e32 v82, 6, v42
	v_and_b32_e32 v42, s18, v67
	v_lshlrev_b32_sdwa v1, v79, v42 dst_sel:DWORD dst_unused:UNUSED_PAD src0_sel:DWORD src1_sel:BYTE_0
	v_add_lshl_u32 v77, v82, v1, 2
	v_and_b32_e32 v1, 1, v42
	v_add_co_u32_e32 v43, vcc, -1, v1
	v_addc_co_u32_e64 v78, s[16:17], 0, -1, vcc
	v_cmp_ne_u32_e32 vcc, 0, v1
	v_xor_b32_e32 v1, vcc_hi, v78
	v_and_b32_e32 v78, exec_hi, v1
	v_lshlrev_b32_e32 v1, 30, v42
	v_xor_b32_e32 v43, vcc_lo, v43
	v_cmp_gt_i64_e32 vcc, 0, v[0:1]
	v_not_b32_e32 v1, v1
	v_ashrrev_i32_e32 v1, 31, v1
	v_and_b32_e32 v43, exec_lo, v43
	v_xor_b32_e32 v80, vcc_hi, v1
	v_xor_b32_e32 v1, vcc_lo, v1
	v_and_b32_e32 v43, v43, v1
	v_lshlrev_b32_e32 v1, 29, v42
	v_cmp_gt_i64_e32 vcc, 0, v[0:1]
	v_not_b32_e32 v1, v1
	v_ashrrev_i32_e32 v1, 31, v1
	v_and_b32_e32 v78, v78, v80
	v_xor_b32_e32 v80, vcc_hi, v1
	v_xor_b32_e32 v1, vcc_lo, v1
	v_and_b32_e32 v43, v43, v1
	v_lshlrev_b32_e32 v1, 28, v42
	v_cmp_gt_i64_e32 vcc, 0, v[0:1]
	v_not_b32_e32 v1, v1
	v_ashrrev_i32_e32 v1, 31, v1
	v_and_b32_e32 v78, v78, v80
	;; [unrolled: 8-line block ×5, first 2 shown]
	v_xor_b32_e32 v80, vcc_hi, v1
	v_xor_b32_e32 v1, vcc_lo, v1
	v_and_b32_e32 v78, v78, v80
	v_and_b32_e32 v80, v43, v1
	v_lshlrev_b32_e32 v1, 24, v42
	v_cmp_gt_i64_e32 vcc, 0, v[0:1]
	v_not_b32_e32 v1, v1
	v_ashrrev_i32_e32 v1, 31, v1
	v_xor_b32_e32 v42, vcc_hi, v1
	v_xor_b32_e32 v1, vcc_lo, v1
	v_and_b32_e32 v43, v78, v42
	v_and_b32_e32 v42, v80, v1
	v_mbcnt_lo_u32_b32 v1, v42, 0
	v_mbcnt_hi_u32_b32 v78, v43, v1
	v_cmp_eq_u32_e32 vcc, 0, v78
	v_cmp_ne_u64_e64 s[16:17], 0, v[42:43]
	s_and_b64 s[20:21], s[16:17], vcc
	s_barrier
	s_waitcnt lgkmcnt(0)
	; wave barrier
	s_and_saveexec_b64 s[16:17], s[20:21]
	s_cbranch_execz .LBB82_32
; %bb.31:
	v_bcnt_u32_b32 v1, v42, 0
	v_bcnt_u32_b32 v1, v43, v1
	ds_write_b32 v77, v1 offset:8
.LBB82_32:
	s_or_b64 exec, exec, s[16:17]
	v_and_b32_e32 v42, s18, v68
	v_lshlrev_b32_sdwa v1, v79, v42 dst_sel:DWORD dst_unused:UNUSED_PAD src0_sel:DWORD src1_sel:BYTE_0
	v_add_lshl_u32 v80, v82, v1, 2
	v_and_b32_e32 v1, 1, v42
	v_add_co_u32_e32 v43, vcc, -1, v1
	v_addc_co_u32_e64 v81, s[16:17], 0, -1, vcc
	v_cmp_ne_u32_e32 vcc, 0, v1
	v_xor_b32_e32 v1, vcc_hi, v81
	v_and_b32_e32 v81, exec_hi, v1
	v_lshlrev_b32_e32 v1, 30, v42
	v_xor_b32_e32 v43, vcc_lo, v43
	v_cmp_gt_i64_e32 vcc, 0, v[0:1]
	v_not_b32_e32 v1, v1
	v_ashrrev_i32_e32 v1, 31, v1
	v_and_b32_e32 v43, exec_lo, v43
	v_xor_b32_e32 v83, vcc_hi, v1
	v_xor_b32_e32 v1, vcc_lo, v1
	v_and_b32_e32 v43, v43, v1
	v_lshlrev_b32_e32 v1, 29, v42
	v_cmp_gt_i64_e32 vcc, 0, v[0:1]
	v_not_b32_e32 v1, v1
	v_ashrrev_i32_e32 v1, 31, v1
	v_and_b32_e32 v81, v81, v83
	v_xor_b32_e32 v83, vcc_hi, v1
	v_xor_b32_e32 v1, vcc_lo, v1
	v_and_b32_e32 v43, v43, v1
	v_lshlrev_b32_e32 v1, 28, v42
	v_cmp_gt_i64_e32 vcc, 0, v[0:1]
	v_not_b32_e32 v1, v1
	v_ashrrev_i32_e32 v1, 31, v1
	v_and_b32_e32 v81, v81, v83
	;; [unrolled: 8-line block ×5, first 2 shown]
	v_xor_b32_e32 v83, vcc_hi, v1
	v_xor_b32_e32 v1, vcc_lo, v1
	v_and_b32_e32 v43, v43, v1
	v_lshlrev_b32_e32 v1, 24, v42
	v_cmp_gt_i64_e32 vcc, 0, v[0:1]
	v_not_b32_e32 v0, v1
	v_ashrrev_i32_e32 v0, 31, v0
	v_xor_b32_e32 v1, vcc_hi, v0
	v_xor_b32_e32 v0, vcc_lo, v0
	; wave barrier
	ds_read_b32 v79, v80 offset:8
	v_and_b32_e32 v81, v81, v83
	v_and_b32_e32 v0, v43, v0
	;; [unrolled: 1-line block ×3, first 2 shown]
	v_mbcnt_lo_u32_b32 v42, v0, 0
	v_mbcnt_hi_u32_b32 v81, v1, v42
	v_cmp_eq_u32_e32 vcc, 0, v81
	v_cmp_ne_u64_e64 s[16:17], 0, v[0:1]
	s_and_b64 s[20:21], s[16:17], vcc
	; wave barrier
	s_and_saveexec_b64 s[16:17], s[20:21]
	s_cbranch_execz .LBB82_34
; %bb.33:
	v_bcnt_u32_b32 v0, v0, 0
	v_bcnt_u32_b32 v0, v1, v0
	s_waitcnt lgkmcnt(0)
	v_add_u32_e32 v0, v79, v0
	ds_write_b32 v80, v0 offset:8
.LBB82_34:
	s_or_b64 exec, exec, s[16:17]
	v_and_b32_e32 v42, s18, v69
	v_and_b32_e32 v1, 1, v42
	v_add_co_u32_e32 v43, vcc, -1, v1
	v_mov_b32_e32 v86, 1
	v_addc_co_u32_e64 v85, s[16:17], 0, -1, vcc
	v_cmp_ne_u32_e32 vcc, 0, v1
	v_lshlrev_b32_sdwa v0, v86, v42 dst_sel:DWORD dst_unused:UNUSED_PAD src0_sel:DWORD src1_sel:BYTE_0
	v_xor_b32_e32 v1, vcc_hi, v85
	v_add_lshl_u32 v84, v82, v0, 2
	v_mov_b32_e32 v0, 0
	v_and_b32_e32 v85, exec_hi, v1
	v_lshlrev_b32_e32 v1, 30, v42
	v_xor_b32_e32 v43, vcc_lo, v43
	v_cmp_gt_i64_e32 vcc, 0, v[0:1]
	v_not_b32_e32 v1, v1
	v_ashrrev_i32_e32 v1, 31, v1
	v_and_b32_e32 v43, exec_lo, v43
	v_xor_b32_e32 v87, vcc_hi, v1
	v_xor_b32_e32 v1, vcc_lo, v1
	v_and_b32_e32 v43, v43, v1
	v_lshlrev_b32_e32 v1, 29, v42
	v_cmp_gt_i64_e32 vcc, 0, v[0:1]
	v_not_b32_e32 v1, v1
	v_ashrrev_i32_e32 v1, 31, v1
	v_and_b32_e32 v85, v85, v87
	v_xor_b32_e32 v87, vcc_hi, v1
	v_xor_b32_e32 v1, vcc_lo, v1
	v_and_b32_e32 v43, v43, v1
	v_lshlrev_b32_e32 v1, 28, v42
	v_cmp_gt_i64_e32 vcc, 0, v[0:1]
	v_not_b32_e32 v1, v1
	v_ashrrev_i32_e32 v1, 31, v1
	v_and_b32_e32 v85, v85, v87
	;; [unrolled: 8-line block ×5, first 2 shown]
	v_xor_b32_e32 v87, vcc_hi, v1
	v_xor_b32_e32 v1, vcc_lo, v1
	v_and_b32_e32 v85, v85, v87
	v_and_b32_e32 v87, v43, v1
	v_lshlrev_b32_e32 v1, 24, v42
	v_cmp_gt_i64_e32 vcc, 0, v[0:1]
	v_not_b32_e32 v1, v1
	v_ashrrev_i32_e32 v1, 31, v1
	v_xor_b32_e32 v42, vcc_hi, v1
	v_xor_b32_e32 v1, vcc_lo, v1
	; wave barrier
	ds_read_b32 v83, v84 offset:8
	v_and_b32_e32 v43, v85, v42
	v_and_b32_e32 v42, v87, v1
	v_mbcnt_lo_u32_b32 v1, v42, 0
	v_mbcnt_hi_u32_b32 v85, v43, v1
	v_cmp_eq_u32_e32 vcc, 0, v85
	v_cmp_ne_u64_e64 s[16:17], 0, v[42:43]
	s_and_b64 s[20:21], s[16:17], vcc
	; wave barrier
	s_and_saveexec_b64 s[16:17], s[20:21]
	s_cbranch_execz .LBB82_36
; %bb.35:
	v_bcnt_u32_b32 v1, v42, 0
	v_bcnt_u32_b32 v1, v43, v1
	s_waitcnt lgkmcnt(0)
	v_add_u32_e32 v1, v83, v1
	ds_write_b32 v84, v1 offset:8
.LBB82_36:
	s_or_b64 exec, exec, s[16:17]
	v_and_b32_e32 v42, s18, v70
	v_lshlrev_b32_sdwa v1, v86, v42 dst_sel:DWORD dst_unused:UNUSED_PAD src0_sel:DWORD src1_sel:BYTE_0
	v_add_lshl_u32 v87, v82, v1, 2
	v_and_b32_e32 v1, 1, v42
	v_add_co_u32_e32 v43, vcc, -1, v1
	v_addc_co_u32_e64 v88, s[16:17], 0, -1, vcc
	v_cmp_ne_u32_e32 vcc, 0, v1
	v_xor_b32_e32 v1, vcc_hi, v88
	v_and_b32_e32 v88, exec_hi, v1
	v_lshlrev_b32_e32 v1, 30, v42
	v_xor_b32_e32 v43, vcc_lo, v43
	v_cmp_gt_i64_e32 vcc, 0, v[0:1]
	v_not_b32_e32 v1, v1
	v_ashrrev_i32_e32 v1, 31, v1
	v_and_b32_e32 v43, exec_lo, v43
	v_xor_b32_e32 v89, vcc_hi, v1
	v_xor_b32_e32 v1, vcc_lo, v1
	v_and_b32_e32 v43, v43, v1
	v_lshlrev_b32_e32 v1, 29, v42
	v_cmp_gt_i64_e32 vcc, 0, v[0:1]
	v_not_b32_e32 v1, v1
	v_ashrrev_i32_e32 v1, 31, v1
	v_and_b32_e32 v88, v88, v89
	v_xor_b32_e32 v89, vcc_hi, v1
	v_xor_b32_e32 v1, vcc_lo, v1
	v_and_b32_e32 v43, v43, v1
	v_lshlrev_b32_e32 v1, 28, v42
	v_cmp_gt_i64_e32 vcc, 0, v[0:1]
	v_not_b32_e32 v1, v1
	v_ashrrev_i32_e32 v1, 31, v1
	v_and_b32_e32 v88, v88, v89
	;; [unrolled: 8-line block ×5, first 2 shown]
	v_xor_b32_e32 v89, vcc_hi, v1
	v_xor_b32_e32 v1, vcc_lo, v1
	v_and_b32_e32 v43, v43, v1
	v_lshlrev_b32_e32 v1, 24, v42
	v_cmp_gt_i64_e32 vcc, 0, v[0:1]
	v_not_b32_e32 v0, v1
	v_ashrrev_i32_e32 v0, 31, v0
	v_xor_b32_e32 v1, vcc_hi, v0
	v_xor_b32_e32 v0, vcc_lo, v0
	; wave barrier
	ds_read_b32 v86, v87 offset:8
	v_and_b32_e32 v88, v88, v89
	v_and_b32_e32 v0, v43, v0
	;; [unrolled: 1-line block ×3, first 2 shown]
	v_mbcnt_lo_u32_b32 v42, v0, 0
	v_mbcnt_hi_u32_b32 v88, v1, v42
	v_cmp_eq_u32_e32 vcc, 0, v88
	v_cmp_ne_u64_e64 s[16:17], 0, v[0:1]
	s_and_b64 s[20:21], s[16:17], vcc
	; wave barrier
	s_and_saveexec_b64 s[16:17], s[20:21]
	s_cbranch_execz .LBB82_38
; %bb.37:
	v_bcnt_u32_b32 v0, v0, 0
	v_bcnt_u32_b32 v0, v1, v0
	s_waitcnt lgkmcnt(0)
	v_add_u32_e32 v0, v86, v0
	ds_write_b32 v87, v0 offset:8
.LBB82_38:
	s_or_b64 exec, exec, s[16:17]
	v_and_b32_e32 v42, s18, v71
	v_and_b32_e32 v1, 1, v42
	v_add_co_u32_e32 v43, vcc, -1, v1
	v_mov_b32_e32 v92, 1
	v_addc_co_u32_e64 v91, s[16:17], 0, -1, vcc
	v_cmp_ne_u32_e32 vcc, 0, v1
	v_lshlrev_b32_sdwa v0, v92, v42 dst_sel:DWORD dst_unused:UNUSED_PAD src0_sel:DWORD src1_sel:BYTE_0
	v_xor_b32_e32 v1, vcc_hi, v91
	v_add_lshl_u32 v90, v82, v0, 2
	v_mov_b32_e32 v0, 0
	v_and_b32_e32 v91, exec_hi, v1
	v_lshlrev_b32_e32 v1, 30, v42
	v_xor_b32_e32 v43, vcc_lo, v43
	v_cmp_gt_i64_e32 vcc, 0, v[0:1]
	v_not_b32_e32 v1, v1
	v_ashrrev_i32_e32 v1, 31, v1
	v_and_b32_e32 v43, exec_lo, v43
	v_xor_b32_e32 v93, vcc_hi, v1
	v_xor_b32_e32 v1, vcc_lo, v1
	v_and_b32_e32 v43, v43, v1
	v_lshlrev_b32_e32 v1, 29, v42
	v_cmp_gt_i64_e32 vcc, 0, v[0:1]
	v_not_b32_e32 v1, v1
	v_ashrrev_i32_e32 v1, 31, v1
	v_and_b32_e32 v91, v91, v93
	v_xor_b32_e32 v93, vcc_hi, v1
	v_xor_b32_e32 v1, vcc_lo, v1
	v_and_b32_e32 v43, v43, v1
	v_lshlrev_b32_e32 v1, 28, v42
	v_cmp_gt_i64_e32 vcc, 0, v[0:1]
	v_not_b32_e32 v1, v1
	v_ashrrev_i32_e32 v1, 31, v1
	v_and_b32_e32 v91, v91, v93
	;; [unrolled: 8-line block ×5, first 2 shown]
	v_xor_b32_e32 v93, vcc_hi, v1
	v_xor_b32_e32 v1, vcc_lo, v1
	v_and_b32_e32 v91, v91, v93
	v_and_b32_e32 v93, v43, v1
	v_lshlrev_b32_e32 v1, 24, v42
	v_cmp_gt_i64_e32 vcc, 0, v[0:1]
	v_not_b32_e32 v1, v1
	v_ashrrev_i32_e32 v1, 31, v1
	v_xor_b32_e32 v42, vcc_hi, v1
	v_xor_b32_e32 v1, vcc_lo, v1
	; wave barrier
	ds_read_b32 v89, v90 offset:8
	v_and_b32_e32 v43, v91, v42
	v_and_b32_e32 v42, v93, v1
	v_mbcnt_lo_u32_b32 v1, v42, 0
	v_mbcnt_hi_u32_b32 v91, v43, v1
	v_cmp_eq_u32_e32 vcc, 0, v91
	v_cmp_ne_u64_e64 s[16:17], 0, v[42:43]
	s_and_b64 s[20:21], s[16:17], vcc
	; wave barrier
	s_and_saveexec_b64 s[16:17], s[20:21]
	s_cbranch_execz .LBB82_40
; %bb.39:
	v_bcnt_u32_b32 v1, v42, 0
	v_bcnt_u32_b32 v1, v43, v1
	s_waitcnt lgkmcnt(0)
	v_add_u32_e32 v1, v89, v1
	ds_write_b32 v90, v1 offset:8
.LBB82_40:
	s_or_b64 exec, exec, s[16:17]
	v_and_b32_e32 v42, s18, v72
	v_lshlrev_b32_sdwa v1, v92, v42 dst_sel:DWORD dst_unused:UNUSED_PAD src0_sel:DWORD src1_sel:BYTE_0
	v_add_lshl_u32 v93, v82, v1, 2
	v_and_b32_e32 v1, 1, v42
	v_add_co_u32_e32 v43, vcc, -1, v1
	v_addc_co_u32_e64 v94, s[16:17], 0, -1, vcc
	v_cmp_ne_u32_e32 vcc, 0, v1
	v_xor_b32_e32 v1, vcc_hi, v94
	v_and_b32_e32 v94, exec_hi, v1
	v_lshlrev_b32_e32 v1, 30, v42
	v_xor_b32_e32 v43, vcc_lo, v43
	v_cmp_gt_i64_e32 vcc, 0, v[0:1]
	v_not_b32_e32 v1, v1
	v_ashrrev_i32_e32 v1, 31, v1
	v_and_b32_e32 v43, exec_lo, v43
	v_xor_b32_e32 v95, vcc_hi, v1
	v_xor_b32_e32 v1, vcc_lo, v1
	v_and_b32_e32 v43, v43, v1
	v_lshlrev_b32_e32 v1, 29, v42
	v_cmp_gt_i64_e32 vcc, 0, v[0:1]
	v_not_b32_e32 v1, v1
	v_ashrrev_i32_e32 v1, 31, v1
	v_and_b32_e32 v94, v94, v95
	v_xor_b32_e32 v95, vcc_hi, v1
	v_xor_b32_e32 v1, vcc_lo, v1
	v_and_b32_e32 v43, v43, v1
	v_lshlrev_b32_e32 v1, 28, v42
	v_cmp_gt_i64_e32 vcc, 0, v[0:1]
	v_not_b32_e32 v1, v1
	v_ashrrev_i32_e32 v1, 31, v1
	v_and_b32_e32 v94, v94, v95
	;; [unrolled: 8-line block ×5, first 2 shown]
	v_xor_b32_e32 v95, vcc_hi, v1
	v_xor_b32_e32 v1, vcc_lo, v1
	v_and_b32_e32 v43, v43, v1
	v_lshlrev_b32_e32 v1, 24, v42
	v_cmp_gt_i64_e32 vcc, 0, v[0:1]
	v_not_b32_e32 v0, v1
	v_ashrrev_i32_e32 v0, 31, v0
	v_xor_b32_e32 v1, vcc_hi, v0
	v_xor_b32_e32 v0, vcc_lo, v0
	; wave barrier
	ds_read_b32 v92, v93 offset:8
	v_and_b32_e32 v94, v94, v95
	v_and_b32_e32 v0, v43, v0
	;; [unrolled: 1-line block ×3, first 2 shown]
	v_mbcnt_lo_u32_b32 v42, v0, 0
	v_mbcnt_hi_u32_b32 v94, v1, v42
	v_cmp_eq_u32_e32 vcc, 0, v94
	v_cmp_ne_u64_e64 s[16:17], 0, v[0:1]
	s_and_b64 s[20:21], s[16:17], vcc
	; wave barrier
	s_and_saveexec_b64 s[16:17], s[20:21]
	s_cbranch_execz .LBB82_42
; %bb.41:
	v_bcnt_u32_b32 v0, v0, 0
	v_bcnt_u32_b32 v0, v1, v0
	s_waitcnt lgkmcnt(0)
	v_add_u32_e32 v0, v92, v0
	ds_write_b32 v93, v0 offset:8
.LBB82_42:
	s_or_b64 exec, exec, s[16:17]
	v_and_b32_e32 v42, s18, v73
	v_and_b32_e32 v1, 1, v42
	v_add_co_u32_e32 v43, vcc, -1, v1
	v_mov_b32_e32 v98, 1
	v_addc_co_u32_e64 v97, s[16:17], 0, -1, vcc
	v_cmp_ne_u32_e32 vcc, 0, v1
	v_lshlrev_b32_sdwa v0, v98, v42 dst_sel:DWORD dst_unused:UNUSED_PAD src0_sel:DWORD src1_sel:BYTE_0
	v_xor_b32_e32 v1, vcc_hi, v97
	v_add_lshl_u32 v96, v82, v0, 2
	v_mov_b32_e32 v0, 0
	v_and_b32_e32 v97, exec_hi, v1
	v_lshlrev_b32_e32 v1, 30, v42
	v_xor_b32_e32 v43, vcc_lo, v43
	v_cmp_gt_i64_e32 vcc, 0, v[0:1]
	v_not_b32_e32 v1, v1
	v_ashrrev_i32_e32 v1, 31, v1
	v_and_b32_e32 v43, exec_lo, v43
	v_xor_b32_e32 v99, vcc_hi, v1
	v_xor_b32_e32 v1, vcc_lo, v1
	v_and_b32_e32 v43, v43, v1
	v_lshlrev_b32_e32 v1, 29, v42
	v_cmp_gt_i64_e32 vcc, 0, v[0:1]
	v_not_b32_e32 v1, v1
	v_ashrrev_i32_e32 v1, 31, v1
	v_and_b32_e32 v97, v97, v99
	v_xor_b32_e32 v99, vcc_hi, v1
	v_xor_b32_e32 v1, vcc_lo, v1
	v_and_b32_e32 v43, v43, v1
	v_lshlrev_b32_e32 v1, 28, v42
	v_cmp_gt_i64_e32 vcc, 0, v[0:1]
	v_not_b32_e32 v1, v1
	v_ashrrev_i32_e32 v1, 31, v1
	v_and_b32_e32 v97, v97, v99
	;; [unrolled: 8-line block ×5, first 2 shown]
	v_xor_b32_e32 v99, vcc_hi, v1
	v_xor_b32_e32 v1, vcc_lo, v1
	v_and_b32_e32 v97, v97, v99
	v_and_b32_e32 v99, v43, v1
	v_lshlrev_b32_e32 v1, 24, v42
	v_cmp_gt_i64_e32 vcc, 0, v[0:1]
	v_not_b32_e32 v1, v1
	v_ashrrev_i32_e32 v1, 31, v1
	v_xor_b32_e32 v42, vcc_hi, v1
	v_xor_b32_e32 v1, vcc_lo, v1
	; wave barrier
	ds_read_b32 v95, v96 offset:8
	v_and_b32_e32 v43, v97, v42
	v_and_b32_e32 v42, v99, v1
	v_mbcnt_lo_u32_b32 v1, v42, 0
	v_mbcnt_hi_u32_b32 v97, v43, v1
	v_cmp_eq_u32_e32 vcc, 0, v97
	v_cmp_ne_u64_e64 s[16:17], 0, v[42:43]
	s_and_b64 s[20:21], s[16:17], vcc
	; wave barrier
	s_and_saveexec_b64 s[16:17], s[20:21]
	s_cbranch_execz .LBB82_44
; %bb.43:
	v_bcnt_u32_b32 v1, v42, 0
	v_bcnt_u32_b32 v1, v43, v1
	s_waitcnt lgkmcnt(0)
	v_add_u32_e32 v1, v95, v1
	ds_write_b32 v96, v1 offset:8
.LBB82_44:
	s_or_b64 exec, exec, s[16:17]
	v_and_b32_e32 v42, s18, v74
	v_lshlrev_b32_sdwa v1, v98, v42 dst_sel:DWORD dst_unused:UNUSED_PAD src0_sel:DWORD src1_sel:BYTE_0
	v_add_lshl_u32 v98, v82, v1, 2
	v_and_b32_e32 v1, 1, v42
	v_add_co_u32_e32 v43, vcc, -1, v1
	v_addc_co_u32_e64 v100, s[16:17], 0, -1, vcc
	v_cmp_ne_u32_e32 vcc, 0, v1
	v_xor_b32_e32 v1, vcc_hi, v100
	v_and_b32_e32 v100, exec_hi, v1
	v_lshlrev_b32_e32 v1, 30, v42
	v_xor_b32_e32 v43, vcc_lo, v43
	v_cmp_gt_i64_e32 vcc, 0, v[0:1]
	v_not_b32_e32 v1, v1
	v_ashrrev_i32_e32 v1, 31, v1
	v_and_b32_e32 v43, exec_lo, v43
	v_xor_b32_e32 v101, vcc_hi, v1
	v_xor_b32_e32 v1, vcc_lo, v1
	v_and_b32_e32 v43, v43, v1
	v_lshlrev_b32_e32 v1, 29, v42
	v_cmp_gt_i64_e32 vcc, 0, v[0:1]
	v_not_b32_e32 v1, v1
	v_ashrrev_i32_e32 v1, 31, v1
	v_and_b32_e32 v100, v100, v101
	v_xor_b32_e32 v101, vcc_hi, v1
	v_xor_b32_e32 v1, vcc_lo, v1
	v_and_b32_e32 v43, v43, v1
	v_lshlrev_b32_e32 v1, 28, v42
	v_cmp_gt_i64_e32 vcc, 0, v[0:1]
	v_not_b32_e32 v1, v1
	v_ashrrev_i32_e32 v1, 31, v1
	v_and_b32_e32 v100, v100, v101
	;; [unrolled: 8-line block ×5, first 2 shown]
	v_xor_b32_e32 v101, vcc_hi, v1
	v_xor_b32_e32 v1, vcc_lo, v1
	v_and_b32_e32 v43, v43, v1
	v_lshlrev_b32_e32 v1, 24, v42
	v_cmp_gt_i64_e32 vcc, 0, v[0:1]
	v_not_b32_e32 v0, v1
	v_ashrrev_i32_e32 v0, 31, v0
	v_xor_b32_e32 v1, vcc_hi, v0
	v_xor_b32_e32 v0, vcc_lo, v0
	; wave barrier
	ds_read_b32 v82, v98 offset:8
	v_and_b32_e32 v100, v100, v101
	v_and_b32_e32 v0, v43, v0
	v_and_b32_e32 v1, v100, v1
	v_mbcnt_lo_u32_b32 v42, v0, 0
	v_mbcnt_hi_u32_b32 v100, v1, v42
	v_cmp_eq_u32_e32 vcc, 0, v100
	v_cmp_ne_u64_e64 s[16:17], 0, v[0:1]
	v_or_b32_e32 v99, 8, v61
	s_and_b64 s[18:19], s[16:17], vcc
	; wave barrier
	s_and_saveexec_b64 s[16:17], s[18:19]
	s_cbranch_execz .LBB82_46
; %bb.45:
	v_bcnt_u32_b32 v0, v0, 0
	v_bcnt_u32_b32 v0, v1, v0
	s_waitcnt lgkmcnt(0)
	v_add_u32_e32 v0, v82, v0
	ds_write_b32 v98, v0 offset:8
.LBB82_46:
	s_or_b64 exec, exec, s[16:17]
	; wave barrier
	s_waitcnt lgkmcnt(0)
	s_barrier
	ds_read2_b32 v[0:1], v61 offset0:2 offset1:3
	ds_read2_b32 v[42:43], v99 offset0:2 offset1:3
	v_min_u32_e32 v76, 64, v76
	v_or_b32_e32 v76, 63, v76
	s_waitcnt lgkmcnt(1)
	v_add_u32_e32 v101, v1, v0
	s_waitcnt lgkmcnt(0)
	v_add3_u32 v43, v101, v42, v43
	v_and_b32_e32 v101, 15, v75
	v_cmp_ne_u32_e32 vcc, 0, v101
	v_mov_b32_dpp v102, v43 row_shr:1 row_mask:0xf bank_mask:0xf
	v_cndmask_b32_e32 v102, 0, v102, vcc
	v_add_u32_e32 v43, v102, v43
	v_cmp_lt_u32_e32 vcc, 1, v101
	s_nop 0
	v_mov_b32_dpp v102, v43 row_shr:2 row_mask:0xf bank_mask:0xf
	v_cndmask_b32_e32 v102, 0, v102, vcc
	v_add_u32_e32 v43, v43, v102
	v_cmp_lt_u32_e32 vcc, 3, v101
	s_nop 0
	;; [unrolled: 5-line block ×3, first 2 shown]
	v_mov_b32_dpp v102, v43 row_shr:8 row_mask:0xf bank_mask:0xf
	v_cndmask_b32_e32 v101, 0, v102, vcc
	v_add_u32_e32 v43, v43, v101
	v_bfe_i32 v102, v75, 4, 1
	v_cmp_lt_u32_e32 vcc, 31, v75
	v_mov_b32_dpp v101, v43 row_bcast:15 row_mask:0xf bank_mask:0xf
	v_and_b32_e32 v101, v102, v101
	v_add_u32_e32 v43, v43, v101
	s_nop 1
	v_mov_b32_dpp v101, v43 row_bcast:31 row_mask:0xf bank_mask:0xf
	v_cndmask_b32_e32 v101, 0, v101, vcc
	v_add_u32_e32 v43, v43, v101
	v_lshrrev_b32_e32 v101, 6, v36
	v_cmp_eq_u32_e32 vcc, v76, v36
	s_and_saveexec_b64 s[16:17], vcc
	s_cbranch_execz .LBB82_48
; %bb.47:
	v_lshlrev_b32_e32 v76, 2, v101
	ds_write_b32 v76, v43
.LBB82_48:
	s_or_b64 exec, exec, s[16:17]
	v_cmp_gt_u32_e32 vcc, 2, v36
	s_waitcnt lgkmcnt(0)
	s_barrier
	s_and_saveexec_b64 s[16:17], vcc
	s_cbranch_execz .LBB82_50
; %bb.49:
	v_lshlrev_b32_e32 v76, 2, v36
	ds_read_b32 v102, v76
	v_bfe_i32 v103, v75, 0, 1
	s_waitcnt lgkmcnt(0)
	v_mov_b32_dpp v104, v102 row_shr:1 row_mask:0xf bank_mask:0xf
	v_and_b32_e32 v103, v103, v104
	v_add_u32_e32 v102, v103, v102
	ds_write_b32 v76, v102
.LBB82_50:
	s_or_b64 exec, exec, s[16:17]
	v_cmp_lt_u32_e32 vcc, 63, v36
	v_mov_b32_e32 v76, 0
	s_waitcnt lgkmcnt(0)
	s_barrier
	s_and_saveexec_b64 s[16:17], vcc
	s_cbranch_execz .LBB82_52
; %bb.51:
	v_lshl_add_u32 v76, v101, 2, -4
	ds_read_b32 v76, v76
.LBB82_52:
	s_or_b64 exec, exec, s[16:17]
	v_add_u32_e32 v101, -1, v75
	v_and_b32_e32 v102, 64, v75
	v_cmp_lt_i32_e32 vcc, v101, v102
	v_cndmask_b32_e32 v101, v101, v75, vcc
	s_waitcnt lgkmcnt(0)
	v_add_u32_e32 v43, v76, v43
	v_lshlrev_b32_e32 v101, 2, v101
	ds_bpermute_b32 v43, v101, v43
	v_cmp_eq_u32_e32 vcc, 0, v75
	s_waitcnt lgkmcnt(0)
	v_cndmask_b32_e32 v43, v43, v76, vcc
	v_cmp_ne_u32_e32 vcc, 0, v36
	v_cndmask_b32_e32 v43, 0, v43, vcc
	v_add_u32_e32 v0, v43, v0
	v_add_u32_e32 v1, v0, v1
	;; [unrolled: 1-line block ×3, first 2 shown]
	ds_write2_b32 v61, v43, v0 offset0:2 offset1:3
	ds_write2_b32 v99, v1, v42 offset0:2 offset1:3
	s_waitcnt lgkmcnt(0)
	s_barrier
	ds_read_b32 v0, v77 offset:8
	ds_read_b32 v1, v80 offset:8
	;; [unrolled: 1-line block ×8, first 2 shown]
	s_waitcnt lgkmcnt(7)
	v_add_u32_e32 v78, v0, v78
	s_waitcnt lgkmcnt(6)
	v_add3_u32 v79, v81, v79, v1
	s_waitcnt lgkmcnt(5)
	v_add3_u32 v42, v85, v83, v42
	;; [unrolled: 2-line block ×7, first 2 shown]
	s_barrier
	ds_write_b8 v78, v67
	ds_write_b8 v79, v68
	;; [unrolled: 1-line block ×8, first 2 shown]
	v_lshlrev_b32_e32 v67, 3, v78
	s_waitcnt lgkmcnt(0)
	s_barrier
	ds_read_b64 v[0:1], v53
	s_waitcnt lgkmcnt(0)
	s_barrier
	ds_write_b64 v67, v[30:31]
	v_lshlrev_b32_e32 v30, 3, v79
	ds_write_b64 v30, v[32:33]
	v_lshlrev_b32_e32 v30, 3, v42
	;; [unrolled: 2-line block ×7, first 2 shown]
	v_lshlrev_b32_e32 v30, 3, v53
	ds_write_b64 v18, v[20:21]
	s_waitcnt lgkmcnt(0)
	s_barrier
	ds_read2_b64 v[18:21], v30 offset1:1
	ds_read2_b64 v[22:25], v30 offset0:2 offset1:3
	ds_read2_b64 v[26:29], v30 offset0:4 offset1:5
	;; [unrolled: 1-line block ×3, first 2 shown]
	s_branch .LBB82_84
.LBB82_53:
	v_mov_b32_e32 v35, 0
	v_lshlrev_b64 v[2:3], 3, v[34:35]
	v_mov_b32_e32 v4, s35
	v_add_co_u32_e32 v2, vcc, s33, v2
	v_addc_co_u32_e32 v3, vcc, v4, v3, vcc
	global_load_dwordx2 v[2:3], v[2:3], off
	v_mov_b32_e32 v4, v35
	v_mov_b32_e32 v5, v35
	;; [unrolled: 1-line block ×14, first 2 shown]
	s_or_b64 exec, exec, s[16:17]
	s_and_saveexec_b64 s[16:17], s[2:3]
	s_cbranch_execz .LBB82_22
.LBB82_54:
	v_mul_lo_u32 v4, v32, s34
	v_mov_b32_e32 v5, 0
	v_lshlrev_b64 v[4:5], 3, v[4:5]
	v_mov_b32_e32 v32, s35
	v_add_co_u32_e32 v4, vcc, s33, v4
	v_addc_co_u32_e32 v5, vcc, v32, v5, vcc
	global_load_dwordx2 v[4:5], v[4:5], off
	s_or_b64 exec, exec, s[16:17]
	s_and_saveexec_b64 s[16:17], s[4:5]
	s_cbranch_execz .LBB82_23
.LBB82_55:
	v_mul_lo_u32 v6, v31, s34
	v_mov_b32_e32 v7, 0
	v_lshlrev_b64 v[6:7], 3, v[6:7]
	v_mov_b32_e32 v31, s35
	v_add_co_u32_e32 v6, vcc, s33, v6
	v_addc_co_u32_e32 v7, vcc, v31, v7, vcc
	global_load_dwordx2 v[6:7], v[6:7], off
	s_or_b64 exec, exec, s[16:17]
	s_and_saveexec_b64 s[16:17], s[6:7]
	s_cbranch_execz .LBB82_24
.LBB82_56:
	v_mul_lo_u32 v8, v30, s34
	v_mov_b32_e32 v9, 0
	v_lshlrev_b64 v[8:9], 3, v[8:9]
	v_mov_b32_e32 v30, s35
	v_add_co_u32_e32 v8, vcc, s33, v8
	v_addc_co_u32_e32 v9, vcc, v30, v9, vcc
	global_load_dwordx2 v[8:9], v[8:9], off
	s_or_b64 exec, exec, s[16:17]
	s_and_saveexec_b64 s[16:17], s[8:9]
	s_cbranch_execz .LBB82_25
.LBB82_57:
	v_mul_lo_u32 v10, v29, s34
	v_mov_b32_e32 v11, 0
	v_lshlrev_b64 v[10:11], 3, v[10:11]
	v_mov_b32_e32 v29, s35
	v_add_co_u32_e32 v10, vcc, s33, v10
	v_addc_co_u32_e32 v11, vcc, v29, v11, vcc
	global_load_dwordx2 v[10:11], v[10:11], off
	s_or_b64 exec, exec, s[16:17]
	s_and_saveexec_b64 s[16:17], s[10:11]
	s_cbranch_execz .LBB82_26
.LBB82_58:
	v_mul_lo_u32 v12, v28, s34
	v_mov_b32_e32 v13, 0
	v_lshlrev_b64 v[12:13], 3, v[12:13]
	v_mov_b32_e32 v28, s35
	v_add_co_u32_e32 v12, vcc, s33, v12
	v_addc_co_u32_e32 v13, vcc, v28, v13, vcc
	global_load_dwordx2 v[12:13], v[12:13], off
	s_or_b64 exec, exec, s[16:17]
	s_and_saveexec_b64 s[16:17], s[12:13]
	s_cbranch_execz .LBB82_27
.LBB82_59:
	v_mul_lo_u32 v14, v27, s34
	v_mov_b32_e32 v15, 0
	v_lshlrev_b64 v[14:15], 3, v[14:15]
	v_mov_b32_e32 v27, s35
	v_add_co_u32_e32 v14, vcc, s33, v14
	v_addc_co_u32_e32 v15, vcc, v27, v15, vcc
	global_load_dwordx2 v[14:15], v[14:15], off
	s_or_b64 exec, exec, s[16:17]
	s_and_saveexec_b64 s[16:17], s[14:15]
	s_cbranch_execnz .LBB82_28
	s_branch .LBB82_29
.LBB82_60:
                                        ; implicit-def: $vgpr1
                                        ; implicit-def: $vgpr32_vgpr33
                                        ; implicit-def: $vgpr28_vgpr29
                                        ; implicit-def: $vgpr24_vgpr25
                                        ; implicit-def: $vgpr20_vgpr21
	s_cbranch_execz .LBB82_84
; %bb.61:
	v_mov_b32_e32 v0, -1
	v_xor_b32_sdwa v1, v65, v0 dst_sel:BYTE_1 dst_unused:UNUSED_PAD src0_sel:DWORD src1_sel:DWORD
	s_waitcnt lgkmcnt(3)
	v_xor_b32_e32 v18, -1, v39
	v_or_b32_sdwa v1, v18, v1 dst_sel:DWORD dst_unused:UNUSED_PAD src0_sel:BYTE_0 src1_sel:DWORD
	v_xor_b32_sdwa v18, v39, v0 dst_sel:DWORD dst_unused:UNUSED_PAD src0_sel:BYTE_3 src1_sel:DWORD
	v_lshlrev_b16_e32 v18, 8, v18
	v_xor_b32_sdwa v19, v39, v0 dst_sel:DWORD dst_unused:UNUSED_PAD src0_sel:WORD_1 src1_sel:DWORD
	v_or_b32_sdwa v18, v19, v18 dst_sel:WORD_1 dst_unused:UNUSED_PAD src0_sel:BYTE_0 src1_sel:DWORD
	v_or_b32_sdwa v1, v1, v18 dst_sel:DWORD dst_unused:UNUSED_PAD src0_sel:WORD_0 src1_sel:DWORD
	v_xor_b32_sdwa v18, v64, v0 dst_sel:BYTE_1 dst_unused:UNUSED_PAD src0_sel:DWORD src1_sel:DWORD
	v_xor_b32_e32 v19, -1, v38
	v_or_b32_sdwa v18, v19, v18 dst_sel:DWORD dst_unused:UNUSED_PAD src0_sel:BYTE_0 src1_sel:DWORD
	v_xor_b32_sdwa v19, v40, v0 dst_sel:BYTE_1 dst_unused:UNUSED_PAD src0_sel:DWORD src1_sel:DWORD
	v_xor_b32_sdwa v0, v38, v0 dst_sel:DWORD dst_unused:UNUSED_PAD src0_sel:WORD_1 src1_sel:DWORD
	v_or_b32_sdwa v0, v0, v19 dst_sel:WORD_1 dst_unused:UNUSED_PAD src0_sel:BYTE_0 src1_sel:DWORD
	s_waitcnt lgkmcnt(1)
	v_mbcnt_hi_u32_b32 v28, -1, v66
	v_and_b32_e32 v29, 0x3c0, v36
	v_or_b32_sdwa v0, v18, v0 dst_sel:DWORD dst_unused:UNUSED_PAD src0_sel:WORD_0 src1_sel:DWORD
	v_add_u32_e32 v18, v28, v29
	v_lshlrev_b32_e32 v19, 3, v18
	s_movk_i32 s16, 0x1e00
	ds_write_b64 v19, v[0:1]
	v_and_or_b32 v0, v53, s16, v28
	; wave barrier
	ds_read_u8 v20, v0
	ds_read_u8 v21, v0 offset:64
	ds_read_u8 v22, v0 offset:128
	;; [unrolled: 1-line block ×7, first 2 shown]
	v_lshlrev_b32_e32 v1, 6, v18
	v_lshlrev_b32_e32 v0, 3, v0
	s_getpc_b64 s[16:17]
	s_add_u32 s16, s16, _ZN7rocprim17ROCPRIM_400000_NS16block_radix_sortIhLj128ELj8ElLj1ELj1ELj0ELNS0_26block_radix_rank_algorithmE1ELNS0_18block_padding_hintE2ELNS0_4arch9wavefront6targetE1EE19radix_bits_per_passE@rel32@lo+4
	s_addc_u32 s17, s17, _ZN7rocprim17ROCPRIM_400000_NS16block_radix_sortIhLj128ELj8ElLj1ELj1ELj0ELNS0_26block_radix_rank_algorithmE1ELNS0_18block_padding_hintE2ELNS0_4arch9wavefront6targetE1EE19radix_bits_per_passE@rel32@hi+12
	s_waitcnt lgkmcnt(0)
	s_barrier
	ds_write2_b64 v1, v[14:15], v[16:17] offset1:1
	ds_write2_b64 v1, v[10:11], v[12:13] offset0:2 offset1:3
	ds_write2_b64 v1, v[6:7], v[8:9] offset0:4 offset1:5
	;; [unrolled: 1-line block ×3, first 2 shown]
	; wave barrier
	ds_read2st64_b64 v[12:15], v0 offset1:1
	ds_read2st64_b64 v[8:11], v0 offset0:2 offset1:3
	ds_read2st64_b64 v[4:7], v0 offset0:4 offset1:5
	;; [unrolled: 1-line block ×3, first 2 shown]
	s_waitcnt lgkmcnt(0)
	s_barrier
	s_load_dword s18, s[16:17], 0x0
	s_load_dword s19, s[42:43], 0xc
	v_mov_b32_e32 v32, 1
	v_mov_b32_e32 v16, 0
	ds_write2_b32 v61, v16, v16 offset0:2 offset1:3
	ds_write2_b32 v61, v16, v16 offset0:4 offset1:5
	s_waitcnt lgkmcnt(0)
	s_min_u32 s18, s18, 8
	s_lshr_b32 s16, s19, 16
	s_and_b32 s17, s19, 0xffff
	v_mad_u32_u24 v17, v63, s16, v62
	v_mad_u64_u32 v[18:19], s[16:17], v17, s17, v[36:37]
	s_lshl_b32 s16, -1, s18
	s_not_b32 s18, s16
	v_lshrrev_b32_e32 v39, 6, v18
	v_and_b32_e32 v18, s18, v20
	v_lshlrev_b32_sdwa v17, v32, v18 dst_sel:DWORD dst_unused:UNUSED_PAD src0_sel:DWORD src1_sel:BYTE_0
	v_add_lshl_u32 v30, v39, v17, 2
	v_and_b32_e32 v17, 1, v18
	v_add_co_u32_e32 v19, vcc, -1, v17
	v_addc_co_u32_e64 v31, s[16:17], 0, -1, vcc
	v_cmp_ne_u32_e32 vcc, 0, v17
	v_xor_b32_e32 v17, vcc_hi, v31
	v_and_b32_e32 v31, exec_hi, v17
	v_lshlrev_b32_e32 v17, 30, v18
	v_xor_b32_e32 v19, vcc_lo, v19
	v_cmp_gt_i64_e32 vcc, 0, v[16:17]
	v_not_b32_e32 v17, v17
	v_ashrrev_i32_e32 v17, 31, v17
	v_and_b32_e32 v19, exec_lo, v19
	v_xor_b32_e32 v33, vcc_hi, v17
	v_xor_b32_e32 v17, vcc_lo, v17
	v_and_b32_e32 v19, v19, v17
	v_lshlrev_b32_e32 v17, 29, v18
	v_cmp_gt_i64_e32 vcc, 0, v[16:17]
	v_not_b32_e32 v17, v17
	v_ashrrev_i32_e32 v17, 31, v17
	v_and_b32_e32 v31, v31, v33
	v_xor_b32_e32 v33, vcc_hi, v17
	v_xor_b32_e32 v17, vcc_lo, v17
	v_and_b32_e32 v19, v19, v17
	v_lshlrev_b32_e32 v17, 28, v18
	v_cmp_gt_i64_e32 vcc, 0, v[16:17]
	v_not_b32_e32 v17, v17
	v_ashrrev_i32_e32 v17, 31, v17
	v_and_b32_e32 v31, v31, v33
	;; [unrolled: 8-line block ×5, first 2 shown]
	v_xor_b32_e32 v33, vcc_hi, v17
	v_xor_b32_e32 v17, vcc_lo, v17
	v_and_b32_e32 v31, v31, v33
	v_and_b32_e32 v33, v19, v17
	v_lshlrev_b32_e32 v17, 24, v18
	v_cmp_gt_i64_e32 vcc, 0, v[16:17]
	v_not_b32_e32 v17, v17
	v_ashrrev_i32_e32 v17, 31, v17
	v_xor_b32_e32 v18, vcc_hi, v17
	v_xor_b32_e32 v17, vcc_lo, v17
	v_and_b32_e32 v19, v31, v18
	v_and_b32_e32 v18, v33, v17
	v_mbcnt_lo_u32_b32 v17, v18, 0
	v_mbcnt_hi_u32_b32 v31, v19, v17
	v_cmp_eq_u32_e32 vcc, 0, v31
	v_cmp_ne_u64_e64 s[16:17], 0, v[18:19]
	s_and_b64 s[20:21], s[16:17], vcc
	s_barrier
	s_waitcnt lgkmcnt(0)
	; wave barrier
	s_and_saveexec_b64 s[16:17], s[20:21]
	s_cbranch_execz .LBB82_63
; %bb.62:
	v_bcnt_u32_b32 v17, v18, 0
	v_bcnt_u32_b32 v17, v19, v17
	ds_write_b32 v30, v17 offset:8
.LBB82_63:
	s_or_b64 exec, exec, s[16:17]
	v_and_b32_e32 v18, s18, v21
	v_lshlrev_b32_sdwa v17, v32, v18 dst_sel:DWORD dst_unused:UNUSED_PAD src0_sel:DWORD src1_sel:BYTE_0
	v_add_lshl_u32 v33, v39, v17, 2
	v_and_b32_e32 v17, 1, v18
	v_add_co_u32_e32 v19, vcc, -1, v17
	v_addc_co_u32_e64 v38, s[16:17], 0, -1, vcc
	v_cmp_ne_u32_e32 vcc, 0, v17
	v_xor_b32_e32 v17, vcc_hi, v38
	v_and_b32_e32 v38, exec_hi, v17
	v_lshlrev_b32_e32 v17, 30, v18
	v_xor_b32_e32 v19, vcc_lo, v19
	v_cmp_gt_i64_e32 vcc, 0, v[16:17]
	v_not_b32_e32 v17, v17
	v_ashrrev_i32_e32 v17, 31, v17
	v_and_b32_e32 v19, exec_lo, v19
	v_xor_b32_e32 v40, vcc_hi, v17
	v_xor_b32_e32 v17, vcc_lo, v17
	v_and_b32_e32 v19, v19, v17
	v_lshlrev_b32_e32 v17, 29, v18
	v_cmp_gt_i64_e32 vcc, 0, v[16:17]
	v_not_b32_e32 v17, v17
	v_ashrrev_i32_e32 v17, 31, v17
	v_and_b32_e32 v38, v38, v40
	v_xor_b32_e32 v40, vcc_hi, v17
	v_xor_b32_e32 v17, vcc_lo, v17
	v_and_b32_e32 v19, v19, v17
	v_lshlrev_b32_e32 v17, 28, v18
	v_cmp_gt_i64_e32 vcc, 0, v[16:17]
	v_not_b32_e32 v17, v17
	v_ashrrev_i32_e32 v17, 31, v17
	v_and_b32_e32 v38, v38, v40
	;; [unrolled: 8-line block ×5, first 2 shown]
	v_xor_b32_e32 v40, vcc_hi, v17
	v_xor_b32_e32 v17, vcc_lo, v17
	v_and_b32_e32 v19, v19, v17
	v_lshlrev_b32_e32 v17, 24, v18
	v_cmp_gt_i64_e32 vcc, 0, v[16:17]
	v_not_b32_e32 v16, v17
	v_ashrrev_i32_e32 v16, 31, v16
	v_xor_b32_e32 v17, vcc_hi, v16
	v_xor_b32_e32 v16, vcc_lo, v16
	; wave barrier
	ds_read_b32 v32, v33 offset:8
	v_and_b32_e32 v38, v38, v40
	v_and_b32_e32 v16, v19, v16
	;; [unrolled: 1-line block ×3, first 2 shown]
	v_mbcnt_lo_u32_b32 v18, v16, 0
	v_mbcnt_hi_u32_b32 v38, v17, v18
	v_cmp_eq_u32_e32 vcc, 0, v38
	v_cmp_ne_u64_e64 s[16:17], 0, v[16:17]
	s_and_b64 s[20:21], s[16:17], vcc
	; wave barrier
	s_and_saveexec_b64 s[16:17], s[20:21]
	s_cbranch_execz .LBB82_65
; %bb.64:
	v_bcnt_u32_b32 v16, v16, 0
	v_bcnt_u32_b32 v16, v17, v16
	s_waitcnt lgkmcnt(0)
	v_add_u32_e32 v16, v32, v16
	ds_write_b32 v33, v16 offset:8
.LBB82_65:
	s_or_b64 exec, exec, s[16:17]
	v_and_b32_e32 v18, s18, v22
	v_and_b32_e32 v17, 1, v18
	v_add_co_u32_e32 v19, vcc, -1, v17
	v_mov_b32_e32 v62, 1
	v_addc_co_u32_e64 v43, s[16:17], 0, -1, vcc
	v_cmp_ne_u32_e32 vcc, 0, v17
	v_lshlrev_b32_sdwa v16, v62, v18 dst_sel:DWORD dst_unused:UNUSED_PAD src0_sel:DWORD src1_sel:BYTE_0
	v_xor_b32_e32 v17, vcc_hi, v43
	v_add_lshl_u32 v42, v39, v16, 2
	v_mov_b32_e32 v16, 0
	v_and_b32_e32 v43, exec_hi, v17
	v_lshlrev_b32_e32 v17, 30, v18
	v_xor_b32_e32 v19, vcc_lo, v19
	v_cmp_gt_i64_e32 vcc, 0, v[16:17]
	v_not_b32_e32 v17, v17
	v_ashrrev_i32_e32 v17, 31, v17
	v_and_b32_e32 v19, exec_lo, v19
	v_xor_b32_e32 v63, vcc_hi, v17
	v_xor_b32_e32 v17, vcc_lo, v17
	v_and_b32_e32 v19, v19, v17
	v_lshlrev_b32_e32 v17, 29, v18
	v_cmp_gt_i64_e32 vcc, 0, v[16:17]
	v_not_b32_e32 v17, v17
	v_ashrrev_i32_e32 v17, 31, v17
	v_and_b32_e32 v43, v43, v63
	v_xor_b32_e32 v63, vcc_hi, v17
	v_xor_b32_e32 v17, vcc_lo, v17
	v_and_b32_e32 v19, v19, v17
	v_lshlrev_b32_e32 v17, 28, v18
	v_cmp_gt_i64_e32 vcc, 0, v[16:17]
	v_not_b32_e32 v17, v17
	v_ashrrev_i32_e32 v17, 31, v17
	v_and_b32_e32 v43, v43, v63
	;; [unrolled: 8-line block ×5, first 2 shown]
	v_xor_b32_e32 v63, vcc_hi, v17
	v_xor_b32_e32 v17, vcc_lo, v17
	v_and_b32_e32 v43, v43, v63
	v_and_b32_e32 v63, v19, v17
	v_lshlrev_b32_e32 v17, 24, v18
	v_cmp_gt_i64_e32 vcc, 0, v[16:17]
	v_not_b32_e32 v17, v17
	v_ashrrev_i32_e32 v17, 31, v17
	v_xor_b32_e32 v18, vcc_hi, v17
	v_xor_b32_e32 v17, vcc_lo, v17
	; wave barrier
	ds_read_b32 v40, v42 offset:8
	v_and_b32_e32 v19, v43, v18
	v_and_b32_e32 v18, v63, v17
	v_mbcnt_lo_u32_b32 v17, v18, 0
	v_mbcnt_hi_u32_b32 v43, v19, v17
	v_cmp_eq_u32_e32 vcc, 0, v43
	v_cmp_ne_u64_e64 s[16:17], 0, v[18:19]
	s_and_b64 s[20:21], s[16:17], vcc
	; wave barrier
	s_and_saveexec_b64 s[16:17], s[20:21]
	s_cbranch_execz .LBB82_67
; %bb.66:
	v_bcnt_u32_b32 v17, v18, 0
	v_bcnt_u32_b32 v17, v19, v17
	s_waitcnt lgkmcnt(0)
	v_add_u32_e32 v17, v40, v17
	ds_write_b32 v42, v17 offset:8
.LBB82_67:
	s_or_b64 exec, exec, s[16:17]
	v_and_b32_e32 v18, s18, v23
	v_lshlrev_b32_sdwa v17, v62, v18 dst_sel:DWORD dst_unused:UNUSED_PAD src0_sel:DWORD src1_sel:BYTE_0
	v_add_lshl_u32 v63, v39, v17, 2
	v_and_b32_e32 v17, 1, v18
	v_add_co_u32_e32 v19, vcc, -1, v17
	v_addc_co_u32_e64 v64, s[16:17], 0, -1, vcc
	v_cmp_ne_u32_e32 vcc, 0, v17
	v_xor_b32_e32 v17, vcc_hi, v64
	v_and_b32_e32 v64, exec_hi, v17
	v_lshlrev_b32_e32 v17, 30, v18
	v_xor_b32_e32 v19, vcc_lo, v19
	v_cmp_gt_i64_e32 vcc, 0, v[16:17]
	v_not_b32_e32 v17, v17
	v_ashrrev_i32_e32 v17, 31, v17
	v_and_b32_e32 v19, exec_lo, v19
	v_xor_b32_e32 v65, vcc_hi, v17
	v_xor_b32_e32 v17, vcc_lo, v17
	v_and_b32_e32 v19, v19, v17
	v_lshlrev_b32_e32 v17, 29, v18
	v_cmp_gt_i64_e32 vcc, 0, v[16:17]
	v_not_b32_e32 v17, v17
	v_ashrrev_i32_e32 v17, 31, v17
	v_and_b32_e32 v64, v64, v65
	v_xor_b32_e32 v65, vcc_hi, v17
	v_xor_b32_e32 v17, vcc_lo, v17
	v_and_b32_e32 v19, v19, v17
	v_lshlrev_b32_e32 v17, 28, v18
	v_cmp_gt_i64_e32 vcc, 0, v[16:17]
	v_not_b32_e32 v17, v17
	v_ashrrev_i32_e32 v17, 31, v17
	v_and_b32_e32 v64, v64, v65
	v_xor_b32_e32 v65, vcc_hi, v17
	v_xor_b32_e32 v17, vcc_lo, v17
	v_and_b32_e32 v19, v19, v17
	v_lshlrev_b32_e32 v17, 27, v18
	v_cmp_gt_i64_e32 vcc, 0, v[16:17]
	v_not_b32_e32 v17, v17
	v_ashrrev_i32_e32 v17, 31, v17
	v_and_b32_e32 v64, v64, v65
	v_xor_b32_e32 v65, vcc_hi, v17
	v_xor_b32_e32 v17, vcc_lo, v17
	v_and_b32_e32 v19, v19, v17
	v_lshlrev_b32_e32 v17, 26, v18
	v_cmp_gt_i64_e32 vcc, 0, v[16:17]
	v_not_b32_e32 v17, v17
	v_ashrrev_i32_e32 v17, 31, v17
	v_and_b32_e32 v64, v64, v65
	v_xor_b32_e32 v65, vcc_hi, v17
	v_xor_b32_e32 v17, vcc_lo, v17
	v_and_b32_e32 v19, v19, v17
	v_lshlrev_b32_e32 v17, 25, v18
	v_cmp_gt_i64_e32 vcc, 0, v[16:17]
	v_not_b32_e32 v17, v17
	v_ashrrev_i32_e32 v17, 31, v17
	v_and_b32_e32 v64, v64, v65
	v_xor_b32_e32 v65, vcc_hi, v17
	v_xor_b32_e32 v17, vcc_lo, v17
	v_and_b32_e32 v19, v19, v17
	v_lshlrev_b32_e32 v17, 24, v18
	v_cmp_gt_i64_e32 vcc, 0, v[16:17]
	v_not_b32_e32 v16, v17
	v_ashrrev_i32_e32 v16, 31, v16
	v_xor_b32_e32 v17, vcc_hi, v16
	v_xor_b32_e32 v16, vcc_lo, v16
	; wave barrier
	ds_read_b32 v62, v63 offset:8
	v_and_b32_e32 v64, v64, v65
	v_and_b32_e32 v16, v19, v16
	;; [unrolled: 1-line block ×3, first 2 shown]
	v_mbcnt_lo_u32_b32 v18, v16, 0
	v_mbcnt_hi_u32_b32 v64, v17, v18
	v_cmp_eq_u32_e32 vcc, 0, v64
	v_cmp_ne_u64_e64 s[16:17], 0, v[16:17]
	s_and_b64 s[20:21], s[16:17], vcc
	; wave barrier
	s_and_saveexec_b64 s[16:17], s[20:21]
	s_cbranch_execz .LBB82_69
; %bb.68:
	v_bcnt_u32_b32 v16, v16, 0
	v_bcnt_u32_b32 v16, v17, v16
	s_waitcnt lgkmcnt(0)
	v_add_u32_e32 v16, v62, v16
	ds_write_b32 v63, v16 offset:8
.LBB82_69:
	s_or_b64 exec, exec, s[16:17]
	v_and_b32_e32 v18, s18, v24
	v_and_b32_e32 v17, 1, v18
	v_add_co_u32_e32 v19, vcc, -1, v17
	v_mov_b32_e32 v68, 1
	v_addc_co_u32_e64 v67, s[16:17], 0, -1, vcc
	v_cmp_ne_u32_e32 vcc, 0, v17
	v_lshlrev_b32_sdwa v16, v68, v18 dst_sel:DWORD dst_unused:UNUSED_PAD src0_sel:DWORD src1_sel:BYTE_0
	v_xor_b32_e32 v17, vcc_hi, v67
	v_add_lshl_u32 v66, v39, v16, 2
	v_mov_b32_e32 v16, 0
	v_and_b32_e32 v67, exec_hi, v17
	v_lshlrev_b32_e32 v17, 30, v18
	v_xor_b32_e32 v19, vcc_lo, v19
	v_cmp_gt_i64_e32 vcc, 0, v[16:17]
	v_not_b32_e32 v17, v17
	v_ashrrev_i32_e32 v17, 31, v17
	v_and_b32_e32 v19, exec_lo, v19
	v_xor_b32_e32 v69, vcc_hi, v17
	v_xor_b32_e32 v17, vcc_lo, v17
	v_and_b32_e32 v19, v19, v17
	v_lshlrev_b32_e32 v17, 29, v18
	v_cmp_gt_i64_e32 vcc, 0, v[16:17]
	v_not_b32_e32 v17, v17
	v_ashrrev_i32_e32 v17, 31, v17
	v_and_b32_e32 v67, v67, v69
	v_xor_b32_e32 v69, vcc_hi, v17
	v_xor_b32_e32 v17, vcc_lo, v17
	v_and_b32_e32 v19, v19, v17
	v_lshlrev_b32_e32 v17, 28, v18
	v_cmp_gt_i64_e32 vcc, 0, v[16:17]
	v_not_b32_e32 v17, v17
	v_ashrrev_i32_e32 v17, 31, v17
	v_and_b32_e32 v67, v67, v69
	;; [unrolled: 8-line block ×5, first 2 shown]
	v_xor_b32_e32 v69, vcc_hi, v17
	v_xor_b32_e32 v17, vcc_lo, v17
	v_and_b32_e32 v67, v67, v69
	v_and_b32_e32 v69, v19, v17
	v_lshlrev_b32_e32 v17, 24, v18
	v_cmp_gt_i64_e32 vcc, 0, v[16:17]
	v_not_b32_e32 v17, v17
	v_ashrrev_i32_e32 v17, 31, v17
	v_xor_b32_e32 v18, vcc_hi, v17
	v_xor_b32_e32 v17, vcc_lo, v17
	; wave barrier
	ds_read_b32 v65, v66 offset:8
	v_and_b32_e32 v19, v67, v18
	v_and_b32_e32 v18, v69, v17
	v_mbcnt_lo_u32_b32 v17, v18, 0
	v_mbcnt_hi_u32_b32 v67, v19, v17
	v_cmp_eq_u32_e32 vcc, 0, v67
	v_cmp_ne_u64_e64 s[16:17], 0, v[18:19]
	s_and_b64 s[20:21], s[16:17], vcc
	; wave barrier
	s_and_saveexec_b64 s[16:17], s[20:21]
	s_cbranch_execz .LBB82_71
; %bb.70:
	v_bcnt_u32_b32 v17, v18, 0
	v_bcnt_u32_b32 v17, v19, v17
	s_waitcnt lgkmcnt(0)
	v_add_u32_e32 v17, v65, v17
	ds_write_b32 v66, v17 offset:8
.LBB82_71:
	s_or_b64 exec, exec, s[16:17]
	v_and_b32_e32 v18, s18, v25
	v_lshlrev_b32_sdwa v17, v68, v18 dst_sel:DWORD dst_unused:UNUSED_PAD src0_sel:DWORD src1_sel:BYTE_0
	v_add_lshl_u32 v69, v39, v17, 2
	v_and_b32_e32 v17, 1, v18
	v_add_co_u32_e32 v19, vcc, -1, v17
	v_addc_co_u32_e64 v70, s[16:17], 0, -1, vcc
	v_cmp_ne_u32_e32 vcc, 0, v17
	v_xor_b32_e32 v17, vcc_hi, v70
	v_and_b32_e32 v70, exec_hi, v17
	v_lshlrev_b32_e32 v17, 30, v18
	v_xor_b32_e32 v19, vcc_lo, v19
	v_cmp_gt_i64_e32 vcc, 0, v[16:17]
	v_not_b32_e32 v17, v17
	v_ashrrev_i32_e32 v17, 31, v17
	v_and_b32_e32 v19, exec_lo, v19
	v_xor_b32_e32 v71, vcc_hi, v17
	v_xor_b32_e32 v17, vcc_lo, v17
	v_and_b32_e32 v19, v19, v17
	v_lshlrev_b32_e32 v17, 29, v18
	v_cmp_gt_i64_e32 vcc, 0, v[16:17]
	v_not_b32_e32 v17, v17
	v_ashrrev_i32_e32 v17, 31, v17
	v_and_b32_e32 v70, v70, v71
	v_xor_b32_e32 v71, vcc_hi, v17
	v_xor_b32_e32 v17, vcc_lo, v17
	v_and_b32_e32 v19, v19, v17
	v_lshlrev_b32_e32 v17, 28, v18
	v_cmp_gt_i64_e32 vcc, 0, v[16:17]
	v_not_b32_e32 v17, v17
	v_ashrrev_i32_e32 v17, 31, v17
	v_and_b32_e32 v70, v70, v71
	;; [unrolled: 8-line block ×5, first 2 shown]
	v_xor_b32_e32 v71, vcc_hi, v17
	v_xor_b32_e32 v17, vcc_lo, v17
	v_and_b32_e32 v19, v19, v17
	v_lshlrev_b32_e32 v17, 24, v18
	v_cmp_gt_i64_e32 vcc, 0, v[16:17]
	v_not_b32_e32 v16, v17
	v_ashrrev_i32_e32 v16, 31, v16
	v_xor_b32_e32 v17, vcc_hi, v16
	v_xor_b32_e32 v16, vcc_lo, v16
	; wave barrier
	ds_read_b32 v68, v69 offset:8
	v_and_b32_e32 v70, v70, v71
	v_and_b32_e32 v16, v19, v16
	;; [unrolled: 1-line block ×3, first 2 shown]
	v_mbcnt_lo_u32_b32 v18, v16, 0
	v_mbcnt_hi_u32_b32 v70, v17, v18
	v_cmp_eq_u32_e32 vcc, 0, v70
	v_cmp_ne_u64_e64 s[16:17], 0, v[16:17]
	s_and_b64 s[20:21], s[16:17], vcc
	; wave barrier
	s_and_saveexec_b64 s[16:17], s[20:21]
	s_cbranch_execz .LBB82_73
; %bb.72:
	v_bcnt_u32_b32 v16, v16, 0
	v_bcnt_u32_b32 v16, v17, v16
	s_waitcnt lgkmcnt(0)
	v_add_u32_e32 v16, v68, v16
	ds_write_b32 v69, v16 offset:8
.LBB82_73:
	s_or_b64 exec, exec, s[16:17]
	v_and_b32_e32 v18, s18, v26
	v_and_b32_e32 v17, 1, v18
	v_add_co_u32_e32 v19, vcc, -1, v17
	v_mov_b32_e32 v74, 1
	v_addc_co_u32_e64 v73, s[16:17], 0, -1, vcc
	v_cmp_ne_u32_e32 vcc, 0, v17
	v_lshlrev_b32_sdwa v16, v74, v18 dst_sel:DWORD dst_unused:UNUSED_PAD src0_sel:DWORD src1_sel:BYTE_0
	v_xor_b32_e32 v17, vcc_hi, v73
	v_add_lshl_u32 v72, v39, v16, 2
	v_mov_b32_e32 v16, 0
	v_and_b32_e32 v73, exec_hi, v17
	v_lshlrev_b32_e32 v17, 30, v18
	v_xor_b32_e32 v19, vcc_lo, v19
	v_cmp_gt_i64_e32 vcc, 0, v[16:17]
	v_not_b32_e32 v17, v17
	v_ashrrev_i32_e32 v17, 31, v17
	v_and_b32_e32 v19, exec_lo, v19
	v_xor_b32_e32 v75, vcc_hi, v17
	v_xor_b32_e32 v17, vcc_lo, v17
	v_and_b32_e32 v19, v19, v17
	v_lshlrev_b32_e32 v17, 29, v18
	v_cmp_gt_i64_e32 vcc, 0, v[16:17]
	v_not_b32_e32 v17, v17
	v_ashrrev_i32_e32 v17, 31, v17
	v_and_b32_e32 v73, v73, v75
	v_xor_b32_e32 v75, vcc_hi, v17
	v_xor_b32_e32 v17, vcc_lo, v17
	v_and_b32_e32 v19, v19, v17
	v_lshlrev_b32_e32 v17, 28, v18
	v_cmp_gt_i64_e32 vcc, 0, v[16:17]
	v_not_b32_e32 v17, v17
	v_ashrrev_i32_e32 v17, 31, v17
	v_and_b32_e32 v73, v73, v75
	;; [unrolled: 8-line block ×5, first 2 shown]
	v_xor_b32_e32 v75, vcc_hi, v17
	v_xor_b32_e32 v17, vcc_lo, v17
	v_and_b32_e32 v73, v73, v75
	v_and_b32_e32 v75, v19, v17
	v_lshlrev_b32_e32 v17, 24, v18
	v_cmp_gt_i64_e32 vcc, 0, v[16:17]
	v_not_b32_e32 v17, v17
	v_ashrrev_i32_e32 v17, 31, v17
	v_xor_b32_e32 v18, vcc_hi, v17
	v_xor_b32_e32 v17, vcc_lo, v17
	; wave barrier
	ds_read_b32 v71, v72 offset:8
	v_and_b32_e32 v19, v73, v18
	v_and_b32_e32 v18, v75, v17
	v_mbcnt_lo_u32_b32 v17, v18, 0
	v_mbcnt_hi_u32_b32 v73, v19, v17
	v_cmp_eq_u32_e32 vcc, 0, v73
	v_cmp_ne_u64_e64 s[16:17], 0, v[18:19]
	s_and_b64 s[20:21], s[16:17], vcc
	; wave barrier
	s_and_saveexec_b64 s[16:17], s[20:21]
	s_cbranch_execz .LBB82_75
; %bb.74:
	v_bcnt_u32_b32 v17, v18, 0
	v_bcnt_u32_b32 v17, v19, v17
	s_waitcnt lgkmcnt(0)
	v_add_u32_e32 v17, v71, v17
	ds_write_b32 v72, v17 offset:8
.LBB82_75:
	s_or_b64 exec, exec, s[16:17]
	v_and_b32_e32 v18, s18, v27
	v_lshlrev_b32_sdwa v17, v74, v18 dst_sel:DWORD dst_unused:UNUSED_PAD src0_sel:DWORD src1_sel:BYTE_0
	v_add_lshl_u32 v74, v39, v17, 2
	v_and_b32_e32 v17, 1, v18
	v_add_co_u32_e32 v19, vcc, -1, v17
	v_addc_co_u32_e64 v76, s[16:17], 0, -1, vcc
	v_cmp_ne_u32_e32 vcc, 0, v17
	v_xor_b32_e32 v17, vcc_hi, v76
	v_and_b32_e32 v76, exec_hi, v17
	v_lshlrev_b32_e32 v17, 30, v18
	v_xor_b32_e32 v19, vcc_lo, v19
	v_cmp_gt_i64_e32 vcc, 0, v[16:17]
	v_not_b32_e32 v17, v17
	v_ashrrev_i32_e32 v17, 31, v17
	v_and_b32_e32 v19, exec_lo, v19
	v_xor_b32_e32 v77, vcc_hi, v17
	v_xor_b32_e32 v17, vcc_lo, v17
	v_and_b32_e32 v19, v19, v17
	v_lshlrev_b32_e32 v17, 29, v18
	v_cmp_gt_i64_e32 vcc, 0, v[16:17]
	v_not_b32_e32 v17, v17
	v_ashrrev_i32_e32 v17, 31, v17
	v_and_b32_e32 v76, v76, v77
	v_xor_b32_e32 v77, vcc_hi, v17
	v_xor_b32_e32 v17, vcc_lo, v17
	v_and_b32_e32 v19, v19, v17
	v_lshlrev_b32_e32 v17, 28, v18
	v_cmp_gt_i64_e32 vcc, 0, v[16:17]
	v_not_b32_e32 v17, v17
	v_ashrrev_i32_e32 v17, 31, v17
	v_and_b32_e32 v76, v76, v77
	;; [unrolled: 8-line block ×5, first 2 shown]
	v_xor_b32_e32 v77, vcc_hi, v17
	v_xor_b32_e32 v17, vcc_lo, v17
	v_and_b32_e32 v19, v19, v17
	v_lshlrev_b32_e32 v17, 24, v18
	v_cmp_gt_i64_e32 vcc, 0, v[16:17]
	v_not_b32_e32 v16, v17
	v_ashrrev_i32_e32 v16, 31, v16
	v_xor_b32_e32 v17, vcc_hi, v16
	v_xor_b32_e32 v16, vcc_lo, v16
	; wave barrier
	ds_read_b32 v39, v74 offset:8
	v_and_b32_e32 v76, v76, v77
	v_and_b32_e32 v16, v19, v16
	;; [unrolled: 1-line block ×3, first 2 shown]
	v_mbcnt_lo_u32_b32 v18, v16, 0
	v_mbcnt_hi_u32_b32 v76, v17, v18
	v_cmp_eq_u32_e32 vcc, 0, v76
	v_cmp_ne_u64_e64 s[16:17], 0, v[16:17]
	v_or_b32_e32 v75, 8, v61
	s_and_b64 s[18:19], s[16:17], vcc
	; wave barrier
	s_and_saveexec_b64 s[16:17], s[18:19]
	s_cbranch_execz .LBB82_77
; %bb.76:
	v_bcnt_u32_b32 v16, v16, 0
	v_bcnt_u32_b32 v16, v17, v16
	s_waitcnt lgkmcnt(0)
	v_add_u32_e32 v16, v39, v16
	ds_write_b32 v74, v16 offset:8
.LBB82_77:
	s_or_b64 exec, exec, s[16:17]
	; wave barrier
	s_waitcnt lgkmcnt(0)
	s_barrier
	ds_read2_b32 v[16:17], v61 offset0:2 offset1:3
	ds_read2_b32 v[18:19], v75 offset0:2 offset1:3
	v_min_u32_e32 v29, 64, v29
	v_or_b32_e32 v29, 63, v29
	s_waitcnt lgkmcnt(1)
	v_add_u32_e32 v77, v17, v16
	s_waitcnt lgkmcnt(0)
	v_add3_u32 v19, v77, v18, v19
	v_and_b32_e32 v77, 15, v28
	v_cmp_ne_u32_e32 vcc, 0, v77
	v_mov_b32_dpp v78, v19 row_shr:1 row_mask:0xf bank_mask:0xf
	v_cndmask_b32_e32 v78, 0, v78, vcc
	v_add_u32_e32 v19, v78, v19
	v_cmp_lt_u32_e32 vcc, 1, v77
	s_nop 0
	v_mov_b32_dpp v78, v19 row_shr:2 row_mask:0xf bank_mask:0xf
	v_cndmask_b32_e32 v78, 0, v78, vcc
	v_add_u32_e32 v19, v19, v78
	v_cmp_lt_u32_e32 vcc, 3, v77
	s_nop 0
	;; [unrolled: 5-line block ×3, first 2 shown]
	v_mov_b32_dpp v78, v19 row_shr:8 row_mask:0xf bank_mask:0xf
	v_cndmask_b32_e32 v77, 0, v78, vcc
	v_add_u32_e32 v19, v19, v77
	v_bfe_i32 v78, v28, 4, 1
	v_cmp_lt_u32_e32 vcc, 31, v28
	v_mov_b32_dpp v77, v19 row_bcast:15 row_mask:0xf bank_mask:0xf
	v_and_b32_e32 v77, v78, v77
	v_add_u32_e32 v19, v19, v77
	s_nop 1
	v_mov_b32_dpp v77, v19 row_bcast:31 row_mask:0xf bank_mask:0xf
	v_cndmask_b32_e32 v77, 0, v77, vcc
	v_add_u32_e32 v19, v19, v77
	v_lshrrev_b32_e32 v77, 6, v36
	v_cmp_eq_u32_e32 vcc, v29, v36
	s_and_saveexec_b64 s[16:17], vcc
	s_cbranch_execz .LBB82_79
; %bb.78:
	v_lshlrev_b32_e32 v29, 2, v77
	ds_write_b32 v29, v19
.LBB82_79:
	s_or_b64 exec, exec, s[16:17]
	v_cmp_gt_u32_e32 vcc, 2, v36
	s_waitcnt lgkmcnt(0)
	s_barrier
	s_and_saveexec_b64 s[16:17], vcc
	s_cbranch_execz .LBB82_81
; %bb.80:
	v_lshlrev_b32_e32 v29, 2, v36
	ds_read_b32 v78, v29
	v_bfe_i32 v79, v28, 0, 1
	s_waitcnt lgkmcnt(0)
	v_mov_b32_dpp v80, v78 row_shr:1 row_mask:0xf bank_mask:0xf
	v_and_b32_e32 v79, v79, v80
	v_add_u32_e32 v78, v79, v78
	ds_write_b32 v29, v78
.LBB82_81:
	s_or_b64 exec, exec, s[16:17]
	v_cmp_lt_u32_e32 vcc, 63, v36
	v_mov_b32_e32 v29, 0
	s_waitcnt lgkmcnt(0)
	s_barrier
	s_and_saveexec_b64 s[16:17], vcc
	s_cbranch_execz .LBB82_83
; %bb.82:
	v_lshl_add_u32 v29, v77, 2, -4
	ds_read_b32 v29, v29
.LBB82_83:
	s_or_b64 exec, exec, s[16:17]
	v_add_u32_e32 v77, -1, v28
	v_and_b32_e32 v78, 64, v28
	v_cmp_lt_i32_e32 vcc, v77, v78
	v_cndmask_b32_e32 v77, v77, v28, vcc
	s_waitcnt lgkmcnt(0)
	v_add_u32_e32 v19, v29, v19
	v_lshlrev_b32_e32 v77, 2, v77
	ds_bpermute_b32 v19, v77, v19
	v_cmp_eq_u32_e32 vcc, 0, v28
	s_waitcnt lgkmcnt(0)
	v_cndmask_b32_e32 v19, v19, v29, vcc
	v_cmp_ne_u32_e32 vcc, 0, v36
	v_cndmask_b32_e32 v19, 0, v19, vcc
	v_add_u32_e32 v16, v19, v16
	v_add_u32_e32 v17, v16, v17
	;; [unrolled: 1-line block ×3, first 2 shown]
	ds_write2_b32 v61, v19, v16 offset0:2 offset1:3
	ds_write2_b32 v75, v17, v18 offset0:2 offset1:3
	s_waitcnt lgkmcnt(0)
	s_barrier
	ds_read_b32 v16, v30 offset:8
	ds_read_b32 v17, v33 offset:8
	;; [unrolled: 1-line block ×8, first 2 shown]
	s_waitcnt lgkmcnt(7)
	v_add_u32_e32 v31, v16, v31
	s_waitcnt lgkmcnt(6)
	v_add3_u32 v32, v38, v32, v17
	s_waitcnt lgkmcnt(5)
	v_add3_u32 v18, v43, v40, v18
	;; [unrolled: 2-line block ×7, first 2 shown]
	s_barrier
	ds_write_b8 v31, v20
	ds_write_b8 v32, v21
	;; [unrolled: 1-line block ×8, first 2 shown]
	v_lshlrev_b32_e32 v20, 3, v31
	s_waitcnt lgkmcnt(0)
	s_barrier
	ds_read_b64 v[16:17], v53
	s_waitcnt lgkmcnt(0)
	s_barrier
	ds_write_b64 v20, v[12:13]
	v_lshlrev_b32_e32 v12, 3, v32
	ds_write_b64 v12, v[14:15]
	v_lshlrev_b32_e32 v12, 3, v18
	ds_write_b64 v12, v[8:9]
	v_lshlrev_b32_e32 v8, 3, v19
	ds_write_b64 v8, v[10:11]
	v_lshlrev_b32_e32 v8, 3, v28
	ds_write_b64 v8, v[4:5]
	v_lshlrev_b32_e32 v4, 3, v29
	ds_write_b64 v4, v[6:7]
	v_lshlrev_b32_e32 v4, 3, v30
	ds_write_b64 v4, v[0:1]
	v_lshlrev_b32_e32 v0, 3, v33
	ds_write_b64 v0, v[2:3]
	v_lshlrev_b32_e32 v0, 3, v53
	s_waitcnt lgkmcnt(0)
	s_barrier
	ds_read2_b64 v[18:21], v0 offset1:1
	ds_read2_b64 v[22:25], v0 offset0:2 offset1:3
	ds_read2_b64 v[26:29], v0 offset0:4 offset1:5
	;; [unrolled: 1-line block ×3, first 2 shown]
	v_lshrrev_b32_e32 v36, 8, v16
	v_mov_b32_e32 v1, -1
	v_lshrrev_b32_e32 v38, 8, v17
	v_xor_b32_e32 v0, -1, v16
	v_xor_b32_sdwa v2, v36, v1 dst_sel:BYTE_1 dst_unused:UNUSED_PAD src0_sel:DWORD src1_sel:DWORD
	v_xor_b32_sdwa v3, v16, v1 dst_sel:DWORD dst_unused:UNUSED_PAD src0_sel:WORD_1 src1_sel:DWORD
	v_xor_b32_sdwa v4, v16, v1 dst_sel:BYTE_1 dst_unused:UNUSED_PAD src0_sel:BYTE_3 src1_sel:DWORD
	v_xor_b32_e32 v5, -1, v17
	v_xor_b32_sdwa v6, v38, v1 dst_sel:BYTE_1 dst_unused:UNUSED_PAD src0_sel:DWORD src1_sel:DWORD
	v_xor_b32_sdwa v7, v17, v1 dst_sel:DWORD dst_unused:UNUSED_PAD src0_sel:WORD_1 src1_sel:DWORD
	v_xor_b32_sdwa v1, v17, v1 dst_sel:BYTE_1 dst_unused:UNUSED_PAD src0_sel:BYTE_3 src1_sel:DWORD
	v_or_b32_sdwa v0, v0, v2 dst_sel:DWORD dst_unused:UNUSED_PAD src0_sel:BYTE_0 src1_sel:DWORD
	v_or_b32_sdwa v2, v3, v4 dst_sel:WORD_1 dst_unused:UNUSED_PAD src0_sel:BYTE_0 src1_sel:DWORD
	v_or_b32_sdwa v0, v0, v2 dst_sel:DWORD dst_unused:UNUSED_PAD src0_sel:WORD_0 src1_sel:DWORD
	v_or_b32_sdwa v2, v5, v6 dst_sel:DWORD dst_unused:UNUSED_PAD src0_sel:BYTE_0 src1_sel:DWORD
	v_or_b32_sdwa v1, v7, v1 dst_sel:WORD_1 dst_unused:UNUSED_PAD src0_sel:BYTE_0 src1_sel:DWORD
	v_or_b32_sdwa v1, v2, v1 dst_sel:DWORD dst_unused:UNUSED_PAD src0_sel:WORD_0 src1_sel:DWORD
.LBB82_84:
	s_waitcnt lgkmcnt(0)
	s_barrier
	ds_write_b64 v52, v[0:1]
	s_waitcnt lgkmcnt(0)
	s_barrier
	ds_read_u8 v8, v45 offset:128
	ds_read_u8 v7, v46 offset:256
	;; [unrolled: 1-line block ×7, first 2 shown]
	v_mov_b32_e32 v1, s41
	v_add_co_u32_e32 v0, vcc, s40, v37
	v_addc_co_u32_e32 v1, vcc, 0, v1, vcc
	s_and_saveexec_b64 s[16:17], s[0:1]
	s_cbranch_execnz .LBB82_103
; %bb.85:
	s_or_b64 exec, exec, s[16:17]
	s_and_saveexec_b64 s[16:17], s[2:3]
	s_cbranch_execnz .LBB82_104
.LBB82_86:
	s_or_b64 exec, exec, s[16:17]
	s_and_saveexec_b64 s[16:17], s[4:5]
	s_cbranch_execnz .LBB82_105
.LBB82_87:
	s_or_b64 exec, exec, s[16:17]
	s_and_saveexec_b64 s[16:17], s[6:7]
	s_cbranch_execnz .LBB82_106
.LBB82_88:
	s_or_b64 exec, exec, s[16:17]
	s_and_saveexec_b64 s[16:17], s[8:9]
	s_cbranch_execnz .LBB82_107
.LBB82_89:
	s_or_b64 exec, exec, s[16:17]
	s_and_saveexec_b64 s[16:17], s[10:11]
	s_cbranch_execnz .LBB82_108
.LBB82_90:
	s_or_b64 exec, exec, s[16:17]
	s_and_saveexec_b64 s[16:17], s[12:13]
	s_cbranch_execnz .LBB82_109
.LBB82_91:
	s_or_b64 exec, exec, s[16:17]
	s_and_saveexec_b64 s[16:17], s[14:15]
	s_cbranch_execz .LBB82_93
.LBB82_92:
	s_mul_i32 s18, s38, 0x380
	v_add_co_u32_e32 v0, vcc, s18, v0
	v_addc_co_u32_e32 v1, vcc, 0, v1, vcc
	s_waitcnt lgkmcnt(0)
	global_store_byte v[0:1], v2, off
.LBB82_93:
	s_or_b64 exec, exec, s[16:17]
	s_waitcnt lgkmcnt(0)
	s_barrier
	ds_write2_b64 v60, v[18:19], v[20:21] offset1:1
	ds_write2_b64 v60, v[22:23], v[24:25] offset0:2 offset1:3
	ds_write2_b64 v60, v[26:27], v[28:29] offset0:4 offset1:5
	;; [unrolled: 1-line block ×3, first 2 shown]
	s_waitcnt lgkmcnt(0)
	s_barrier
	ds_read_b64 v[14:15], v35 offset:1024
	ds_read_b64 v[12:13], v54 offset:2048
	;; [unrolled: 1-line block ×7, first 2 shown]
	v_mov_b32_e32 v35, 0
	v_lshlrev_b64 v[2:3], 3, v[34:35]
	v_mov_b32_e32 v16, s35
	v_add_co_u32_e32 v2, vcc, s33, v2
	v_addc_co_u32_e32 v3, vcc, v16, v3, vcc
	s_and_saveexec_b64 s[16:17], s[0:1]
	s_cbranch_execnz .LBB82_110
; %bb.94:
	s_or_b64 exec, exec, s[16:17]
	s_and_saveexec_b64 s[0:1], s[2:3]
	s_cbranch_execnz .LBB82_111
.LBB82_95:
	s_or_b64 exec, exec, s[0:1]
	s_and_saveexec_b64 s[0:1], s[4:5]
	s_cbranch_execnz .LBB82_112
.LBB82_96:
	s_or_b64 exec, exec, s[0:1]
	s_and_saveexec_b64 s[0:1], s[6:7]
	s_cbranch_execnz .LBB82_113
.LBB82_97:
	s_or_b64 exec, exec, s[0:1]
	s_and_saveexec_b64 s[0:1], s[8:9]
	s_cbranch_execnz .LBB82_114
.LBB82_98:
	s_or_b64 exec, exec, s[0:1]
	s_and_saveexec_b64 s[0:1], s[10:11]
	s_cbranch_execnz .LBB82_115
.LBB82_99:
	s_or_b64 exec, exec, s[0:1]
	s_and_saveexec_b64 s[0:1], s[12:13]
	s_cbranch_execnz .LBB82_116
.LBB82_100:
	s_or_b64 exec, exec, s[0:1]
	s_and_saveexec_b64 s[0:1], s[14:15]
	s_cbranch_execz .LBB82_102
.LBB82_101:
	s_mul_i32 s0, s34, 0x380
	s_mov_b32 s1, 0
	s_lshl_b64 s[0:1], s[0:1], 3
	s_waitcnt lgkmcnt(1)
	v_mov_b32_e32 v4, s1
	v_add_co_u32_e32 v2, vcc, s0, v2
	v_addc_co_u32_e32 v3, vcc, v3, v4, vcc
	s_waitcnt lgkmcnt(0)
	global_store_dwordx2 v[2:3], v[0:1], off
.LBB82_102:
	s_endpgm
.LBB82_103:
	ds_read_u8 v9, v44
	s_waitcnt lgkmcnt(0)
	global_store_byte v[0:1], v9, off
	s_or_b64 exec, exec, s[16:17]
	s_and_saveexec_b64 s[16:17], s[2:3]
	s_cbranch_execz .LBB82_86
.LBB82_104:
	s_lshl_b32 s18, s38, 7
	v_add_co_u32_e32 v10, vcc, s18, v0
	v_addc_co_u32_e32 v11, vcc, 0, v1, vcc
	s_waitcnt lgkmcnt(6)
	global_store_byte v[10:11], v8, off
	s_or_b64 exec, exec, s[16:17]
	s_and_saveexec_b64 s[16:17], s[4:5]
	s_cbranch_execz .LBB82_87
.LBB82_105:
	s_lshl_b32 s18, s38, 8
	s_waitcnt lgkmcnt(6)
	v_add_co_u32_e32 v8, vcc, s18, v0
	v_addc_co_u32_e32 v9, vcc, 0, v1, vcc
	s_waitcnt lgkmcnt(5)
	global_store_byte v[8:9], v7, off
	s_or_b64 exec, exec, s[16:17]
	s_and_saveexec_b64 s[16:17], s[6:7]
	s_cbranch_execz .LBB82_88
.LBB82_106:
	s_mul_i32 s18, s38, 0x180
	s_waitcnt lgkmcnt(6)
	v_add_co_u32_e32 v8, vcc, s18, v0
	v_addc_co_u32_e32 v9, vcc, 0, v1, vcc
	s_waitcnt lgkmcnt(4)
	global_store_byte v[8:9], v6, off
	s_or_b64 exec, exec, s[16:17]
	s_and_saveexec_b64 s[16:17], s[8:9]
	s_cbranch_execz .LBB82_89
.LBB82_107:
	s_lshl_b32 s18, s38, 9
	s_waitcnt lgkmcnt(4)
	v_add_co_u32_e32 v6, vcc, s18, v0
	v_addc_co_u32_e32 v7, vcc, 0, v1, vcc
	s_waitcnt lgkmcnt(3)
	global_store_byte v[6:7], v5, off
	s_or_b64 exec, exec, s[16:17]
	s_and_saveexec_b64 s[16:17], s[10:11]
	s_cbranch_execz .LBB82_90
.LBB82_108:
	s_mul_i32 s18, s38, 0x280
	s_waitcnt lgkmcnt(4)
	v_add_co_u32_e32 v6, vcc, s18, v0
	v_addc_co_u32_e32 v7, vcc, 0, v1, vcc
	s_waitcnt lgkmcnt(2)
	global_store_byte v[6:7], v4, off
	s_or_b64 exec, exec, s[16:17]
	s_and_saveexec_b64 s[16:17], s[12:13]
	s_cbranch_execz .LBB82_91
.LBB82_109:
	s_mul_i32 s18, s38, 0x300
	s_waitcnt lgkmcnt(2)
	v_add_co_u32_e32 v4, vcc, s18, v0
	v_addc_co_u32_e32 v5, vcc, 0, v1, vcc
	s_waitcnt lgkmcnt(1)
	global_store_byte v[4:5], v3, off
	s_or_b64 exec, exec, s[16:17]
	s_and_saveexec_b64 s[16:17], s[14:15]
	s_cbranch_execnz .LBB82_92
	s_branch .LBB82_93
.LBB82_110:
	ds_read_b64 v[16:17], v41
	s_waitcnt lgkmcnt(0)
	global_store_dwordx2 v[2:3], v[16:17], off
	s_or_b64 exec, exec, s[16:17]
	s_and_saveexec_b64 s[0:1], s[2:3]
	s_cbranch_execz .LBB82_95
.LBB82_111:
	s_lshl_b32 s2, s34, 7
	s_mov_b32 s3, 0
	s_lshl_b64 s[2:3], s[2:3], 3
	v_mov_b32_e32 v17, s3
	v_add_co_u32_e32 v16, vcc, s2, v2
	v_addc_co_u32_e32 v17, vcc, v3, v17, vcc
	s_waitcnt lgkmcnt(6)
	global_store_dwordx2 v[16:17], v[14:15], off
	s_or_b64 exec, exec, s[0:1]
	s_and_saveexec_b64 s[0:1], s[4:5]
	s_cbranch_execz .LBB82_96
.LBB82_112:
	s_lshl_b32 s2, s34, 8
	s_mov_b32 s3, 0
	s_lshl_b64 s[2:3], s[2:3], 3
	s_waitcnt lgkmcnt(6)
	v_mov_b32_e32 v15, s3
	v_add_co_u32_e32 v14, vcc, s2, v2
	v_addc_co_u32_e32 v15, vcc, v3, v15, vcc
	s_waitcnt lgkmcnt(5)
	global_store_dwordx2 v[14:15], v[12:13], off
	s_or_b64 exec, exec, s[0:1]
	s_and_saveexec_b64 s[0:1], s[6:7]
	s_cbranch_execz .LBB82_97
.LBB82_113:
	s_mul_i32 s2, s34, 0x180
	s_mov_b32 s3, 0
	s_lshl_b64 s[2:3], s[2:3], 3
	s_waitcnt lgkmcnt(5)
	v_mov_b32_e32 v13, s3
	v_add_co_u32_e32 v12, vcc, s2, v2
	v_addc_co_u32_e32 v13, vcc, v3, v13, vcc
	s_waitcnt lgkmcnt(4)
	global_store_dwordx2 v[12:13], v[10:11], off
	s_or_b64 exec, exec, s[0:1]
	s_and_saveexec_b64 s[0:1], s[8:9]
	s_cbranch_execz .LBB82_98
.LBB82_114:
	s_lshl_b32 s2, s34, 9
	s_mov_b32 s3, 0
	s_lshl_b64 s[2:3], s[2:3], 3
	s_waitcnt lgkmcnt(4)
	v_mov_b32_e32 v11, s3
	v_add_co_u32_e32 v10, vcc, s2, v2
	v_addc_co_u32_e32 v11, vcc, v3, v11, vcc
	s_waitcnt lgkmcnt(3)
	global_store_dwordx2 v[10:11], v[8:9], off
	s_or_b64 exec, exec, s[0:1]
	s_and_saveexec_b64 s[0:1], s[10:11]
	s_cbranch_execz .LBB82_99
.LBB82_115:
	s_mul_i32 s2, s34, 0x280
	s_mov_b32 s3, 0
	s_lshl_b64 s[2:3], s[2:3], 3
	s_waitcnt lgkmcnt(3)
	v_mov_b32_e32 v9, s3
	v_add_co_u32_e32 v8, vcc, s2, v2
	v_addc_co_u32_e32 v9, vcc, v3, v9, vcc
	s_waitcnt lgkmcnt(2)
	global_store_dwordx2 v[8:9], v[6:7], off
	s_or_b64 exec, exec, s[0:1]
	s_and_saveexec_b64 s[0:1], s[12:13]
	s_cbranch_execz .LBB82_100
.LBB82_116:
	s_mul_i32 s2, s34, 0x300
	s_mov_b32 s3, 0
	s_lshl_b64 s[2:3], s[2:3], 3
	s_waitcnt lgkmcnt(2)
	v_mov_b32_e32 v7, s3
	v_add_co_u32_e32 v6, vcc, s2, v2
	v_addc_co_u32_e32 v7, vcc, v3, v7, vcc
	s_waitcnt lgkmcnt(1)
	global_store_dwordx2 v[6:7], v[4:5], off
	s_or_b64 exec, exec, s[0:1]
	s_and_saveexec_b64 s[0:1], s[14:15]
	s_cbranch_execnz .LBB82_101
	s_branch .LBB82_102
	.section	.rodata,"a",@progbits
	.p2align	6, 0x0
	.amdhsa_kernel _ZN2at6native18radixSortKVInPlaceILin2ELin1ELi128ELi8EhljEEvNS_4cuda6detail10TensorInfoIT3_T5_EES6_S6_S6_NS4_IT4_S6_EES6_b
		.amdhsa_group_segment_fixed_size 8448
		.amdhsa_private_segment_fixed_size 0
		.amdhsa_kernarg_size 712
		.amdhsa_user_sgpr_count 6
		.amdhsa_user_sgpr_private_segment_buffer 1
		.amdhsa_user_sgpr_dispatch_ptr 0
		.amdhsa_user_sgpr_queue_ptr 0
		.amdhsa_user_sgpr_kernarg_segment_ptr 1
		.amdhsa_user_sgpr_dispatch_id 0
		.amdhsa_user_sgpr_flat_scratch_init 0
		.amdhsa_user_sgpr_kernarg_preload_length 0
		.amdhsa_user_sgpr_kernarg_preload_offset 0
		.amdhsa_user_sgpr_private_segment_size 0
		.amdhsa_uses_dynamic_stack 0
		.amdhsa_system_sgpr_private_segment_wavefront_offset 0
		.amdhsa_system_sgpr_workgroup_id_x 1
		.amdhsa_system_sgpr_workgroup_id_y 1
		.amdhsa_system_sgpr_workgroup_id_z 1
		.amdhsa_system_sgpr_workgroup_info 0
		.amdhsa_system_vgpr_workitem_id 2
		.amdhsa_next_free_vgpr 105
		.amdhsa_next_free_sgpr 46
		.amdhsa_accum_offset 108
		.amdhsa_reserve_vcc 1
		.amdhsa_reserve_flat_scratch 0
		.amdhsa_float_round_mode_32 0
		.amdhsa_float_round_mode_16_64 0
		.amdhsa_float_denorm_mode_32 3
		.amdhsa_float_denorm_mode_16_64 3
		.amdhsa_dx10_clamp 1
		.amdhsa_ieee_mode 1
		.amdhsa_fp16_overflow 0
		.amdhsa_tg_split 0
		.amdhsa_exception_fp_ieee_invalid_op 0
		.amdhsa_exception_fp_denorm_src 0
		.amdhsa_exception_fp_ieee_div_zero 0
		.amdhsa_exception_fp_ieee_overflow 0
		.amdhsa_exception_fp_ieee_underflow 0
		.amdhsa_exception_fp_ieee_inexact 0
		.amdhsa_exception_int_div_zero 0
	.end_amdhsa_kernel
	.section	.text._ZN2at6native18radixSortKVInPlaceILin2ELin1ELi128ELi8EhljEEvNS_4cuda6detail10TensorInfoIT3_T5_EES6_S6_S6_NS4_IT4_S6_EES6_b,"axG",@progbits,_ZN2at6native18radixSortKVInPlaceILin2ELin1ELi128ELi8EhljEEvNS_4cuda6detail10TensorInfoIT3_T5_EES6_S6_S6_NS4_IT4_S6_EES6_b,comdat
.Lfunc_end82:
	.size	_ZN2at6native18radixSortKVInPlaceILin2ELin1ELi128ELi8EhljEEvNS_4cuda6detail10TensorInfoIT3_T5_EES6_S6_S6_NS4_IT4_S6_EES6_b, .Lfunc_end82-_ZN2at6native18radixSortKVInPlaceILin2ELin1ELi128ELi8EhljEEvNS_4cuda6detail10TensorInfoIT3_T5_EES6_S6_S6_NS4_IT4_S6_EES6_b
                                        ; -- End function
	.section	.AMDGPU.csdata,"",@progbits
; Kernel info:
; codeLenInByte = 11704
; NumSgprs: 50
; NumVgprs: 105
; NumAgprs: 0
; TotalNumVgprs: 105
; ScratchSize: 0
; MemoryBound: 0
; FloatMode: 240
; IeeeMode: 1
; LDSByteSize: 8448 bytes/workgroup (compile time only)
; SGPRBlocks: 6
; VGPRBlocks: 13
; NumSGPRsForWavesPerEU: 50
; NumVGPRsForWavesPerEU: 105
; AccumOffset: 108
; Occupancy: 4
; WaveLimiterHint : 1
; COMPUTE_PGM_RSRC2:SCRATCH_EN: 0
; COMPUTE_PGM_RSRC2:USER_SGPR: 6
; COMPUTE_PGM_RSRC2:TRAP_HANDLER: 0
; COMPUTE_PGM_RSRC2:TGID_X_EN: 1
; COMPUTE_PGM_RSRC2:TGID_Y_EN: 1
; COMPUTE_PGM_RSRC2:TGID_Z_EN: 1
; COMPUTE_PGM_RSRC2:TIDIG_COMP_CNT: 2
; COMPUTE_PGM_RSRC3_GFX90A:ACCUM_OFFSET: 26
; COMPUTE_PGM_RSRC3_GFX90A:TG_SPLIT: 0
	.section	.text._ZN2at6native18radixSortKVInPlaceILin2ELin1ELi32ELi4EhljEEvNS_4cuda6detail10TensorInfoIT3_T5_EES6_S6_S6_NS4_IT4_S6_EES6_b,"axG",@progbits,_ZN2at6native18radixSortKVInPlaceILin2ELin1ELi32ELi4EhljEEvNS_4cuda6detail10TensorInfoIT3_T5_EES6_S6_S6_NS4_IT4_S6_EES6_b,comdat
	.protected	_ZN2at6native18radixSortKVInPlaceILin2ELin1ELi32ELi4EhljEEvNS_4cuda6detail10TensorInfoIT3_T5_EES6_S6_S6_NS4_IT4_S6_EES6_b ; -- Begin function _ZN2at6native18radixSortKVInPlaceILin2ELin1ELi32ELi4EhljEEvNS_4cuda6detail10TensorInfoIT3_T5_EES6_S6_S6_NS4_IT4_S6_EES6_b
	.globl	_ZN2at6native18radixSortKVInPlaceILin2ELin1ELi32ELi4EhljEEvNS_4cuda6detail10TensorInfoIT3_T5_EES6_S6_S6_NS4_IT4_S6_EES6_b
	.p2align	8
	.type	_ZN2at6native18radixSortKVInPlaceILin2ELin1ELi32ELi4EhljEEvNS_4cuda6detail10TensorInfoIT3_T5_EES6_S6_S6_NS4_IT4_S6_EES6_b,@function
_ZN2at6native18radixSortKVInPlaceILin2ELin1ELi32ELi4EhljEEvNS_4cuda6detail10TensorInfoIT3_T5_EES6_S6_S6_NS4_IT4_S6_EES6_b: ; @_ZN2at6native18radixSortKVInPlaceILin2ELin1ELi32ELi4EhljEEvNS_4cuda6detail10TensorInfoIT3_T5_EES6_S6_S6_NS4_IT4_S6_EES6_b
; %bb.0:
	s_load_dwordx2 s[0:1], s[4:5], 0x1c8
	s_load_dwordx4 s[20:23], s[4:5], 0xd8
	s_waitcnt lgkmcnt(0)
	s_mul_i32 s1, s1, s8
	s_add_i32 s1, s1, s7
	s_mul_i32 s8, s1, s0
	s_add_i32 s8, s8, s6
	s_cmp_ge_u32 s8, s20
	s_cbranch_scc1 .LBB83_70
; %bb.1:
	s_load_dword s6, s[4:5], 0x1b8
	s_load_dwordx2 s[0:1], s[4:5], 0x0
	s_add_u32 s2, s4, 0xe8
	s_addc_u32 s3, s5, 0
	s_mov_b32 s11, 0
	s_waitcnt lgkmcnt(0)
	s_cmp_lt_i32 s6, 2
	s_mov_b32 s10, s8
	s_cbranch_scc1 .LBB83_4
; %bb.2:
	s_add_i32 s10, s6, -1
	s_add_i32 s9, s6, 1
	s_lshl_b64 s[6:7], s[10:11], 2
	s_add_u32 s6, s6, s2
	s_addc_u32 s7, s7, s3
	s_add_u32 s6, s6, 8
	s_addc_u32 s7, s7, 0
	s_mov_b32 s10, s8
.LBB83_3:                               ; =>This Inner Loop Header: Depth=1
	s_load_dword s12, s[6:7], 0x0
	s_load_dword s14, s[6:7], 0x64
	s_mov_b32 s13, s10
	s_waitcnt lgkmcnt(0)
	v_cvt_f32_u32_e32 v1, s12
	s_sub_i32 s10, 0, s12
	v_rcp_iflag_f32_e32 v1, v1
	v_mul_f32_e32 v1, 0x4f7ffffe, v1
	v_cvt_u32_f32_e32 v1, v1
	v_readfirstlane_b32 s15, v1
	s_mul_i32 s10, s10, s15
	s_mul_hi_u32 s10, s15, s10
	s_add_i32 s15, s15, s10
	s_mul_hi_u32 s10, s13, s15
	s_mul_i32 s15, s10, s12
	s_sub_i32 s15, s13, s15
	s_add_i32 s16, s10, 1
	s_sub_i32 s17, s15, s12
	s_cmp_ge_u32 s15, s12
	s_cselect_b32 s10, s16, s10
	s_cselect_b32 s15, s17, s15
	s_add_i32 s16, s10, 1
	s_cmp_ge_u32 s15, s12
	s_cselect_b32 s10, s16, s10
	s_mul_i32 s12, s10, s12
	s_sub_i32 s12, s13, s12
	s_mul_i32 s12, s14, s12
	s_add_i32 s9, s9, -1
	s_add_i32 s11, s12, s11
	s_add_u32 s6, s6, -4
	s_addc_u32 s7, s7, -1
	s_cmp_gt_u32 s9, 2
	s_cbranch_scc1 .LBB83_3
.LBB83_4:
	s_load_dword s6, s[4:5], 0x6c
	s_load_dwordx2 s[24:25], s[4:5], 0x1c0
	v_mul_lo_u32 v28, v0, s22
	s_waitcnt lgkmcnt(0)
	s_mul_i32 s6, s6, s8
	s_bitcmp1_b32 s25, 0
	s_cselect_b64 s[4:5], -1, 0
	s_add_u32 s26, s0, s6
	s_addc_u32 s27, s1, 0
	s_xor_b64 s[8:9], s[4:5], -1
	v_cndmask_b32_e64 v3, 0, -1, s[8:9]
	v_lshlrev_b16_e32 v1, 8, v3
	v_or_b32_sdwa v1, v3, v1 dst_sel:DWORD dst_unused:UNUSED_PAD src0_sel:BYTE_0 src1_sel:DWORD
	v_lshlrev_b32_e32 v2, 16, v1
	v_or_b32_sdwa v2, v1, v2 dst_sel:DWORD dst_unused:UNUSED_PAD src0_sel:WORD_0 src1_sel:DWORD
	v_cmp_gt_u32_e64 s[0:1], s21, v0
	s_and_saveexec_b64 s[4:5], s[0:1]
	s_cbranch_execz .LBB83_6
; %bb.5:
	global_load_ubyte v3, v28, s[26:27]
	s_mov_b32 s6, 0x3020104
	s_waitcnt vmcnt(0)
	v_perm_b32 v2, v3, v2, s6
.LBB83_6:
	s_or_b64 exec, exec, s[4:5]
	v_or_b32_e32 v1, 32, v0
	v_cmp_gt_u32_e64 s[6:7], s21, v1
	s_and_saveexec_b64 s[4:5], s[6:7]
	s_cbranch_execz .LBB83_8
; %bb.7:
	v_mul_lo_u32 v4, v1, s22
	global_load_ubyte v4, v4, s[26:27]
	s_mov_b32 s12, 0x7060004
	s_waitcnt vmcnt(0)
	v_perm_b32 v2, v2, v4, s12
.LBB83_8:
	s_or_b64 exec, exec, s[4:5]
	s_load_dwordx2 s[12:13], s[2:3], 0x0
	v_or_b32_e32 v10, 64, v0
	v_cmp_gt_u32_e64 s[4:5], s21, v10
	s_and_saveexec_b64 s[14:15], s[4:5]
	s_cbranch_execz .LBB83_10
; %bb.9:
	v_mul_lo_u32 v4, v10, s22
	global_load_ubyte v4, v4, s[26:27]
	s_mov_b32 s16, 0x7000504
	s_waitcnt vmcnt(0)
	v_perm_b32 v2, v2, v4, s16
.LBB83_10:
	s_or_b64 exec, exec, s[14:15]
	s_load_dword s16, s[2:3], 0x6c
	v_or_b32_e32 v11, 0x60, v0
	v_cmp_gt_u32_e64 s[2:3], s21, v11
	s_and_saveexec_b64 s[14:15], s[2:3]
	s_cbranch_execz .LBB83_12
; %bb.11:
	v_mul_lo_u32 v4, v11, s22
	global_load_ubyte v4, v4, s[26:27]
	s_mov_b32 s17, 0x60504
	s_waitcnt vmcnt(0)
	v_perm_b32 v2, v2, v4, s17
.LBB83_12:
	s_or_b64 exec, exec, s[14:15]
	ds_write_b8 v0, v3
	v_lshrrev_b32_e32 v3, 8, v2
	ds_write_b8 v0, v3 offset:32
	ds_write_b8_d16_hi v0, v2 offset:64
	v_lshrrev_b32_e32 v2, 24, v2
	v_lshlrev_b32_e32 v29, 2, v0
	ds_write_b8 v0, v2 offset:96
	s_waitcnt lgkmcnt(0)
	; wave barrier
	s_waitcnt lgkmcnt(0)
	ds_read_u8 v37, v29
	ds_read_u8 v36, v29 offset:1
	ds_read_u8 v35, v29 offset:2
	;; [unrolled: 1-line block ×3, first 2 shown]
	s_mul_i32 s10, s16, s10
	s_add_i32 s36, s10, s11
	s_mov_b32 s37, 0
	s_lshl_b64 s[10:11], s[36:37], 3
	s_mov_b32 s36, s37
	s_add_u32 s23, s12, s10
	s_mov_b32 s38, s37
	s_mov_b32 s39, s37
	;; [unrolled: 1-line block ×6, first 2 shown]
	v_pk_mov_b32 v[2:3], s[36:37], s[36:37] op_sel:[0,1]
	s_addc_u32 s25, s13, s11
	v_pk_mov_b32 v[4:5], s[38:39], s[38:39] op_sel:[0,1]
	v_pk_mov_b32 v[6:7], s[40:41], s[40:41] op_sel:[0,1]
	v_pk_mov_b32 v[8:9], s[42:43], s[42:43] op_sel:[0,1]
	v_pk_mov_b32 v[2:3], 0, 0
	v_mul_lo_u32 v18, v0, s24
	s_waitcnt lgkmcnt(0)
	; wave barrier
	s_waitcnt lgkmcnt(0)
	s_and_saveexec_b64 s[10:11], s[0:1]
	s_cbranch_execnz .LBB83_26
; %bb.13:
	s_or_b64 exec, exec, s[10:11]
	s_and_saveexec_b64 s[10:11], s[6:7]
	s_cbranch_execnz .LBB83_27
.LBB83_14:
	s_or_b64 exec, exec, s[10:11]
	s_and_saveexec_b64 s[10:11], s[4:5]
	s_cbranch_execz .LBB83_16
.LBB83_15:
	v_mul_lo_u32 v6, v10, s24
	v_mov_b32_e32 v7, 0
	v_lshlrev_b64 v[6:7], 3, v[6:7]
	v_mov_b32_e32 v12, s25
	v_add_co_u32_e32 v6, vcc, s23, v6
	v_addc_co_u32_e32 v7, vcc, v12, v7, vcc
	global_load_dwordx2 v[6:7], v[6:7], off
.LBB83_16:
	s_or_b64 exec, exec, s[10:11]
	v_lshrrev_b32_e32 v14, 5, v1
	v_lshrrev_b32_e32 v13, 5, v10
	;; [unrolled: 1-line block ×4, first 2 shown]
	s_and_saveexec_b64 s[10:11], s[2:3]
	s_cbranch_execz .LBB83_18
; %bb.17:
	v_mul_lo_u32 v8, v11, s24
	v_mov_b32_e32 v9, 0
	v_lshlrev_b64 v[8:9], 3, v[8:9]
	v_mov_b32_e32 v11, s25
	v_add_co_u32_e32 v8, vcc, s23, v8
	v_addc_co_u32_e32 v9, vcc, v11, v9, vcc
	global_load_dwordx2 v[8:9], v[8:9], off
.LBB83_18:
	s_or_b64 exec, exec, s[10:11]
	v_lshlrev_b32_e32 v30, 3, v0
	v_add_lshl_u32 v19, v14, v0, 3
	v_add_lshl_u32 v31, v13, v0, 3
	;; [unrolled: 1-line block ×4, first 2 shown]
	s_waitcnt vmcnt(0)
	ds_write_b64 v30, v[2:3]
	ds_write_b64 v19, v[4:5] offset:256
	ds_write_b64 v31, v[6:7] offset:512
	;; [unrolled: 1-line block ×3, first 2 shown]
	s_waitcnt lgkmcnt(0)
	; wave barrier
	s_waitcnt lgkmcnt(0)
	ds_read2_b64 v[2:5], v33 offset1:1
	ds_read2_b64 v[6:9], v33 offset0:2 offset1:3
	s_and_b64 vcc, exec, s[8:9]
	s_waitcnt lgkmcnt(0)
	; wave barrier
	s_waitcnt lgkmcnt(0)
	s_cbranch_vccz .LBB83_28
; %bb.19:
	s_movk_i32 s8, 0x100
	v_cmp_gt_u32_e64 s[8:9], s8, v0
	s_getpc_b64 s[10:11]
	s_add_u32 s10, s10, _ZN7rocprim17ROCPRIM_400000_NS16block_radix_sortIhLj32ELj4ElLj1ELj1ELj0ELNS0_26block_radix_rank_algorithmE1ELNS0_18block_padding_hintE2ELNS0_4arch9wavefront6targetE1EE19radix_bits_per_passE@rel32@lo+4
	s_addc_u32 s11, s11, _ZN7rocprim17ROCPRIM_400000_NS16block_radix_sortIhLj32ELj4ElLj1ELj1ELj0ELNS0_26block_radix_rank_algorithmE1ELNS0_18block_padding_hintE2ELNS0_4arch9wavefront6targetE1EE19radix_bits_per_passE@rel32@hi+12
	s_and_saveexec_b64 s[12:13], s[8:9]
	s_cbranch_execz .LBB83_29
; %bb.20:
	s_mov_b32 s20, 0
	s_mov_b64 s[14:15], 0
	v_mov_b32_e32 v12, 0
	v_pk_mov_b32 v[10:11], v[0:1], v[0:1] op_sel:[0,1]
	s_branch .LBB83_22
.LBB83_21:                              ;   in Loop: Header=BB83_22 Depth=1
	s_or_b64 exec, exec, s[18:19]
	s_add_i32 s20, s20, 2
	v_cmp_eq_u32_e64 s[16:17], 8, s20
	v_add_u32_e32 v11, 64, v11
	s_or_b64 s[14:15], s[16:17], s[14:15]
	v_add_u32_e32 v10, 64, v10
	s_andn2_b64 exec, exec, s[14:15]
	s_cbranch_execz .LBB83_29
.LBB83_22:                              ; =>This Inner Loop Header: Depth=1
	s_or_b32 s16, s20, 1
	v_cmp_le_u32_e64 s[16:17], s16, 7
	v_cmp_le_u32_e64 s[28:29], s20, 7
	s_and_saveexec_b64 s[18:19], s[28:29]
	s_cbranch_execz .LBB83_24
; %bb.23:                               ;   in Loop: Header=BB83_22 Depth=1
	v_lshlrev_b32_e32 v13, 2, v10
	ds_write_b32 v13, v12
.LBB83_24:                              ;   in Loop: Header=BB83_22 Depth=1
	s_or_b64 exec, exec, s[18:19]
	s_and_saveexec_b64 s[18:19], s[16:17]
	s_cbranch_execz .LBB83_21
; %bb.25:                               ;   in Loop: Header=BB83_22 Depth=1
	v_lshlrev_b32_e32 v13, 2, v11
	ds_write_b32 v13, v12
	s_branch .LBB83_21
.LBB83_26:
	v_mov_b32_e32 v19, 0
	v_lshlrev_b64 v[2:3], 3, v[18:19]
	v_mov_b32_e32 v4, s25
	v_add_co_u32_e32 v2, vcc, s23, v2
	v_addc_co_u32_e32 v3, vcc, v4, v3, vcc
	global_load_dwordx2 v[2:3], v[2:3], off
	v_mov_b32_e32 v4, v19
	v_mov_b32_e32 v5, v19
	;; [unrolled: 1-line block ×6, first 2 shown]
	s_or_b64 exec, exec, s[10:11]
	s_and_saveexec_b64 s[10:11], s[6:7]
	s_cbranch_execz .LBB83_14
.LBB83_27:
	v_mul_lo_u32 v4, v1, s24
	v_mov_b32_e32 v5, 0
	v_lshlrev_b64 v[4:5], 3, v[4:5]
	v_mov_b32_e32 v12, s25
	v_add_co_u32_e32 v4, vcc, s23, v4
	v_addc_co_u32_e32 v5, vcc, v12, v5, vcc
	global_load_dwordx2 v[4:5], v[4:5], off
	s_or_b64 exec, exec, s[10:11]
	s_and_saveexec_b64 s[10:11], s[4:5]
	s_cbranch_execnz .LBB83_15
	s_branch .LBB83_16
.LBB83_28:
                                        ; implicit-def: $vgpr16_vgpr17
                                        ; implicit-def: $vgpr12_vgpr13
                                        ; implicit-def: $vgpr20
	s_cbranch_execnz .LBB83_41
	s_branch .LBB83_60
.LBB83_29:
	s_or_b64 exec, exec, s[12:13]
	s_load_dword s33, s[10:11], 0x0
	s_movk_i32 s11, 0xe0
	v_lshlrev_b32_e32 v38, 5, v0
	s_waitcnt lgkmcnt(0)
	s_min_u32 s10, s33, 8
	s_lshl_b32 s10, -1, s10
	s_not_b32 s10, s10
	v_and_b32_e32 v10, s10, v37
	v_bfe_u32 v11, v10, 3, 5
	v_lshlrev_b32_e32 v10, 5, v10
	v_and_or_b32 v10, v10, s11, v0
	v_lshlrev_b32_e32 v10, 1, v10
	v_add_lshl_u32 v21, v10, v11, 1
	ds_read_u16 v20, v21
	v_and_b32_e32 v10, s10, v36
	v_bfe_u32 v11, v10, 3, 5
	v_lshlrev_b32_e32 v10, 5, v10
	v_and_or_b32 v10, v10, s11, v0
	s_waitcnt lgkmcnt(0)
	v_add_u16_e32 v12, 1, v20
	v_lshlrev_b32_e32 v10, 1, v10
	ds_write_b16 v21, v12
	v_add_lshl_u32 v24, v10, v11, 1
	ds_read_u16 v23, v24
	v_and_b32_e32 v10, s10, v35
	s_waitcnt lgkmcnt(0)
	v_add_u16_e32 v11, 1, v23
	ds_write_b16 v24, v11
	v_bfe_u32 v11, v10, 3, 5
	v_lshlrev_b32_e32 v10, 5, v10
	v_and_or_b32 v10, v10, s11, v0
	v_lshlrev_b32_e32 v10, 1, v10
	v_add_lshl_u32 v26, v10, v11, 1
	ds_read_u16 v25, v26
	v_mbcnt_lo_u32_b32 v10, -1, 0
	v_mbcnt_hi_u32_b32 v41, -1, v10
	v_and_b32_e32 v10, s10, v34
	v_and_b32_e32 v22, 15, v41
	s_waitcnt lgkmcnt(0)
	v_add_u16_e32 v11, 1, v25
	ds_write_b16 v26, v11
	v_bfe_u32 v11, v10, 3, 5
	v_lshlrev_b32_e32 v10, 5, v10
	v_and_or_b32 v10, v10, s11, v0
	v_lshlrev_b32_e32 v10, 1, v10
	v_add_lshl_u32 v39, v10, v11, 1
	ds_read_u16 v27, v39
	v_and_b32_e32 v10, 16, v41
	v_cmp_eq_u32_e32 vcc, 0, v10
	v_cmp_eq_u32_e64 s[14:15], 0, v22
	v_cmp_lt_u32_e64 s[16:17], 1, v22
	s_waitcnt lgkmcnt(0)
	v_add_u16_e32 v10, 1, v27
	ds_write_b16 v39, v10
	s_waitcnt lgkmcnt(0)
	; wave barrier
	s_waitcnt lgkmcnt(0)
	ds_read2_b32 v[16:17], v38 offset1:1
	ds_read2_b32 v[14:15], v38 offset0:2 offset1:3
	ds_read2_b32 v[10:11], v38 offset0:4 offset1:5
	;; [unrolled: 1-line block ×3, first 2 shown]
	v_cmp_lt_u32_e64 s[18:19], 3, v22
	s_waitcnt lgkmcnt(3)
	v_add_u32_e32 v42, v17, v16
	s_waitcnt lgkmcnt(2)
	v_add3_u32 v42, v42, v14, v15
	s_waitcnt lgkmcnt(1)
	v_add3_u32 v42, v42, v10, v11
	;; [unrolled: 2-line block ×3, first 2 shown]
	v_cmp_lt_u32_e64 s[20:21], 7, v22
	v_bfe_i32 v40, v41, 4, 1
	v_mov_b32_dpp v42, v13 row_shr:1 row_mask:0xf bank_mask:0xf
	v_cndmask_b32_e64 v42, v42, 0, s[14:15]
	v_add_u32_e32 v13, v42, v13
	v_cmp_eq_u32_e64 s[10:11], 31, v0
	s_nop 0
	v_mov_b32_dpp v42, v13 row_shr:2 row_mask:0xf bank_mask:0xf
	v_cndmask_b32_e64 v42, 0, v42, s[16:17]
	v_add_u32_e32 v13, v13, v42
	s_nop 1
	v_mov_b32_dpp v42, v13 row_shr:4 row_mask:0xf bank_mask:0xf
	v_cndmask_b32_e64 v42, 0, v42, s[18:19]
	v_add_u32_e32 v13, v13, v42
	;; [unrolled: 4-line block ×3, first 2 shown]
	s_nop 1
	v_mov_b32_dpp v22, v13 row_bcast:15 row_mask:0xf bank_mask:0xf
	v_and_b32_e32 v22, v40, v22
	v_add_u32_e32 v13, v13, v22
	s_and_saveexec_b64 s[12:13], s[10:11]
	s_cbranch_execz .LBB83_31
; %bb.30:
	v_mov_b32_e32 v22, 0
	ds_write_b32 v22, v13 offset:1024
.LBB83_31:
	s_or_b64 exec, exec, s[12:13]
	v_add_u32_e32 v22, -1, v41
	v_and_b32_e32 v40, 0x60, v41
	v_cmp_lt_i32_e64 s[12:13], v22, v40
	v_cndmask_b32_e64 v22, v22, v41, s[12:13]
	v_lshlrev_b32_e32 v40, 2, v22
	ds_bpermute_b32 v13, v40, v13
	v_mov_b32_e32 v22, 0
	s_waitcnt lgkmcnt(0)
	; wave barrier
	s_waitcnt lgkmcnt(0)
	ds_read_b32 v42, v22 offset:1024
	v_cmp_eq_u32_e64 s[12:13], 0, v41
	v_cndmask_b32_e64 v13, v13, 0, s[12:13]
	s_waitcnt lgkmcnt(0)
	v_lshl_add_u32 v13, v42, 16, v13
	v_add_u32_e32 v16, v13, v16
	v_add_u32_e32 v17, v16, v17
	;; [unrolled: 1-line block ×7, first 2 shown]
	ds_write2_b32 v38, v13, v16 offset1:1
	ds_write2_b32 v38, v17, v14 offset0:2 offset1:3
	ds_write2_b32 v38, v15, v10 offset0:4 offset1:5
	;; [unrolled: 1-line block ×3, first 2 shown]
	s_waitcnt lgkmcnt(0)
	; wave barrier
	s_waitcnt lgkmcnt(0)
	ds_read_u16 v10, v21
	ds_read_u16 v11, v24
	ds_read_u16 v12, v26
	ds_read_u16 v13, v39
	s_waitcnt lgkmcnt(0)
	v_add_u32_sdwa v10, v10, v20 dst_sel:DWORD dst_unused:UNUSED_PAD src0_sel:DWORD src1_sel:WORD_0
	v_add_u32_sdwa v11, v11, v23 dst_sel:DWORD dst_unused:UNUSED_PAD src0_sel:DWORD src1_sel:WORD_0
	;; [unrolled: 1-line block ×4, first 2 shown]
	; wave barrier
	ds_write_b8 v10, v37
	ds_write_b8 v11, v36
	;; [unrolled: 1-line block ×4, first 2 shown]
	v_lshlrev_b32_e32 v10, 3, v10
	s_waitcnt lgkmcnt(0)
	; wave barrier
	s_waitcnt lgkmcnt(0)
	ds_read_u8 v41, v29
	ds_read_u8 v42, v29 offset:1
	ds_read_u8 v43, v29 offset:2
	;; [unrolled: 1-line block ×3, first 2 shown]
	s_waitcnt lgkmcnt(0)
	; wave barrier
	s_waitcnt lgkmcnt(0)
	ds_write_b64 v10, v[2:3]
	v_lshlrev_b32_e32 v10, 3, v11
	ds_write_b64 v10, v[4:5]
	v_lshlrev_b32_e32 v10, 3, v12
	v_lshlrev_b32_e32 v39, 3, v29
	ds_write_b64 v10, v[6:7]
	v_lshlrev_b32_e32 v10, 3, v13
	ds_write_b64 v10, v[8:9]
	s_waitcnt lgkmcnt(0)
	; wave barrier
	s_waitcnt lgkmcnt(0)
	ds_read2_b64 v[14:17], v39 offset1:1
	ds_read2_b64 v[10:13], v39 offset0:2 offset1:3
	s_waitcnt lgkmcnt(0)
	; wave barrier
	s_waitcnt lgkmcnt(0)
	s_and_saveexec_b64 s[28:29], s[8:9]
	s_cbranch_execz .LBB83_38
; %bb.32:
	s_mov_b32 s36, 0
	s_mov_b64 s[8:9], 0
	v_pk_mov_b32 v[20:21], v[0:1], v[0:1] op_sel:[0,1]
	s_branch .LBB83_34
.LBB83_33:                              ;   in Loop: Header=BB83_34 Depth=1
	s_or_b64 exec, exec, s[34:35]
	s_add_i32 s36, s36, 2
	v_cmp_eq_u32_e64 s[30:31], 8, s36
	v_add_u32_e32 v21, 64, v21
	s_or_b64 s[8:9], s[30:31], s[8:9]
	v_add_u32_e32 v20, 64, v20
	s_andn2_b64 exec, exec, s[8:9]
	s_cbranch_execz .LBB83_38
.LBB83_34:                              ; =>This Inner Loop Header: Depth=1
	s_or_b32 s30, s36, 1
	v_cmp_le_u32_e64 s[30:31], s30, 7
	v_cmp_le_u32_e64 s[38:39], s36, 7
	s_and_saveexec_b64 s[34:35], s[38:39]
	s_cbranch_execz .LBB83_36
; %bb.35:                               ;   in Loop: Header=BB83_34 Depth=1
	v_lshlrev_b32_e32 v23, 2, v20
	ds_write_b32 v23, v22
.LBB83_36:                              ;   in Loop: Header=BB83_34 Depth=1
	s_or_b64 exec, exec, s[34:35]
	s_and_saveexec_b64 s[34:35], s[30:31]
	s_cbranch_execz .LBB83_33
; %bb.37:                               ;   in Loop: Header=BB83_34 Depth=1
	v_lshlrev_b32_e32 v23, 2, v21
	ds_write_b32 v23, v22
	s_branch .LBB83_33
.LBB83_38:
	s_or_b64 exec, exec, s[28:29]
	s_min_u32 s8, s33, 4
	s_lshl_b32 s8, -1, s8
	v_lshrrev_b16_e32 v20, 4, v41
	s_not_b32 s8, s8
	v_and_b32_e32 v20, 15, v20
	v_and_b32_sdwa v20, v20, s8 dst_sel:DWORD dst_unused:UNUSED_PAD src0_sel:WORD_0 src1_sel:DWORD
	v_lshlrev_b32_e32 v21, 5, v20
	s_movk_i32 s9, 0xe0
	v_lshrrev_b32_e32 v20, 2, v20
	v_and_or_b32 v21, v21, s9, v0
	v_and_b32_e32 v20, 2, v20
	v_lshl_or_b32 v46, v21, 2, v20
	ds_read_u16 v45, v46
	s_waitcnt lgkmcnt(0)
	v_add_u16_e32 v20, 1, v45
	ds_write_b16 v46, v20
	v_lshrrev_b16_e32 v20, 4, v42
	v_and_b32_e32 v20, 15, v20
	v_and_b32_sdwa v20, v20, s8 dst_sel:DWORD dst_unused:UNUSED_PAD src0_sel:WORD_0 src1_sel:DWORD
	v_lshlrev_b32_e32 v21, 5, v20
	v_lshrrev_b32_e32 v20, 2, v20
	v_and_or_b32 v21, v21, s9, v0
	v_and_b32_e32 v20, 2, v20
	v_lshl_or_b32 v48, v21, 2, v20
	ds_read_u16 v47, v48
	s_waitcnt lgkmcnt(0)
	v_add_u16_e32 v20, 1, v47
	ds_write_b16 v48, v20
	v_lshrrev_b16_e32 v20, 4, v43
	v_and_b32_e32 v20, 15, v20
	v_and_b32_sdwa v20, v20, s8 dst_sel:DWORD dst_unused:UNUSED_PAD src0_sel:WORD_0 src1_sel:DWORD
	v_lshlrev_b32_e32 v21, 5, v20
	;; [unrolled: 12-line block ×3, first 2 shown]
	v_lshrrev_b32_e32 v20, 2, v20
	v_and_or_b32 v21, v21, s9, v0
	v_and_b32_e32 v20, 2, v20
	v_lshl_or_b32 v52, v21, 2, v20
	ds_read_u16 v51, v52
	s_waitcnt lgkmcnt(0)
	v_add_u16_e32 v20, 1, v51
	ds_write_b16 v52, v20
	s_waitcnt lgkmcnt(0)
	; wave barrier
	s_waitcnt lgkmcnt(0)
	ds_read2_b32 v[26:27], v38 offset1:1
	ds_read2_b32 v[24:25], v38 offset0:2 offset1:3
	ds_read2_b32 v[20:21], v38 offset0:4 offset1:5
	;; [unrolled: 1-line block ×3, first 2 shown]
	s_waitcnt lgkmcnt(3)
	v_add_u32_e32 v53, v27, v26
	s_waitcnt lgkmcnt(2)
	v_add3_u32 v53, v53, v24, v25
	s_waitcnt lgkmcnt(1)
	v_add3_u32 v53, v53, v20, v21
	s_waitcnt lgkmcnt(0)
	v_add3_u32 v23, v53, v22, v23
	s_nop 1
	v_mov_b32_dpp v53, v23 row_shr:1 row_mask:0xf bank_mask:0xf
	v_cndmask_b32_e64 v53, v53, 0, s[14:15]
	v_add_u32_e32 v23, v53, v23
	s_nop 1
	v_mov_b32_dpp v53, v23 row_shr:2 row_mask:0xf bank_mask:0xf
	v_cndmask_b32_e64 v53, 0, v53, s[16:17]
	v_add_u32_e32 v23, v23, v53
	;; [unrolled: 4-line block ×4, first 2 shown]
	s_nop 1
	v_mov_b32_dpp v53, v23 row_bcast:15 row_mask:0xf bank_mask:0xf
	v_cndmask_b32_e64 v53, v53, 0, vcc
	v_add_u32_e32 v23, v23, v53
	s_and_saveexec_b64 s[8:9], s[10:11]
	s_cbranch_execz .LBB83_40
; %bb.39:
	v_mov_b32_e32 v53, 0
	ds_write_b32 v53, v23 offset:1024
.LBB83_40:
	s_or_b64 exec, exec, s[8:9]
	ds_bpermute_b32 v23, v40, v23
	v_mov_b32_e32 v40, 0
	s_waitcnt lgkmcnt(0)
	; wave barrier
	s_waitcnt lgkmcnt(0)
	ds_read_b32 v40, v40 offset:1024
	v_cndmask_b32_e64 v23, v23, 0, s[12:13]
	s_waitcnt lgkmcnt(0)
	v_lshl_add_u32 v23, v40, 16, v23
	v_add_u32_e32 v26, v23, v26
	v_add_u32_e32 v27, v26, v27
	;; [unrolled: 1-line block ×7, first 2 shown]
	ds_write2_b32 v38, v23, v26 offset1:1
	ds_write2_b32 v38, v27, v24 offset0:2 offset1:3
	ds_write2_b32 v38, v25, v20 offset0:4 offset1:5
	;; [unrolled: 1-line block ×3, first 2 shown]
	s_waitcnt lgkmcnt(0)
	; wave barrier
	s_waitcnt lgkmcnt(0)
	ds_read_u16 v20, v52
	ds_read_u16 v21, v50
	ds_read_u16 v22, v48
	ds_read_u16 v23, v46
	s_waitcnt lgkmcnt(0)
	v_add_u32_sdwa v20, v20, v51 dst_sel:DWORD dst_unused:UNUSED_PAD src0_sel:DWORD src1_sel:WORD_0
	v_add_u32_sdwa v21, v21, v49 dst_sel:DWORD dst_unused:UNUSED_PAD src0_sel:DWORD src1_sel:WORD_0
	;; [unrolled: 1-line block ×4, first 2 shown]
	; wave barrier
	ds_write_b8 v23, v41
	ds_write_b8 v22, v42
	;; [unrolled: 1-line block ×4, first 2 shown]
	v_lshlrev_b32_e32 v23, 3, v23
	s_waitcnt lgkmcnt(0)
	; wave barrier
	s_waitcnt lgkmcnt(0)
	ds_read_u8 v24, v29 offset:1
	ds_read_u8 v25, v29
	ds_read_u8 v26, v29 offset:2
	ds_read_u8 v27, v29 offset:3
	s_waitcnt lgkmcnt(0)
	; wave barrier
	s_waitcnt lgkmcnt(0)
	ds_write_b64 v23, v[14:15]
	v_lshlrev_b32_e32 v14, 3, v22
	ds_write_b64 v14, v[16:17]
	v_lshlrev_b32_e32 v14, 3, v21
	;; [unrolled: 2-line block ×3, first 2 shown]
	ds_write_b64 v10, v[12:13]
	s_waitcnt lgkmcnt(0)
	; wave barrier
	s_waitcnt lgkmcnt(0)
	ds_read2_b64 v[10:13], v39 offset1:1
	ds_read2_b64 v[14:17], v39 offset0:2 offset1:3
	v_lshlrev_b16_e32 v24, 8, v24
	v_lshlrev_b16_e32 v20, 8, v27
	v_or_b32_e32 v24, v25, v24
	v_or_b32_sdwa v20, v26, v20 dst_sel:WORD_1 dst_unused:UNUSED_PAD src0_sel:DWORD src1_sel:DWORD
	v_or_b32_sdwa v20, v24, v20 dst_sel:DWORD dst_unused:UNUSED_PAD src0_sel:WORD_0 src1_sel:DWORD
	s_branch .LBB83_60
.LBB83_41:
	s_movk_i32 s8, 0x100
	v_cmp_gt_u32_e64 s[8:9], s8, v0
	s_getpc_b64 s[10:11]
	s_add_u32 s10, s10, _ZN7rocprim17ROCPRIM_400000_NS16block_radix_sortIhLj32ELj4ElLj1ELj1ELj0ELNS0_26block_radix_rank_algorithmE1ELNS0_18block_padding_hintE2ELNS0_4arch9wavefront6targetE1EE19radix_bits_per_passE@rel32@lo+4
	s_addc_u32 s11, s11, _ZN7rocprim17ROCPRIM_400000_NS16block_radix_sortIhLj32ELj4ElLj1ELj1ELj0ELNS0_26block_radix_rank_algorithmE1ELNS0_18block_padding_hintE2ELNS0_4arch9wavefront6targetE1EE19radix_bits_per_passE@rel32@hi+12
	s_and_saveexec_b64 s[12:13], s[8:9]
	s_cbranch_execz .LBB83_48
; %bb.42:
	s_mov_b32 s20, 0
	s_mov_b64 s[14:15], 0
	s_waitcnt lgkmcnt(1)
	v_mov_b32_e32 v12, 0
	v_pk_mov_b32 v[10:11], v[0:1], v[0:1] op_sel:[0,1]
	s_branch .LBB83_44
.LBB83_43:                              ;   in Loop: Header=BB83_44 Depth=1
	s_or_b64 exec, exec, s[18:19]
	s_add_i32 s20, s20, 2
	v_cmp_eq_u32_e64 s[16:17], 8, s20
	v_add_u32_e32 v11, 64, v11
	s_or_b64 s[14:15], s[16:17], s[14:15]
	v_add_u32_e32 v10, 64, v10
	s_andn2_b64 exec, exec, s[14:15]
	s_cbranch_execz .LBB83_48
.LBB83_44:                              ; =>This Inner Loop Header: Depth=1
	s_or_b32 s16, s20, 1
	v_cmp_le_u32_e64 s[16:17], s16, 7
	v_cmp_le_u32_e64 s[28:29], s20, 7
	s_and_saveexec_b64 s[18:19], s[28:29]
	s_cbranch_execz .LBB83_46
; %bb.45:                               ;   in Loop: Header=BB83_44 Depth=1
	v_lshlrev_b32_e32 v13, 2, v10
	ds_write_b32 v13, v12
.LBB83_46:                              ;   in Loop: Header=BB83_44 Depth=1
	s_or_b64 exec, exec, s[18:19]
	s_and_saveexec_b64 s[18:19], s[16:17]
	s_cbranch_execz .LBB83_43
; %bb.47:                               ;   in Loop: Header=BB83_44 Depth=1
	v_lshlrev_b32_e32 v13, 2, v11
	ds_write_b32 v13, v12
	s_branch .LBB83_43
.LBB83_48:
	s_or_b64 exec, exec, s[12:13]
	s_load_dword s33, s[10:11], 0x0
	v_xor_b32_e32 v23, -1, v37
	s_movk_i32 s11, 0xe0
	v_xor_b32_e32 v24, -1, v36
	v_xor_b32_e32 v26, -1, v35
	s_waitcnt lgkmcnt(0)
	s_min_u32 s10, s33, 8
	s_lshl_b32 s10, -1, s10
	s_not_b32 s10, s10
	v_and_b32_e32 v10, s10, v23
	v_bfe_u32 v11, v10, 3, 5
	v_lshlrev_b32_e32 v10, 5, v10
	v_and_or_b32 v10, v10, s11, v0
	v_lshlrev_b32_e32 v10, 1, v10
	v_add_lshl_u32 v21, v10, v11, 1
	ds_read_u16 v25, v21
	v_xor_b32_e32 v34, -1, v34
	v_lshlrev_b32_e32 v20, 5, v0
	s_waitcnt lgkmcnt(0)
	v_add_u16_e32 v10, 1, v25
	ds_write_b16 v21, v10
	v_and_b32_e32 v10, s10, v24
	v_bfe_u32 v11, v10, 3, 5
	v_lshlrev_b32_e32 v10, 5, v10
	v_and_or_b32 v10, v10, s11, v0
	v_lshlrev_b32_e32 v10, 1, v10
	v_add_lshl_u32 v36, v10, v11, 1
	ds_read_u16 v27, v36
	s_waitcnt lgkmcnt(0)
	v_add_u16_e32 v10, 1, v27
	ds_write_b16 v36, v10
	v_and_b32_e32 v10, s10, v26
	v_bfe_u32 v11, v10, 3, 5
	v_lshlrev_b32_e32 v10, 5, v10
	v_and_or_b32 v10, v10, s11, v0
	v_lshlrev_b32_e32 v10, 1, v10
	v_add_lshl_u32 v37, v10, v11, 1
	ds_read_u16 v35, v37
	v_mbcnt_lo_u32_b32 v10, -1, 0
	v_mbcnt_hi_u32_b32 v40, -1, v10
	v_and_b32_e32 v22, 15, v40
	v_cmp_eq_u32_e64 s[14:15], 0, v22
	s_waitcnt lgkmcnt(0)
	v_add_u16_e32 v10, 1, v35
	ds_write_b16 v37, v10
	v_and_b32_e32 v10, s10, v34
	v_bfe_u32 v11, v10, 3, 5
	v_lshlrev_b32_e32 v10, 5, v10
	v_and_or_b32 v10, v10, s11, v0
	v_lshlrev_b32_e32 v10, 1, v10
	v_add_lshl_u32 v39, v10, v11, 1
	ds_read_u16 v38, v39
	v_and_b32_e32 v10, 16, v40
	v_cmp_eq_u32_e32 vcc, 0, v10
	v_cmp_lt_u32_e64 s[16:17], 1, v22
	v_cmp_lt_u32_e64 s[18:19], 3, v22
	s_waitcnt lgkmcnt(0)
	v_add_u16_e32 v10, 1, v38
	ds_write_b16 v39, v10
	s_waitcnt lgkmcnt(0)
	; wave barrier
	s_waitcnt lgkmcnt(0)
	ds_read2_b32 v[16:17], v20 offset1:1
	ds_read2_b32 v[14:15], v20 offset0:2 offset1:3
	ds_read2_b32 v[10:11], v20 offset0:4 offset1:5
	;; [unrolled: 1-line block ×3, first 2 shown]
	v_cmp_lt_u32_e64 s[20:21], 7, v22
	s_waitcnt lgkmcnt(3)
	v_add_u32_e32 v42, v17, v16
	s_waitcnt lgkmcnt(2)
	v_add3_u32 v42, v42, v14, v15
	s_waitcnt lgkmcnt(1)
	v_add3_u32 v42, v42, v10, v11
	;; [unrolled: 2-line block ×3, first 2 shown]
	v_bfe_i32 v41, v40, 4, 1
	v_cmp_eq_u32_e64 s[10:11], 31, v0
	v_mov_b32_dpp v42, v13 row_shr:1 row_mask:0xf bank_mask:0xf
	v_cndmask_b32_e64 v42, v42, 0, s[14:15]
	v_add_u32_e32 v13, v42, v13
	s_nop 1
	v_mov_b32_dpp v42, v13 row_shr:2 row_mask:0xf bank_mask:0xf
	v_cndmask_b32_e64 v42, 0, v42, s[16:17]
	v_add_u32_e32 v13, v13, v42
	s_nop 1
	;; [unrolled: 4-line block ×4, first 2 shown]
	v_mov_b32_dpp v22, v13 row_bcast:15 row_mask:0xf bank_mask:0xf
	v_and_b32_e32 v22, v41, v22
	v_add_u32_e32 v13, v13, v22
	s_and_saveexec_b64 s[12:13], s[10:11]
	s_cbranch_execz .LBB83_50
; %bb.49:
	v_mov_b32_e32 v22, 0
	ds_write_b32 v22, v13 offset:1024
.LBB83_50:
	s_or_b64 exec, exec, s[12:13]
	v_add_u32_e32 v22, -1, v40
	v_and_b32_e32 v41, 0x60, v40
	v_cmp_lt_i32_e64 s[12:13], v22, v41
	v_cndmask_b32_e64 v22, v22, v40, s[12:13]
	v_lshlrev_b32_e32 v22, 2, v22
	ds_bpermute_b32 v41, v22, v13
	v_mov_b32_e32 v13, 0
	s_waitcnt lgkmcnt(0)
	; wave barrier
	s_waitcnt lgkmcnt(0)
	ds_read_b32 v42, v13 offset:1024
	v_cmp_eq_u32_e64 s[12:13], 0, v40
	v_cndmask_b32_e64 v40, v41, 0, s[12:13]
	s_waitcnt lgkmcnt(0)
	v_lshl_add_u32 v40, v42, 16, v40
	v_add_u32_e32 v16, v40, v16
	v_add_u32_e32 v17, v16, v17
	;; [unrolled: 1-line block ×7, first 2 shown]
	ds_write2_b32 v20, v40, v16 offset1:1
	ds_write2_b32 v20, v17, v14 offset0:2 offset1:3
	ds_write2_b32 v20, v15, v10 offset0:4 offset1:5
	;; [unrolled: 1-line block ×3, first 2 shown]
	s_waitcnt lgkmcnt(0)
	; wave barrier
	s_waitcnt lgkmcnt(0)
	ds_read_u16 v10, v21
	ds_read_u16 v11, v36
	;; [unrolled: 1-line block ×4, first 2 shown]
	s_waitcnt lgkmcnt(0)
	v_add_u32_sdwa v10, v10, v25 dst_sel:DWORD dst_unused:UNUSED_PAD src0_sel:DWORD src1_sel:WORD_0
	v_add_u32_sdwa v11, v11, v27 dst_sel:DWORD dst_unused:UNUSED_PAD src0_sel:DWORD src1_sel:WORD_0
	;; [unrolled: 1-line block ×4, first 2 shown]
	; wave barrier
	ds_write_b8 v10, v23
	ds_write_b8 v11, v24
	;; [unrolled: 1-line block ×4, first 2 shown]
	v_lshlrev_b32_e32 v10, 3, v10
	s_waitcnt lgkmcnt(0)
	; wave barrier
	s_waitcnt lgkmcnt(0)
	ds_read_u8 v23, v29
	ds_read_u8 v24, v29 offset:1
	ds_read_u8 v25, v29 offset:2
	ds_read_u8 v26, v29 offset:3
	s_waitcnt lgkmcnt(0)
	; wave barrier
	s_waitcnt lgkmcnt(0)
	ds_write_b64 v10, v[2:3]
	v_lshlrev_b32_e32 v2, 3, v11
	ds_write_b64 v2, v[4:5]
	v_lshlrev_b32_e32 v2, 3, v12
	v_lshlrev_b32_e32 v21, 3, v29
	ds_write_b64 v2, v[6:7]
	v_lshlrev_b32_e32 v2, 3, v14
	ds_write_b64 v2, v[8:9]
	s_waitcnt lgkmcnt(0)
	; wave barrier
	s_waitcnt lgkmcnt(0)
	ds_read2_b64 v[6:9], v21 offset1:1
	ds_read2_b64 v[2:5], v21 offset0:2 offset1:3
	s_waitcnt lgkmcnt(0)
	; wave barrier
	s_waitcnt lgkmcnt(0)
	s_and_saveexec_b64 s[28:29], s[8:9]
	s_cbranch_execz .LBB83_57
; %bb.51:
	s_mov_b32 s36, 0
	s_mov_b64 s[8:9], 0
	v_pk_mov_b32 v[10:11], v[0:1], v[0:1] op_sel:[0,1]
	s_branch .LBB83_53
.LBB83_52:                              ;   in Loop: Header=BB83_53 Depth=1
	s_or_b64 exec, exec, s[34:35]
	s_add_i32 s36, s36, 2
	v_cmp_eq_u32_e64 s[30:31], 8, s36
	v_add_u32_e32 v11, 64, v11
	s_or_b64 s[8:9], s[30:31], s[8:9]
	v_add_u32_e32 v10, 64, v10
	s_andn2_b64 exec, exec, s[8:9]
	s_cbranch_execz .LBB83_57
.LBB83_53:                              ; =>This Inner Loop Header: Depth=1
	s_or_b32 s30, s36, 1
	v_cmp_le_u32_e64 s[30:31], s30, 7
	v_cmp_le_u32_e64 s[38:39], s36, 7
	s_and_saveexec_b64 s[34:35], s[38:39]
	s_cbranch_execz .LBB83_55
; %bb.54:                               ;   in Loop: Header=BB83_53 Depth=1
	v_lshlrev_b32_e32 v1, 2, v10
	ds_write_b32 v1, v13
.LBB83_55:                              ;   in Loop: Header=BB83_53 Depth=1
	s_or_b64 exec, exec, s[34:35]
	s_and_saveexec_b64 s[34:35], s[30:31]
	s_cbranch_execz .LBB83_52
; %bb.56:                               ;   in Loop: Header=BB83_53 Depth=1
	v_lshlrev_b32_e32 v1, 2, v11
	ds_write_b32 v1, v13
	s_branch .LBB83_52
.LBB83_57:
	s_or_b64 exec, exec, s[28:29]
	s_min_u32 s8, s33, 4
	s_lshl_b32 s8, -1, s8
	v_lshrrev_b16_e32 v1, 4, v23
	s_not_b32 s8, s8
	v_and_b32_e32 v1, 15, v1
	v_and_b32_sdwa v1, v1, s8 dst_sel:DWORD dst_unused:UNUSED_PAD src0_sel:WORD_0 src1_sel:DWORD
	v_lshlrev_b32_e32 v10, 5, v1
	s_movk_i32 s9, 0xe0
	v_lshrrev_b32_e32 v1, 2, v1
	v_and_or_b32 v10, v10, s9, v0
	v_and_b32_e32 v1, 2, v1
	v_lshl_or_b32 v27, v10, 2, v1
	ds_read_u16 v1, v27
	s_waitcnt lgkmcnt(0)
	v_add_u16_e32 v10, 1, v1
	ds_write_b16 v27, v10
	v_lshrrev_b16_e32 v10, 4, v24
	v_and_b32_e32 v10, 15, v10
	v_and_b32_sdwa v10, v10, s8 dst_sel:DWORD dst_unused:UNUSED_PAD src0_sel:WORD_0 src1_sel:DWORD
	v_lshlrev_b32_e32 v11, 5, v10
	v_lshrrev_b32_e32 v10, 2, v10
	v_and_or_b32 v11, v11, s9, v0
	v_and_b32_e32 v10, 2, v10
	v_lshl_or_b32 v35, v11, 2, v10
	ds_read_u16 v34, v35
	s_waitcnt lgkmcnt(0)
	v_add_u16_e32 v10, 1, v34
	ds_write_b16 v35, v10
	v_lshrrev_b16_e32 v10, 4, v25
	v_and_b32_e32 v10, 15, v10
	v_and_b32_sdwa v10, v10, s8 dst_sel:DWORD dst_unused:UNUSED_PAD src0_sel:WORD_0 src1_sel:DWORD
	v_lshlrev_b32_e32 v11, 5, v10
	;; [unrolled: 12-line block ×3, first 2 shown]
	v_lshrrev_b32_e32 v10, 2, v10
	v_and_or_b32 v11, v11, s9, v0
	v_and_b32_e32 v10, 2, v10
	v_lshl_or_b32 v39, v11, 2, v10
	ds_read_u16 v38, v39
	s_waitcnt lgkmcnt(0)
	v_add_u16_e32 v10, 1, v38
	ds_write_b16 v39, v10
	s_waitcnt lgkmcnt(0)
	; wave barrier
	s_waitcnt lgkmcnt(0)
	ds_read2_b32 v[16:17], v20 offset1:1
	ds_read2_b32 v[14:15], v20 offset0:2 offset1:3
	ds_read2_b32 v[10:11], v20 offset0:4 offset1:5
	;; [unrolled: 1-line block ×3, first 2 shown]
	s_waitcnt lgkmcnt(3)
	v_add_u32_e32 v40, v17, v16
	s_waitcnt lgkmcnt(2)
	v_add3_u32 v40, v40, v14, v15
	s_waitcnt lgkmcnt(1)
	v_add3_u32 v40, v40, v10, v11
	;; [unrolled: 2-line block ×3, first 2 shown]
	s_nop 1
	v_mov_b32_dpp v40, v13 row_shr:1 row_mask:0xf bank_mask:0xf
	v_cndmask_b32_e64 v40, v40, 0, s[14:15]
	v_add_u32_e32 v13, v40, v13
	s_nop 1
	v_mov_b32_dpp v40, v13 row_shr:2 row_mask:0xf bank_mask:0xf
	v_cndmask_b32_e64 v40, 0, v40, s[16:17]
	v_add_u32_e32 v13, v13, v40
	;; [unrolled: 4-line block ×4, first 2 shown]
	s_nop 1
	v_mov_b32_dpp v40, v13 row_bcast:15 row_mask:0xf bank_mask:0xf
	v_cndmask_b32_e64 v40, v40, 0, vcc
	v_add_u32_e32 v13, v13, v40
	s_and_saveexec_b64 s[8:9], s[10:11]
	s_cbranch_execz .LBB83_59
; %bb.58:
	v_mov_b32_e32 v40, 0
	ds_write_b32 v40, v13 offset:1024
.LBB83_59:
	s_or_b64 exec, exec, s[8:9]
	ds_bpermute_b32 v13, v22, v13
	v_mov_b32_e32 v22, 0
	s_waitcnt lgkmcnt(0)
	; wave barrier
	s_waitcnt lgkmcnt(0)
	ds_read_b32 v22, v22 offset:1024
	v_cndmask_b32_e64 v13, v13, 0, s[12:13]
	s_waitcnt lgkmcnt(0)
	v_lshl_add_u32 v13, v22, 16, v13
	v_add_u32_e32 v16, v13, v16
	v_add_u32_e32 v17, v16, v17
	;; [unrolled: 1-line block ×7, first 2 shown]
	ds_write2_b32 v20, v13, v16 offset1:1
	ds_write2_b32 v20, v17, v14 offset0:2 offset1:3
	ds_write2_b32 v20, v15, v10 offset0:4 offset1:5
	;; [unrolled: 1-line block ×3, first 2 shown]
	s_waitcnt lgkmcnt(0)
	; wave barrier
	s_waitcnt lgkmcnt(0)
	ds_read_u16 v10, v39
	ds_read_u16 v11, v37
	;; [unrolled: 1-line block ×4, first 2 shown]
	s_waitcnt lgkmcnt(0)
	v_add_u32_sdwa v10, v10, v38 dst_sel:DWORD dst_unused:UNUSED_PAD src0_sel:DWORD src1_sel:WORD_0
	v_add_u32_sdwa v11, v11, v36 dst_sel:DWORD dst_unused:UNUSED_PAD src0_sel:DWORD src1_sel:WORD_0
	;; [unrolled: 1-line block ×4, first 2 shown]
	; wave barrier
	ds_write_b8 v1, v23
	ds_write_b8 v12, v24
	;; [unrolled: 1-line block ×4, first 2 shown]
	v_lshlrev_b32_e32 v1, 3, v1
	s_waitcnt lgkmcnt(0)
	; wave barrier
	s_waitcnt lgkmcnt(0)
	ds_read_u8 v20, v29
	ds_read_u8 v22, v29 offset:1
	ds_read_u8 v23, v29 offset:2
	;; [unrolled: 1-line block ×3, first 2 shown]
	s_waitcnt lgkmcnt(0)
	; wave barrier
	s_waitcnt lgkmcnt(0)
	ds_write_b64 v1, v[6:7]
	v_lshlrev_b32_e32 v1, 3, v12
	ds_write_b64 v1, v[8:9]
	v_lshlrev_b32_e32 v1, 3, v11
	;; [unrolled: 2-line block ×3, first 2 shown]
	ds_write_b64 v1, v[4:5]
	s_waitcnt lgkmcnt(0)
	; wave barrier
	s_waitcnt lgkmcnt(0)
	ds_read2_b64 v[10:13], v21 offset1:1
	ds_read2_b64 v[14:17], v21 offset0:2 offset1:3
	v_mov_b32_e32 v2, -1
	v_xor_b32_e32 v1, 0xff, v20
	v_xor_b32_sdwa v3, v22, v2 dst_sel:BYTE_1 dst_unused:UNUSED_PAD src0_sel:DWORD src1_sel:DWORD
	v_xor_b32_e32 v4, 0xff, v23
	v_xor_b32_sdwa v2, v24, v2 dst_sel:BYTE_1 dst_unused:UNUSED_PAD src0_sel:DWORD src1_sel:DWORD
	v_or_b32_e32 v1, v1, v3
	v_or_b32_sdwa v2, v4, v2 dst_sel:WORD_1 dst_unused:UNUSED_PAD src0_sel:DWORD src1_sel:DWORD
	v_or_b32_sdwa v20, v1, v2 dst_sel:DWORD dst_unused:UNUSED_PAD src0_sel:WORD_0 src1_sel:DWORD
.LBB83_60:
	s_waitcnt lgkmcnt(0)
	; wave barrier
	s_waitcnt lgkmcnt(0)
	ds_write_b32 v29, v20
	s_waitcnt lgkmcnt(0)
	; wave barrier
	s_waitcnt lgkmcnt(0)
	ds_read_u8 v5, v0 offset:32
	ds_read_u8 v4, v0 offset:64
	;; [unrolled: 1-line block ×3, first 2 shown]
	v_mov_b32_e32 v3, s27
	v_add_co_u32_e32 v2, vcc, s26, v28
	v_addc_co_u32_e32 v3, vcc, 0, v3, vcc
	s_and_saveexec_b64 s[8:9], s[0:1]
	s_cbranch_execnz .LBB83_71
; %bb.61:
	s_or_b64 exec, exec, s[8:9]
	s_and_saveexec_b64 s[8:9], s[6:7]
	s_cbranch_execnz .LBB83_72
.LBB83_62:
	s_or_b64 exec, exec, s[8:9]
	s_and_saveexec_b64 s[8:9], s[4:5]
	s_cbranch_execnz .LBB83_73
.LBB83_63:
	s_or_b64 exec, exec, s[8:9]
	s_and_saveexec_b64 s[8:9], s[2:3]
	s_cbranch_execz .LBB83_65
.LBB83_64:
	s_mul_i32 s10, s22, 0x60
	v_add_co_u32_e32 v2, vcc, s10, v2
	v_addc_co_u32_e32 v3, vcc, 0, v3, vcc
	s_waitcnt lgkmcnt(0)
	global_store_byte v[2:3], v1, off
.LBB83_65:
	s_or_b64 exec, exec, s[8:9]
	s_waitcnt lgkmcnt(0)
	; wave barrier
	s_waitcnt lgkmcnt(0)
	ds_write2_b64 v33, v[10:11], v[12:13] offset1:1
	ds_write2_b64 v33, v[14:15], v[16:17] offset0:2 offset1:3
	s_waitcnt lgkmcnt(0)
	; wave barrier
	s_waitcnt lgkmcnt(0)
	ds_read_b64 v[6:7], v19 offset:256
	ds_read_b64 v[4:5], v31 offset:512
	;; [unrolled: 1-line block ×3, first 2 shown]
	v_mov_b32_e32 v19, 0
	v_lshlrev_b64 v[2:3], 3, v[18:19]
	v_mov_b32_e32 v8, s25
	v_add_co_u32_e32 v2, vcc, s23, v2
	v_addc_co_u32_e32 v3, vcc, v8, v3, vcc
	s_and_saveexec_b64 s[8:9], s[0:1]
	s_cbranch_execnz .LBB83_74
; %bb.66:
	s_or_b64 exec, exec, s[8:9]
	s_and_saveexec_b64 s[0:1], s[6:7]
	s_cbranch_execnz .LBB83_75
.LBB83_67:
	s_or_b64 exec, exec, s[0:1]
	s_and_saveexec_b64 s[0:1], s[4:5]
	s_cbranch_execnz .LBB83_76
.LBB83_68:
	s_or_b64 exec, exec, s[0:1]
	s_and_saveexec_b64 s[0:1], s[2:3]
	s_cbranch_execz .LBB83_70
.LBB83_69:
	s_mul_i32 s0, s24, 0x60
	s_mov_b32 s1, 0
	s_lshl_b64 s[0:1], s[0:1], 3
	s_waitcnt lgkmcnt(1)
	v_mov_b32_e32 v4, s1
	v_add_co_u32_e32 v2, vcc, s0, v2
	v_addc_co_u32_e32 v3, vcc, v3, v4, vcc
	s_waitcnt lgkmcnt(0)
	global_store_dwordx2 v[2:3], v[0:1], off
.LBB83_70:
	s_endpgm
.LBB83_71:
	ds_read_u8 v0, v0
	s_waitcnt lgkmcnt(0)
	global_store_byte v[2:3], v0, off
	s_or_b64 exec, exec, s[8:9]
	s_and_saveexec_b64 s[8:9], s[6:7]
	s_cbranch_execz .LBB83_62
.LBB83_72:
	s_lshl_b32 s10, s22, 5
	v_add_co_u32_e32 v6, vcc, s10, v2
	v_addc_co_u32_e32 v7, vcc, 0, v3, vcc
	s_waitcnt lgkmcnt(2)
	global_store_byte v[6:7], v5, off
	s_or_b64 exec, exec, s[8:9]
	s_and_saveexec_b64 s[8:9], s[4:5]
	s_cbranch_execz .LBB83_63
.LBB83_73:
	s_lshl_b32 s10, s22, 6
	v_add_co_u32_e32 v6, vcc, s10, v2
	v_addc_co_u32_e32 v7, vcc, 0, v3, vcc
	s_waitcnt lgkmcnt(1)
	global_store_byte v[6:7], v4, off
	s_or_b64 exec, exec, s[8:9]
	s_and_saveexec_b64 s[8:9], s[2:3]
	s_cbranch_execnz .LBB83_64
	s_branch .LBB83_65
.LBB83_74:
	ds_read_b64 v[8:9], v30
	s_waitcnt lgkmcnt(0)
	global_store_dwordx2 v[2:3], v[8:9], off
	s_or_b64 exec, exec, s[8:9]
	s_and_saveexec_b64 s[0:1], s[6:7]
	s_cbranch_execz .LBB83_67
.LBB83_75:
	s_lshl_b32 s6, s24, 5
	s_mov_b32 s7, 0
	s_lshl_b64 s[6:7], s[6:7], 3
	v_mov_b32_e32 v9, s7
	v_add_co_u32_e32 v8, vcc, s6, v2
	v_addc_co_u32_e32 v9, vcc, v3, v9, vcc
	s_waitcnt lgkmcnt(2)
	global_store_dwordx2 v[8:9], v[6:7], off
	s_or_b64 exec, exec, s[0:1]
	s_and_saveexec_b64 s[0:1], s[4:5]
	s_cbranch_execz .LBB83_68
.LBB83_76:
	s_lshl_b32 s4, s24, 6
	s_mov_b32 s5, 0
	s_lshl_b64 s[4:5], s[4:5], 3
	s_waitcnt lgkmcnt(2)
	v_mov_b32_e32 v7, s5
	v_add_co_u32_e32 v6, vcc, s4, v2
	v_addc_co_u32_e32 v7, vcc, v3, v7, vcc
	s_waitcnt lgkmcnt(1)
	global_store_dwordx2 v[6:7], v[4:5], off
	s_or_b64 exec, exec, s[0:1]
	s_and_saveexec_b64 s[0:1], s[2:3]
	s_cbranch_execnz .LBB83_69
	s_branch .LBB83_70
	.section	.rodata,"a",@progbits
	.p2align	6, 0x0
	.amdhsa_kernel _ZN2at6native18radixSortKVInPlaceILin2ELin1ELi32ELi4EhljEEvNS_4cuda6detail10TensorInfoIT3_T5_EES6_S6_S6_NS4_IT4_S6_EES6_b
		.amdhsa_group_segment_fixed_size 1056
		.amdhsa_private_segment_fixed_size 0
		.amdhsa_kernarg_size 712
		.amdhsa_user_sgpr_count 6
		.amdhsa_user_sgpr_private_segment_buffer 1
		.amdhsa_user_sgpr_dispatch_ptr 0
		.amdhsa_user_sgpr_queue_ptr 0
		.amdhsa_user_sgpr_kernarg_segment_ptr 1
		.amdhsa_user_sgpr_dispatch_id 0
		.amdhsa_user_sgpr_flat_scratch_init 0
		.amdhsa_user_sgpr_kernarg_preload_length 0
		.amdhsa_user_sgpr_kernarg_preload_offset 0
		.amdhsa_user_sgpr_private_segment_size 0
		.amdhsa_uses_dynamic_stack 0
		.amdhsa_system_sgpr_private_segment_wavefront_offset 0
		.amdhsa_system_sgpr_workgroup_id_x 1
		.amdhsa_system_sgpr_workgroup_id_y 1
		.amdhsa_system_sgpr_workgroup_id_z 1
		.amdhsa_system_sgpr_workgroup_info 0
		.amdhsa_system_vgpr_workitem_id 0
		.amdhsa_next_free_vgpr 54
		.amdhsa_next_free_sgpr 44
		.amdhsa_accum_offset 56
		.amdhsa_reserve_vcc 1
		.amdhsa_reserve_flat_scratch 0
		.amdhsa_float_round_mode_32 0
		.amdhsa_float_round_mode_16_64 0
		.amdhsa_float_denorm_mode_32 3
		.amdhsa_float_denorm_mode_16_64 3
		.amdhsa_dx10_clamp 1
		.amdhsa_ieee_mode 1
		.amdhsa_fp16_overflow 0
		.amdhsa_tg_split 0
		.amdhsa_exception_fp_ieee_invalid_op 0
		.amdhsa_exception_fp_denorm_src 0
		.amdhsa_exception_fp_ieee_div_zero 0
		.amdhsa_exception_fp_ieee_overflow 0
		.amdhsa_exception_fp_ieee_underflow 0
		.amdhsa_exception_fp_ieee_inexact 0
		.amdhsa_exception_int_div_zero 0
	.end_amdhsa_kernel
	.section	.text._ZN2at6native18radixSortKVInPlaceILin2ELin1ELi32ELi4EhljEEvNS_4cuda6detail10TensorInfoIT3_T5_EES6_S6_S6_NS4_IT4_S6_EES6_b,"axG",@progbits,_ZN2at6native18radixSortKVInPlaceILin2ELin1ELi32ELi4EhljEEvNS_4cuda6detail10TensorInfoIT3_T5_EES6_S6_S6_NS4_IT4_S6_EES6_b,comdat
.Lfunc_end83:
	.size	_ZN2at6native18radixSortKVInPlaceILin2ELin1ELi32ELi4EhljEEvNS_4cuda6detail10TensorInfoIT3_T5_EES6_S6_S6_NS4_IT4_S6_EES6_b, .Lfunc_end83-_ZN2at6native18radixSortKVInPlaceILin2ELin1ELi32ELi4EhljEEvNS_4cuda6detail10TensorInfoIT3_T5_EES6_S6_S6_NS4_IT4_S6_EES6_b
                                        ; -- End function
	.section	.AMDGPU.csdata,"",@progbits
; Kernel info:
; codeLenInByte = 6072
; NumSgprs: 48
; NumVgprs: 54
; NumAgprs: 0
; TotalNumVgprs: 54
; ScratchSize: 0
; MemoryBound: 0
; FloatMode: 240
; IeeeMode: 1
; LDSByteSize: 1056 bytes/workgroup (compile time only)
; SGPRBlocks: 5
; VGPRBlocks: 6
; NumSGPRsForWavesPerEU: 48
; NumVGPRsForWavesPerEU: 54
; AccumOffset: 56
; Occupancy: 8
; WaveLimiterHint : 1
; COMPUTE_PGM_RSRC2:SCRATCH_EN: 0
; COMPUTE_PGM_RSRC2:USER_SGPR: 6
; COMPUTE_PGM_RSRC2:TRAP_HANDLER: 0
; COMPUTE_PGM_RSRC2:TGID_X_EN: 1
; COMPUTE_PGM_RSRC2:TGID_Y_EN: 1
; COMPUTE_PGM_RSRC2:TGID_Z_EN: 1
; COMPUTE_PGM_RSRC2:TIDIG_COMP_CNT: 0
; COMPUTE_PGM_RSRC3_GFX90A:ACCUM_OFFSET: 13
; COMPUTE_PGM_RSRC3_GFX90A:TG_SPLIT: 0
	.section	.text._ZN2at6native18radixSortKVInPlaceILin2ELin1ELi16ELi2EhljEEvNS_4cuda6detail10TensorInfoIT3_T5_EES6_S6_S6_NS4_IT4_S6_EES6_b,"axG",@progbits,_ZN2at6native18radixSortKVInPlaceILin2ELin1ELi16ELi2EhljEEvNS_4cuda6detail10TensorInfoIT3_T5_EES6_S6_S6_NS4_IT4_S6_EES6_b,comdat
	.protected	_ZN2at6native18radixSortKVInPlaceILin2ELin1ELi16ELi2EhljEEvNS_4cuda6detail10TensorInfoIT3_T5_EES6_S6_S6_NS4_IT4_S6_EES6_b ; -- Begin function _ZN2at6native18radixSortKVInPlaceILin2ELin1ELi16ELi2EhljEEvNS_4cuda6detail10TensorInfoIT3_T5_EES6_S6_S6_NS4_IT4_S6_EES6_b
	.globl	_ZN2at6native18radixSortKVInPlaceILin2ELin1ELi16ELi2EhljEEvNS_4cuda6detail10TensorInfoIT3_T5_EES6_S6_S6_NS4_IT4_S6_EES6_b
	.p2align	8
	.type	_ZN2at6native18radixSortKVInPlaceILin2ELin1ELi16ELi2EhljEEvNS_4cuda6detail10TensorInfoIT3_T5_EES6_S6_S6_NS4_IT4_S6_EES6_b,@function
_ZN2at6native18radixSortKVInPlaceILin2ELin1ELi16ELi2EhljEEvNS_4cuda6detail10TensorInfoIT3_T5_EES6_S6_S6_NS4_IT4_S6_EES6_b: ; @_ZN2at6native18radixSortKVInPlaceILin2ELin1ELi16ELi2EhljEEvNS_4cuda6detail10TensorInfoIT3_T5_EES6_S6_S6_NS4_IT4_S6_EES6_b
; %bb.0:
	s_load_dwordx2 s[0:1], s[4:5], 0x1c8
	s_load_dwordx4 s[16:19], s[4:5], 0xd8
	s_waitcnt lgkmcnt(0)
	s_mul_i32 s1, s1, s8
	s_add_i32 s1, s1, s7
	s_mul_i32 s10, s1, s0
	s_add_i32 s10, s10, s6
	s_cmp_ge_u32 s10, s16
	s_cbranch_scc1 .LBB84_60
; %bb.1:
	s_load_dword s8, s[4:5], 0x1b8
	s_load_dwordx2 s[0:1], s[4:5], 0x0
	s_add_u32 s2, s4, 0xe8
	s_addc_u32 s3, s5, 0
	s_mov_b32 s7, 0
	s_waitcnt lgkmcnt(0)
	s_cmp_lt_i32 s8, 2
	s_mov_b32 s6, s10
	s_cbranch_scc1 .LBB84_4
; %bb.2:
	s_add_i32 s6, s8, -1
	s_add_i32 s11, s8, 1
	s_lshl_b64 s[8:9], s[6:7], 2
	s_add_u32 s6, s8, s2
	s_addc_u32 s9, s9, s3
	s_add_u32 s8, s6, 8
	s_addc_u32 s9, s9, 0
	s_mov_b32 s6, s10
.LBB84_3:                               ; =>This Inner Loop Header: Depth=1
	s_load_dword s12, s[8:9], 0x0
	s_load_dword s14, s[8:9], 0x64
	s_mov_b32 s13, s6
	s_waitcnt lgkmcnt(0)
	v_cvt_f32_u32_e32 v1, s12
	s_sub_i32 s6, 0, s12
	v_rcp_iflag_f32_e32 v1, v1
	v_mul_f32_e32 v1, 0x4f7ffffe, v1
	v_cvt_u32_f32_e32 v1, v1
	v_readfirstlane_b32 s15, v1
	s_mul_i32 s6, s6, s15
	s_mul_hi_u32 s6, s15, s6
	s_add_i32 s15, s15, s6
	s_mul_hi_u32 s6, s13, s15
	s_mul_i32 s15, s6, s12
	s_sub_i32 s15, s13, s15
	s_add_i32 s16, s6, 1
	s_sub_i32 s19, s15, s12
	s_cmp_ge_u32 s15, s12
	s_cselect_b32 s6, s16, s6
	s_cselect_b32 s15, s19, s15
	s_add_i32 s16, s6, 1
	s_cmp_ge_u32 s15, s12
	s_cselect_b32 s6, s16, s6
	s_mul_i32 s12, s6, s12
	s_sub_i32 s12, s13, s12
	s_mul_i32 s12, s14, s12
	s_add_i32 s11, s11, -1
	s_add_i32 s7, s12, s7
	s_add_u32 s8, s8, -4
	s_addc_u32 s9, s9, -1
	s_cmp_gt_u32 s11, 2
	s_cbranch_scc1 .LBB84_3
.LBB84_4:
	s_load_dword s8, s[4:5], 0x6c
	s_load_dwordx2 s[20:21], s[4:5], 0x1c0
	v_mul_lo_u32 v20, v0, s18
	s_waitcnt lgkmcnt(0)
	s_mul_i32 s10, s8, s10
	s_bitcmp1_b32 s21, 0
	s_cselect_b64 s[4:5], -1, 0
	s_add_u32 s22, s0, s10
	s_load_dwordx2 s[8:9], s[2:3], 0x0
	s_addc_u32 s23, s1, 0
	s_xor_b64 s[4:5], s[4:5], -1
	v_cndmask_b32_e64 v2, 0, -1, s[4:5]
	v_lshlrev_b16_e32 v1, 8, v2
	v_or_b32_sdwa v1, v2, v1 dst_sel:DWORD dst_unused:UNUSED_PAD src0_sel:BYTE_0 src1_sel:DWORD
	v_and_b32_e32 v3, 0xffff, v1
	v_cmp_gt_u32_e64 s[0:1], s17, v0
	s_and_saveexec_b64 s[10:11], s[0:1]
	s_cbranch_execz .LBB84_6
; %bb.5:
	global_load_ubyte v2, v20, s[22:23]
	v_and_b32_e32 v1, 0xffffff00, v3
	s_waitcnt vmcnt(0)
	v_or_b32_e32 v1, v2, v1
	v_and_b32_e32 v3, 0xffff, v1
.LBB84_6:
	s_or_b64 exec, exec, s[10:11]
	s_load_dword s12, s[2:3], 0x6c
	v_or_b32_e32 v1, 16, v0
	v_cmp_gt_u32_e64 s[2:3], s17, v1
	s_and_saveexec_b64 s[10:11], s[2:3]
	s_cbranch_execz .LBB84_8
; %bb.7:
	v_mul_lo_u32 v4, v1, s18
	global_load_ubyte v4, v4, s[22:23]
	s_waitcnt vmcnt(0)
	v_lshlrev_b16_e32 v4, 8, v4
	v_or_b32_sdwa v3, v3, v4 dst_sel:DWORD dst_unused:UNUSED_PAD src0_sel:BYTE_0 src1_sel:DWORD
	v_and_b32_e32 v3, 0xffff, v3
.LBB84_8:
	s_or_b64 exec, exec, s[10:11]
	ds_write_b8 v0, v2
	v_lshrrev_b16_e32 v2, 8, v3
	v_lshlrev_b32_e32 v21, 1, v0
	s_waitcnt lgkmcnt(0)
	s_mul_i32 s6, s12, s6
	ds_write_b8 v0, v2 offset:16
	s_waitcnt lgkmcnt(0)
	; wave barrier
	s_waitcnt lgkmcnt(0)
	ds_read_u8 v24, v21
	ds_read_u8 v23, v21 offset:1
	s_add_i32 s12, s6, s7
	s_mov_b32 s13, 0
	s_lshl_b64 s[6:7], s[12:13], 3
	s_mov_b32 s12, s13
	s_add_u32 s19, s8, s6
	s_mov_b32 s14, s13
	s_mov_b32 s15, s13
	v_pk_mov_b32 v[2:3], s[12:13], s[12:13] op_sel:[0,1]
	s_addc_u32 s21, s9, s7
	v_pk_mov_b32 v[4:5], s[14:15], s[14:15] op_sel:[0,1]
	v_pk_mov_b32 v[2:3], 0, 0
	v_mul_lo_u32 v10, v0, s20
	s_waitcnt lgkmcnt(0)
	; wave barrier
	s_waitcnt lgkmcnt(0)
	s_and_saveexec_b64 s[6:7], s[0:1]
	s_cbranch_execz .LBB84_10
; %bb.9:
	v_mov_b32_e32 v11, 0
	v_lshlrev_b64 v[2:3], 3, v[10:11]
	v_mov_b32_e32 v4, s21
	v_add_co_u32_e32 v2, vcc, s19, v2
	v_addc_co_u32_e32 v3, vcc, v4, v3, vcc
	global_load_dwordx2 v[2:3], v[2:3], off
	v_mov_b32_e32 v4, v11
	v_mov_b32_e32 v5, v11
.LBB84_10:
	s_or_b64 exec, exec, s[6:7]
	s_and_saveexec_b64 s[6:7], s[2:3]
	s_cbranch_execz .LBB84_12
; %bb.11:
	v_mul_lo_u32 v4, v1, s20
	v_mov_b32_e32 v5, 0
	v_lshlrev_b64 v[4:5], 3, v[4:5]
	v_mov_b32_e32 v6, s21
	v_add_co_u32_e32 v4, vcc, s19, v4
	v_addc_co_u32_e32 v5, vcc, v6, v5, vcc
	global_load_dwordx2 v[4:5], v[4:5], off
.LBB84_12:
	s_or_b64 exec, exec, s[6:7]
	v_lshlrev_b32_e32 v22, 3, v0
	v_lshlrev_b32_e32 v11, 3, v21
	s_waitcnt vmcnt(0)
	ds_write2_b64 v22, v[2:3], v[4:5] offset1:16
	s_waitcnt lgkmcnt(0)
	; wave barrier
	s_waitcnt lgkmcnt(0)
	ds_read2_b64 v[2:5], v11 offset1:1
	s_and_b64 vcc, exec, s[4:5]
	s_waitcnt lgkmcnt(0)
	; wave barrier
	s_waitcnt lgkmcnt(0)
	s_cbranch_vccz .LBB84_20
; %bb.13:
	s_movk_i32 s4, 0x80
	v_cmp_gt_u32_e64 s[4:5], s4, v0
	s_getpc_b64 s[6:7]
	s_add_u32 s6, s6, _ZN7rocprim17ROCPRIM_400000_NS16block_radix_sortIhLj16ELj2ElLj1ELj1ELj0ELNS0_26block_radix_rank_algorithmE1ELNS0_18block_padding_hintE2ELNS0_4arch9wavefront6targetE1EE19radix_bits_per_passE@rel32@lo+4
	s_addc_u32 s7, s7, _ZN7rocprim17ROCPRIM_400000_NS16block_radix_sortIhLj16ELj2ElLj1ELj1ELj0ELNS0_26block_radix_rank_algorithmE1ELNS0_18block_padding_hintE2ELNS0_4arch9wavefront6targetE1EE19radix_bits_per_passE@rel32@hi+12
	s_and_saveexec_b64 s[8:9], s[4:5]
	s_cbranch_execz .LBB84_21
; %bb.14:
	s_mov_b32 s16, 0
	s_mov_b64 s[10:11], 0
	v_mov_b32_e32 v8, 0
	v_pk_mov_b32 v[6:7], v[0:1], v[0:1] op_sel:[0,1]
	s_branch .LBB84_16
.LBB84_15:                              ;   in Loop: Header=BB84_16 Depth=1
	s_or_b64 exec, exec, s[14:15]
	s_add_i32 s16, s16, 2
	v_cmp_eq_u32_e64 s[12:13], 8, s16
	v_add_u32_e32 v7, 32, v7
	s_or_b64 s[10:11], s[12:13], s[10:11]
	v_add_u32_e32 v6, 32, v6
	s_andn2_b64 exec, exec, s[10:11]
	s_cbranch_execz .LBB84_21
.LBB84_16:                              ; =>This Inner Loop Header: Depth=1
	s_or_b32 s12, s16, 1
	v_cmp_le_u32_e64 s[12:13], s12, 7
	v_cmp_le_u32_e64 s[24:25], s16, 7
	s_and_saveexec_b64 s[14:15], s[24:25]
	s_cbranch_execz .LBB84_18
; %bb.17:                               ;   in Loop: Header=BB84_16 Depth=1
	v_lshlrev_b32_e32 v9, 2, v6
	ds_write_b32 v9, v8
.LBB84_18:                              ;   in Loop: Header=BB84_16 Depth=1
	s_or_b64 exec, exec, s[14:15]
	s_and_saveexec_b64 s[14:15], s[12:13]
	s_cbranch_execz .LBB84_15
; %bb.19:                               ;   in Loop: Header=BB84_16 Depth=1
	v_lshlrev_b32_e32 v9, 2, v7
	ds_write_b32 v9, v8
	s_branch .LBB84_15
.LBB84_20:
                                        ; implicit-def: $vgpr8_vgpr9
                                        ; implicit-def: $vgpr12
	s_cbranch_execnz .LBB84_33
	s_branch .LBB84_52
.LBB84_21:
	s_or_b64 exec, exec, s[8:9]
	s_load_dword s28, s[6:7], 0x0
	s_movk_i32 s7, 0x70
	v_lshlrev_b32_e32 v25, 5, v0
	v_cmp_eq_u32_e32 vcc, 15, v0
	s_waitcnt lgkmcnt(0)
	s_min_u32 s6, s28, 8
	s_lshl_b32 s6, -1, s6
	s_not_b32 s6, s6
	v_and_b32_e32 v6, s6, v24
	v_bfe_u32 v7, v6, 3, 5
	v_lshlrev_b32_e32 v6, 4, v6
	v_and_or_b32 v6, v6, s7, v0
	v_lshlrev_b32_e32 v6, 1, v6
	v_add_lshl_u32 v18, v6, v7, 1
	ds_read_u16 v17, v18
	v_and_b32_e32 v6, s6, v23
	v_bfe_u32 v7, v6, 3, 5
	v_lshlrev_b32_e32 v6, 4, v6
	v_and_or_b32 v6, v6, s7, v0
	s_waitcnt lgkmcnt(0)
	v_add_u16_e32 v8, 1, v17
	v_lshlrev_b32_e32 v6, 1, v6
	ds_write_b16 v18, v8
	v_add_lshl_u32 v27, v6, v7, 1
	ds_read_u16 v19, v27
	v_mbcnt_lo_u32_b32 v6, -1, 0
	v_mbcnt_hi_u32_b32 v28, -1, v6
	v_and_b32_e32 v16, 15, v28
	v_cmp_eq_u32_e64 s[6:7], 0, v16
	s_waitcnt lgkmcnt(0)
	v_add_u16_e32 v6, 1, v19
	ds_write_b16 v27, v6
	s_waitcnt lgkmcnt(0)
	; wave barrier
	s_waitcnt lgkmcnt(0)
	ds_read2_b32 v[14:15], v25 offset1:1
	ds_read2_b32 v[12:13], v25 offset0:2 offset1:3
	ds_read2_b32 v[6:7], v25 offset0:4 offset1:5
	;; [unrolled: 1-line block ×3, first 2 shown]
	v_cmp_lt_u32_e64 s[8:9], 1, v16
	s_waitcnt lgkmcnt(3)
	v_add_u32_e32 v26, v15, v14
	s_waitcnt lgkmcnt(2)
	v_add3_u32 v26, v26, v12, v13
	s_waitcnt lgkmcnt(1)
	v_add3_u32 v26, v26, v6, v7
	;; [unrolled: 2-line block ×3, first 2 shown]
	v_cmp_lt_u32_e64 s[10:11], 3, v16
	v_cmp_lt_u32_e64 s[14:15], 7, v16
	v_mov_b32_dpp v26, v9 row_shr:1 row_mask:0xf bank_mask:0xf
	v_cndmask_b32_e64 v26, v26, 0, s[6:7]
	v_add_u32_e32 v9, v26, v9
	s_nop 1
	v_mov_b32_dpp v26, v9 row_shr:2 row_mask:0xf bank_mask:0xf
	v_cndmask_b32_e64 v26, 0, v26, s[8:9]
	v_add_u32_e32 v9, v9, v26
	s_nop 1
	;; [unrolled: 4-line block ×3, first 2 shown]
	v_mov_b32_dpp v26, v9 row_shr:8 row_mask:0xf bank_mask:0xf
	v_cndmask_b32_e64 v16, 0, v26, s[14:15]
	v_add_u32_e32 v9, v9, v16
	s_and_saveexec_b64 s[12:13], vcc
	s_cbranch_execz .LBB84_23
; %bb.22:
	v_mov_b32_e32 v16, 0
	ds_write_b32 v16, v9 offset:512
.LBB84_23:
	s_or_b64 exec, exec, s[12:13]
	v_add_u32_e32 v16, -1, v28
	v_and_b32_e32 v26, 0x70, v28
	v_cmp_lt_i32_e64 s[12:13], v16, v26
	v_cndmask_b32_e64 v16, v16, v28, s[12:13]
	v_lshlrev_b32_e32 v26, 2, v16
	ds_bpermute_b32 v9, v26, v9
	v_mov_b32_e32 v16, 0
	s_waitcnt lgkmcnt(0)
	; wave barrier
	s_waitcnt lgkmcnt(0)
	ds_read_b32 v29, v16 offset:512
	v_cmp_eq_u32_e64 s[12:13], 0, v28
	v_cndmask_b32_e64 v9, v9, 0, s[12:13]
	s_waitcnt lgkmcnt(0)
	v_lshl_add_u32 v9, v29, 16, v9
	v_add_u32_e32 v14, v9, v14
	v_add_u32_e32 v15, v14, v15
	v_add_u32_e32 v12, v15, v12
	v_add_u32_e32 v13, v12, v13
	v_add_u32_e32 v6, v13, v6
	v_add_u32_e32 v7, v6, v7
	v_add_u32_e32 v8, v7, v8
	ds_write2_b32 v25, v9, v14 offset1:1
	ds_write2_b32 v25, v15, v12 offset0:2 offset1:3
	ds_write2_b32 v25, v13, v6 offset0:4 offset1:5
	;; [unrolled: 1-line block ×3, first 2 shown]
	s_waitcnt lgkmcnt(0)
	; wave barrier
	s_waitcnt lgkmcnt(0)
	ds_read_u16 v6, v18
	ds_read_u16 v7, v27
	s_waitcnt lgkmcnt(0)
	; wave barrier
	s_waitcnt lgkmcnt(0)
	v_add_u32_sdwa v6, v6, v17 dst_sel:DWORD dst_unused:UNUSED_PAD src0_sel:DWORD src1_sel:WORD_0
	v_add_u32_sdwa v7, v7, v19 dst_sel:DWORD dst_unused:UNUSED_PAD src0_sel:DWORD src1_sel:WORD_0
	ds_write_b8 v6, v24
	ds_write_b8 v7, v23
	v_lshlrev_b32_e32 v6, 3, v6
	s_waitcnt lgkmcnt(0)
	; wave barrier
	s_waitcnt lgkmcnt(0)
	ds_read_u8 v27, v21
	ds_read_u8 v28, v21 offset:1
	s_waitcnt lgkmcnt(0)
	; wave barrier
	s_waitcnt lgkmcnt(0)
	ds_write_b64 v6, v[2:3]
	v_lshlrev_b32_e32 v6, 3, v7
	ds_write_b64 v6, v[4:5]
	s_waitcnt lgkmcnt(0)
	; wave barrier
	s_waitcnt lgkmcnt(0)
	ds_read2_b64 v[6:9], v11 offset1:1
	s_waitcnt lgkmcnt(0)
	; wave barrier
	s_waitcnt lgkmcnt(0)
	s_and_saveexec_b64 s[16:17], s[4:5]
	s_cbranch_execz .LBB84_30
; %bb.24:
	s_mov_b32 s29, 0
	s_mov_b64 s[4:5], 0
	v_pk_mov_b32 v[12:13], v[0:1], v[0:1] op_sel:[0,1]
	s_branch .LBB84_26
.LBB84_25:                              ;   in Loop: Header=BB84_26 Depth=1
	s_or_b64 exec, exec, s[26:27]
	s_add_i32 s29, s29, 2
	v_cmp_eq_u32_e64 s[24:25], 8, s29
	v_add_u32_e32 v13, 32, v13
	s_or_b64 s[4:5], s[24:25], s[4:5]
	v_add_u32_e32 v12, 32, v12
	s_andn2_b64 exec, exec, s[4:5]
	s_cbranch_execz .LBB84_30
.LBB84_26:                              ; =>This Inner Loop Header: Depth=1
	s_or_b32 s24, s29, 1
	v_cmp_le_u32_e64 s[24:25], s24, 7
	v_cmp_le_u32_e64 s[30:31], s29, 7
	s_and_saveexec_b64 s[26:27], s[30:31]
	s_cbranch_execz .LBB84_28
; %bb.27:                               ;   in Loop: Header=BB84_26 Depth=1
	v_lshlrev_b32_e32 v14, 2, v12
	ds_write_b32 v14, v16
.LBB84_28:                              ;   in Loop: Header=BB84_26 Depth=1
	s_or_b64 exec, exec, s[26:27]
	s_and_saveexec_b64 s[26:27], s[24:25]
	s_cbranch_execz .LBB84_25
; %bb.29:                               ;   in Loop: Header=BB84_26 Depth=1
	v_lshlrev_b32_e32 v14, 2, v13
	ds_write_b32 v14, v16
	s_branch .LBB84_25
.LBB84_30:
	s_or_b64 exec, exec, s[16:17]
	s_min_u32 s4, s28, 4
	s_lshl_b32 s4, -1, s4
	v_lshrrev_b16_e32 v12, 4, v27
	s_not_b32 s4, s4
	v_and_b32_e32 v12, 15, v12
	v_and_b32_sdwa v12, v12, s4 dst_sel:DWORD dst_unused:UNUSED_PAD src0_sel:WORD_0 src1_sel:DWORD
	v_lshlrev_b32_e32 v13, 4, v12
	s_movk_i32 s5, 0x70
	v_lshrrev_b32_e32 v12, 2, v12
	v_and_or_b32 v13, v13, s5, v0
	v_and_b32_e32 v12, 2, v12
	v_lshl_or_b32 v30, v13, 2, v12
	ds_read_u16 v29, v30
	s_waitcnt lgkmcnt(0)
	v_add_u16_e32 v12, 1, v29
	ds_write_b16 v30, v12
	v_lshrrev_b16_e32 v12, 4, v28
	v_and_b32_e32 v12, 15, v12
	v_and_b32_sdwa v12, v12, s4 dst_sel:DWORD dst_unused:UNUSED_PAD src0_sel:WORD_0 src1_sel:DWORD
	v_lshlrev_b32_e32 v13, 4, v12
	v_lshrrev_b32_e32 v12, 2, v12
	v_and_or_b32 v13, v13, s5, v0
	v_and_b32_e32 v12, 2, v12
	v_lshl_or_b32 v32, v13, 2, v12
	ds_read_u16 v31, v32
	s_waitcnt lgkmcnt(0)
	v_add_u16_e32 v12, 1, v31
	ds_write_b16 v32, v12
	s_waitcnt lgkmcnt(0)
	; wave barrier
	s_waitcnt lgkmcnt(0)
	ds_read2_b32 v[18:19], v25 offset1:1
	ds_read2_b32 v[16:17], v25 offset0:2 offset1:3
	ds_read2_b32 v[12:13], v25 offset0:4 offset1:5
	;; [unrolled: 1-line block ×3, first 2 shown]
	s_waitcnt lgkmcnt(3)
	v_add_u32_e32 v33, v19, v18
	s_waitcnt lgkmcnt(2)
	v_add3_u32 v33, v33, v16, v17
	s_waitcnt lgkmcnt(1)
	v_add3_u32 v33, v33, v12, v13
	;; [unrolled: 2-line block ×3, first 2 shown]
	s_nop 1
	v_mov_b32_dpp v33, v15 row_shr:1 row_mask:0xf bank_mask:0xf
	v_cndmask_b32_e64 v33, v33, 0, s[6:7]
	v_add_u32_e32 v15, v33, v15
	s_nop 1
	v_mov_b32_dpp v33, v15 row_shr:2 row_mask:0xf bank_mask:0xf
	v_cndmask_b32_e64 v33, 0, v33, s[8:9]
	v_add_u32_e32 v15, v15, v33
	;; [unrolled: 4-line block ×4, first 2 shown]
	s_and_saveexec_b64 s[4:5], vcc
	s_cbranch_execz .LBB84_32
; %bb.31:
	v_mov_b32_e32 v33, 0
	ds_write_b32 v33, v15 offset:512
.LBB84_32:
	s_or_b64 exec, exec, s[4:5]
	ds_bpermute_b32 v15, v26, v15
	v_mov_b32_e32 v26, 0
	s_waitcnt lgkmcnt(0)
	; wave barrier
	s_waitcnt lgkmcnt(0)
	ds_read_b32 v26, v26 offset:512
	v_cndmask_b32_e64 v15, v15, 0, s[12:13]
	s_waitcnt lgkmcnt(0)
	v_lshl_add_u32 v15, v26, 16, v15
	v_add_u32_e32 v18, v15, v18
	v_add_u32_e32 v19, v18, v19
	v_add_u32_e32 v16, v19, v16
	v_add_u32_e32 v17, v16, v17
	v_add_u32_e32 v12, v17, v12
	v_add_u32_e32 v13, v12, v13
	v_add_u32_e32 v14, v13, v14
	ds_write2_b32 v25, v15, v18 offset1:1
	ds_write2_b32 v25, v19, v16 offset0:2 offset1:3
	ds_write2_b32 v25, v17, v12 offset0:4 offset1:5
	;; [unrolled: 1-line block ×3, first 2 shown]
	s_waitcnt lgkmcnt(0)
	; wave barrier
	s_waitcnt lgkmcnt(0)
	ds_read_u16 v12, v32
	ds_read_u16 v13, v30
	s_waitcnt lgkmcnt(0)
	; wave barrier
	s_waitcnt lgkmcnt(0)
	v_add_u32_sdwa v12, v12, v31 dst_sel:DWORD dst_unused:UNUSED_PAD src0_sel:DWORD src1_sel:WORD_0
	v_add_u32_sdwa v13, v13, v29 dst_sel:DWORD dst_unused:UNUSED_PAD src0_sel:DWORD src1_sel:WORD_0
	ds_write_b8 v13, v27
	ds_write_b8 v12, v28
	s_waitcnt lgkmcnt(0)
	; wave barrier
	s_waitcnt lgkmcnt(0)
	ds_read_u8 v14, v21
	ds_read_u8 v15, v21 offset:1
	v_lshlrev_b32_e32 v13, 3, v13
	s_waitcnt lgkmcnt(0)
	; wave barrier
	s_waitcnt lgkmcnt(0)
	ds_write_b64 v13, v[6:7]
	v_lshlrev_b32_e32 v6, 3, v12
	ds_write_b64 v6, v[8:9]
	s_waitcnt lgkmcnt(0)
	; wave barrier
	s_waitcnt lgkmcnt(0)
	ds_read2_b64 v[6:9], v11 offset1:1
	v_lshlrev_b16_e32 v12, 8, v15
	v_or_b32_e32 v12, v14, v12
	v_and_b32_e32 v12, 0xffff, v12
	s_branch .LBB84_52
.LBB84_33:
	s_movk_i32 s4, 0x80
	v_cmp_gt_u32_e64 s[4:5], s4, v0
	s_getpc_b64 s[6:7]
	s_add_u32 s6, s6, _ZN7rocprim17ROCPRIM_400000_NS16block_radix_sortIhLj16ELj2ElLj1ELj1ELj0ELNS0_26block_radix_rank_algorithmE1ELNS0_18block_padding_hintE2ELNS0_4arch9wavefront6targetE1EE19radix_bits_per_passE@rel32@lo+4
	s_addc_u32 s7, s7, _ZN7rocprim17ROCPRIM_400000_NS16block_radix_sortIhLj16ELj2ElLj1ELj1ELj0ELNS0_26block_radix_rank_algorithmE1ELNS0_18block_padding_hintE2ELNS0_4arch9wavefront6targetE1EE19radix_bits_per_passE@rel32@hi+12
	s_and_saveexec_b64 s[8:9], s[4:5]
	s_cbranch_execz .LBB84_40
; %bb.34:
	s_mov_b32 s16, 0
	s_mov_b64 s[10:11], 0
	s_waitcnt lgkmcnt(0)
	v_mov_b32_e32 v8, 0
	v_pk_mov_b32 v[6:7], v[0:1], v[0:1] op_sel:[0,1]
	s_branch .LBB84_36
.LBB84_35:                              ;   in Loop: Header=BB84_36 Depth=1
	s_or_b64 exec, exec, s[14:15]
	s_add_i32 s16, s16, 2
	v_cmp_eq_u32_e64 s[12:13], 8, s16
	v_add_u32_e32 v7, 32, v7
	s_or_b64 s[10:11], s[12:13], s[10:11]
	v_add_u32_e32 v6, 32, v6
	s_andn2_b64 exec, exec, s[10:11]
	s_cbranch_execz .LBB84_40
.LBB84_36:                              ; =>This Inner Loop Header: Depth=1
	s_or_b32 s12, s16, 1
	v_cmp_le_u32_e64 s[12:13], s12, 7
	v_cmp_le_u32_e64 s[24:25], s16, 7
	s_and_saveexec_b64 s[14:15], s[24:25]
	s_cbranch_execz .LBB84_38
; %bb.37:                               ;   in Loop: Header=BB84_36 Depth=1
	v_lshlrev_b32_e32 v9, 2, v6
	ds_write_b32 v9, v8
.LBB84_38:                              ;   in Loop: Header=BB84_36 Depth=1
	s_or_b64 exec, exec, s[14:15]
	s_and_saveexec_b64 s[14:15], s[12:13]
	s_cbranch_execz .LBB84_35
; %bb.39:                               ;   in Loop: Header=BB84_36 Depth=1
	v_lshlrev_b32_e32 v9, 2, v7
	ds_write_b32 v9, v8
	s_branch .LBB84_35
.LBB84_40:
	s_or_b64 exec, exec, s[8:9]
	s_load_dword s28, s[6:7], 0x0
	v_xor_b32_e32 v18, -1, v24
	s_movk_i32 s7, 0x70
	v_xor_b32_e32 v19, -1, v23
	v_lshlrev_b32_e32 v16, 5, v0
	s_waitcnt lgkmcnt(0)
	s_min_u32 s6, s28, 8
	s_lshl_b32 s6, -1, s6
	s_not_b32 s6, s6
	v_and_b32_e32 v6, s6, v18
	v_bfe_u32 v7, v6, 3, 5
	v_lshlrev_b32_e32 v6, 4, v6
	v_and_or_b32 v6, v6, s7, v0
	v_lshlrev_b32_e32 v6, 1, v6
	v_add_lshl_u32 v25, v6, v7, 1
	ds_read_u16 v24, v25
	v_cmp_eq_u32_e32 vcc, 15, v0
	s_waitcnt lgkmcnt(0)
	v_add_u16_e32 v6, 1, v24
	ds_write_b16 v25, v6
	v_and_b32_e32 v6, s6, v19
	v_bfe_u32 v7, v6, 3, 5
	v_lshlrev_b32_e32 v6, 4, v6
	v_and_or_b32 v6, v6, s7, v0
	v_lshlrev_b32_e32 v6, 1, v6
	v_add_lshl_u32 v26, v6, v7, 1
	ds_read_u16 v23, v26
	v_mbcnt_lo_u32_b32 v6, -1, 0
	v_mbcnt_hi_u32_b32 v27, -1, v6
	v_and_b32_e32 v17, 15, v27
	v_cmp_eq_u32_e64 s[6:7], 0, v17
	s_waitcnt lgkmcnt(0)
	v_add_u16_e32 v6, 1, v23
	ds_write_b16 v26, v6
	s_waitcnt lgkmcnt(0)
	; wave barrier
	s_waitcnt lgkmcnt(0)
	ds_read2_b32 v[14:15], v16 offset1:1
	ds_read2_b32 v[12:13], v16 offset0:2 offset1:3
	ds_read2_b32 v[6:7], v16 offset0:4 offset1:5
	;; [unrolled: 1-line block ×3, first 2 shown]
	v_cmp_lt_u32_e64 s[8:9], 1, v17
	s_waitcnt lgkmcnt(3)
	v_add_u32_e32 v28, v15, v14
	s_waitcnt lgkmcnt(2)
	v_add3_u32 v28, v28, v12, v13
	s_waitcnt lgkmcnt(1)
	v_add3_u32 v28, v28, v6, v7
	;; [unrolled: 2-line block ×3, first 2 shown]
	v_cmp_lt_u32_e64 s[10:11], 3, v17
	v_cmp_lt_u32_e64 s[14:15], 7, v17
	v_mov_b32_dpp v28, v9 row_shr:1 row_mask:0xf bank_mask:0xf
	v_cndmask_b32_e64 v28, v28, 0, s[6:7]
	v_add_u32_e32 v9, v28, v9
	s_nop 1
	v_mov_b32_dpp v28, v9 row_shr:2 row_mask:0xf bank_mask:0xf
	v_cndmask_b32_e64 v28, 0, v28, s[8:9]
	v_add_u32_e32 v9, v9, v28
	s_nop 1
	;; [unrolled: 4-line block ×3, first 2 shown]
	v_mov_b32_dpp v28, v9 row_shr:8 row_mask:0xf bank_mask:0xf
	v_cndmask_b32_e64 v17, 0, v28, s[14:15]
	v_add_u32_e32 v9, v9, v17
	s_and_saveexec_b64 s[12:13], vcc
	s_cbranch_execz .LBB84_42
; %bb.41:
	v_mov_b32_e32 v17, 0
	ds_write_b32 v17, v9 offset:512
.LBB84_42:
	s_or_b64 exec, exec, s[12:13]
	v_add_u32_e32 v17, -1, v27
	v_and_b32_e32 v28, 0x70, v27
	v_cmp_lt_i32_e64 s[12:13], v17, v28
	v_cndmask_b32_e64 v17, v17, v27, s[12:13]
	v_lshlrev_b32_e32 v17, 2, v17
	ds_bpermute_b32 v28, v17, v9
	v_mov_b32_e32 v9, 0
	s_waitcnt lgkmcnt(0)
	; wave barrier
	s_waitcnt lgkmcnt(0)
	ds_read_b32 v29, v9 offset:512
	v_cmp_eq_u32_e64 s[12:13], 0, v27
	v_cndmask_b32_e64 v27, v28, 0, s[12:13]
	s_waitcnt lgkmcnt(0)
	v_lshl_add_u32 v27, v29, 16, v27
	v_add_u32_e32 v14, v27, v14
	v_add_u32_e32 v15, v14, v15
	;; [unrolled: 1-line block ×7, first 2 shown]
	ds_write2_b32 v16, v27, v14 offset1:1
	ds_write2_b32 v16, v15, v12 offset0:2 offset1:3
	ds_write2_b32 v16, v13, v6 offset0:4 offset1:5
	;; [unrolled: 1-line block ×3, first 2 shown]
	s_waitcnt lgkmcnt(0)
	; wave barrier
	s_waitcnt lgkmcnt(0)
	ds_read_u16 v6, v25
	ds_read_u16 v7, v26
	s_waitcnt lgkmcnt(0)
	; wave barrier
	s_waitcnt lgkmcnt(0)
	v_add_u32_sdwa v6, v6, v24 dst_sel:DWORD dst_unused:UNUSED_PAD src0_sel:DWORD src1_sel:WORD_0
	v_add_u32_sdwa v7, v7, v23 dst_sel:DWORD dst_unused:UNUSED_PAD src0_sel:DWORD src1_sel:WORD_0
	ds_write_b8 v6, v18
	ds_write_b8 v7, v19
	v_lshlrev_b32_e32 v6, 3, v6
	s_waitcnt lgkmcnt(0)
	; wave barrier
	s_waitcnt lgkmcnt(0)
	ds_read_u8 v18, v21
	ds_read_u8 v19, v21 offset:1
	s_waitcnt lgkmcnt(0)
	; wave barrier
	s_waitcnt lgkmcnt(0)
	ds_write_b64 v6, v[2:3]
	v_lshlrev_b32_e32 v2, 3, v7
	ds_write_b64 v2, v[4:5]
	s_waitcnt lgkmcnt(0)
	; wave barrier
	s_waitcnt lgkmcnt(0)
	ds_read2_b64 v[2:5], v11 offset1:1
	s_waitcnt lgkmcnt(0)
	; wave barrier
	s_waitcnt lgkmcnt(0)
	s_and_saveexec_b64 s[16:17], s[4:5]
	s_cbranch_execz .LBB84_49
; %bb.43:
	s_mov_b32 s29, 0
	s_mov_b64 s[4:5], 0
	v_pk_mov_b32 v[6:7], v[0:1], v[0:1] op_sel:[0,1]
	s_branch .LBB84_45
.LBB84_44:                              ;   in Loop: Header=BB84_45 Depth=1
	s_or_b64 exec, exec, s[26:27]
	s_add_i32 s29, s29, 2
	v_cmp_eq_u32_e64 s[24:25], 8, s29
	v_add_u32_e32 v7, 32, v7
	s_or_b64 s[4:5], s[24:25], s[4:5]
	v_add_u32_e32 v6, 32, v6
	s_andn2_b64 exec, exec, s[4:5]
	s_cbranch_execz .LBB84_49
.LBB84_45:                              ; =>This Inner Loop Header: Depth=1
	s_or_b32 s24, s29, 1
	v_cmp_le_u32_e64 s[24:25], s24, 7
	v_cmp_le_u32_e64 s[30:31], s29, 7
	s_and_saveexec_b64 s[26:27], s[30:31]
	s_cbranch_execz .LBB84_47
; %bb.46:                               ;   in Loop: Header=BB84_45 Depth=1
	v_lshlrev_b32_e32 v1, 2, v6
	ds_write_b32 v1, v9
.LBB84_47:                              ;   in Loop: Header=BB84_45 Depth=1
	s_or_b64 exec, exec, s[26:27]
	s_and_saveexec_b64 s[26:27], s[24:25]
	s_cbranch_execz .LBB84_44
; %bb.48:                               ;   in Loop: Header=BB84_45 Depth=1
	v_lshlrev_b32_e32 v1, 2, v7
	ds_write_b32 v1, v9
	s_branch .LBB84_44
.LBB84_49:
	s_or_b64 exec, exec, s[16:17]
	s_min_u32 s4, s28, 4
	s_lshl_b32 s4, -1, s4
	v_lshrrev_b16_e32 v1, 4, v18
	s_not_b32 s4, s4
	v_and_b32_e32 v1, 15, v1
	v_and_b32_sdwa v1, v1, s4 dst_sel:DWORD dst_unused:UNUSED_PAD src0_sel:WORD_0 src1_sel:DWORD
	v_lshlrev_b32_e32 v6, 4, v1
	s_movk_i32 s5, 0x70
	v_lshrrev_b32_e32 v1, 2, v1
	v_and_or_b32 v6, v6, s5, v0
	v_and_b32_e32 v1, 2, v1
	v_lshl_or_b32 v23, v6, 2, v1
	ds_read_u16 v1, v23
	s_waitcnt lgkmcnt(0)
	v_add_u16_e32 v6, 1, v1
	ds_write_b16 v23, v6
	v_lshrrev_b16_e32 v6, 4, v19
	v_and_b32_e32 v6, 15, v6
	v_and_b32_sdwa v6, v6, s4 dst_sel:DWORD dst_unused:UNUSED_PAD src0_sel:WORD_0 src1_sel:DWORD
	v_lshlrev_b32_e32 v7, 4, v6
	v_lshrrev_b32_e32 v6, 2, v6
	v_and_or_b32 v7, v7, s5, v0
	v_and_b32_e32 v6, 2, v6
	v_lshl_or_b32 v25, v7, 2, v6
	ds_read_u16 v24, v25
	s_waitcnt lgkmcnt(0)
	v_add_u16_e32 v6, 1, v24
	ds_write_b16 v25, v6
	s_waitcnt lgkmcnt(0)
	; wave barrier
	s_waitcnt lgkmcnt(0)
	ds_read2_b32 v[14:15], v16 offset1:1
	ds_read2_b32 v[12:13], v16 offset0:2 offset1:3
	ds_read2_b32 v[6:7], v16 offset0:4 offset1:5
	;; [unrolled: 1-line block ×3, first 2 shown]
	s_waitcnt lgkmcnt(3)
	v_add_u32_e32 v26, v15, v14
	s_waitcnt lgkmcnt(2)
	v_add3_u32 v26, v26, v12, v13
	s_waitcnt lgkmcnt(1)
	v_add3_u32 v26, v26, v6, v7
	;; [unrolled: 2-line block ×3, first 2 shown]
	s_nop 1
	v_mov_b32_dpp v26, v9 row_shr:1 row_mask:0xf bank_mask:0xf
	v_cndmask_b32_e64 v26, v26, 0, s[6:7]
	v_add_u32_e32 v9, v26, v9
	s_nop 1
	v_mov_b32_dpp v26, v9 row_shr:2 row_mask:0xf bank_mask:0xf
	v_cndmask_b32_e64 v26, 0, v26, s[8:9]
	v_add_u32_e32 v9, v9, v26
	;; [unrolled: 4-line block ×4, first 2 shown]
	s_and_saveexec_b64 s[4:5], vcc
	s_cbranch_execz .LBB84_51
; %bb.50:
	v_mov_b32_e32 v26, 0
	ds_write_b32 v26, v9 offset:512
.LBB84_51:
	s_or_b64 exec, exec, s[4:5]
	ds_bpermute_b32 v9, v17, v9
	v_mov_b32_e32 v17, 0
	s_waitcnt lgkmcnt(0)
	; wave barrier
	s_waitcnt lgkmcnt(0)
	ds_read_b32 v17, v17 offset:512
	v_cndmask_b32_e64 v9, v9, 0, s[12:13]
	s_waitcnt lgkmcnt(0)
	v_lshl_add_u32 v9, v17, 16, v9
	v_add_u32_e32 v14, v9, v14
	v_add_u32_e32 v15, v14, v15
	;; [unrolled: 1-line block ×7, first 2 shown]
	ds_write2_b32 v16, v9, v14 offset1:1
	ds_write2_b32 v16, v15, v12 offset0:2 offset1:3
	ds_write2_b32 v16, v13, v6 offset0:4 offset1:5
	;; [unrolled: 1-line block ×3, first 2 shown]
	s_waitcnt lgkmcnt(0)
	; wave barrier
	s_waitcnt lgkmcnt(0)
	ds_read_u16 v6, v25
	ds_read_u16 v7, v23
	s_waitcnt lgkmcnt(0)
	; wave barrier
	s_waitcnt lgkmcnt(0)
	v_add_u32_sdwa v6, v6, v24 dst_sel:DWORD dst_unused:UNUSED_PAD src0_sel:DWORD src1_sel:WORD_0
	v_add_u32_sdwa v1, v7, v1 dst_sel:DWORD dst_unused:UNUSED_PAD src0_sel:DWORD src1_sel:WORD_0
	ds_write_b8 v1, v18
	ds_write_b8 v6, v19
	s_waitcnt lgkmcnt(0)
	; wave barrier
	s_waitcnt lgkmcnt(0)
	ds_read_u8 v12, v21
	ds_read_u8 v13, v21 offset:1
	v_lshlrev_b32_e32 v1, 3, v1
	s_waitcnt lgkmcnt(0)
	; wave barrier
	s_waitcnt lgkmcnt(0)
	ds_write_b64 v1, v[2:3]
	v_lshlrev_b32_e32 v1, 3, v6
	ds_write_b64 v1, v[4:5]
	s_waitcnt lgkmcnt(0)
	; wave barrier
	s_waitcnt lgkmcnt(0)
	ds_read2_b64 v[6:9], v11 offset1:1
	v_mov_b32_e32 v2, -1
	v_xor_b32_e32 v1, 0xff, v12
	v_xor_b32_sdwa v2, v13, v2 dst_sel:BYTE_1 dst_unused:UNUSED_PAD src0_sel:DWORD src1_sel:DWORD
	v_or_b32_e32 v1, v1, v2
	v_and_b32_e32 v12, 0xffff, v1
.LBB84_52:
	v_lshrrev_b16_e32 v1, 8, v12
	s_waitcnt lgkmcnt(0)
	; wave barrier
	s_waitcnt lgkmcnt(0)
	ds_write_b8 v21, v12
	ds_write_b8 v21, v1 offset:1
	s_waitcnt lgkmcnt(0)
	; wave barrier
	s_waitcnt lgkmcnt(0)
	ds_read_u8 v1, v0 offset:16
	v_mov_b32_e32 v3, s23
	v_add_co_u32_e32 v2, vcc, s22, v20
	v_addc_co_u32_e32 v3, vcc, 0, v3, vcc
	s_and_saveexec_b64 s[4:5], s[0:1]
	s_cbranch_execz .LBB84_54
; %bb.53:
	ds_read_u8 v0, v0
	s_waitcnt lgkmcnt(0)
	global_store_byte v[2:3], v0, off
.LBB84_54:
	s_or_b64 exec, exec, s[4:5]
	s_and_saveexec_b64 s[4:5], s[2:3]
	s_cbranch_execz .LBB84_56
; %bb.55:
	s_lshl_b32 s6, s18, 4
	v_add_co_u32_e32 v2, vcc, s6, v2
	v_addc_co_u32_e32 v3, vcc, 0, v3, vcc
	s_waitcnt lgkmcnt(0)
	global_store_byte v[2:3], v1, off
.LBB84_56:
	s_or_b64 exec, exec, s[4:5]
	s_waitcnt lgkmcnt(0)
	; wave barrier
	s_waitcnt lgkmcnt(0)
	ds_write2_b64 v11, v[6:7], v[8:9] offset1:1
	s_waitcnt lgkmcnt(0)
	; wave barrier
	s_waitcnt lgkmcnt(0)
	ds_read_b64 v[0:1], v22 offset:128
	v_mov_b32_e32 v11, 0
	v_lshlrev_b64 v[2:3], 3, v[10:11]
	v_mov_b32_e32 v4, s21
	v_add_co_u32_e32 v2, vcc, s19, v2
	v_addc_co_u32_e32 v3, vcc, v4, v3, vcc
	s_and_saveexec_b64 s[4:5], s[0:1]
	s_cbranch_execz .LBB84_58
; %bb.57:
	ds_read_b64 v[4:5], v22
	s_waitcnt lgkmcnt(0)
	global_store_dwordx2 v[2:3], v[4:5], off
.LBB84_58:
	s_or_b64 exec, exec, s[4:5]
	s_and_saveexec_b64 s[0:1], s[2:3]
	s_cbranch_execz .LBB84_60
; %bb.59:
	s_lshl_b32 s0, s20, 4
	s_mov_b32 s1, 0
	s_lshl_b64 s[0:1], s[0:1], 3
	v_mov_b32_e32 v4, s1
	v_add_co_u32_e32 v2, vcc, s0, v2
	v_addc_co_u32_e32 v3, vcc, v3, v4, vcc
	s_waitcnt lgkmcnt(0)
	global_store_dwordx2 v[2:3], v[0:1], off
.LBB84_60:
	s_endpgm
	.section	.rodata,"a",@progbits
	.p2align	6, 0x0
	.amdhsa_kernel _ZN2at6native18radixSortKVInPlaceILin2ELin1ELi16ELi2EhljEEvNS_4cuda6detail10TensorInfoIT3_T5_EES6_S6_S6_NS4_IT4_S6_EES6_b
		.amdhsa_group_segment_fixed_size 528
		.amdhsa_private_segment_fixed_size 0
		.amdhsa_kernarg_size 712
		.amdhsa_user_sgpr_count 6
		.amdhsa_user_sgpr_private_segment_buffer 1
		.amdhsa_user_sgpr_dispatch_ptr 0
		.amdhsa_user_sgpr_queue_ptr 0
		.amdhsa_user_sgpr_kernarg_segment_ptr 1
		.amdhsa_user_sgpr_dispatch_id 0
		.amdhsa_user_sgpr_flat_scratch_init 0
		.amdhsa_user_sgpr_kernarg_preload_length 0
		.amdhsa_user_sgpr_kernarg_preload_offset 0
		.amdhsa_user_sgpr_private_segment_size 0
		.amdhsa_uses_dynamic_stack 0
		.amdhsa_system_sgpr_private_segment_wavefront_offset 0
		.amdhsa_system_sgpr_workgroup_id_x 1
		.amdhsa_system_sgpr_workgroup_id_y 1
		.amdhsa_system_sgpr_workgroup_id_z 1
		.amdhsa_system_sgpr_workgroup_info 0
		.amdhsa_system_vgpr_workitem_id 0
		.amdhsa_next_free_vgpr 34
		.amdhsa_next_free_sgpr 32
		.amdhsa_accum_offset 36
		.amdhsa_reserve_vcc 1
		.amdhsa_reserve_flat_scratch 0
		.amdhsa_float_round_mode_32 0
		.amdhsa_float_round_mode_16_64 0
		.amdhsa_float_denorm_mode_32 3
		.amdhsa_float_denorm_mode_16_64 3
		.amdhsa_dx10_clamp 1
		.amdhsa_ieee_mode 1
		.amdhsa_fp16_overflow 0
		.amdhsa_tg_split 0
		.amdhsa_exception_fp_ieee_invalid_op 0
		.amdhsa_exception_fp_denorm_src 0
		.amdhsa_exception_fp_ieee_div_zero 0
		.amdhsa_exception_fp_ieee_overflow 0
		.amdhsa_exception_fp_ieee_underflow 0
		.amdhsa_exception_fp_ieee_inexact 0
		.amdhsa_exception_int_div_zero 0
	.end_amdhsa_kernel
	.section	.text._ZN2at6native18radixSortKVInPlaceILin2ELin1ELi16ELi2EhljEEvNS_4cuda6detail10TensorInfoIT3_T5_EES6_S6_S6_NS4_IT4_S6_EES6_b,"axG",@progbits,_ZN2at6native18radixSortKVInPlaceILin2ELin1ELi16ELi2EhljEEvNS_4cuda6detail10TensorInfoIT3_T5_EES6_S6_S6_NS4_IT4_S6_EES6_b,comdat
.Lfunc_end84:
	.size	_ZN2at6native18radixSortKVInPlaceILin2ELin1ELi16ELi2EhljEEvNS_4cuda6detail10TensorInfoIT3_T5_EES6_S6_S6_NS4_IT4_S6_EES6_b, .Lfunc_end84-_ZN2at6native18radixSortKVInPlaceILin2ELin1ELi16ELi2EhljEEvNS_4cuda6detail10TensorInfoIT3_T5_EES6_S6_S6_NS4_IT4_S6_EES6_b
                                        ; -- End function
	.section	.AMDGPU.csdata,"",@progbits
; Kernel info:
; codeLenInByte = 4312
; NumSgprs: 36
; NumVgprs: 34
; NumAgprs: 0
; TotalNumVgprs: 34
; ScratchSize: 0
; MemoryBound: 0
; FloatMode: 240
; IeeeMode: 1
; LDSByteSize: 528 bytes/workgroup (compile time only)
; SGPRBlocks: 4
; VGPRBlocks: 4
; NumSGPRsForWavesPerEU: 36
; NumVGPRsForWavesPerEU: 34
; AccumOffset: 36
; Occupancy: 8
; WaveLimiterHint : 1
; COMPUTE_PGM_RSRC2:SCRATCH_EN: 0
; COMPUTE_PGM_RSRC2:USER_SGPR: 6
; COMPUTE_PGM_RSRC2:TRAP_HANDLER: 0
; COMPUTE_PGM_RSRC2:TGID_X_EN: 1
; COMPUTE_PGM_RSRC2:TGID_Y_EN: 1
; COMPUTE_PGM_RSRC2:TGID_Z_EN: 1
; COMPUTE_PGM_RSRC2:TIDIG_COMP_CNT: 0
; COMPUTE_PGM_RSRC3_GFX90A:ACCUM_OFFSET: 8
; COMPUTE_PGM_RSRC3_GFX90A:TG_SPLIT: 0
	.section	.text._ZN2at6native18radixSortKVInPlaceILi2ELin1ELi512ELi8EhljEEvNS_4cuda6detail10TensorInfoIT3_T5_EES6_S6_S6_NS4_IT4_S6_EES6_b,"axG",@progbits,_ZN2at6native18radixSortKVInPlaceILi2ELin1ELi512ELi8EhljEEvNS_4cuda6detail10TensorInfoIT3_T5_EES6_S6_S6_NS4_IT4_S6_EES6_b,comdat
	.protected	_ZN2at6native18radixSortKVInPlaceILi2ELin1ELi512ELi8EhljEEvNS_4cuda6detail10TensorInfoIT3_T5_EES6_S6_S6_NS4_IT4_S6_EES6_b ; -- Begin function _ZN2at6native18radixSortKVInPlaceILi2ELin1ELi512ELi8EhljEEvNS_4cuda6detail10TensorInfoIT3_T5_EES6_S6_S6_NS4_IT4_S6_EES6_b
	.globl	_ZN2at6native18radixSortKVInPlaceILi2ELin1ELi512ELi8EhljEEvNS_4cuda6detail10TensorInfoIT3_T5_EES6_S6_S6_NS4_IT4_S6_EES6_b
	.p2align	8
	.type	_ZN2at6native18radixSortKVInPlaceILi2ELin1ELi512ELi8EhljEEvNS_4cuda6detail10TensorInfoIT3_T5_EES6_S6_S6_NS4_IT4_S6_EES6_b,@function
_ZN2at6native18radixSortKVInPlaceILi2ELin1ELi512ELi8EhljEEvNS_4cuda6detail10TensorInfoIT3_T5_EES6_S6_S6_NS4_IT4_S6_EES6_b: ; @_ZN2at6native18radixSortKVInPlaceILi2ELin1ELi512ELi8EhljEEvNS_4cuda6detail10TensorInfoIT3_T5_EES6_S6_S6_NS4_IT4_S6_EES6_b
; %bb.0:
	s_load_dwordx2 s[0:1], s[4:5], 0x1c8
	s_load_dwordx4 s[36:39], s[4:5], 0xd8
	s_add_u32 s42, s4, 0x1c8
	s_addc_u32 s43, s5, 0
	s_waitcnt lgkmcnt(0)
	s_mul_i32 s1, s1, s8
	s_add_i32 s1, s1, s7
	s_mul_i32 s8, s1, s0
	s_add_i32 s8, s8, s6
	s_cmp_ge_u32 s8, s36
	s_cbranch_scc1 .LBB85_102
; %bb.1:
	s_load_dword s9, s[4:5], 0xc
	s_load_dwordx2 s[0:1], s[4:5], 0x6c
	s_load_dword s6, s[4:5], 0x1b8
	s_add_u32 s14, s4, 0xe8
	s_load_dwordx2 s[2:3], s[4:5], 0x0
	s_waitcnt lgkmcnt(0)
	v_cvt_f32_u32_e32 v1, s9
	s_addc_u32 s15, s5, 0
	s_sub_i32 s7, 0, s9
	s_mov_b32 s17, 0
	v_rcp_iflag_f32_e32 v1, v1
	s_mov_b32 s16, s8
	v_mul_f32_e32 v1, 0x4f7ffffe, v1
	v_cvt_u32_f32_e32 v1, v1
	v_readfirstlane_b32 s10, v1
	s_mul_i32 s7, s7, s10
	s_mul_hi_u32 s7, s10, s7
	s_add_i32 s10, s10, s7
	s_mul_hi_u32 s10, s8, s10
	s_cmp_lt_i32 s6, 2
	s_cbranch_scc1 .LBB85_4
; %bb.2:
	s_add_i32 s16, s6, -1
	s_add_i32 s11, s6, 1
	s_lshl_b64 s[6:7], s[16:17], 2
	s_add_u32 s6, s6, s14
	s_addc_u32 s7, s7, s15
	s_add_u32 s6, s6, 8
	s_addc_u32 s7, s7, 0
	s_mov_b32 s16, s8
.LBB85_3:                               ; =>This Inner Loop Header: Depth=1
	s_load_dword s12, s[6:7], 0x0
	s_load_dword s18, s[6:7], 0x64
	s_mov_b32 s13, s16
	s_waitcnt lgkmcnt(0)
	v_cvt_f32_u32_e32 v1, s12
	s_sub_i32 s16, 0, s12
	v_rcp_iflag_f32_e32 v1, v1
	v_mul_f32_e32 v1, 0x4f7ffffe, v1
	v_cvt_u32_f32_e32 v1, v1
	v_readfirstlane_b32 s19, v1
	s_mul_i32 s16, s16, s19
	s_mul_hi_u32 s16, s19, s16
	s_add_i32 s19, s19, s16
	s_mul_hi_u32 s16, s13, s19
	s_mul_i32 s19, s16, s12
	s_sub_i32 s19, s13, s19
	s_add_i32 s20, s16, 1
	s_sub_i32 s21, s19, s12
	s_cmp_ge_u32 s19, s12
	s_cselect_b32 s16, s20, s16
	s_cselect_b32 s19, s21, s19
	s_add_i32 s20, s16, 1
	s_cmp_ge_u32 s19, s12
	s_cselect_b32 s16, s20, s16
	s_mul_i32 s12, s16, s12
	s_sub_i32 s12, s13, s12
	s_mul_i32 s12, s18, s12
	s_add_i32 s11, s11, -1
	s_add_i32 s17, s12, s17
	s_add_u32 s6, s6, -4
	s_addc_u32 s7, s7, -1
	s_cmp_gt_u32 s11, 2
	s_cbranch_scc1 .LBB85_3
.LBB85_4:
	s_mul_i32 s6, s10, s9
	s_sub_i32 s6, s8, s6
	s_add_i32 s7, s10, 1
	s_sub_i32 s11, s6, s9
	s_cmp_ge_u32 s6, s9
	s_cselect_b32 s7, s7, s10
	s_cselect_b32 s6, s11, s6
	s_add_i32 s10, s7, 1
	s_cmp_ge_u32 s6, s9
	s_cselect_b32 s6, s10, s7
	s_load_dwordx2 s[34:35], s[4:5], 0x1c0
	s_mul_i32 s7, s6, s9
	s_sub_i32 s4, s8, s7
	s_mul_i32 s4, s4, s1
	s_mul_i32 s0, s6, s0
	s_add_i32 s4, s0, s4
	s_waitcnt lgkmcnt(0)
	s_bitcmp1_b32 s35, 0
	s_cselect_b64 s[0:1], -1, 0
	s_add_u32 s40, s2, s4
	s_addc_u32 s41, s3, 0
	s_xor_b64 s[44:45], s[0:1], -1
	v_cndmask_b32_e64 v1, 0, -1, s[44:45]
	v_lshlrev_b16_e32 v2, 8, v1
	v_or_b32_sdwa v2, v1, v2 dst_sel:DWORD dst_unused:UNUSED_PAD src0_sel:BYTE_0 src1_sel:DWORD
	v_lshlrev_b32_e32 v3, 16, v2
	v_and_b32_e32 v36, 0x3ff, v0
	v_or_b32_sdwa v2, v2, v3 dst_sel:DWORD dst_unused:UNUSED_PAD src0_sel:WORD_0 src1_sel:DWORD
	v_mov_b32_e32 v3, v2
	v_cmp_gt_u32_e64 s[0:1], s37, v36
	v_mul_lo_u32 v37, v36, s38
	s_and_saveexec_b64 s[2:3], s[0:1]
	s_cbranch_execz .LBB85_6
; %bb.5:
	global_load_ubyte v1, v37, s[40:41]
	s_mov_b32 s4, 0x3020104
	v_mov_b32_e32 v5, v2
	s_waitcnt vmcnt(0)
	v_perm_b32 v4, v1, v2, s4
	v_pk_mov_b32 v[2:3], v[4:5], v[4:5] op_sel:[0,1]
.LBB85_6:
	s_or_b64 exec, exec, s[2:3]
	v_add_u32_e32 v32, 0x200, v36
	v_cmp_gt_u32_e64 s[2:3], s37, v32
	s_and_saveexec_b64 s[4:5], s[2:3]
	s_cbranch_execz .LBB85_8
; %bb.7:
	v_mul_lo_u32 v4, v32, s38
	global_load_ubyte v4, v4, s[40:41]
	s_mov_b32 s6, 0x7060004
	s_waitcnt vmcnt(0)
	v_perm_b32 v2, v2, v4, s6
.LBB85_8:
	s_or_b64 exec, exec, s[4:5]
	v_or_b32_e32 v31, 0x400, v36
	v_cmp_gt_u32_e64 s[4:5], s37, v31
	s_and_saveexec_b64 s[6:7], s[4:5]
	s_cbranch_execz .LBB85_10
; %bb.9:
	v_mul_lo_u32 v4, v31, s38
	global_load_ubyte v4, v4, s[40:41]
	s_movk_i32 s8, 0xff00
	v_and_b32_sdwa v5, v2, s8 dst_sel:DWORD dst_unused:UNUSED_PAD src0_sel:WORD_1 src1_sel:DWORD
	s_mov_b32 s8, 0xffff
	s_waitcnt vmcnt(0)
	v_or_b32_sdwa v4, v4, v5 dst_sel:WORD_1 dst_unused:UNUSED_PAD src0_sel:DWORD src1_sel:DWORD
	v_and_or_b32 v2, v2, s8, v4
.LBB85_10:
	s_or_b64 exec, exec, s[6:7]
	v_add_u32_e32 v30, 0x600, v36
	v_cmp_gt_u32_e64 s[6:7], s37, v30
	s_and_saveexec_b64 s[8:9], s[6:7]
	s_cbranch_execz .LBB85_12
; %bb.11:
	v_mul_lo_u32 v4, v30, s38
	global_load_ubyte v4, v4, s[40:41]
	s_movk_i32 s10, 0xff
	v_and_b32_sdwa v5, v2, s10 dst_sel:DWORD dst_unused:UNUSED_PAD src0_sel:WORD_1 src1_sel:DWORD
	s_mov_b32 s10, 0xffff
	s_waitcnt vmcnt(0)
	v_lshlrev_b16_e32 v4, 8, v4
	v_or_b32_sdwa v4, v5, v4 dst_sel:WORD_1 dst_unused:UNUSED_PAD src0_sel:DWORD src1_sel:DWORD
	v_and_or_b32 v2, v2, s10, v4
.LBB85_12:
	s_or_b64 exec, exec, s[8:9]
	v_or_b32_e32 v29, 0x800, v36
	v_cmp_gt_u32_e64 s[8:9], s37, v29
	s_and_saveexec_b64 s[10:11], s[8:9]
	s_cbranch_execz .LBB85_14
; %bb.13:
	v_mul_lo_u32 v4, v29, s38
	global_load_ubyte v4, v4, s[40:41]
	s_mov_b32 s12, 0x3020104
	s_waitcnt vmcnt(0)
	v_perm_b32 v3, v4, v3, s12
.LBB85_14:
	s_or_b64 exec, exec, s[10:11]
	v_add_u32_e32 v28, 0xa00, v36
	v_cmp_gt_u32_e64 s[10:11], s37, v28
	s_and_saveexec_b64 s[12:13], s[10:11]
	s_cbranch_execz .LBB85_16
; %bb.15:
	v_mul_lo_u32 v4, v28, s38
	global_load_ubyte v4, v4, s[40:41]
	s_mov_b32 s18, 0x7060004
	s_waitcnt vmcnt(0)
	v_perm_b32 v3, v3, v4, s18
.LBB85_16:
	s_or_b64 exec, exec, s[12:13]
	s_load_dwordx2 s[18:19], s[14:15], 0x0
	v_or_b32_e32 v27, 0xc00, v36
	v_cmp_gt_u32_e64 s[12:13], s37, v27
	s_and_saveexec_b64 s[20:21], s[12:13]
	s_cbranch_execz .LBB85_18
; %bb.17:
	v_mul_lo_u32 v4, v27, s38
	global_load_ubyte v4, v4, s[40:41]
	s_mov_b32 s22, 0x7000504
	s_waitcnt vmcnt(0)
	v_perm_b32 v3, v3, v4, s22
.LBB85_18:
	s_or_b64 exec, exec, s[20:21]
	s_load_dword s22, s[14:15], 0x6c
	v_add_u32_e32 v22, 0xe00, v36
	v_cmp_gt_u32_e64 s[14:15], s37, v22
	s_and_saveexec_b64 s[20:21], s[14:15]
	s_cbranch_execz .LBB85_20
; %bb.19:
	v_mul_lo_u32 v4, v22, s38
	global_load_ubyte v4, v4, s[40:41]
	s_mov_b32 s23, 0x60504
	s_waitcnt vmcnt(0)
	v_perm_b32 v3, v3, v4, s23
.LBB85_20:
	s_or_b64 exec, exec, s[20:21]
	v_lshrrev_b32_e32 v26, 5, v36
	v_and_b32_e32 v4, 28, v26
	v_add_u32_e32 v44, v4, v36
	v_lshrrev_b32_e32 v25, 5, v32
	ds_write_b8 v44, v1
	v_and_b32_e32 v1, 60, v25
	v_lshrrev_b32_e32 v24, 5, v31
	v_add_u32_e32 v45, v1, v36
	v_and_b32_e32 v1, 60, v24
	v_lshrrev_b32_e32 v23, 5, v30
	v_add_u32_e32 v46, v1, v36
	;; [unrolled: 3-line block ×3, first 2 shown]
	v_and_b32_e32 v1, 0x5c, v21
	v_lshrrev_b32_e32 v19, 5, v28
	v_lshrrev_b32_e32 v4, 8, v2
	v_add_u32_e32 v48, v1, v36
	v_and_b32_e32 v1, 0x7c, v19
	v_lshrrev_b32_e32 v18, 5, v27
	ds_write_b8 v45, v4 offset:512
	ds_write_b8_d16_hi v46, v2 offset:1024
	v_lshrrev_b32_e32 v2, 24, v2
	v_add_u32_e32 v49, v1, v36
	v_and_b32_e32 v1, 0x7c, v18
	ds_write_b8 v47, v2 offset:1536
	v_lshrrev_b32_e32 v2, 8, v3
	v_add_u32_e32 v50, v1, v36
	v_lshrrev_b32_e32 v1, 5, v22
	ds_write_b8 v48, v3 offset:2048
	ds_write_b8 v49, v2 offset:2560
	v_and_b32_e32 v2, 0xfc, v1
	v_lshrrev_b32_e32 v20, 2, v36
	v_add_u32_e32 v51, v2, v36
	v_lshlrev_b32_e32 v53, 3, v36
	v_and_b32_e32 v2, 0xfc, v20
	s_waitcnt lgkmcnt(0)
	s_mul_i32 s16, s22, s16
	ds_write_b8_d16_hi v50, v3 offset:3072
	v_lshrrev_b32_e32 v3, 24, v3
	v_add_u32_e32 v52, v2, v53
	s_add_i32 s16, s16, s17
	s_mov_b32 s17, 0
	ds_write_b8 v51, v3 offset:3584
	s_waitcnt lgkmcnt(0)
	s_barrier
	ds_read_b64 v[38:39], v52
	s_lshl_b64 s[20:21], s[16:17], 3
	s_add_u32 s33, s18, s20
	s_mov_b32 s16, s17
	s_addc_u32 s35, s19, s21
	s_mov_b32 s18, s17
	s_mov_b32 s19, s17
	;; [unrolled: 1-line block ×14, first 2 shown]
	v_pk_mov_b32 v[2:3], s[16:17], s[16:17] op_sel:[0,1]
	v_pk_mov_b32 v[4:5], s[18:19], s[18:19] op_sel:[0,1]
	;; [unrolled: 1-line block ×8, first 2 shown]
	v_pk_mov_b32 v[2:3], 0, 0
	v_mul_lo_u32 v34, v36, s34
	s_waitcnt lgkmcnt(0)
	s_barrier
	s_and_saveexec_b64 s[16:17], s[0:1]
	s_cbranch_execnz .LBB85_53
; %bb.21:
	s_or_b64 exec, exec, s[16:17]
	s_and_saveexec_b64 s[16:17], s[2:3]
	s_cbranch_execnz .LBB85_54
.LBB85_22:
	s_or_b64 exec, exec, s[16:17]
	s_and_saveexec_b64 s[16:17], s[4:5]
	s_cbranch_execnz .LBB85_55
.LBB85_23:
	s_or_b64 exec, exec, s[16:17]
	s_and_saveexec_b64 s[16:17], s[6:7]
	s_cbranch_execnz .LBB85_56
.LBB85_24:
	s_or_b64 exec, exec, s[16:17]
	s_and_saveexec_b64 s[16:17], s[8:9]
	s_cbranch_execnz .LBB85_57
.LBB85_25:
	s_or_b64 exec, exec, s[16:17]
	s_and_saveexec_b64 s[16:17], s[10:11]
	s_cbranch_execnz .LBB85_58
.LBB85_26:
	s_or_b64 exec, exec, s[16:17]
	s_and_saveexec_b64 s[16:17], s[12:13]
	s_cbranch_execnz .LBB85_59
.LBB85_27:
	s_or_b64 exec, exec, s[16:17]
	s_and_saveexec_b64 s[16:17], s[14:15]
	s_cbranch_execz .LBB85_29
.LBB85_28:
	v_mul_lo_u32 v16, v22, s34
	v_mov_b32_e32 v17, 0
	v_lshlrev_b64 v[16:17], 3, v[16:17]
	v_mov_b32_e32 v22, s35
	v_add_co_u32_e32 v16, vcc, s33, v16
	v_addc_co_u32_e32 v17, vcc, v22, v17, vcc
	global_load_dwordx2 v[16:17], v[16:17], off
.LBB85_29:
	s_or_b64 exec, exec, s[16:17]
	v_lshrrev_b64 v[40:41], 24, v[38:39]
	v_add_lshl_u32 v41, v26, v36, 3
	v_add_lshl_u32 v35, v25, v36, 3
	;; [unrolled: 1-line block ×9, first 2 shown]
	s_waitcnt vmcnt(0)
	ds_write_b64 v41, v[2:3]
	ds_write_b64 v35, v[4:5] offset:4096
	ds_write_b64 v54, v[6:7] offset:8192
	;; [unrolled: 1-line block ×7, first 2 shown]
	s_waitcnt lgkmcnt(0)
	s_barrier
	ds_read2_b64 v[14:17], v60 offset1:1
	ds_read2_b64 v[10:13], v60 offset0:2 offset1:3
	ds_read2_b64 v[6:9], v60 offset0:4 offset1:5
	;; [unrolled: 1-line block ×3, first 2 shown]
	v_lshrrev_b32_e32 v64, 8, v38
	v_lshrrev_b32_e32 v65, 8, v39
	s_and_b64 vcc, exec, s[44:45]
	v_bfe_u32 v62, v0, 10, 10
	v_bfe_u32 v63, v0, 20, 10
	v_mbcnt_lo_u32_b32 v66, -1, 0
	v_lshlrev_b32_e32 v61, 4, v36
	s_waitcnt lgkmcnt(0)
	s_barrier
	s_cbranch_vccz .LBB85_60
; %bb.30:
	s_movk_i32 s16, 0xff
	v_mov_b32_e32 v1, 8
	v_lshlrev_b16_e32 v0, 8, v65
	v_lshlrev_b16_sdwa v1, v1, v39 dst_sel:DWORD dst_unused:UNUSED_PAD src0_sel:DWORD src1_sel:BYTE_3
	v_and_b32_sdwa v20, v39, s16 dst_sel:DWORD dst_unused:UNUSED_PAD src0_sel:WORD_1 src1_sel:DWORD
	v_or_b32_sdwa v0, v39, v0 dst_sel:DWORD dst_unused:UNUSED_PAD src0_sel:BYTE_0 src1_sel:DWORD
	v_or_b32_sdwa v1, v20, v1 dst_sel:WORD_1 dst_unused:UNUSED_PAD src0_sel:DWORD src1_sel:DWORD
	v_mbcnt_hi_u32_b32 v75, -1, v66
	v_and_b32_e32 v76, 0x3c0, v36
	v_or_b32_sdwa v1, v0, v1 dst_sel:DWORD dst_unused:UNUSED_PAD src0_sel:WORD_0 src1_sel:DWORD
	v_lshlrev_b16_e32 v0, 8, v64
	v_lshlrev_b16_e32 v20, 8, v40
	v_and_b32_sdwa v21, v38, s16 dst_sel:DWORD dst_unused:UNUSED_PAD src0_sel:WORD_1 src1_sel:DWORD
	v_add_u32_e32 v18, v75, v76
	v_or_b32_sdwa v0, v38, v0 dst_sel:DWORD dst_unused:UNUSED_PAD src0_sel:BYTE_0 src1_sel:DWORD
	v_or_b32_sdwa v20, v21, v20 dst_sel:WORD_1 dst_unused:UNUSED_PAD src0_sel:DWORD src1_sel:DWORD
	v_lshlrev_b32_e32 v19, 3, v18
	v_or_b32_sdwa v0, v0, v20 dst_sel:DWORD dst_unused:UNUSED_PAD src0_sel:WORD_0 src1_sel:DWORD
	s_movk_i32 s16, 0x1e00
	ds_write_b64 v19, v[0:1]
	v_and_or_b32 v0, v53, s16, v75
	; wave barrier
	ds_read_u8 v67, v0
	ds_read_u8 v68, v0 offset:64
	ds_read_u8 v69, v0 offset:128
	ds_read_u8 v70, v0 offset:192
	ds_read_u8 v71, v0 offset:256
	ds_read_u8 v72, v0 offset:320
	ds_read_u8 v73, v0 offset:384
	ds_read_u8 v74, v0 offset:448
	v_lshlrev_b32_e32 v1, 6, v18
	v_lshlrev_b32_e32 v0, 3, v0
	s_getpc_b64 s[16:17]
	s_add_u32 s16, s16, _ZN7rocprim17ROCPRIM_400000_NS16block_radix_sortIhLj512ELj8ElLj1ELj1ELj0ELNS0_26block_radix_rank_algorithmE1ELNS0_18block_padding_hintE2ELNS0_4arch9wavefront6targetE1EE19radix_bits_per_passE@rel32@lo+4
	s_addc_u32 s17, s17, _ZN7rocprim17ROCPRIM_400000_NS16block_radix_sortIhLj512ELj8ElLj1ELj1ELj0ELNS0_26block_radix_rank_algorithmE1ELNS0_18block_padding_hintE2ELNS0_4arch9wavefront6targetE1EE19radix_bits_per_passE@rel32@hi+12
	s_waitcnt lgkmcnt(0)
	s_barrier
	ds_write2_b64 v1, v[14:15], v[16:17] offset1:1
	ds_write2_b64 v1, v[10:11], v[12:13] offset0:2 offset1:3
	ds_write2_b64 v1, v[6:7], v[8:9] offset0:4 offset1:5
	;; [unrolled: 1-line block ×3, first 2 shown]
	; wave barrier
	ds_read2st64_b64 v[30:33], v0 offset1:1
	ds_read2st64_b64 v[26:29], v0 offset0:2 offset1:3
	ds_read2st64_b64 v[22:25], v0 offset0:4 offset1:5
	;; [unrolled: 1-line block ×3, first 2 shown]
	s_waitcnt lgkmcnt(0)
	s_barrier
	s_load_dword s18, s[16:17], 0x0
	s_load_dword s19, s[42:43], 0xc
	v_mov_b32_e32 v79, 3
	v_mov_b32_e32 v0, 0
	ds_write2_b32 v61, v0, v0 offset0:8 offset1:9
	ds_write2_b32 v61, v0, v0 offset0:10 offset1:11
	s_waitcnt lgkmcnt(0)
	s_min_u32 s18, s18, 8
	s_lshr_b32 s16, s19, 16
	s_and_b32 s17, s19, 0xffff
	v_mad_u32_u24 v1, v63, s16, v62
	v_mad_u64_u32 v[42:43], s[16:17], v1, s17, v[36:37]
	s_lshl_b32 s16, -1, s18
	s_not_b32 s18, s16
	v_lshrrev_b32_e32 v83, 6, v42
	v_and_b32_e32 v42, s18, v67
	v_lshlrev_b32_sdwa v1, v79, v42 dst_sel:DWORD dst_unused:UNUSED_PAD src0_sel:DWORD src1_sel:BYTE_0
	v_add_lshl_u32 v77, v83, v1, 2
	v_and_b32_e32 v1, 1, v42
	v_add_co_u32_e32 v43, vcc, -1, v1
	v_addc_co_u32_e64 v78, s[16:17], 0, -1, vcc
	v_cmp_ne_u32_e32 vcc, 0, v1
	v_xor_b32_e32 v1, vcc_hi, v78
	v_and_b32_e32 v78, exec_hi, v1
	v_lshlrev_b32_e32 v1, 30, v42
	v_xor_b32_e32 v43, vcc_lo, v43
	v_cmp_gt_i64_e32 vcc, 0, v[0:1]
	v_not_b32_e32 v1, v1
	v_ashrrev_i32_e32 v1, 31, v1
	v_and_b32_e32 v43, exec_lo, v43
	v_xor_b32_e32 v80, vcc_hi, v1
	v_xor_b32_e32 v1, vcc_lo, v1
	v_and_b32_e32 v43, v43, v1
	v_lshlrev_b32_e32 v1, 29, v42
	v_cmp_gt_i64_e32 vcc, 0, v[0:1]
	v_not_b32_e32 v1, v1
	v_ashrrev_i32_e32 v1, 31, v1
	v_and_b32_e32 v78, v78, v80
	v_xor_b32_e32 v80, vcc_hi, v1
	v_xor_b32_e32 v1, vcc_lo, v1
	v_and_b32_e32 v43, v43, v1
	v_lshlrev_b32_e32 v1, 28, v42
	v_cmp_gt_i64_e32 vcc, 0, v[0:1]
	v_not_b32_e32 v1, v1
	v_ashrrev_i32_e32 v1, 31, v1
	v_and_b32_e32 v78, v78, v80
	;; [unrolled: 8-line block ×5, first 2 shown]
	v_xor_b32_e32 v80, vcc_hi, v1
	v_xor_b32_e32 v1, vcc_lo, v1
	v_and_b32_e32 v78, v78, v80
	v_and_b32_e32 v80, v43, v1
	v_lshlrev_b32_e32 v1, 24, v42
	v_cmp_gt_i64_e32 vcc, 0, v[0:1]
	v_not_b32_e32 v1, v1
	v_ashrrev_i32_e32 v1, 31, v1
	v_xor_b32_e32 v42, vcc_hi, v1
	v_xor_b32_e32 v1, vcc_lo, v1
	v_and_b32_e32 v43, v78, v42
	v_and_b32_e32 v42, v80, v1
	v_mbcnt_lo_u32_b32 v1, v42, 0
	v_mbcnt_hi_u32_b32 v78, v43, v1
	v_cmp_eq_u32_e32 vcc, 0, v78
	v_cmp_ne_u64_e64 s[16:17], 0, v[42:43]
	s_and_b64 s[20:21], s[16:17], vcc
	s_barrier
	s_waitcnt lgkmcnt(0)
	; wave barrier
	s_and_saveexec_b64 s[16:17], s[20:21]
	s_cbranch_execz .LBB85_32
; %bb.31:
	v_bcnt_u32_b32 v1, v42, 0
	v_bcnt_u32_b32 v1, v43, v1
	ds_write_b32 v77, v1 offset:32
.LBB85_32:
	s_or_b64 exec, exec, s[16:17]
	v_and_b32_e32 v42, s18, v68
	v_lshlrev_b32_sdwa v1, v79, v42 dst_sel:DWORD dst_unused:UNUSED_PAD src0_sel:DWORD src1_sel:BYTE_0
	v_add_lshl_u32 v80, v83, v1, 2
	v_and_b32_e32 v1, 1, v42
	v_add_co_u32_e32 v43, vcc, -1, v1
	v_addc_co_u32_e64 v81, s[16:17], 0, -1, vcc
	v_cmp_ne_u32_e32 vcc, 0, v1
	v_xor_b32_e32 v1, vcc_hi, v81
	v_and_b32_e32 v81, exec_hi, v1
	v_lshlrev_b32_e32 v1, 30, v42
	v_xor_b32_e32 v43, vcc_lo, v43
	v_cmp_gt_i64_e32 vcc, 0, v[0:1]
	v_not_b32_e32 v1, v1
	v_ashrrev_i32_e32 v1, 31, v1
	v_and_b32_e32 v43, exec_lo, v43
	v_xor_b32_e32 v82, vcc_hi, v1
	v_xor_b32_e32 v1, vcc_lo, v1
	v_and_b32_e32 v43, v43, v1
	v_lshlrev_b32_e32 v1, 29, v42
	v_cmp_gt_i64_e32 vcc, 0, v[0:1]
	v_not_b32_e32 v1, v1
	v_ashrrev_i32_e32 v1, 31, v1
	v_and_b32_e32 v81, v81, v82
	v_xor_b32_e32 v82, vcc_hi, v1
	v_xor_b32_e32 v1, vcc_lo, v1
	v_and_b32_e32 v43, v43, v1
	v_lshlrev_b32_e32 v1, 28, v42
	v_cmp_gt_i64_e32 vcc, 0, v[0:1]
	v_not_b32_e32 v1, v1
	v_ashrrev_i32_e32 v1, 31, v1
	v_and_b32_e32 v81, v81, v82
	;; [unrolled: 8-line block ×5, first 2 shown]
	v_xor_b32_e32 v82, vcc_hi, v1
	v_xor_b32_e32 v1, vcc_lo, v1
	v_and_b32_e32 v43, v43, v1
	v_lshlrev_b32_e32 v1, 24, v42
	v_cmp_gt_i64_e32 vcc, 0, v[0:1]
	v_not_b32_e32 v0, v1
	v_ashrrev_i32_e32 v0, 31, v0
	v_xor_b32_e32 v1, vcc_hi, v0
	v_xor_b32_e32 v0, vcc_lo, v0
	; wave barrier
	ds_read_b32 v79, v80 offset:32
	v_and_b32_e32 v81, v81, v82
	v_and_b32_e32 v0, v43, v0
	;; [unrolled: 1-line block ×3, first 2 shown]
	v_mbcnt_lo_u32_b32 v42, v0, 0
	v_mbcnt_hi_u32_b32 v81, v1, v42
	v_cmp_eq_u32_e32 vcc, 0, v81
	v_cmp_ne_u64_e64 s[16:17], 0, v[0:1]
	s_and_b64 s[20:21], s[16:17], vcc
	; wave barrier
	s_and_saveexec_b64 s[16:17], s[20:21]
	s_cbranch_execz .LBB85_34
; %bb.33:
	v_bcnt_u32_b32 v0, v0, 0
	v_bcnt_u32_b32 v0, v1, v0
	s_waitcnt lgkmcnt(0)
	v_add_u32_e32 v0, v79, v0
	ds_write_b32 v80, v0 offset:32
.LBB85_34:
	s_or_b64 exec, exec, s[16:17]
	v_and_b32_e32 v42, s18, v69
	v_and_b32_e32 v1, 1, v42
	v_add_co_u32_e32 v43, vcc, -1, v1
	v_mov_b32_e32 v86, 3
	v_addc_co_u32_e64 v85, s[16:17], 0, -1, vcc
	v_cmp_ne_u32_e32 vcc, 0, v1
	v_lshlrev_b32_sdwa v0, v86, v42 dst_sel:DWORD dst_unused:UNUSED_PAD src0_sel:DWORD src1_sel:BYTE_0
	v_xor_b32_e32 v1, vcc_hi, v85
	v_add_lshl_u32 v84, v83, v0, 2
	v_mov_b32_e32 v0, 0
	v_and_b32_e32 v85, exec_hi, v1
	v_lshlrev_b32_e32 v1, 30, v42
	v_xor_b32_e32 v43, vcc_lo, v43
	v_cmp_gt_i64_e32 vcc, 0, v[0:1]
	v_not_b32_e32 v1, v1
	v_ashrrev_i32_e32 v1, 31, v1
	v_and_b32_e32 v43, exec_lo, v43
	v_xor_b32_e32 v87, vcc_hi, v1
	v_xor_b32_e32 v1, vcc_lo, v1
	v_and_b32_e32 v43, v43, v1
	v_lshlrev_b32_e32 v1, 29, v42
	v_cmp_gt_i64_e32 vcc, 0, v[0:1]
	v_not_b32_e32 v1, v1
	v_ashrrev_i32_e32 v1, 31, v1
	v_and_b32_e32 v85, v85, v87
	v_xor_b32_e32 v87, vcc_hi, v1
	v_xor_b32_e32 v1, vcc_lo, v1
	v_and_b32_e32 v43, v43, v1
	v_lshlrev_b32_e32 v1, 28, v42
	v_cmp_gt_i64_e32 vcc, 0, v[0:1]
	v_not_b32_e32 v1, v1
	v_ashrrev_i32_e32 v1, 31, v1
	v_and_b32_e32 v85, v85, v87
	;; [unrolled: 8-line block ×5, first 2 shown]
	v_xor_b32_e32 v87, vcc_hi, v1
	v_xor_b32_e32 v1, vcc_lo, v1
	v_and_b32_e32 v85, v85, v87
	v_and_b32_e32 v87, v43, v1
	v_lshlrev_b32_e32 v1, 24, v42
	v_cmp_gt_i64_e32 vcc, 0, v[0:1]
	v_not_b32_e32 v1, v1
	v_ashrrev_i32_e32 v1, 31, v1
	v_xor_b32_e32 v42, vcc_hi, v1
	v_xor_b32_e32 v1, vcc_lo, v1
	; wave barrier
	ds_read_b32 v82, v84 offset:32
	v_and_b32_e32 v43, v85, v42
	v_and_b32_e32 v42, v87, v1
	v_mbcnt_lo_u32_b32 v1, v42, 0
	v_mbcnt_hi_u32_b32 v85, v43, v1
	v_cmp_eq_u32_e32 vcc, 0, v85
	v_cmp_ne_u64_e64 s[16:17], 0, v[42:43]
	s_and_b64 s[20:21], s[16:17], vcc
	; wave barrier
	s_and_saveexec_b64 s[16:17], s[20:21]
	s_cbranch_execz .LBB85_36
; %bb.35:
	v_bcnt_u32_b32 v1, v42, 0
	v_bcnt_u32_b32 v1, v43, v1
	s_waitcnt lgkmcnt(0)
	v_add_u32_e32 v1, v82, v1
	ds_write_b32 v84, v1 offset:32
.LBB85_36:
	s_or_b64 exec, exec, s[16:17]
	v_and_b32_e32 v42, s18, v70
	v_lshlrev_b32_sdwa v1, v86, v42 dst_sel:DWORD dst_unused:UNUSED_PAD src0_sel:DWORD src1_sel:BYTE_0
	v_add_lshl_u32 v87, v83, v1, 2
	v_and_b32_e32 v1, 1, v42
	v_add_co_u32_e32 v43, vcc, -1, v1
	v_addc_co_u32_e64 v88, s[16:17], 0, -1, vcc
	v_cmp_ne_u32_e32 vcc, 0, v1
	v_xor_b32_e32 v1, vcc_hi, v88
	v_and_b32_e32 v88, exec_hi, v1
	v_lshlrev_b32_e32 v1, 30, v42
	v_xor_b32_e32 v43, vcc_lo, v43
	v_cmp_gt_i64_e32 vcc, 0, v[0:1]
	v_not_b32_e32 v1, v1
	v_ashrrev_i32_e32 v1, 31, v1
	v_and_b32_e32 v43, exec_lo, v43
	v_xor_b32_e32 v89, vcc_hi, v1
	v_xor_b32_e32 v1, vcc_lo, v1
	v_and_b32_e32 v43, v43, v1
	v_lshlrev_b32_e32 v1, 29, v42
	v_cmp_gt_i64_e32 vcc, 0, v[0:1]
	v_not_b32_e32 v1, v1
	v_ashrrev_i32_e32 v1, 31, v1
	v_and_b32_e32 v88, v88, v89
	v_xor_b32_e32 v89, vcc_hi, v1
	v_xor_b32_e32 v1, vcc_lo, v1
	v_and_b32_e32 v43, v43, v1
	v_lshlrev_b32_e32 v1, 28, v42
	v_cmp_gt_i64_e32 vcc, 0, v[0:1]
	v_not_b32_e32 v1, v1
	v_ashrrev_i32_e32 v1, 31, v1
	v_and_b32_e32 v88, v88, v89
	;; [unrolled: 8-line block ×5, first 2 shown]
	v_xor_b32_e32 v89, vcc_hi, v1
	v_xor_b32_e32 v1, vcc_lo, v1
	v_and_b32_e32 v43, v43, v1
	v_lshlrev_b32_e32 v1, 24, v42
	v_cmp_gt_i64_e32 vcc, 0, v[0:1]
	v_not_b32_e32 v0, v1
	v_ashrrev_i32_e32 v0, 31, v0
	v_xor_b32_e32 v1, vcc_hi, v0
	v_xor_b32_e32 v0, vcc_lo, v0
	; wave barrier
	ds_read_b32 v86, v87 offset:32
	v_and_b32_e32 v88, v88, v89
	v_and_b32_e32 v0, v43, v0
	;; [unrolled: 1-line block ×3, first 2 shown]
	v_mbcnt_lo_u32_b32 v42, v0, 0
	v_mbcnt_hi_u32_b32 v88, v1, v42
	v_cmp_eq_u32_e32 vcc, 0, v88
	v_cmp_ne_u64_e64 s[16:17], 0, v[0:1]
	s_and_b64 s[20:21], s[16:17], vcc
	; wave barrier
	s_and_saveexec_b64 s[16:17], s[20:21]
	s_cbranch_execz .LBB85_38
; %bb.37:
	v_bcnt_u32_b32 v0, v0, 0
	v_bcnt_u32_b32 v0, v1, v0
	s_waitcnt lgkmcnt(0)
	v_add_u32_e32 v0, v86, v0
	ds_write_b32 v87, v0 offset:32
.LBB85_38:
	s_or_b64 exec, exec, s[16:17]
	v_and_b32_e32 v42, s18, v71
	v_and_b32_e32 v1, 1, v42
	v_add_co_u32_e32 v43, vcc, -1, v1
	v_mov_b32_e32 v92, 3
	v_addc_co_u32_e64 v91, s[16:17], 0, -1, vcc
	v_cmp_ne_u32_e32 vcc, 0, v1
	v_lshlrev_b32_sdwa v0, v92, v42 dst_sel:DWORD dst_unused:UNUSED_PAD src0_sel:DWORD src1_sel:BYTE_0
	v_xor_b32_e32 v1, vcc_hi, v91
	v_add_lshl_u32 v90, v83, v0, 2
	v_mov_b32_e32 v0, 0
	v_and_b32_e32 v91, exec_hi, v1
	v_lshlrev_b32_e32 v1, 30, v42
	v_xor_b32_e32 v43, vcc_lo, v43
	v_cmp_gt_i64_e32 vcc, 0, v[0:1]
	v_not_b32_e32 v1, v1
	v_ashrrev_i32_e32 v1, 31, v1
	v_and_b32_e32 v43, exec_lo, v43
	v_xor_b32_e32 v93, vcc_hi, v1
	v_xor_b32_e32 v1, vcc_lo, v1
	v_and_b32_e32 v43, v43, v1
	v_lshlrev_b32_e32 v1, 29, v42
	v_cmp_gt_i64_e32 vcc, 0, v[0:1]
	v_not_b32_e32 v1, v1
	v_ashrrev_i32_e32 v1, 31, v1
	v_and_b32_e32 v91, v91, v93
	v_xor_b32_e32 v93, vcc_hi, v1
	v_xor_b32_e32 v1, vcc_lo, v1
	v_and_b32_e32 v43, v43, v1
	v_lshlrev_b32_e32 v1, 28, v42
	v_cmp_gt_i64_e32 vcc, 0, v[0:1]
	v_not_b32_e32 v1, v1
	v_ashrrev_i32_e32 v1, 31, v1
	v_and_b32_e32 v91, v91, v93
	;; [unrolled: 8-line block ×5, first 2 shown]
	v_xor_b32_e32 v93, vcc_hi, v1
	v_xor_b32_e32 v1, vcc_lo, v1
	v_and_b32_e32 v91, v91, v93
	v_and_b32_e32 v93, v43, v1
	v_lshlrev_b32_e32 v1, 24, v42
	v_cmp_gt_i64_e32 vcc, 0, v[0:1]
	v_not_b32_e32 v1, v1
	v_ashrrev_i32_e32 v1, 31, v1
	v_xor_b32_e32 v42, vcc_hi, v1
	v_xor_b32_e32 v1, vcc_lo, v1
	; wave barrier
	ds_read_b32 v89, v90 offset:32
	v_and_b32_e32 v43, v91, v42
	v_and_b32_e32 v42, v93, v1
	v_mbcnt_lo_u32_b32 v1, v42, 0
	v_mbcnt_hi_u32_b32 v91, v43, v1
	v_cmp_eq_u32_e32 vcc, 0, v91
	v_cmp_ne_u64_e64 s[16:17], 0, v[42:43]
	s_and_b64 s[20:21], s[16:17], vcc
	; wave barrier
	s_and_saveexec_b64 s[16:17], s[20:21]
	s_cbranch_execz .LBB85_40
; %bb.39:
	v_bcnt_u32_b32 v1, v42, 0
	v_bcnt_u32_b32 v1, v43, v1
	s_waitcnt lgkmcnt(0)
	v_add_u32_e32 v1, v89, v1
	ds_write_b32 v90, v1 offset:32
.LBB85_40:
	s_or_b64 exec, exec, s[16:17]
	v_and_b32_e32 v42, s18, v72
	v_lshlrev_b32_sdwa v1, v92, v42 dst_sel:DWORD dst_unused:UNUSED_PAD src0_sel:DWORD src1_sel:BYTE_0
	v_add_lshl_u32 v93, v83, v1, 2
	v_and_b32_e32 v1, 1, v42
	v_add_co_u32_e32 v43, vcc, -1, v1
	v_addc_co_u32_e64 v94, s[16:17], 0, -1, vcc
	v_cmp_ne_u32_e32 vcc, 0, v1
	v_xor_b32_e32 v1, vcc_hi, v94
	v_and_b32_e32 v94, exec_hi, v1
	v_lshlrev_b32_e32 v1, 30, v42
	v_xor_b32_e32 v43, vcc_lo, v43
	v_cmp_gt_i64_e32 vcc, 0, v[0:1]
	v_not_b32_e32 v1, v1
	v_ashrrev_i32_e32 v1, 31, v1
	v_and_b32_e32 v43, exec_lo, v43
	v_xor_b32_e32 v95, vcc_hi, v1
	v_xor_b32_e32 v1, vcc_lo, v1
	v_and_b32_e32 v43, v43, v1
	v_lshlrev_b32_e32 v1, 29, v42
	v_cmp_gt_i64_e32 vcc, 0, v[0:1]
	v_not_b32_e32 v1, v1
	v_ashrrev_i32_e32 v1, 31, v1
	v_and_b32_e32 v94, v94, v95
	v_xor_b32_e32 v95, vcc_hi, v1
	v_xor_b32_e32 v1, vcc_lo, v1
	v_and_b32_e32 v43, v43, v1
	v_lshlrev_b32_e32 v1, 28, v42
	v_cmp_gt_i64_e32 vcc, 0, v[0:1]
	v_not_b32_e32 v1, v1
	v_ashrrev_i32_e32 v1, 31, v1
	v_and_b32_e32 v94, v94, v95
	;; [unrolled: 8-line block ×5, first 2 shown]
	v_xor_b32_e32 v95, vcc_hi, v1
	v_xor_b32_e32 v1, vcc_lo, v1
	v_and_b32_e32 v43, v43, v1
	v_lshlrev_b32_e32 v1, 24, v42
	v_cmp_gt_i64_e32 vcc, 0, v[0:1]
	v_not_b32_e32 v0, v1
	v_ashrrev_i32_e32 v0, 31, v0
	v_xor_b32_e32 v1, vcc_hi, v0
	v_xor_b32_e32 v0, vcc_lo, v0
	; wave barrier
	ds_read_b32 v92, v93 offset:32
	v_and_b32_e32 v94, v94, v95
	v_and_b32_e32 v0, v43, v0
	v_and_b32_e32 v1, v94, v1
	v_mbcnt_lo_u32_b32 v42, v0, 0
	v_mbcnt_hi_u32_b32 v94, v1, v42
	v_cmp_eq_u32_e32 vcc, 0, v94
	v_cmp_ne_u64_e64 s[16:17], 0, v[0:1]
	s_and_b64 s[20:21], s[16:17], vcc
	; wave barrier
	s_and_saveexec_b64 s[16:17], s[20:21]
	s_cbranch_execz .LBB85_42
; %bb.41:
	v_bcnt_u32_b32 v0, v0, 0
	v_bcnt_u32_b32 v0, v1, v0
	s_waitcnt lgkmcnt(0)
	v_add_u32_e32 v0, v92, v0
	ds_write_b32 v93, v0 offset:32
.LBB85_42:
	s_or_b64 exec, exec, s[16:17]
	v_and_b32_e32 v42, s18, v73
	v_and_b32_e32 v1, 1, v42
	v_add_co_u32_e32 v43, vcc, -1, v1
	v_mov_b32_e32 v98, 3
	v_addc_co_u32_e64 v97, s[16:17], 0, -1, vcc
	v_cmp_ne_u32_e32 vcc, 0, v1
	v_lshlrev_b32_sdwa v0, v98, v42 dst_sel:DWORD dst_unused:UNUSED_PAD src0_sel:DWORD src1_sel:BYTE_0
	v_xor_b32_e32 v1, vcc_hi, v97
	v_add_lshl_u32 v96, v83, v0, 2
	v_mov_b32_e32 v0, 0
	v_and_b32_e32 v97, exec_hi, v1
	v_lshlrev_b32_e32 v1, 30, v42
	v_xor_b32_e32 v43, vcc_lo, v43
	v_cmp_gt_i64_e32 vcc, 0, v[0:1]
	v_not_b32_e32 v1, v1
	v_ashrrev_i32_e32 v1, 31, v1
	v_and_b32_e32 v43, exec_lo, v43
	v_xor_b32_e32 v99, vcc_hi, v1
	v_xor_b32_e32 v1, vcc_lo, v1
	v_and_b32_e32 v43, v43, v1
	v_lshlrev_b32_e32 v1, 29, v42
	v_cmp_gt_i64_e32 vcc, 0, v[0:1]
	v_not_b32_e32 v1, v1
	v_ashrrev_i32_e32 v1, 31, v1
	v_and_b32_e32 v97, v97, v99
	v_xor_b32_e32 v99, vcc_hi, v1
	v_xor_b32_e32 v1, vcc_lo, v1
	v_and_b32_e32 v43, v43, v1
	v_lshlrev_b32_e32 v1, 28, v42
	v_cmp_gt_i64_e32 vcc, 0, v[0:1]
	v_not_b32_e32 v1, v1
	v_ashrrev_i32_e32 v1, 31, v1
	v_and_b32_e32 v97, v97, v99
	;; [unrolled: 8-line block ×5, first 2 shown]
	v_xor_b32_e32 v99, vcc_hi, v1
	v_xor_b32_e32 v1, vcc_lo, v1
	v_and_b32_e32 v97, v97, v99
	v_and_b32_e32 v99, v43, v1
	v_lshlrev_b32_e32 v1, 24, v42
	v_cmp_gt_i64_e32 vcc, 0, v[0:1]
	v_not_b32_e32 v1, v1
	v_ashrrev_i32_e32 v1, 31, v1
	v_xor_b32_e32 v42, vcc_hi, v1
	v_xor_b32_e32 v1, vcc_lo, v1
	; wave barrier
	ds_read_b32 v95, v96 offset:32
	v_and_b32_e32 v43, v97, v42
	v_and_b32_e32 v42, v99, v1
	v_mbcnt_lo_u32_b32 v1, v42, 0
	v_mbcnt_hi_u32_b32 v97, v43, v1
	v_cmp_eq_u32_e32 vcc, 0, v97
	v_cmp_ne_u64_e64 s[16:17], 0, v[42:43]
	s_and_b64 s[20:21], s[16:17], vcc
	; wave barrier
	s_and_saveexec_b64 s[16:17], s[20:21]
	s_cbranch_execz .LBB85_44
; %bb.43:
	v_bcnt_u32_b32 v1, v42, 0
	v_bcnt_u32_b32 v1, v43, v1
	s_waitcnt lgkmcnt(0)
	v_add_u32_e32 v1, v95, v1
	ds_write_b32 v96, v1 offset:32
.LBB85_44:
	s_or_b64 exec, exec, s[16:17]
	v_and_b32_e32 v42, s18, v74
	v_lshlrev_b32_sdwa v1, v98, v42 dst_sel:DWORD dst_unused:UNUSED_PAD src0_sel:DWORD src1_sel:BYTE_0
	v_add_lshl_u32 v98, v83, v1, 2
	v_and_b32_e32 v1, 1, v42
	v_add_co_u32_e32 v43, vcc, -1, v1
	v_addc_co_u32_e64 v100, s[16:17], 0, -1, vcc
	v_cmp_ne_u32_e32 vcc, 0, v1
	v_xor_b32_e32 v1, vcc_hi, v100
	v_and_b32_e32 v100, exec_hi, v1
	v_lshlrev_b32_e32 v1, 30, v42
	v_xor_b32_e32 v43, vcc_lo, v43
	v_cmp_gt_i64_e32 vcc, 0, v[0:1]
	v_not_b32_e32 v1, v1
	v_ashrrev_i32_e32 v1, 31, v1
	v_and_b32_e32 v43, exec_lo, v43
	v_xor_b32_e32 v101, vcc_hi, v1
	v_xor_b32_e32 v1, vcc_lo, v1
	v_and_b32_e32 v43, v43, v1
	v_lshlrev_b32_e32 v1, 29, v42
	v_cmp_gt_i64_e32 vcc, 0, v[0:1]
	v_not_b32_e32 v1, v1
	v_ashrrev_i32_e32 v1, 31, v1
	v_and_b32_e32 v100, v100, v101
	v_xor_b32_e32 v101, vcc_hi, v1
	v_xor_b32_e32 v1, vcc_lo, v1
	v_and_b32_e32 v43, v43, v1
	v_lshlrev_b32_e32 v1, 28, v42
	v_cmp_gt_i64_e32 vcc, 0, v[0:1]
	v_not_b32_e32 v1, v1
	v_ashrrev_i32_e32 v1, 31, v1
	v_and_b32_e32 v100, v100, v101
	v_xor_b32_e32 v101, vcc_hi, v1
	v_xor_b32_e32 v1, vcc_lo, v1
	v_and_b32_e32 v43, v43, v1
	v_lshlrev_b32_e32 v1, 27, v42
	v_cmp_gt_i64_e32 vcc, 0, v[0:1]
	v_not_b32_e32 v1, v1
	v_ashrrev_i32_e32 v1, 31, v1
	v_and_b32_e32 v100, v100, v101
	v_xor_b32_e32 v101, vcc_hi, v1
	v_xor_b32_e32 v1, vcc_lo, v1
	v_and_b32_e32 v43, v43, v1
	v_lshlrev_b32_e32 v1, 26, v42
	v_cmp_gt_i64_e32 vcc, 0, v[0:1]
	v_not_b32_e32 v1, v1
	v_ashrrev_i32_e32 v1, 31, v1
	v_and_b32_e32 v100, v100, v101
	v_xor_b32_e32 v101, vcc_hi, v1
	v_xor_b32_e32 v1, vcc_lo, v1
	v_and_b32_e32 v43, v43, v1
	v_lshlrev_b32_e32 v1, 25, v42
	v_cmp_gt_i64_e32 vcc, 0, v[0:1]
	v_not_b32_e32 v1, v1
	v_ashrrev_i32_e32 v1, 31, v1
	v_and_b32_e32 v100, v100, v101
	v_xor_b32_e32 v101, vcc_hi, v1
	v_xor_b32_e32 v1, vcc_lo, v1
	v_and_b32_e32 v43, v43, v1
	v_lshlrev_b32_e32 v1, 24, v42
	v_cmp_gt_i64_e32 vcc, 0, v[0:1]
	v_not_b32_e32 v0, v1
	v_ashrrev_i32_e32 v0, 31, v0
	v_xor_b32_e32 v1, vcc_hi, v0
	v_xor_b32_e32 v0, vcc_lo, v0
	; wave barrier
	ds_read_b32 v83, v98 offset:32
	v_and_b32_e32 v100, v100, v101
	v_and_b32_e32 v0, v43, v0
	;; [unrolled: 1-line block ×3, first 2 shown]
	v_mbcnt_lo_u32_b32 v42, v0, 0
	v_mbcnt_hi_u32_b32 v100, v1, v42
	v_cmp_eq_u32_e32 vcc, 0, v100
	v_cmp_ne_u64_e64 s[16:17], 0, v[0:1]
	v_add_u32_e32 v99, 32, v61
	s_and_b64 s[18:19], s[16:17], vcc
	; wave barrier
	s_and_saveexec_b64 s[16:17], s[18:19]
	s_cbranch_execz .LBB85_46
; %bb.45:
	v_bcnt_u32_b32 v0, v0, 0
	v_bcnt_u32_b32 v0, v1, v0
	s_waitcnt lgkmcnt(0)
	v_add_u32_e32 v0, v83, v0
	ds_write_b32 v98, v0 offset:32
.LBB85_46:
	s_or_b64 exec, exec, s[16:17]
	; wave barrier
	s_waitcnt lgkmcnt(0)
	s_barrier
	ds_read2_b32 v[0:1], v61 offset0:8 offset1:9
	ds_read2_b32 v[42:43], v99 offset0:2 offset1:3
	v_min_u32_e32 v76, 0x1c0, v76
	v_or_b32_e32 v76, 63, v76
	s_waitcnt lgkmcnt(1)
	v_add_u32_e32 v101, v1, v0
	s_waitcnt lgkmcnt(0)
	v_add3_u32 v43, v101, v42, v43
	v_and_b32_e32 v101, 15, v75
	v_cmp_ne_u32_e32 vcc, 0, v101
	v_mov_b32_dpp v102, v43 row_shr:1 row_mask:0xf bank_mask:0xf
	v_cndmask_b32_e32 v102, 0, v102, vcc
	v_add_u32_e32 v43, v102, v43
	v_cmp_lt_u32_e32 vcc, 1, v101
	s_nop 0
	v_mov_b32_dpp v102, v43 row_shr:2 row_mask:0xf bank_mask:0xf
	v_cndmask_b32_e32 v102, 0, v102, vcc
	v_add_u32_e32 v43, v43, v102
	v_cmp_lt_u32_e32 vcc, 3, v101
	s_nop 0
	;; [unrolled: 5-line block ×3, first 2 shown]
	v_mov_b32_dpp v102, v43 row_shr:8 row_mask:0xf bank_mask:0xf
	v_cndmask_b32_e32 v101, 0, v102, vcc
	v_add_u32_e32 v43, v43, v101
	v_bfe_i32 v102, v75, 4, 1
	v_cmp_lt_u32_e32 vcc, 31, v75
	v_mov_b32_dpp v101, v43 row_bcast:15 row_mask:0xf bank_mask:0xf
	v_and_b32_e32 v101, v102, v101
	v_add_u32_e32 v43, v43, v101
	s_nop 1
	v_mov_b32_dpp v101, v43 row_bcast:31 row_mask:0xf bank_mask:0xf
	v_cndmask_b32_e32 v101, 0, v101, vcc
	v_add_u32_e32 v43, v43, v101
	v_lshrrev_b32_e32 v101, 6, v36
	v_cmp_eq_u32_e32 vcc, v76, v36
	s_and_saveexec_b64 s[16:17], vcc
	s_cbranch_execz .LBB85_48
; %bb.47:
	v_lshlrev_b32_e32 v76, 2, v101
	ds_write_b32 v76, v43
.LBB85_48:
	s_or_b64 exec, exec, s[16:17]
	v_cmp_gt_u32_e32 vcc, 8, v36
	s_waitcnt lgkmcnt(0)
	s_barrier
	s_and_saveexec_b64 s[16:17], vcc
	s_cbranch_execz .LBB85_50
; %bb.49:
	v_lshlrev_b32_e32 v76, 2, v36
	ds_read_b32 v102, v76
	v_and_b32_e32 v103, 7, v75
	v_cmp_ne_u32_e32 vcc, 0, v103
	s_waitcnt lgkmcnt(0)
	v_mov_b32_dpp v104, v102 row_shr:1 row_mask:0xf bank_mask:0xf
	v_cndmask_b32_e32 v104, 0, v104, vcc
	v_add_u32_e32 v102, v104, v102
	v_cmp_lt_u32_e32 vcc, 1, v103
	s_nop 0
	v_mov_b32_dpp v104, v102 row_shr:2 row_mask:0xf bank_mask:0xf
	v_cndmask_b32_e32 v104, 0, v104, vcc
	v_add_u32_e32 v102, v102, v104
	v_cmp_lt_u32_e32 vcc, 3, v103
	s_nop 0
	v_mov_b32_dpp v104, v102 row_shr:4 row_mask:0xf bank_mask:0xf
	v_cndmask_b32_e32 v103, 0, v104, vcc
	v_add_u32_e32 v102, v102, v103
	ds_write_b32 v76, v102
.LBB85_50:
	s_or_b64 exec, exec, s[16:17]
	v_cmp_lt_u32_e32 vcc, 63, v36
	v_mov_b32_e32 v76, 0
	s_waitcnt lgkmcnt(0)
	s_barrier
	s_and_saveexec_b64 s[16:17], vcc
	s_cbranch_execz .LBB85_52
; %bb.51:
	v_lshl_add_u32 v76, v101, 2, -4
	ds_read_b32 v76, v76
.LBB85_52:
	s_or_b64 exec, exec, s[16:17]
	v_add_u32_e32 v101, -1, v75
	v_and_b32_e32 v102, 64, v75
	v_cmp_lt_i32_e32 vcc, v101, v102
	v_cndmask_b32_e32 v101, v101, v75, vcc
	s_waitcnt lgkmcnt(0)
	v_add_u32_e32 v43, v76, v43
	v_lshlrev_b32_e32 v101, 2, v101
	ds_bpermute_b32 v43, v101, v43
	v_cmp_eq_u32_e32 vcc, 0, v75
	s_waitcnt lgkmcnt(0)
	v_cndmask_b32_e32 v43, v43, v76, vcc
	v_cmp_ne_u32_e32 vcc, 0, v36
	v_cndmask_b32_e32 v43, 0, v43, vcc
	v_add_u32_e32 v0, v43, v0
	v_add_u32_e32 v1, v0, v1
	;; [unrolled: 1-line block ×3, first 2 shown]
	ds_write2_b32 v61, v43, v0 offset0:8 offset1:9
	ds_write2_b32 v99, v1, v42 offset0:2 offset1:3
	s_waitcnt lgkmcnt(0)
	s_barrier
	ds_read_b32 v0, v77 offset:32
	ds_read_b32 v1, v80 offset:32
	;; [unrolled: 1-line block ×8, first 2 shown]
	s_waitcnt lgkmcnt(7)
	v_add_u32_e32 v78, v0, v78
	s_waitcnt lgkmcnt(6)
	v_add3_u32 v79, v81, v79, v1
	s_waitcnt lgkmcnt(5)
	v_add3_u32 v42, v85, v82, v42
	;; [unrolled: 2-line block ×7, first 2 shown]
	s_barrier
	ds_write_b8 v78, v67
	ds_write_b8 v79, v68
	;; [unrolled: 1-line block ×8, first 2 shown]
	v_lshlrev_b32_e32 v67, 3, v78
	s_waitcnt lgkmcnt(0)
	s_barrier
	ds_read_b64 v[0:1], v53
	s_waitcnt lgkmcnt(0)
	s_barrier
	ds_write_b64 v67, v[30:31]
	v_lshlrev_b32_e32 v30, 3, v79
	ds_write_b64 v30, v[32:33]
	v_lshlrev_b32_e32 v30, 3, v42
	;; [unrolled: 2-line block ×7, first 2 shown]
	v_lshlrev_b32_e32 v30, 3, v53
	ds_write_b64 v18, v[20:21]
	s_waitcnt lgkmcnt(0)
	s_barrier
	ds_read2_b64 v[18:21], v30 offset1:1
	ds_read2_b64 v[22:25], v30 offset0:2 offset1:3
	ds_read2_b64 v[26:29], v30 offset0:4 offset1:5
	;; [unrolled: 1-line block ×3, first 2 shown]
	s_branch .LBB85_84
.LBB85_53:
	v_mov_b32_e32 v35, 0
	v_lshlrev_b64 v[2:3], 3, v[34:35]
	v_mov_b32_e32 v4, s35
	v_add_co_u32_e32 v2, vcc, s33, v2
	v_addc_co_u32_e32 v3, vcc, v4, v3, vcc
	global_load_dwordx2 v[2:3], v[2:3], off
	v_mov_b32_e32 v4, v35
	v_mov_b32_e32 v5, v35
	;; [unrolled: 1-line block ×14, first 2 shown]
	s_or_b64 exec, exec, s[16:17]
	s_and_saveexec_b64 s[16:17], s[2:3]
	s_cbranch_execz .LBB85_22
.LBB85_54:
	v_mul_lo_u32 v4, v32, s34
	v_mov_b32_e32 v5, 0
	v_lshlrev_b64 v[4:5], 3, v[4:5]
	v_mov_b32_e32 v32, s35
	v_add_co_u32_e32 v4, vcc, s33, v4
	v_addc_co_u32_e32 v5, vcc, v32, v5, vcc
	global_load_dwordx2 v[4:5], v[4:5], off
	s_or_b64 exec, exec, s[16:17]
	s_and_saveexec_b64 s[16:17], s[4:5]
	s_cbranch_execz .LBB85_23
.LBB85_55:
	v_mul_lo_u32 v6, v31, s34
	v_mov_b32_e32 v7, 0
	v_lshlrev_b64 v[6:7], 3, v[6:7]
	v_mov_b32_e32 v31, s35
	v_add_co_u32_e32 v6, vcc, s33, v6
	v_addc_co_u32_e32 v7, vcc, v31, v7, vcc
	global_load_dwordx2 v[6:7], v[6:7], off
	s_or_b64 exec, exec, s[16:17]
	s_and_saveexec_b64 s[16:17], s[6:7]
	s_cbranch_execz .LBB85_24
.LBB85_56:
	v_mul_lo_u32 v8, v30, s34
	v_mov_b32_e32 v9, 0
	v_lshlrev_b64 v[8:9], 3, v[8:9]
	v_mov_b32_e32 v30, s35
	v_add_co_u32_e32 v8, vcc, s33, v8
	v_addc_co_u32_e32 v9, vcc, v30, v9, vcc
	global_load_dwordx2 v[8:9], v[8:9], off
	s_or_b64 exec, exec, s[16:17]
	s_and_saveexec_b64 s[16:17], s[8:9]
	s_cbranch_execz .LBB85_25
.LBB85_57:
	v_mul_lo_u32 v10, v29, s34
	v_mov_b32_e32 v11, 0
	v_lshlrev_b64 v[10:11], 3, v[10:11]
	v_mov_b32_e32 v29, s35
	v_add_co_u32_e32 v10, vcc, s33, v10
	v_addc_co_u32_e32 v11, vcc, v29, v11, vcc
	global_load_dwordx2 v[10:11], v[10:11], off
	s_or_b64 exec, exec, s[16:17]
	s_and_saveexec_b64 s[16:17], s[10:11]
	s_cbranch_execz .LBB85_26
.LBB85_58:
	v_mul_lo_u32 v12, v28, s34
	v_mov_b32_e32 v13, 0
	v_lshlrev_b64 v[12:13], 3, v[12:13]
	v_mov_b32_e32 v28, s35
	v_add_co_u32_e32 v12, vcc, s33, v12
	v_addc_co_u32_e32 v13, vcc, v28, v13, vcc
	global_load_dwordx2 v[12:13], v[12:13], off
	s_or_b64 exec, exec, s[16:17]
	s_and_saveexec_b64 s[16:17], s[12:13]
	s_cbranch_execz .LBB85_27
.LBB85_59:
	v_mul_lo_u32 v14, v27, s34
	v_mov_b32_e32 v15, 0
	v_lshlrev_b64 v[14:15], 3, v[14:15]
	v_mov_b32_e32 v27, s35
	v_add_co_u32_e32 v14, vcc, s33, v14
	v_addc_co_u32_e32 v15, vcc, v27, v15, vcc
	global_load_dwordx2 v[14:15], v[14:15], off
	s_or_b64 exec, exec, s[16:17]
	s_and_saveexec_b64 s[16:17], s[14:15]
	s_cbranch_execnz .LBB85_28
	s_branch .LBB85_29
.LBB85_60:
                                        ; implicit-def: $vgpr1
                                        ; implicit-def: $vgpr32_vgpr33
                                        ; implicit-def: $vgpr28_vgpr29
                                        ; implicit-def: $vgpr24_vgpr25
                                        ; implicit-def: $vgpr20_vgpr21
	s_cbranch_execz .LBB85_84
; %bb.61:
	v_mov_b32_e32 v0, -1
	v_xor_b32_sdwa v1, v65, v0 dst_sel:BYTE_1 dst_unused:UNUSED_PAD src0_sel:DWORD src1_sel:DWORD
	s_waitcnt lgkmcnt(3)
	v_xor_b32_e32 v18, -1, v39
	v_or_b32_sdwa v1, v18, v1 dst_sel:DWORD dst_unused:UNUSED_PAD src0_sel:BYTE_0 src1_sel:DWORD
	v_xor_b32_sdwa v18, v39, v0 dst_sel:DWORD dst_unused:UNUSED_PAD src0_sel:BYTE_3 src1_sel:DWORD
	v_lshlrev_b16_e32 v18, 8, v18
	v_xor_b32_sdwa v19, v39, v0 dst_sel:DWORD dst_unused:UNUSED_PAD src0_sel:WORD_1 src1_sel:DWORD
	v_or_b32_sdwa v18, v19, v18 dst_sel:WORD_1 dst_unused:UNUSED_PAD src0_sel:BYTE_0 src1_sel:DWORD
	v_or_b32_sdwa v1, v1, v18 dst_sel:DWORD dst_unused:UNUSED_PAD src0_sel:WORD_0 src1_sel:DWORD
	v_xor_b32_sdwa v18, v64, v0 dst_sel:BYTE_1 dst_unused:UNUSED_PAD src0_sel:DWORD src1_sel:DWORD
	v_xor_b32_e32 v19, -1, v38
	v_or_b32_sdwa v18, v19, v18 dst_sel:DWORD dst_unused:UNUSED_PAD src0_sel:BYTE_0 src1_sel:DWORD
	v_xor_b32_sdwa v19, v40, v0 dst_sel:BYTE_1 dst_unused:UNUSED_PAD src0_sel:DWORD src1_sel:DWORD
	v_xor_b32_sdwa v0, v38, v0 dst_sel:DWORD dst_unused:UNUSED_PAD src0_sel:WORD_1 src1_sel:DWORD
	v_or_b32_sdwa v0, v0, v19 dst_sel:WORD_1 dst_unused:UNUSED_PAD src0_sel:BYTE_0 src1_sel:DWORD
	s_waitcnt lgkmcnt(1)
	v_mbcnt_hi_u32_b32 v28, -1, v66
	s_waitcnt lgkmcnt(0)
	v_and_b32_e32 v30, 0x3c0, v36
	v_or_b32_sdwa v0, v18, v0 dst_sel:DWORD dst_unused:UNUSED_PAD src0_sel:WORD_0 src1_sel:DWORD
	v_add_u32_e32 v18, v28, v30
	v_lshlrev_b32_e32 v19, 3, v18
	s_movk_i32 s16, 0x1e00
	ds_write_b64 v19, v[0:1]
	v_and_or_b32 v0, v53, s16, v28
	; wave barrier
	ds_read_u8 v20, v0
	ds_read_u8 v21, v0 offset:64
	ds_read_u8 v22, v0 offset:128
	;; [unrolled: 1-line block ×7, first 2 shown]
	v_lshlrev_b32_e32 v1, 6, v18
	v_lshlrev_b32_e32 v0, 3, v0
	s_getpc_b64 s[16:17]
	s_add_u32 s16, s16, _ZN7rocprim17ROCPRIM_400000_NS16block_radix_sortIhLj512ELj8ElLj1ELj1ELj0ELNS0_26block_radix_rank_algorithmE1ELNS0_18block_padding_hintE2ELNS0_4arch9wavefront6targetE1EE19radix_bits_per_passE@rel32@lo+4
	s_addc_u32 s17, s17, _ZN7rocprim17ROCPRIM_400000_NS16block_radix_sortIhLj512ELj8ElLj1ELj1ELj0ELNS0_26block_radix_rank_algorithmE1ELNS0_18block_padding_hintE2ELNS0_4arch9wavefront6targetE1EE19radix_bits_per_passE@rel32@hi+12
	s_waitcnt lgkmcnt(0)
	s_barrier
	ds_write2_b64 v1, v[14:15], v[16:17] offset1:1
	ds_write2_b64 v1, v[10:11], v[12:13] offset0:2 offset1:3
	ds_write2_b64 v1, v[6:7], v[8:9] offset0:4 offset1:5
	;; [unrolled: 1-line block ×3, first 2 shown]
	; wave barrier
	ds_read2st64_b64 v[12:15], v0 offset1:1
	ds_read2st64_b64 v[8:11], v0 offset0:2 offset1:3
	ds_read2st64_b64 v[4:7], v0 offset0:4 offset1:5
	;; [unrolled: 1-line block ×3, first 2 shown]
	s_waitcnt lgkmcnt(0)
	s_barrier
	s_load_dword s18, s[16:17], 0x0
	s_load_dword s19, s[42:43], 0xc
	v_mov_b32_e32 v32, 3
	v_mov_b32_e32 v16, 0
	ds_write2_b32 v61, v16, v16 offset0:8 offset1:9
	ds_write2_b32 v61, v16, v16 offset0:10 offset1:11
	s_waitcnt lgkmcnt(0)
	s_min_u32 s18, s18, 8
	s_lshr_b32 s16, s19, 16
	s_and_b32 s17, s19, 0xffff
	v_mad_u32_u24 v17, v63, s16, v62
	v_mad_u64_u32 v[18:19], s[16:17], v17, s17, v[36:37]
	s_lshl_b32 s16, -1, s18
	s_not_b32 s18, s16
	v_lshrrev_b32_e32 v40, 6, v18
	v_and_b32_e32 v18, s18, v20
	v_lshlrev_b32_sdwa v17, v32, v18 dst_sel:DWORD dst_unused:UNUSED_PAD src0_sel:DWORD src1_sel:BYTE_0
	v_add_lshl_u32 v29, v40, v17, 2
	v_and_b32_e32 v17, 1, v18
	v_add_co_u32_e32 v19, vcc, -1, v17
	v_addc_co_u32_e64 v31, s[16:17], 0, -1, vcc
	v_cmp_ne_u32_e32 vcc, 0, v17
	v_xor_b32_e32 v17, vcc_hi, v31
	v_and_b32_e32 v31, exec_hi, v17
	v_lshlrev_b32_e32 v17, 30, v18
	v_xor_b32_e32 v19, vcc_lo, v19
	v_cmp_gt_i64_e32 vcc, 0, v[16:17]
	v_not_b32_e32 v17, v17
	v_ashrrev_i32_e32 v17, 31, v17
	v_and_b32_e32 v19, exec_lo, v19
	v_xor_b32_e32 v33, vcc_hi, v17
	v_xor_b32_e32 v17, vcc_lo, v17
	v_and_b32_e32 v19, v19, v17
	v_lshlrev_b32_e32 v17, 29, v18
	v_cmp_gt_i64_e32 vcc, 0, v[16:17]
	v_not_b32_e32 v17, v17
	v_ashrrev_i32_e32 v17, 31, v17
	v_and_b32_e32 v31, v31, v33
	v_xor_b32_e32 v33, vcc_hi, v17
	v_xor_b32_e32 v17, vcc_lo, v17
	v_and_b32_e32 v19, v19, v17
	v_lshlrev_b32_e32 v17, 28, v18
	v_cmp_gt_i64_e32 vcc, 0, v[16:17]
	v_not_b32_e32 v17, v17
	v_ashrrev_i32_e32 v17, 31, v17
	v_and_b32_e32 v31, v31, v33
	;; [unrolled: 8-line block ×5, first 2 shown]
	v_xor_b32_e32 v33, vcc_hi, v17
	v_xor_b32_e32 v17, vcc_lo, v17
	v_and_b32_e32 v31, v31, v33
	v_and_b32_e32 v33, v19, v17
	v_lshlrev_b32_e32 v17, 24, v18
	v_cmp_gt_i64_e32 vcc, 0, v[16:17]
	v_not_b32_e32 v17, v17
	v_ashrrev_i32_e32 v17, 31, v17
	v_xor_b32_e32 v18, vcc_hi, v17
	v_xor_b32_e32 v17, vcc_lo, v17
	v_and_b32_e32 v19, v31, v18
	v_and_b32_e32 v18, v33, v17
	v_mbcnt_lo_u32_b32 v17, v18, 0
	v_mbcnt_hi_u32_b32 v31, v19, v17
	v_cmp_eq_u32_e32 vcc, 0, v31
	v_cmp_ne_u64_e64 s[16:17], 0, v[18:19]
	s_and_b64 s[20:21], s[16:17], vcc
	s_barrier
	s_waitcnt lgkmcnt(0)
	; wave barrier
	s_and_saveexec_b64 s[16:17], s[20:21]
	s_cbranch_execz .LBB85_63
; %bb.62:
	v_bcnt_u32_b32 v17, v18, 0
	v_bcnt_u32_b32 v17, v19, v17
	ds_write_b32 v29, v17 offset:32
.LBB85_63:
	s_or_b64 exec, exec, s[16:17]
	v_and_b32_e32 v18, s18, v21
	v_lshlrev_b32_sdwa v17, v32, v18 dst_sel:DWORD dst_unused:UNUSED_PAD src0_sel:DWORD src1_sel:BYTE_0
	v_add_lshl_u32 v33, v40, v17, 2
	v_and_b32_e32 v17, 1, v18
	v_add_co_u32_e32 v19, vcc, -1, v17
	v_addc_co_u32_e64 v38, s[16:17], 0, -1, vcc
	v_cmp_ne_u32_e32 vcc, 0, v17
	v_xor_b32_e32 v17, vcc_hi, v38
	v_and_b32_e32 v38, exec_hi, v17
	v_lshlrev_b32_e32 v17, 30, v18
	v_xor_b32_e32 v19, vcc_lo, v19
	v_cmp_gt_i64_e32 vcc, 0, v[16:17]
	v_not_b32_e32 v17, v17
	v_ashrrev_i32_e32 v17, 31, v17
	v_and_b32_e32 v19, exec_lo, v19
	v_xor_b32_e32 v39, vcc_hi, v17
	v_xor_b32_e32 v17, vcc_lo, v17
	v_and_b32_e32 v19, v19, v17
	v_lshlrev_b32_e32 v17, 29, v18
	v_cmp_gt_i64_e32 vcc, 0, v[16:17]
	v_not_b32_e32 v17, v17
	v_ashrrev_i32_e32 v17, 31, v17
	v_and_b32_e32 v38, v38, v39
	v_xor_b32_e32 v39, vcc_hi, v17
	v_xor_b32_e32 v17, vcc_lo, v17
	v_and_b32_e32 v19, v19, v17
	v_lshlrev_b32_e32 v17, 28, v18
	v_cmp_gt_i64_e32 vcc, 0, v[16:17]
	v_not_b32_e32 v17, v17
	v_ashrrev_i32_e32 v17, 31, v17
	v_and_b32_e32 v38, v38, v39
	;; [unrolled: 8-line block ×5, first 2 shown]
	v_xor_b32_e32 v39, vcc_hi, v17
	v_xor_b32_e32 v17, vcc_lo, v17
	v_and_b32_e32 v19, v19, v17
	v_lshlrev_b32_e32 v17, 24, v18
	v_cmp_gt_i64_e32 vcc, 0, v[16:17]
	v_not_b32_e32 v16, v17
	v_ashrrev_i32_e32 v16, 31, v16
	v_xor_b32_e32 v17, vcc_hi, v16
	v_xor_b32_e32 v16, vcc_lo, v16
	; wave barrier
	ds_read_b32 v32, v33 offset:32
	v_and_b32_e32 v38, v38, v39
	v_and_b32_e32 v16, v19, v16
	;; [unrolled: 1-line block ×3, first 2 shown]
	v_mbcnt_lo_u32_b32 v18, v16, 0
	v_mbcnt_hi_u32_b32 v38, v17, v18
	v_cmp_eq_u32_e32 vcc, 0, v38
	v_cmp_ne_u64_e64 s[16:17], 0, v[16:17]
	s_and_b64 s[20:21], s[16:17], vcc
	; wave barrier
	s_and_saveexec_b64 s[16:17], s[20:21]
	s_cbranch_execz .LBB85_65
; %bb.64:
	v_bcnt_u32_b32 v16, v16, 0
	v_bcnt_u32_b32 v16, v17, v16
	s_waitcnt lgkmcnt(0)
	v_add_u32_e32 v16, v32, v16
	ds_write_b32 v33, v16 offset:32
.LBB85_65:
	s_or_b64 exec, exec, s[16:17]
	v_and_b32_e32 v18, s18, v22
	v_and_b32_e32 v17, 1, v18
	v_add_co_u32_e32 v19, vcc, -1, v17
	v_mov_b32_e32 v62, 3
	v_addc_co_u32_e64 v43, s[16:17], 0, -1, vcc
	v_cmp_ne_u32_e32 vcc, 0, v17
	v_lshlrev_b32_sdwa v16, v62, v18 dst_sel:DWORD dst_unused:UNUSED_PAD src0_sel:DWORD src1_sel:BYTE_0
	v_xor_b32_e32 v17, vcc_hi, v43
	v_add_lshl_u32 v42, v40, v16, 2
	v_mov_b32_e32 v16, 0
	v_and_b32_e32 v43, exec_hi, v17
	v_lshlrev_b32_e32 v17, 30, v18
	v_xor_b32_e32 v19, vcc_lo, v19
	v_cmp_gt_i64_e32 vcc, 0, v[16:17]
	v_not_b32_e32 v17, v17
	v_ashrrev_i32_e32 v17, 31, v17
	v_and_b32_e32 v19, exec_lo, v19
	v_xor_b32_e32 v63, vcc_hi, v17
	v_xor_b32_e32 v17, vcc_lo, v17
	v_and_b32_e32 v19, v19, v17
	v_lshlrev_b32_e32 v17, 29, v18
	v_cmp_gt_i64_e32 vcc, 0, v[16:17]
	v_not_b32_e32 v17, v17
	v_ashrrev_i32_e32 v17, 31, v17
	v_and_b32_e32 v43, v43, v63
	v_xor_b32_e32 v63, vcc_hi, v17
	v_xor_b32_e32 v17, vcc_lo, v17
	v_and_b32_e32 v19, v19, v17
	v_lshlrev_b32_e32 v17, 28, v18
	v_cmp_gt_i64_e32 vcc, 0, v[16:17]
	v_not_b32_e32 v17, v17
	v_ashrrev_i32_e32 v17, 31, v17
	v_and_b32_e32 v43, v43, v63
	;; [unrolled: 8-line block ×5, first 2 shown]
	v_xor_b32_e32 v63, vcc_hi, v17
	v_xor_b32_e32 v17, vcc_lo, v17
	v_and_b32_e32 v43, v43, v63
	v_and_b32_e32 v63, v19, v17
	v_lshlrev_b32_e32 v17, 24, v18
	v_cmp_gt_i64_e32 vcc, 0, v[16:17]
	v_not_b32_e32 v17, v17
	v_ashrrev_i32_e32 v17, 31, v17
	v_xor_b32_e32 v18, vcc_hi, v17
	v_xor_b32_e32 v17, vcc_lo, v17
	; wave barrier
	ds_read_b32 v39, v42 offset:32
	v_and_b32_e32 v19, v43, v18
	v_and_b32_e32 v18, v63, v17
	v_mbcnt_lo_u32_b32 v17, v18, 0
	v_mbcnt_hi_u32_b32 v43, v19, v17
	v_cmp_eq_u32_e32 vcc, 0, v43
	v_cmp_ne_u64_e64 s[16:17], 0, v[18:19]
	s_and_b64 s[20:21], s[16:17], vcc
	; wave barrier
	s_and_saveexec_b64 s[16:17], s[20:21]
	s_cbranch_execz .LBB85_67
; %bb.66:
	v_bcnt_u32_b32 v17, v18, 0
	v_bcnt_u32_b32 v17, v19, v17
	s_waitcnt lgkmcnt(0)
	v_add_u32_e32 v17, v39, v17
	ds_write_b32 v42, v17 offset:32
.LBB85_67:
	s_or_b64 exec, exec, s[16:17]
	v_and_b32_e32 v18, s18, v23
	v_lshlrev_b32_sdwa v17, v62, v18 dst_sel:DWORD dst_unused:UNUSED_PAD src0_sel:DWORD src1_sel:BYTE_0
	v_add_lshl_u32 v63, v40, v17, 2
	v_and_b32_e32 v17, 1, v18
	v_add_co_u32_e32 v19, vcc, -1, v17
	v_addc_co_u32_e64 v64, s[16:17], 0, -1, vcc
	v_cmp_ne_u32_e32 vcc, 0, v17
	v_xor_b32_e32 v17, vcc_hi, v64
	v_and_b32_e32 v64, exec_hi, v17
	v_lshlrev_b32_e32 v17, 30, v18
	v_xor_b32_e32 v19, vcc_lo, v19
	v_cmp_gt_i64_e32 vcc, 0, v[16:17]
	v_not_b32_e32 v17, v17
	v_ashrrev_i32_e32 v17, 31, v17
	v_and_b32_e32 v19, exec_lo, v19
	v_xor_b32_e32 v65, vcc_hi, v17
	v_xor_b32_e32 v17, vcc_lo, v17
	v_and_b32_e32 v19, v19, v17
	v_lshlrev_b32_e32 v17, 29, v18
	v_cmp_gt_i64_e32 vcc, 0, v[16:17]
	v_not_b32_e32 v17, v17
	v_ashrrev_i32_e32 v17, 31, v17
	v_and_b32_e32 v64, v64, v65
	v_xor_b32_e32 v65, vcc_hi, v17
	v_xor_b32_e32 v17, vcc_lo, v17
	v_and_b32_e32 v19, v19, v17
	v_lshlrev_b32_e32 v17, 28, v18
	v_cmp_gt_i64_e32 vcc, 0, v[16:17]
	v_not_b32_e32 v17, v17
	v_ashrrev_i32_e32 v17, 31, v17
	v_and_b32_e32 v64, v64, v65
	;; [unrolled: 8-line block ×5, first 2 shown]
	v_xor_b32_e32 v65, vcc_hi, v17
	v_xor_b32_e32 v17, vcc_lo, v17
	v_and_b32_e32 v19, v19, v17
	v_lshlrev_b32_e32 v17, 24, v18
	v_cmp_gt_i64_e32 vcc, 0, v[16:17]
	v_not_b32_e32 v16, v17
	v_ashrrev_i32_e32 v16, 31, v16
	v_xor_b32_e32 v17, vcc_hi, v16
	v_xor_b32_e32 v16, vcc_lo, v16
	; wave barrier
	ds_read_b32 v62, v63 offset:32
	v_and_b32_e32 v64, v64, v65
	v_and_b32_e32 v16, v19, v16
	v_and_b32_e32 v17, v64, v17
	v_mbcnt_lo_u32_b32 v18, v16, 0
	v_mbcnt_hi_u32_b32 v64, v17, v18
	v_cmp_eq_u32_e32 vcc, 0, v64
	v_cmp_ne_u64_e64 s[16:17], 0, v[16:17]
	s_and_b64 s[20:21], s[16:17], vcc
	; wave barrier
	s_and_saveexec_b64 s[16:17], s[20:21]
	s_cbranch_execz .LBB85_69
; %bb.68:
	v_bcnt_u32_b32 v16, v16, 0
	v_bcnt_u32_b32 v16, v17, v16
	s_waitcnt lgkmcnt(0)
	v_add_u32_e32 v16, v62, v16
	ds_write_b32 v63, v16 offset:32
.LBB85_69:
	s_or_b64 exec, exec, s[16:17]
	v_and_b32_e32 v18, s18, v24
	v_and_b32_e32 v17, 1, v18
	v_add_co_u32_e32 v19, vcc, -1, v17
	v_mov_b32_e32 v68, 3
	v_addc_co_u32_e64 v67, s[16:17], 0, -1, vcc
	v_cmp_ne_u32_e32 vcc, 0, v17
	v_lshlrev_b32_sdwa v16, v68, v18 dst_sel:DWORD dst_unused:UNUSED_PAD src0_sel:DWORD src1_sel:BYTE_0
	v_xor_b32_e32 v17, vcc_hi, v67
	v_add_lshl_u32 v66, v40, v16, 2
	v_mov_b32_e32 v16, 0
	v_and_b32_e32 v67, exec_hi, v17
	v_lshlrev_b32_e32 v17, 30, v18
	v_xor_b32_e32 v19, vcc_lo, v19
	v_cmp_gt_i64_e32 vcc, 0, v[16:17]
	v_not_b32_e32 v17, v17
	v_ashrrev_i32_e32 v17, 31, v17
	v_and_b32_e32 v19, exec_lo, v19
	v_xor_b32_e32 v69, vcc_hi, v17
	v_xor_b32_e32 v17, vcc_lo, v17
	v_and_b32_e32 v19, v19, v17
	v_lshlrev_b32_e32 v17, 29, v18
	v_cmp_gt_i64_e32 vcc, 0, v[16:17]
	v_not_b32_e32 v17, v17
	v_ashrrev_i32_e32 v17, 31, v17
	v_and_b32_e32 v67, v67, v69
	v_xor_b32_e32 v69, vcc_hi, v17
	v_xor_b32_e32 v17, vcc_lo, v17
	v_and_b32_e32 v19, v19, v17
	v_lshlrev_b32_e32 v17, 28, v18
	v_cmp_gt_i64_e32 vcc, 0, v[16:17]
	v_not_b32_e32 v17, v17
	v_ashrrev_i32_e32 v17, 31, v17
	v_and_b32_e32 v67, v67, v69
	;; [unrolled: 8-line block ×5, first 2 shown]
	v_xor_b32_e32 v69, vcc_hi, v17
	v_xor_b32_e32 v17, vcc_lo, v17
	v_and_b32_e32 v67, v67, v69
	v_and_b32_e32 v69, v19, v17
	v_lshlrev_b32_e32 v17, 24, v18
	v_cmp_gt_i64_e32 vcc, 0, v[16:17]
	v_not_b32_e32 v17, v17
	v_ashrrev_i32_e32 v17, 31, v17
	v_xor_b32_e32 v18, vcc_hi, v17
	v_xor_b32_e32 v17, vcc_lo, v17
	; wave barrier
	ds_read_b32 v65, v66 offset:32
	v_and_b32_e32 v19, v67, v18
	v_and_b32_e32 v18, v69, v17
	v_mbcnt_lo_u32_b32 v17, v18, 0
	v_mbcnt_hi_u32_b32 v67, v19, v17
	v_cmp_eq_u32_e32 vcc, 0, v67
	v_cmp_ne_u64_e64 s[16:17], 0, v[18:19]
	s_and_b64 s[20:21], s[16:17], vcc
	; wave barrier
	s_and_saveexec_b64 s[16:17], s[20:21]
	s_cbranch_execz .LBB85_71
; %bb.70:
	v_bcnt_u32_b32 v17, v18, 0
	v_bcnt_u32_b32 v17, v19, v17
	s_waitcnt lgkmcnt(0)
	v_add_u32_e32 v17, v65, v17
	ds_write_b32 v66, v17 offset:32
.LBB85_71:
	s_or_b64 exec, exec, s[16:17]
	v_and_b32_e32 v18, s18, v25
	v_lshlrev_b32_sdwa v17, v68, v18 dst_sel:DWORD dst_unused:UNUSED_PAD src0_sel:DWORD src1_sel:BYTE_0
	v_add_lshl_u32 v69, v40, v17, 2
	v_and_b32_e32 v17, 1, v18
	v_add_co_u32_e32 v19, vcc, -1, v17
	v_addc_co_u32_e64 v70, s[16:17], 0, -1, vcc
	v_cmp_ne_u32_e32 vcc, 0, v17
	v_xor_b32_e32 v17, vcc_hi, v70
	v_and_b32_e32 v70, exec_hi, v17
	v_lshlrev_b32_e32 v17, 30, v18
	v_xor_b32_e32 v19, vcc_lo, v19
	v_cmp_gt_i64_e32 vcc, 0, v[16:17]
	v_not_b32_e32 v17, v17
	v_ashrrev_i32_e32 v17, 31, v17
	v_and_b32_e32 v19, exec_lo, v19
	v_xor_b32_e32 v71, vcc_hi, v17
	v_xor_b32_e32 v17, vcc_lo, v17
	v_and_b32_e32 v19, v19, v17
	v_lshlrev_b32_e32 v17, 29, v18
	v_cmp_gt_i64_e32 vcc, 0, v[16:17]
	v_not_b32_e32 v17, v17
	v_ashrrev_i32_e32 v17, 31, v17
	v_and_b32_e32 v70, v70, v71
	v_xor_b32_e32 v71, vcc_hi, v17
	v_xor_b32_e32 v17, vcc_lo, v17
	v_and_b32_e32 v19, v19, v17
	v_lshlrev_b32_e32 v17, 28, v18
	v_cmp_gt_i64_e32 vcc, 0, v[16:17]
	v_not_b32_e32 v17, v17
	v_ashrrev_i32_e32 v17, 31, v17
	v_and_b32_e32 v70, v70, v71
	v_xor_b32_e32 v71, vcc_hi, v17
	v_xor_b32_e32 v17, vcc_lo, v17
	v_and_b32_e32 v19, v19, v17
	v_lshlrev_b32_e32 v17, 27, v18
	v_cmp_gt_i64_e32 vcc, 0, v[16:17]
	v_not_b32_e32 v17, v17
	v_ashrrev_i32_e32 v17, 31, v17
	v_and_b32_e32 v70, v70, v71
	v_xor_b32_e32 v71, vcc_hi, v17
	v_xor_b32_e32 v17, vcc_lo, v17
	v_and_b32_e32 v19, v19, v17
	v_lshlrev_b32_e32 v17, 26, v18
	v_cmp_gt_i64_e32 vcc, 0, v[16:17]
	v_not_b32_e32 v17, v17
	v_ashrrev_i32_e32 v17, 31, v17
	v_and_b32_e32 v70, v70, v71
	v_xor_b32_e32 v71, vcc_hi, v17
	v_xor_b32_e32 v17, vcc_lo, v17
	v_and_b32_e32 v19, v19, v17
	v_lshlrev_b32_e32 v17, 25, v18
	v_cmp_gt_i64_e32 vcc, 0, v[16:17]
	v_not_b32_e32 v17, v17
	v_ashrrev_i32_e32 v17, 31, v17
	v_and_b32_e32 v70, v70, v71
	v_xor_b32_e32 v71, vcc_hi, v17
	v_xor_b32_e32 v17, vcc_lo, v17
	v_and_b32_e32 v19, v19, v17
	v_lshlrev_b32_e32 v17, 24, v18
	v_cmp_gt_i64_e32 vcc, 0, v[16:17]
	v_not_b32_e32 v16, v17
	v_ashrrev_i32_e32 v16, 31, v16
	v_xor_b32_e32 v17, vcc_hi, v16
	v_xor_b32_e32 v16, vcc_lo, v16
	; wave barrier
	ds_read_b32 v68, v69 offset:32
	v_and_b32_e32 v70, v70, v71
	v_and_b32_e32 v16, v19, v16
	;; [unrolled: 1-line block ×3, first 2 shown]
	v_mbcnt_lo_u32_b32 v18, v16, 0
	v_mbcnt_hi_u32_b32 v70, v17, v18
	v_cmp_eq_u32_e32 vcc, 0, v70
	v_cmp_ne_u64_e64 s[16:17], 0, v[16:17]
	s_and_b64 s[20:21], s[16:17], vcc
	; wave barrier
	s_and_saveexec_b64 s[16:17], s[20:21]
	s_cbranch_execz .LBB85_73
; %bb.72:
	v_bcnt_u32_b32 v16, v16, 0
	v_bcnt_u32_b32 v16, v17, v16
	s_waitcnt lgkmcnt(0)
	v_add_u32_e32 v16, v68, v16
	ds_write_b32 v69, v16 offset:32
.LBB85_73:
	s_or_b64 exec, exec, s[16:17]
	v_and_b32_e32 v18, s18, v26
	v_and_b32_e32 v17, 1, v18
	v_add_co_u32_e32 v19, vcc, -1, v17
	v_mov_b32_e32 v74, 3
	v_addc_co_u32_e64 v73, s[16:17], 0, -1, vcc
	v_cmp_ne_u32_e32 vcc, 0, v17
	v_lshlrev_b32_sdwa v16, v74, v18 dst_sel:DWORD dst_unused:UNUSED_PAD src0_sel:DWORD src1_sel:BYTE_0
	v_xor_b32_e32 v17, vcc_hi, v73
	v_add_lshl_u32 v72, v40, v16, 2
	v_mov_b32_e32 v16, 0
	v_and_b32_e32 v73, exec_hi, v17
	v_lshlrev_b32_e32 v17, 30, v18
	v_xor_b32_e32 v19, vcc_lo, v19
	v_cmp_gt_i64_e32 vcc, 0, v[16:17]
	v_not_b32_e32 v17, v17
	v_ashrrev_i32_e32 v17, 31, v17
	v_and_b32_e32 v19, exec_lo, v19
	v_xor_b32_e32 v75, vcc_hi, v17
	v_xor_b32_e32 v17, vcc_lo, v17
	v_and_b32_e32 v19, v19, v17
	v_lshlrev_b32_e32 v17, 29, v18
	v_cmp_gt_i64_e32 vcc, 0, v[16:17]
	v_not_b32_e32 v17, v17
	v_ashrrev_i32_e32 v17, 31, v17
	v_and_b32_e32 v73, v73, v75
	v_xor_b32_e32 v75, vcc_hi, v17
	v_xor_b32_e32 v17, vcc_lo, v17
	v_and_b32_e32 v19, v19, v17
	v_lshlrev_b32_e32 v17, 28, v18
	v_cmp_gt_i64_e32 vcc, 0, v[16:17]
	v_not_b32_e32 v17, v17
	v_ashrrev_i32_e32 v17, 31, v17
	v_and_b32_e32 v73, v73, v75
	;; [unrolled: 8-line block ×5, first 2 shown]
	v_xor_b32_e32 v75, vcc_hi, v17
	v_xor_b32_e32 v17, vcc_lo, v17
	v_and_b32_e32 v73, v73, v75
	v_and_b32_e32 v75, v19, v17
	v_lshlrev_b32_e32 v17, 24, v18
	v_cmp_gt_i64_e32 vcc, 0, v[16:17]
	v_not_b32_e32 v17, v17
	v_ashrrev_i32_e32 v17, 31, v17
	v_xor_b32_e32 v18, vcc_hi, v17
	v_xor_b32_e32 v17, vcc_lo, v17
	; wave barrier
	ds_read_b32 v71, v72 offset:32
	v_and_b32_e32 v19, v73, v18
	v_and_b32_e32 v18, v75, v17
	v_mbcnt_lo_u32_b32 v17, v18, 0
	v_mbcnt_hi_u32_b32 v73, v19, v17
	v_cmp_eq_u32_e32 vcc, 0, v73
	v_cmp_ne_u64_e64 s[16:17], 0, v[18:19]
	s_and_b64 s[20:21], s[16:17], vcc
	; wave barrier
	s_and_saveexec_b64 s[16:17], s[20:21]
	s_cbranch_execz .LBB85_75
; %bb.74:
	v_bcnt_u32_b32 v17, v18, 0
	v_bcnt_u32_b32 v17, v19, v17
	s_waitcnt lgkmcnt(0)
	v_add_u32_e32 v17, v71, v17
	ds_write_b32 v72, v17 offset:32
.LBB85_75:
	s_or_b64 exec, exec, s[16:17]
	v_and_b32_e32 v18, s18, v27
	v_lshlrev_b32_sdwa v17, v74, v18 dst_sel:DWORD dst_unused:UNUSED_PAD src0_sel:DWORD src1_sel:BYTE_0
	v_add_lshl_u32 v74, v40, v17, 2
	v_and_b32_e32 v17, 1, v18
	v_add_co_u32_e32 v19, vcc, -1, v17
	v_addc_co_u32_e64 v76, s[16:17], 0, -1, vcc
	v_cmp_ne_u32_e32 vcc, 0, v17
	v_xor_b32_e32 v17, vcc_hi, v76
	v_and_b32_e32 v76, exec_hi, v17
	v_lshlrev_b32_e32 v17, 30, v18
	v_xor_b32_e32 v19, vcc_lo, v19
	v_cmp_gt_i64_e32 vcc, 0, v[16:17]
	v_not_b32_e32 v17, v17
	v_ashrrev_i32_e32 v17, 31, v17
	v_and_b32_e32 v19, exec_lo, v19
	v_xor_b32_e32 v77, vcc_hi, v17
	v_xor_b32_e32 v17, vcc_lo, v17
	v_and_b32_e32 v19, v19, v17
	v_lshlrev_b32_e32 v17, 29, v18
	v_cmp_gt_i64_e32 vcc, 0, v[16:17]
	v_not_b32_e32 v17, v17
	v_ashrrev_i32_e32 v17, 31, v17
	v_and_b32_e32 v76, v76, v77
	v_xor_b32_e32 v77, vcc_hi, v17
	v_xor_b32_e32 v17, vcc_lo, v17
	v_and_b32_e32 v19, v19, v17
	v_lshlrev_b32_e32 v17, 28, v18
	v_cmp_gt_i64_e32 vcc, 0, v[16:17]
	v_not_b32_e32 v17, v17
	v_ashrrev_i32_e32 v17, 31, v17
	v_and_b32_e32 v76, v76, v77
	;; [unrolled: 8-line block ×5, first 2 shown]
	v_xor_b32_e32 v77, vcc_hi, v17
	v_xor_b32_e32 v17, vcc_lo, v17
	v_and_b32_e32 v19, v19, v17
	v_lshlrev_b32_e32 v17, 24, v18
	v_cmp_gt_i64_e32 vcc, 0, v[16:17]
	v_not_b32_e32 v16, v17
	v_ashrrev_i32_e32 v16, 31, v16
	v_xor_b32_e32 v17, vcc_hi, v16
	v_xor_b32_e32 v16, vcc_lo, v16
	; wave barrier
	ds_read_b32 v40, v74 offset:32
	v_and_b32_e32 v76, v76, v77
	v_and_b32_e32 v16, v19, v16
	;; [unrolled: 1-line block ×3, first 2 shown]
	v_mbcnt_lo_u32_b32 v18, v16, 0
	v_mbcnt_hi_u32_b32 v76, v17, v18
	v_cmp_eq_u32_e32 vcc, 0, v76
	v_cmp_ne_u64_e64 s[16:17], 0, v[16:17]
	v_add_u32_e32 v75, 32, v61
	s_and_b64 s[18:19], s[16:17], vcc
	; wave barrier
	s_and_saveexec_b64 s[16:17], s[18:19]
	s_cbranch_execz .LBB85_77
; %bb.76:
	v_bcnt_u32_b32 v16, v16, 0
	v_bcnt_u32_b32 v16, v17, v16
	s_waitcnt lgkmcnt(0)
	v_add_u32_e32 v16, v40, v16
	ds_write_b32 v74, v16 offset:32
.LBB85_77:
	s_or_b64 exec, exec, s[16:17]
	; wave barrier
	s_waitcnt lgkmcnt(0)
	s_barrier
	ds_read2_b32 v[16:17], v61 offset0:8 offset1:9
	ds_read2_b32 v[18:19], v75 offset0:2 offset1:3
	v_min_u32_e32 v30, 0x1c0, v30
	v_or_b32_e32 v30, 63, v30
	s_waitcnt lgkmcnt(1)
	v_add_u32_e32 v77, v17, v16
	s_waitcnt lgkmcnt(0)
	v_add3_u32 v19, v77, v18, v19
	v_and_b32_e32 v77, 15, v28
	v_cmp_ne_u32_e32 vcc, 0, v77
	v_mov_b32_dpp v78, v19 row_shr:1 row_mask:0xf bank_mask:0xf
	v_cndmask_b32_e32 v78, 0, v78, vcc
	v_add_u32_e32 v19, v78, v19
	v_cmp_lt_u32_e32 vcc, 1, v77
	s_nop 0
	v_mov_b32_dpp v78, v19 row_shr:2 row_mask:0xf bank_mask:0xf
	v_cndmask_b32_e32 v78, 0, v78, vcc
	v_add_u32_e32 v19, v19, v78
	v_cmp_lt_u32_e32 vcc, 3, v77
	s_nop 0
	;; [unrolled: 5-line block ×3, first 2 shown]
	v_mov_b32_dpp v78, v19 row_shr:8 row_mask:0xf bank_mask:0xf
	v_cndmask_b32_e32 v77, 0, v78, vcc
	v_add_u32_e32 v19, v19, v77
	v_bfe_i32 v78, v28, 4, 1
	v_cmp_lt_u32_e32 vcc, 31, v28
	v_mov_b32_dpp v77, v19 row_bcast:15 row_mask:0xf bank_mask:0xf
	v_and_b32_e32 v77, v78, v77
	v_add_u32_e32 v19, v19, v77
	s_nop 1
	v_mov_b32_dpp v77, v19 row_bcast:31 row_mask:0xf bank_mask:0xf
	v_cndmask_b32_e32 v77, 0, v77, vcc
	v_add_u32_e32 v19, v19, v77
	v_lshrrev_b32_e32 v77, 6, v36
	v_cmp_eq_u32_e32 vcc, v30, v36
	s_and_saveexec_b64 s[16:17], vcc
	s_cbranch_execz .LBB85_79
; %bb.78:
	v_lshlrev_b32_e32 v30, 2, v77
	ds_write_b32 v30, v19
.LBB85_79:
	s_or_b64 exec, exec, s[16:17]
	v_cmp_gt_u32_e32 vcc, 8, v36
	s_waitcnt lgkmcnt(0)
	s_barrier
	s_and_saveexec_b64 s[16:17], vcc
	s_cbranch_execz .LBB85_81
; %bb.80:
	v_lshlrev_b32_e32 v30, 2, v36
	ds_read_b32 v78, v30
	v_and_b32_e32 v79, 7, v28
	v_cmp_ne_u32_e32 vcc, 0, v79
	s_waitcnt lgkmcnt(0)
	v_mov_b32_dpp v80, v78 row_shr:1 row_mask:0xf bank_mask:0xf
	v_cndmask_b32_e32 v80, 0, v80, vcc
	v_add_u32_e32 v78, v80, v78
	v_cmp_lt_u32_e32 vcc, 1, v79
	s_nop 0
	v_mov_b32_dpp v80, v78 row_shr:2 row_mask:0xf bank_mask:0xf
	v_cndmask_b32_e32 v80, 0, v80, vcc
	v_add_u32_e32 v78, v78, v80
	v_cmp_lt_u32_e32 vcc, 3, v79
	s_nop 0
	v_mov_b32_dpp v80, v78 row_shr:4 row_mask:0xf bank_mask:0xf
	v_cndmask_b32_e32 v79, 0, v80, vcc
	v_add_u32_e32 v78, v78, v79
	ds_write_b32 v30, v78
.LBB85_81:
	s_or_b64 exec, exec, s[16:17]
	v_cmp_lt_u32_e32 vcc, 63, v36
	v_mov_b32_e32 v30, 0
	s_waitcnt lgkmcnt(0)
	s_barrier
	s_and_saveexec_b64 s[16:17], vcc
	s_cbranch_execz .LBB85_83
; %bb.82:
	v_lshl_add_u32 v30, v77, 2, -4
	ds_read_b32 v30, v30
.LBB85_83:
	s_or_b64 exec, exec, s[16:17]
	v_add_u32_e32 v77, -1, v28
	v_and_b32_e32 v78, 64, v28
	v_cmp_lt_i32_e32 vcc, v77, v78
	v_cndmask_b32_e32 v77, v77, v28, vcc
	s_waitcnt lgkmcnt(0)
	v_add_u32_e32 v19, v30, v19
	v_lshlrev_b32_e32 v77, 2, v77
	ds_bpermute_b32 v19, v77, v19
	v_cmp_eq_u32_e32 vcc, 0, v28
	s_waitcnt lgkmcnt(0)
	v_cndmask_b32_e32 v19, v19, v30, vcc
	v_cmp_ne_u32_e32 vcc, 0, v36
	v_cndmask_b32_e32 v19, 0, v19, vcc
	v_add_u32_e32 v16, v19, v16
	v_add_u32_e32 v17, v16, v17
	;; [unrolled: 1-line block ×3, first 2 shown]
	ds_write2_b32 v61, v19, v16 offset0:8 offset1:9
	ds_write2_b32 v75, v17, v18 offset0:2 offset1:3
	s_waitcnt lgkmcnt(0)
	s_barrier
	ds_read_b32 v16, v29 offset:32
	ds_read_b32 v17, v33 offset:32
	;; [unrolled: 1-line block ×8, first 2 shown]
	s_waitcnt lgkmcnt(7)
	v_add_u32_e32 v31, v16, v31
	s_waitcnt lgkmcnt(6)
	v_add3_u32 v32, v38, v32, v17
	s_waitcnt lgkmcnt(5)
	v_add3_u32 v18, v43, v39, v18
	;; [unrolled: 2-line block ×7, first 2 shown]
	s_barrier
	ds_write_b8 v31, v20
	ds_write_b8 v32, v21
	;; [unrolled: 1-line block ×8, first 2 shown]
	v_lshlrev_b32_e32 v20, 3, v31
	s_waitcnt lgkmcnt(0)
	s_barrier
	ds_read_b64 v[16:17], v53
	s_waitcnt lgkmcnt(0)
	s_barrier
	ds_write_b64 v20, v[12:13]
	v_lshlrev_b32_e32 v12, 3, v32
	ds_write_b64 v12, v[14:15]
	v_lshlrev_b32_e32 v12, 3, v18
	;; [unrolled: 2-line block ×8, first 2 shown]
	s_waitcnt lgkmcnt(0)
	s_barrier
	ds_read2_b64 v[18:21], v0 offset1:1
	ds_read2_b64 v[22:25], v0 offset0:2 offset1:3
	ds_read2_b64 v[26:29], v0 offset0:4 offset1:5
	;; [unrolled: 1-line block ×3, first 2 shown]
	v_lshrrev_b32_e32 v36, 8, v16
	v_mov_b32_e32 v1, -1
	v_lshrrev_b32_e32 v38, 8, v17
	v_xor_b32_e32 v0, -1, v16
	v_xor_b32_sdwa v2, v36, v1 dst_sel:BYTE_1 dst_unused:UNUSED_PAD src0_sel:DWORD src1_sel:DWORD
	v_xor_b32_sdwa v3, v16, v1 dst_sel:DWORD dst_unused:UNUSED_PAD src0_sel:WORD_1 src1_sel:DWORD
	v_xor_b32_sdwa v4, v16, v1 dst_sel:BYTE_1 dst_unused:UNUSED_PAD src0_sel:BYTE_3 src1_sel:DWORD
	v_xor_b32_e32 v5, -1, v17
	v_xor_b32_sdwa v6, v38, v1 dst_sel:BYTE_1 dst_unused:UNUSED_PAD src0_sel:DWORD src1_sel:DWORD
	v_xor_b32_sdwa v7, v17, v1 dst_sel:DWORD dst_unused:UNUSED_PAD src0_sel:WORD_1 src1_sel:DWORD
	v_xor_b32_sdwa v1, v17, v1 dst_sel:BYTE_1 dst_unused:UNUSED_PAD src0_sel:BYTE_3 src1_sel:DWORD
	v_or_b32_sdwa v0, v0, v2 dst_sel:DWORD dst_unused:UNUSED_PAD src0_sel:BYTE_0 src1_sel:DWORD
	v_or_b32_sdwa v2, v3, v4 dst_sel:WORD_1 dst_unused:UNUSED_PAD src0_sel:BYTE_0 src1_sel:DWORD
	v_or_b32_sdwa v0, v0, v2 dst_sel:DWORD dst_unused:UNUSED_PAD src0_sel:WORD_0 src1_sel:DWORD
	v_or_b32_sdwa v2, v5, v6 dst_sel:DWORD dst_unused:UNUSED_PAD src0_sel:BYTE_0 src1_sel:DWORD
	v_or_b32_sdwa v1, v7, v1 dst_sel:WORD_1 dst_unused:UNUSED_PAD src0_sel:BYTE_0 src1_sel:DWORD
	v_or_b32_sdwa v1, v2, v1 dst_sel:DWORD dst_unused:UNUSED_PAD src0_sel:WORD_0 src1_sel:DWORD
.LBB85_84:
	s_waitcnt lgkmcnt(0)
	s_barrier
	ds_write_b64 v52, v[0:1]
	s_waitcnt lgkmcnt(0)
	s_barrier
	ds_read_u8 v8, v45 offset:512
	ds_read_u8 v7, v46 offset:1024
	;; [unrolled: 1-line block ×7, first 2 shown]
	v_mov_b32_e32 v1, s41
	v_add_co_u32_e32 v0, vcc, s40, v37
	v_addc_co_u32_e32 v1, vcc, 0, v1, vcc
	s_and_saveexec_b64 s[16:17], s[0:1]
	s_cbranch_execnz .LBB85_103
; %bb.85:
	s_or_b64 exec, exec, s[16:17]
	s_and_saveexec_b64 s[16:17], s[2:3]
	s_cbranch_execnz .LBB85_104
.LBB85_86:
	s_or_b64 exec, exec, s[16:17]
	s_and_saveexec_b64 s[16:17], s[4:5]
	s_cbranch_execnz .LBB85_105
.LBB85_87:
	s_or_b64 exec, exec, s[16:17]
	s_and_saveexec_b64 s[16:17], s[6:7]
	s_cbranch_execnz .LBB85_106
.LBB85_88:
	s_or_b64 exec, exec, s[16:17]
	s_and_saveexec_b64 s[16:17], s[8:9]
	s_cbranch_execnz .LBB85_107
.LBB85_89:
	s_or_b64 exec, exec, s[16:17]
	s_and_saveexec_b64 s[16:17], s[10:11]
	s_cbranch_execnz .LBB85_108
.LBB85_90:
	s_or_b64 exec, exec, s[16:17]
	s_and_saveexec_b64 s[16:17], s[12:13]
	s_cbranch_execnz .LBB85_109
.LBB85_91:
	s_or_b64 exec, exec, s[16:17]
	s_and_saveexec_b64 s[16:17], s[14:15]
	s_cbranch_execz .LBB85_93
.LBB85_92:
	s_mul_i32 s18, s38, 0xe00
	v_add_co_u32_e32 v0, vcc, s18, v0
	v_addc_co_u32_e32 v1, vcc, 0, v1, vcc
	s_waitcnt lgkmcnt(0)
	global_store_byte v[0:1], v2, off
.LBB85_93:
	s_or_b64 exec, exec, s[16:17]
	s_waitcnt lgkmcnt(0)
	s_barrier
	ds_write2_b64 v60, v[18:19], v[20:21] offset1:1
	ds_write2_b64 v60, v[22:23], v[24:25] offset0:2 offset1:3
	ds_write2_b64 v60, v[26:27], v[28:29] offset0:4 offset1:5
	;; [unrolled: 1-line block ×3, first 2 shown]
	s_waitcnt lgkmcnt(0)
	s_barrier
	ds_read_b64 v[14:15], v35 offset:4096
	ds_read_b64 v[12:13], v54 offset:8192
	ds_read_b64 v[10:11], v55 offset:12288
	ds_read_b64 v[8:9], v56 offset:16384
	ds_read_b64 v[6:7], v57 offset:20480
	ds_read_b64 v[4:5], v58 offset:24576
	ds_read_b64 v[0:1], v59 offset:28672
	v_mov_b32_e32 v35, 0
	v_lshlrev_b64 v[2:3], 3, v[34:35]
	v_mov_b32_e32 v16, s35
	v_add_co_u32_e32 v2, vcc, s33, v2
	v_addc_co_u32_e32 v3, vcc, v16, v3, vcc
	s_and_saveexec_b64 s[16:17], s[0:1]
	s_cbranch_execnz .LBB85_110
; %bb.94:
	s_or_b64 exec, exec, s[16:17]
	s_and_saveexec_b64 s[0:1], s[2:3]
	s_cbranch_execnz .LBB85_111
.LBB85_95:
	s_or_b64 exec, exec, s[0:1]
	s_and_saveexec_b64 s[0:1], s[4:5]
	s_cbranch_execnz .LBB85_112
.LBB85_96:
	s_or_b64 exec, exec, s[0:1]
	s_and_saveexec_b64 s[0:1], s[6:7]
	s_cbranch_execnz .LBB85_113
.LBB85_97:
	s_or_b64 exec, exec, s[0:1]
	s_and_saveexec_b64 s[0:1], s[8:9]
	s_cbranch_execnz .LBB85_114
.LBB85_98:
	s_or_b64 exec, exec, s[0:1]
	s_and_saveexec_b64 s[0:1], s[10:11]
	s_cbranch_execnz .LBB85_115
.LBB85_99:
	s_or_b64 exec, exec, s[0:1]
	s_and_saveexec_b64 s[0:1], s[12:13]
	s_cbranch_execnz .LBB85_116
.LBB85_100:
	s_or_b64 exec, exec, s[0:1]
	s_and_saveexec_b64 s[0:1], s[14:15]
	s_cbranch_execz .LBB85_102
.LBB85_101:
	s_mul_i32 s0, s34, 0xe00
	s_mov_b32 s1, 0
	s_lshl_b64 s[0:1], s[0:1], 3
	s_waitcnt lgkmcnt(1)
	v_mov_b32_e32 v4, s1
	v_add_co_u32_e32 v2, vcc, s0, v2
	v_addc_co_u32_e32 v3, vcc, v3, v4, vcc
	s_waitcnt lgkmcnt(0)
	global_store_dwordx2 v[2:3], v[0:1], off
.LBB85_102:
	s_endpgm
.LBB85_103:
	ds_read_u8 v9, v44
	s_waitcnt lgkmcnt(0)
	global_store_byte v[0:1], v9, off
	s_or_b64 exec, exec, s[16:17]
	s_and_saveexec_b64 s[16:17], s[2:3]
	s_cbranch_execz .LBB85_86
.LBB85_104:
	s_lshl_b32 s18, s38, 9
	v_add_co_u32_e32 v10, vcc, s18, v0
	v_addc_co_u32_e32 v11, vcc, 0, v1, vcc
	s_waitcnt lgkmcnt(6)
	global_store_byte v[10:11], v8, off
	s_or_b64 exec, exec, s[16:17]
	s_and_saveexec_b64 s[16:17], s[4:5]
	s_cbranch_execz .LBB85_87
.LBB85_105:
	s_lshl_b32 s18, s38, 10
	s_waitcnt lgkmcnt(6)
	v_add_co_u32_e32 v8, vcc, s18, v0
	v_addc_co_u32_e32 v9, vcc, 0, v1, vcc
	s_waitcnt lgkmcnt(5)
	global_store_byte v[8:9], v7, off
	s_or_b64 exec, exec, s[16:17]
	s_and_saveexec_b64 s[16:17], s[6:7]
	s_cbranch_execz .LBB85_88
.LBB85_106:
	s_mul_i32 s18, s38, 0x600
	s_waitcnt lgkmcnt(6)
	v_add_co_u32_e32 v8, vcc, s18, v0
	v_addc_co_u32_e32 v9, vcc, 0, v1, vcc
	s_waitcnt lgkmcnt(4)
	global_store_byte v[8:9], v6, off
	s_or_b64 exec, exec, s[16:17]
	s_and_saveexec_b64 s[16:17], s[8:9]
	s_cbranch_execz .LBB85_89
.LBB85_107:
	s_lshl_b32 s18, s38, 11
	s_waitcnt lgkmcnt(4)
	v_add_co_u32_e32 v6, vcc, s18, v0
	v_addc_co_u32_e32 v7, vcc, 0, v1, vcc
	s_waitcnt lgkmcnt(3)
	global_store_byte v[6:7], v5, off
	s_or_b64 exec, exec, s[16:17]
	s_and_saveexec_b64 s[16:17], s[10:11]
	s_cbranch_execz .LBB85_90
.LBB85_108:
	s_mul_i32 s18, s38, 0xa00
	s_waitcnt lgkmcnt(4)
	v_add_co_u32_e32 v6, vcc, s18, v0
	v_addc_co_u32_e32 v7, vcc, 0, v1, vcc
	s_waitcnt lgkmcnt(2)
	global_store_byte v[6:7], v4, off
	s_or_b64 exec, exec, s[16:17]
	s_and_saveexec_b64 s[16:17], s[12:13]
	s_cbranch_execz .LBB85_91
.LBB85_109:
	s_mul_i32 s18, s38, 0xc00
	s_waitcnt lgkmcnt(2)
	v_add_co_u32_e32 v4, vcc, s18, v0
	v_addc_co_u32_e32 v5, vcc, 0, v1, vcc
	s_waitcnt lgkmcnt(1)
	global_store_byte v[4:5], v3, off
	s_or_b64 exec, exec, s[16:17]
	s_and_saveexec_b64 s[16:17], s[14:15]
	s_cbranch_execnz .LBB85_92
	s_branch .LBB85_93
.LBB85_110:
	ds_read_b64 v[16:17], v41
	s_waitcnt lgkmcnt(0)
	global_store_dwordx2 v[2:3], v[16:17], off
	s_or_b64 exec, exec, s[16:17]
	s_and_saveexec_b64 s[0:1], s[2:3]
	s_cbranch_execz .LBB85_95
.LBB85_111:
	s_lshl_b32 s2, s34, 9
	s_mov_b32 s3, 0
	s_lshl_b64 s[2:3], s[2:3], 3
	v_mov_b32_e32 v17, s3
	v_add_co_u32_e32 v16, vcc, s2, v2
	v_addc_co_u32_e32 v17, vcc, v3, v17, vcc
	s_waitcnt lgkmcnt(6)
	global_store_dwordx2 v[16:17], v[14:15], off
	s_or_b64 exec, exec, s[0:1]
	s_and_saveexec_b64 s[0:1], s[4:5]
	s_cbranch_execz .LBB85_96
.LBB85_112:
	s_lshl_b32 s2, s34, 10
	s_mov_b32 s3, 0
	s_lshl_b64 s[2:3], s[2:3], 3
	s_waitcnt lgkmcnt(6)
	v_mov_b32_e32 v15, s3
	v_add_co_u32_e32 v14, vcc, s2, v2
	v_addc_co_u32_e32 v15, vcc, v3, v15, vcc
	s_waitcnt lgkmcnt(5)
	global_store_dwordx2 v[14:15], v[12:13], off
	s_or_b64 exec, exec, s[0:1]
	s_and_saveexec_b64 s[0:1], s[6:7]
	s_cbranch_execz .LBB85_97
.LBB85_113:
	s_mul_i32 s2, s34, 0x600
	s_mov_b32 s3, 0
	s_lshl_b64 s[2:3], s[2:3], 3
	s_waitcnt lgkmcnt(5)
	v_mov_b32_e32 v13, s3
	v_add_co_u32_e32 v12, vcc, s2, v2
	v_addc_co_u32_e32 v13, vcc, v3, v13, vcc
	s_waitcnt lgkmcnt(4)
	global_store_dwordx2 v[12:13], v[10:11], off
	s_or_b64 exec, exec, s[0:1]
	s_and_saveexec_b64 s[0:1], s[8:9]
	s_cbranch_execz .LBB85_98
.LBB85_114:
	s_lshl_b32 s2, s34, 11
	s_mov_b32 s3, 0
	s_lshl_b64 s[2:3], s[2:3], 3
	s_waitcnt lgkmcnt(4)
	v_mov_b32_e32 v11, s3
	v_add_co_u32_e32 v10, vcc, s2, v2
	v_addc_co_u32_e32 v11, vcc, v3, v11, vcc
	s_waitcnt lgkmcnt(3)
	global_store_dwordx2 v[10:11], v[8:9], off
	s_or_b64 exec, exec, s[0:1]
	s_and_saveexec_b64 s[0:1], s[10:11]
	s_cbranch_execz .LBB85_99
.LBB85_115:
	s_mul_i32 s2, s34, 0xa00
	s_mov_b32 s3, 0
	s_lshl_b64 s[2:3], s[2:3], 3
	s_waitcnt lgkmcnt(3)
	v_mov_b32_e32 v9, s3
	v_add_co_u32_e32 v8, vcc, s2, v2
	v_addc_co_u32_e32 v9, vcc, v3, v9, vcc
	s_waitcnt lgkmcnt(2)
	global_store_dwordx2 v[8:9], v[6:7], off
	s_or_b64 exec, exec, s[0:1]
	s_and_saveexec_b64 s[0:1], s[12:13]
	s_cbranch_execz .LBB85_100
.LBB85_116:
	s_mul_i32 s2, s34, 0xc00
	s_mov_b32 s3, 0
	s_lshl_b64 s[2:3], s[2:3], 3
	s_waitcnt lgkmcnt(2)
	v_mov_b32_e32 v7, s3
	v_add_co_u32_e32 v6, vcc, s2, v2
	v_addc_co_u32_e32 v7, vcc, v3, v7, vcc
	s_waitcnt lgkmcnt(1)
	global_store_dwordx2 v[6:7], v[4:5], off
	s_or_b64 exec, exec, s[0:1]
	s_and_saveexec_b64 s[0:1], s[14:15]
	s_cbranch_execnz .LBB85_101
	s_branch .LBB85_102
	.section	.rodata,"a",@progbits
	.p2align	6, 0x0
	.amdhsa_kernel _ZN2at6native18radixSortKVInPlaceILi2ELin1ELi512ELi8EhljEEvNS_4cuda6detail10TensorInfoIT3_T5_EES6_S6_S6_NS4_IT4_S6_EES6_b
		.amdhsa_group_segment_fixed_size 33792
		.amdhsa_private_segment_fixed_size 0
		.amdhsa_kernarg_size 712
		.amdhsa_user_sgpr_count 6
		.amdhsa_user_sgpr_private_segment_buffer 1
		.amdhsa_user_sgpr_dispatch_ptr 0
		.amdhsa_user_sgpr_queue_ptr 0
		.amdhsa_user_sgpr_kernarg_segment_ptr 1
		.amdhsa_user_sgpr_dispatch_id 0
		.amdhsa_user_sgpr_flat_scratch_init 0
		.amdhsa_user_sgpr_kernarg_preload_length 0
		.amdhsa_user_sgpr_kernarg_preload_offset 0
		.amdhsa_user_sgpr_private_segment_size 0
		.amdhsa_uses_dynamic_stack 0
		.amdhsa_system_sgpr_private_segment_wavefront_offset 0
		.amdhsa_system_sgpr_workgroup_id_x 1
		.amdhsa_system_sgpr_workgroup_id_y 1
		.amdhsa_system_sgpr_workgroup_id_z 1
		.amdhsa_system_sgpr_workgroup_info 0
		.amdhsa_system_vgpr_workitem_id 2
		.amdhsa_next_free_vgpr 105
		.amdhsa_next_free_sgpr 46
		.amdhsa_accum_offset 108
		.amdhsa_reserve_vcc 1
		.amdhsa_reserve_flat_scratch 0
		.amdhsa_float_round_mode_32 0
		.amdhsa_float_round_mode_16_64 0
		.amdhsa_float_denorm_mode_32 3
		.amdhsa_float_denorm_mode_16_64 3
		.amdhsa_dx10_clamp 1
		.amdhsa_ieee_mode 1
		.amdhsa_fp16_overflow 0
		.amdhsa_tg_split 0
		.amdhsa_exception_fp_ieee_invalid_op 0
		.amdhsa_exception_fp_denorm_src 0
		.amdhsa_exception_fp_ieee_div_zero 0
		.amdhsa_exception_fp_ieee_overflow 0
		.amdhsa_exception_fp_ieee_underflow 0
		.amdhsa_exception_fp_ieee_inexact 0
		.amdhsa_exception_int_div_zero 0
	.end_amdhsa_kernel
	.section	.text._ZN2at6native18radixSortKVInPlaceILi2ELin1ELi512ELi8EhljEEvNS_4cuda6detail10TensorInfoIT3_T5_EES6_S6_S6_NS4_IT4_S6_EES6_b,"axG",@progbits,_ZN2at6native18radixSortKVInPlaceILi2ELin1ELi512ELi8EhljEEvNS_4cuda6detail10TensorInfoIT3_T5_EES6_S6_S6_NS4_IT4_S6_EES6_b,comdat
.Lfunc_end85:
	.size	_ZN2at6native18radixSortKVInPlaceILi2ELin1ELi512ELi8EhljEEvNS_4cuda6detail10TensorInfoIT3_T5_EES6_S6_S6_NS4_IT4_S6_EES6_b, .Lfunc_end85-_ZN2at6native18radixSortKVInPlaceILi2ELin1ELi512ELi8EhljEEvNS_4cuda6detail10TensorInfoIT3_T5_EES6_S6_S6_NS4_IT4_S6_EES6_b
                                        ; -- End function
	.section	.AMDGPU.csdata,"",@progbits
; Kernel info:
; codeLenInByte = 11940
; NumSgprs: 50
; NumVgprs: 105
; NumAgprs: 0
; TotalNumVgprs: 105
; ScratchSize: 0
; MemoryBound: 0
; FloatMode: 240
; IeeeMode: 1
; LDSByteSize: 33792 bytes/workgroup (compile time only)
; SGPRBlocks: 6
; VGPRBlocks: 13
; NumSGPRsForWavesPerEU: 50
; NumVGPRsForWavesPerEU: 105
; AccumOffset: 108
; Occupancy: 2
; WaveLimiterHint : 1
; COMPUTE_PGM_RSRC2:SCRATCH_EN: 0
; COMPUTE_PGM_RSRC2:USER_SGPR: 6
; COMPUTE_PGM_RSRC2:TRAP_HANDLER: 0
; COMPUTE_PGM_RSRC2:TGID_X_EN: 1
; COMPUTE_PGM_RSRC2:TGID_Y_EN: 1
; COMPUTE_PGM_RSRC2:TGID_Z_EN: 1
; COMPUTE_PGM_RSRC2:TIDIG_COMP_CNT: 2
; COMPUTE_PGM_RSRC3_GFX90A:ACCUM_OFFSET: 26
; COMPUTE_PGM_RSRC3_GFX90A:TG_SPLIT: 0
	.section	.text._ZN2at6native18radixSortKVInPlaceILi2ELin1ELi256ELi8EhljEEvNS_4cuda6detail10TensorInfoIT3_T5_EES6_S6_S6_NS4_IT4_S6_EES6_b,"axG",@progbits,_ZN2at6native18radixSortKVInPlaceILi2ELin1ELi256ELi8EhljEEvNS_4cuda6detail10TensorInfoIT3_T5_EES6_S6_S6_NS4_IT4_S6_EES6_b,comdat
	.protected	_ZN2at6native18radixSortKVInPlaceILi2ELin1ELi256ELi8EhljEEvNS_4cuda6detail10TensorInfoIT3_T5_EES6_S6_S6_NS4_IT4_S6_EES6_b ; -- Begin function _ZN2at6native18radixSortKVInPlaceILi2ELin1ELi256ELi8EhljEEvNS_4cuda6detail10TensorInfoIT3_T5_EES6_S6_S6_NS4_IT4_S6_EES6_b
	.globl	_ZN2at6native18radixSortKVInPlaceILi2ELin1ELi256ELi8EhljEEvNS_4cuda6detail10TensorInfoIT3_T5_EES6_S6_S6_NS4_IT4_S6_EES6_b
	.p2align	8
	.type	_ZN2at6native18radixSortKVInPlaceILi2ELin1ELi256ELi8EhljEEvNS_4cuda6detail10TensorInfoIT3_T5_EES6_S6_S6_NS4_IT4_S6_EES6_b,@function
_ZN2at6native18radixSortKVInPlaceILi2ELin1ELi256ELi8EhljEEvNS_4cuda6detail10TensorInfoIT3_T5_EES6_S6_S6_NS4_IT4_S6_EES6_b: ; @_ZN2at6native18radixSortKVInPlaceILi2ELin1ELi256ELi8EhljEEvNS_4cuda6detail10TensorInfoIT3_T5_EES6_S6_S6_NS4_IT4_S6_EES6_b
; %bb.0:
	s_load_dwordx2 s[0:1], s[4:5], 0x1c8
	s_load_dwordx4 s[36:39], s[4:5], 0xd8
	s_add_u32 s42, s4, 0x1c8
	s_addc_u32 s43, s5, 0
	s_waitcnt lgkmcnt(0)
	s_mul_i32 s1, s1, s8
	s_add_i32 s1, s1, s7
	s_mul_i32 s8, s1, s0
	s_add_i32 s8, s8, s6
	s_cmp_ge_u32 s8, s36
	s_cbranch_scc1 .LBB86_102
; %bb.1:
	s_load_dword s9, s[4:5], 0xc
	s_load_dwordx2 s[0:1], s[4:5], 0x6c
	s_load_dword s6, s[4:5], 0x1b8
	s_add_u32 s14, s4, 0xe8
	s_load_dwordx2 s[2:3], s[4:5], 0x0
	s_waitcnt lgkmcnt(0)
	v_cvt_f32_u32_e32 v1, s9
	s_addc_u32 s15, s5, 0
	s_sub_i32 s7, 0, s9
	s_mov_b32 s17, 0
	v_rcp_iflag_f32_e32 v1, v1
	s_mov_b32 s16, s8
	v_mul_f32_e32 v1, 0x4f7ffffe, v1
	v_cvt_u32_f32_e32 v1, v1
	v_readfirstlane_b32 s10, v1
	s_mul_i32 s7, s7, s10
	s_mul_hi_u32 s7, s10, s7
	s_add_i32 s10, s10, s7
	s_mul_hi_u32 s10, s8, s10
	s_cmp_lt_i32 s6, 2
	s_cbranch_scc1 .LBB86_4
; %bb.2:
	s_add_i32 s16, s6, -1
	s_add_i32 s11, s6, 1
	s_lshl_b64 s[6:7], s[16:17], 2
	s_add_u32 s6, s6, s14
	s_addc_u32 s7, s7, s15
	s_add_u32 s6, s6, 8
	s_addc_u32 s7, s7, 0
	s_mov_b32 s16, s8
.LBB86_3:                               ; =>This Inner Loop Header: Depth=1
	s_load_dword s12, s[6:7], 0x0
	s_load_dword s18, s[6:7], 0x64
	s_mov_b32 s13, s16
	s_waitcnt lgkmcnt(0)
	v_cvt_f32_u32_e32 v1, s12
	s_sub_i32 s16, 0, s12
	v_rcp_iflag_f32_e32 v1, v1
	v_mul_f32_e32 v1, 0x4f7ffffe, v1
	v_cvt_u32_f32_e32 v1, v1
	v_readfirstlane_b32 s19, v1
	s_mul_i32 s16, s16, s19
	s_mul_hi_u32 s16, s19, s16
	s_add_i32 s19, s19, s16
	s_mul_hi_u32 s16, s13, s19
	s_mul_i32 s19, s16, s12
	s_sub_i32 s19, s13, s19
	s_add_i32 s20, s16, 1
	s_sub_i32 s21, s19, s12
	s_cmp_ge_u32 s19, s12
	s_cselect_b32 s16, s20, s16
	s_cselect_b32 s19, s21, s19
	s_add_i32 s20, s16, 1
	s_cmp_ge_u32 s19, s12
	s_cselect_b32 s16, s20, s16
	s_mul_i32 s12, s16, s12
	s_sub_i32 s12, s13, s12
	s_mul_i32 s12, s18, s12
	s_add_i32 s11, s11, -1
	s_add_i32 s17, s12, s17
	s_add_u32 s6, s6, -4
	s_addc_u32 s7, s7, -1
	s_cmp_gt_u32 s11, 2
	s_cbranch_scc1 .LBB86_3
.LBB86_4:
	s_mul_i32 s6, s10, s9
	s_sub_i32 s6, s8, s6
	s_add_i32 s7, s10, 1
	s_sub_i32 s11, s6, s9
	s_cmp_ge_u32 s6, s9
	s_cselect_b32 s7, s7, s10
	s_cselect_b32 s6, s11, s6
	s_add_i32 s10, s7, 1
	s_cmp_ge_u32 s6, s9
	s_cselect_b32 s6, s10, s7
	s_load_dwordx2 s[34:35], s[4:5], 0x1c0
	s_mul_i32 s7, s6, s9
	s_sub_i32 s4, s8, s7
	s_mul_i32 s4, s4, s1
	s_mul_i32 s0, s6, s0
	s_add_i32 s4, s0, s4
	s_waitcnt lgkmcnt(0)
	s_bitcmp1_b32 s35, 0
	s_cselect_b64 s[0:1], -1, 0
	s_add_u32 s40, s2, s4
	s_addc_u32 s41, s3, 0
	s_xor_b64 s[44:45], s[0:1], -1
	v_cndmask_b32_e64 v1, 0, -1, s[44:45]
	v_lshlrev_b16_e32 v2, 8, v1
	v_or_b32_sdwa v2, v1, v2 dst_sel:DWORD dst_unused:UNUSED_PAD src0_sel:BYTE_0 src1_sel:DWORD
	v_lshlrev_b32_e32 v3, 16, v2
	v_and_b32_e32 v36, 0x3ff, v0
	v_or_b32_sdwa v2, v2, v3 dst_sel:DWORD dst_unused:UNUSED_PAD src0_sel:WORD_0 src1_sel:DWORD
	v_mov_b32_e32 v3, v2
	v_cmp_gt_u32_e64 s[0:1], s37, v36
	v_mul_lo_u32 v37, v36, s38
	s_and_saveexec_b64 s[2:3], s[0:1]
	s_cbranch_execz .LBB86_6
; %bb.5:
	global_load_ubyte v1, v37, s[40:41]
	s_mov_b32 s4, 0x3020104
	v_mov_b32_e32 v5, v2
	s_waitcnt vmcnt(0)
	v_perm_b32 v4, v1, v2, s4
	v_pk_mov_b32 v[2:3], v[4:5], v[4:5] op_sel:[0,1]
.LBB86_6:
	s_or_b64 exec, exec, s[2:3]
	v_add_u32_e32 v32, 0x100, v36
	v_cmp_gt_u32_e64 s[2:3], s37, v32
	s_and_saveexec_b64 s[4:5], s[2:3]
	s_cbranch_execz .LBB86_8
; %bb.7:
	v_mul_lo_u32 v4, v32, s38
	global_load_ubyte v4, v4, s[40:41]
	s_mov_b32 s6, 0x7060004
	s_waitcnt vmcnt(0)
	v_perm_b32 v2, v2, v4, s6
.LBB86_8:
	s_or_b64 exec, exec, s[4:5]
	v_add_u32_e32 v31, 0x200, v36
	v_cmp_gt_u32_e64 s[4:5], s37, v31
	s_and_saveexec_b64 s[6:7], s[4:5]
	s_cbranch_execz .LBB86_10
; %bb.9:
	v_mul_lo_u32 v4, v31, s38
	global_load_ubyte v4, v4, s[40:41]
	s_movk_i32 s8, 0xff00
	v_and_b32_sdwa v5, v2, s8 dst_sel:DWORD dst_unused:UNUSED_PAD src0_sel:WORD_1 src1_sel:DWORD
	s_mov_b32 s8, 0xffff
	s_waitcnt vmcnt(0)
	v_or_b32_sdwa v4, v4, v5 dst_sel:WORD_1 dst_unused:UNUSED_PAD src0_sel:DWORD src1_sel:DWORD
	v_and_or_b32 v2, v2, s8, v4
.LBB86_10:
	s_or_b64 exec, exec, s[6:7]
	v_add_u32_e32 v30, 0x300, v36
	v_cmp_gt_u32_e64 s[6:7], s37, v30
	s_and_saveexec_b64 s[8:9], s[6:7]
	s_cbranch_execz .LBB86_12
; %bb.11:
	v_mul_lo_u32 v4, v30, s38
	global_load_ubyte v4, v4, s[40:41]
	s_movk_i32 s10, 0xff
	v_and_b32_sdwa v5, v2, s10 dst_sel:DWORD dst_unused:UNUSED_PAD src0_sel:WORD_1 src1_sel:DWORD
	s_mov_b32 s10, 0xffff
	s_waitcnt vmcnt(0)
	v_lshlrev_b16_e32 v4, 8, v4
	v_or_b32_sdwa v4, v5, v4 dst_sel:WORD_1 dst_unused:UNUSED_PAD src0_sel:DWORD src1_sel:DWORD
	v_and_or_b32 v2, v2, s10, v4
.LBB86_12:
	s_or_b64 exec, exec, s[8:9]
	v_or_b32_e32 v29, 0x400, v36
	v_cmp_gt_u32_e64 s[8:9], s37, v29
	s_and_saveexec_b64 s[10:11], s[8:9]
	s_cbranch_execz .LBB86_14
; %bb.13:
	v_mul_lo_u32 v4, v29, s38
	global_load_ubyte v4, v4, s[40:41]
	s_mov_b32 s12, 0x3020104
	s_waitcnt vmcnt(0)
	v_perm_b32 v3, v4, v3, s12
.LBB86_14:
	s_or_b64 exec, exec, s[10:11]
	v_add_u32_e32 v28, 0x500, v36
	v_cmp_gt_u32_e64 s[10:11], s37, v28
	s_and_saveexec_b64 s[12:13], s[10:11]
	s_cbranch_execz .LBB86_16
; %bb.15:
	v_mul_lo_u32 v4, v28, s38
	global_load_ubyte v4, v4, s[40:41]
	s_mov_b32 s18, 0x7060004
	s_waitcnt vmcnt(0)
	v_perm_b32 v3, v3, v4, s18
.LBB86_16:
	s_or_b64 exec, exec, s[12:13]
	s_load_dwordx2 s[18:19], s[14:15], 0x0
	v_add_u32_e32 v27, 0x600, v36
	v_cmp_gt_u32_e64 s[12:13], s37, v27
	s_and_saveexec_b64 s[20:21], s[12:13]
	s_cbranch_execz .LBB86_18
; %bb.17:
	v_mul_lo_u32 v4, v27, s38
	global_load_ubyte v4, v4, s[40:41]
	s_mov_b32 s22, 0x7000504
	s_waitcnt vmcnt(0)
	v_perm_b32 v3, v3, v4, s22
.LBB86_18:
	s_or_b64 exec, exec, s[20:21]
	s_load_dword s22, s[14:15], 0x6c
	v_add_u32_e32 v22, 0x700, v36
	v_cmp_gt_u32_e64 s[14:15], s37, v22
	s_and_saveexec_b64 s[20:21], s[14:15]
	s_cbranch_execz .LBB86_20
; %bb.19:
	v_mul_lo_u32 v4, v22, s38
	global_load_ubyte v4, v4, s[40:41]
	s_mov_b32 s23, 0x60504
	s_waitcnt vmcnt(0)
	v_perm_b32 v3, v3, v4, s23
.LBB86_20:
	s_or_b64 exec, exec, s[20:21]
	v_lshrrev_b32_e32 v26, 5, v36
	v_and_b32_e32 v4, 28, v26
	v_add_u32_e32 v44, v4, v36
	v_lshrrev_b32_e32 v25, 5, v32
	ds_write_b8 v44, v1
	v_and_b32_e32 v1, 60, v25
	v_lshrrev_b32_e32 v24, 5, v31
	v_add_u32_e32 v45, v1, v36
	v_and_b32_e32 v1, 60, v24
	v_lshrrev_b32_e32 v23, 5, v30
	v_add_u32_e32 v46, v1, v36
	;; [unrolled: 3-line block ×3, first 2 shown]
	v_and_b32_e32 v1, 60, v21
	v_lshrrev_b32_e32 v19, 5, v28
	v_lshrrev_b32_e32 v4, 8, v2
	v_add_u32_e32 v48, v1, v36
	v_and_b32_e32 v1, 0x7c, v19
	v_lshrrev_b32_e32 v18, 5, v27
	ds_write_b8 v45, v4 offset:256
	ds_write_b8_d16_hi v46, v2 offset:512
	v_lshrrev_b32_e32 v2, 24, v2
	v_add_u32_e32 v49, v1, v36
	v_and_b32_e32 v1, 0x7c, v18
	ds_write_b8 v47, v2 offset:768
	v_lshrrev_b32_e32 v2, 8, v3
	v_add_u32_e32 v50, v1, v36
	v_lshrrev_b32_e32 v1, 5, v22
	ds_write_b8 v48, v3 offset:1024
	ds_write_b8 v49, v2 offset:1280
	v_and_b32_e32 v2, 0x7c, v1
	v_lshrrev_b32_e32 v20, 2, v36
	v_add_u32_e32 v51, v2, v36
	v_lshlrev_b32_e32 v53, 3, v36
	v_and_b32_e32 v2, 0xfc, v20
	s_waitcnt lgkmcnt(0)
	s_mul_i32 s16, s22, s16
	ds_write_b8_d16_hi v50, v3 offset:1536
	v_lshrrev_b32_e32 v3, 24, v3
	v_add_u32_e32 v52, v2, v53
	s_add_i32 s16, s16, s17
	s_mov_b32 s17, 0
	ds_write_b8 v51, v3 offset:1792
	s_waitcnt lgkmcnt(0)
	s_barrier
	ds_read_b64 v[38:39], v52
	s_lshl_b64 s[20:21], s[16:17], 3
	s_add_u32 s33, s18, s20
	s_mov_b32 s16, s17
	s_addc_u32 s35, s19, s21
	s_mov_b32 s18, s17
	s_mov_b32 s19, s17
	;; [unrolled: 1-line block ×14, first 2 shown]
	v_pk_mov_b32 v[2:3], s[16:17], s[16:17] op_sel:[0,1]
	v_pk_mov_b32 v[4:5], s[18:19], s[18:19] op_sel:[0,1]
	;; [unrolled: 1-line block ×8, first 2 shown]
	v_pk_mov_b32 v[2:3], 0, 0
	v_mul_lo_u32 v34, v36, s34
	s_waitcnt lgkmcnt(0)
	s_barrier
	s_and_saveexec_b64 s[16:17], s[0:1]
	s_cbranch_execnz .LBB86_53
; %bb.21:
	s_or_b64 exec, exec, s[16:17]
	s_and_saveexec_b64 s[16:17], s[2:3]
	s_cbranch_execnz .LBB86_54
.LBB86_22:
	s_or_b64 exec, exec, s[16:17]
	s_and_saveexec_b64 s[16:17], s[4:5]
	s_cbranch_execnz .LBB86_55
.LBB86_23:
	s_or_b64 exec, exec, s[16:17]
	s_and_saveexec_b64 s[16:17], s[6:7]
	s_cbranch_execnz .LBB86_56
.LBB86_24:
	s_or_b64 exec, exec, s[16:17]
	s_and_saveexec_b64 s[16:17], s[8:9]
	s_cbranch_execnz .LBB86_57
.LBB86_25:
	s_or_b64 exec, exec, s[16:17]
	s_and_saveexec_b64 s[16:17], s[10:11]
	s_cbranch_execnz .LBB86_58
.LBB86_26:
	s_or_b64 exec, exec, s[16:17]
	s_and_saveexec_b64 s[16:17], s[12:13]
	s_cbranch_execnz .LBB86_59
.LBB86_27:
	s_or_b64 exec, exec, s[16:17]
	s_and_saveexec_b64 s[16:17], s[14:15]
	s_cbranch_execz .LBB86_29
.LBB86_28:
	v_mul_lo_u32 v16, v22, s34
	v_mov_b32_e32 v17, 0
	v_lshlrev_b64 v[16:17], 3, v[16:17]
	v_mov_b32_e32 v22, s35
	v_add_co_u32_e32 v16, vcc, s33, v16
	v_addc_co_u32_e32 v17, vcc, v22, v17, vcc
	global_load_dwordx2 v[16:17], v[16:17], off
.LBB86_29:
	s_or_b64 exec, exec, s[16:17]
	v_lshrrev_b64 v[40:41], 24, v[38:39]
	v_add_lshl_u32 v41, v26, v36, 3
	v_add_lshl_u32 v35, v25, v36, 3
	;; [unrolled: 1-line block ×9, first 2 shown]
	s_waitcnt vmcnt(0)
	ds_write_b64 v41, v[2:3]
	ds_write_b64 v35, v[4:5] offset:2048
	ds_write_b64 v54, v[6:7] offset:4096
	;; [unrolled: 1-line block ×7, first 2 shown]
	s_waitcnt lgkmcnt(0)
	s_barrier
	ds_read2_b64 v[14:17], v60 offset1:1
	ds_read2_b64 v[10:13], v60 offset0:2 offset1:3
	ds_read2_b64 v[6:9], v60 offset0:4 offset1:5
	;; [unrolled: 1-line block ×3, first 2 shown]
	v_lshrrev_b32_e32 v64, 8, v38
	v_lshrrev_b32_e32 v65, 8, v39
	s_and_b64 vcc, exec, s[44:45]
	v_bfe_u32 v62, v0, 10, 10
	v_bfe_u32 v63, v0, 20, 10
	v_mbcnt_lo_u32_b32 v66, -1, 0
	v_lshlrev_b32_e32 v61, 4, v36
	s_waitcnt lgkmcnt(0)
	s_barrier
	s_cbranch_vccz .LBB86_60
; %bb.30:
	s_movk_i32 s16, 0xff
	v_mov_b32_e32 v1, 8
	v_lshlrev_b16_e32 v0, 8, v65
	v_lshlrev_b16_sdwa v1, v1, v39 dst_sel:DWORD dst_unused:UNUSED_PAD src0_sel:DWORD src1_sel:BYTE_3
	v_and_b32_sdwa v20, v39, s16 dst_sel:DWORD dst_unused:UNUSED_PAD src0_sel:WORD_1 src1_sel:DWORD
	v_or_b32_sdwa v0, v39, v0 dst_sel:DWORD dst_unused:UNUSED_PAD src0_sel:BYTE_0 src1_sel:DWORD
	v_or_b32_sdwa v1, v20, v1 dst_sel:WORD_1 dst_unused:UNUSED_PAD src0_sel:DWORD src1_sel:DWORD
	v_mbcnt_hi_u32_b32 v75, -1, v66
	v_and_b32_e32 v76, 0x3c0, v36
	v_or_b32_sdwa v1, v0, v1 dst_sel:DWORD dst_unused:UNUSED_PAD src0_sel:WORD_0 src1_sel:DWORD
	v_lshlrev_b16_e32 v0, 8, v64
	v_lshlrev_b16_e32 v20, 8, v40
	v_and_b32_sdwa v21, v38, s16 dst_sel:DWORD dst_unused:UNUSED_PAD src0_sel:WORD_1 src1_sel:DWORD
	v_add_u32_e32 v18, v75, v76
	v_or_b32_sdwa v0, v38, v0 dst_sel:DWORD dst_unused:UNUSED_PAD src0_sel:BYTE_0 src1_sel:DWORD
	v_or_b32_sdwa v20, v21, v20 dst_sel:WORD_1 dst_unused:UNUSED_PAD src0_sel:DWORD src1_sel:DWORD
	v_lshlrev_b32_e32 v19, 3, v18
	v_or_b32_sdwa v0, v0, v20 dst_sel:DWORD dst_unused:UNUSED_PAD src0_sel:WORD_0 src1_sel:DWORD
	s_movk_i32 s16, 0x1e00
	ds_write_b64 v19, v[0:1]
	v_and_or_b32 v0, v53, s16, v75
	; wave barrier
	ds_read_u8 v67, v0
	ds_read_u8 v68, v0 offset:64
	ds_read_u8 v69, v0 offset:128
	;; [unrolled: 1-line block ×7, first 2 shown]
	v_lshlrev_b32_e32 v1, 6, v18
	v_lshlrev_b32_e32 v0, 3, v0
	s_getpc_b64 s[16:17]
	s_add_u32 s16, s16, _ZN7rocprim17ROCPRIM_400000_NS16block_radix_sortIhLj256ELj8ElLj1ELj1ELj0ELNS0_26block_radix_rank_algorithmE1ELNS0_18block_padding_hintE2ELNS0_4arch9wavefront6targetE1EE19radix_bits_per_passE@rel32@lo+4
	s_addc_u32 s17, s17, _ZN7rocprim17ROCPRIM_400000_NS16block_radix_sortIhLj256ELj8ElLj1ELj1ELj0ELNS0_26block_radix_rank_algorithmE1ELNS0_18block_padding_hintE2ELNS0_4arch9wavefront6targetE1EE19radix_bits_per_passE@rel32@hi+12
	s_waitcnt lgkmcnt(0)
	s_barrier
	ds_write2_b64 v1, v[14:15], v[16:17] offset1:1
	ds_write2_b64 v1, v[10:11], v[12:13] offset0:2 offset1:3
	ds_write2_b64 v1, v[6:7], v[8:9] offset0:4 offset1:5
	;; [unrolled: 1-line block ×3, first 2 shown]
	; wave barrier
	ds_read2st64_b64 v[30:33], v0 offset1:1
	ds_read2st64_b64 v[26:29], v0 offset0:2 offset1:3
	ds_read2st64_b64 v[22:25], v0 offset0:4 offset1:5
	;; [unrolled: 1-line block ×3, first 2 shown]
	s_waitcnt lgkmcnt(0)
	s_barrier
	s_load_dword s18, s[16:17], 0x0
	s_load_dword s19, s[42:43], 0xc
	v_mov_b32_e32 v79, 2
	v_mov_b32_e32 v0, 0
	ds_write2_b32 v61, v0, v0 offset0:4 offset1:5
	ds_write2_b32 v61, v0, v0 offset0:6 offset1:7
	s_waitcnt lgkmcnt(0)
	s_min_u32 s18, s18, 8
	s_lshr_b32 s16, s19, 16
	s_and_b32 s17, s19, 0xffff
	v_mad_u32_u24 v1, v63, s16, v62
	v_mad_u64_u32 v[42:43], s[16:17], v1, s17, v[36:37]
	s_lshl_b32 s16, -1, s18
	s_not_b32 s18, s16
	v_lshrrev_b32_e32 v83, 6, v42
	v_and_b32_e32 v42, s18, v67
	v_lshlrev_b32_sdwa v1, v79, v42 dst_sel:DWORD dst_unused:UNUSED_PAD src0_sel:DWORD src1_sel:BYTE_0
	v_add_lshl_u32 v77, v83, v1, 2
	v_and_b32_e32 v1, 1, v42
	v_add_co_u32_e32 v43, vcc, -1, v1
	v_addc_co_u32_e64 v78, s[16:17], 0, -1, vcc
	v_cmp_ne_u32_e32 vcc, 0, v1
	v_xor_b32_e32 v1, vcc_hi, v78
	v_and_b32_e32 v78, exec_hi, v1
	v_lshlrev_b32_e32 v1, 30, v42
	v_xor_b32_e32 v43, vcc_lo, v43
	v_cmp_gt_i64_e32 vcc, 0, v[0:1]
	v_not_b32_e32 v1, v1
	v_ashrrev_i32_e32 v1, 31, v1
	v_and_b32_e32 v43, exec_lo, v43
	v_xor_b32_e32 v80, vcc_hi, v1
	v_xor_b32_e32 v1, vcc_lo, v1
	v_and_b32_e32 v43, v43, v1
	v_lshlrev_b32_e32 v1, 29, v42
	v_cmp_gt_i64_e32 vcc, 0, v[0:1]
	v_not_b32_e32 v1, v1
	v_ashrrev_i32_e32 v1, 31, v1
	v_and_b32_e32 v78, v78, v80
	v_xor_b32_e32 v80, vcc_hi, v1
	v_xor_b32_e32 v1, vcc_lo, v1
	v_and_b32_e32 v43, v43, v1
	v_lshlrev_b32_e32 v1, 28, v42
	v_cmp_gt_i64_e32 vcc, 0, v[0:1]
	v_not_b32_e32 v1, v1
	v_ashrrev_i32_e32 v1, 31, v1
	v_and_b32_e32 v78, v78, v80
	;; [unrolled: 8-line block ×5, first 2 shown]
	v_xor_b32_e32 v80, vcc_hi, v1
	v_xor_b32_e32 v1, vcc_lo, v1
	v_and_b32_e32 v78, v78, v80
	v_and_b32_e32 v80, v43, v1
	v_lshlrev_b32_e32 v1, 24, v42
	v_cmp_gt_i64_e32 vcc, 0, v[0:1]
	v_not_b32_e32 v1, v1
	v_ashrrev_i32_e32 v1, 31, v1
	v_xor_b32_e32 v42, vcc_hi, v1
	v_xor_b32_e32 v1, vcc_lo, v1
	v_and_b32_e32 v43, v78, v42
	v_and_b32_e32 v42, v80, v1
	v_mbcnt_lo_u32_b32 v1, v42, 0
	v_mbcnt_hi_u32_b32 v78, v43, v1
	v_cmp_eq_u32_e32 vcc, 0, v78
	v_cmp_ne_u64_e64 s[16:17], 0, v[42:43]
	s_and_b64 s[20:21], s[16:17], vcc
	s_barrier
	s_waitcnt lgkmcnt(0)
	; wave barrier
	s_and_saveexec_b64 s[16:17], s[20:21]
	s_cbranch_execz .LBB86_32
; %bb.31:
	v_bcnt_u32_b32 v1, v42, 0
	v_bcnt_u32_b32 v1, v43, v1
	ds_write_b32 v77, v1 offset:16
.LBB86_32:
	s_or_b64 exec, exec, s[16:17]
	v_and_b32_e32 v42, s18, v68
	v_lshlrev_b32_sdwa v1, v79, v42 dst_sel:DWORD dst_unused:UNUSED_PAD src0_sel:DWORD src1_sel:BYTE_0
	v_add_lshl_u32 v80, v83, v1, 2
	v_and_b32_e32 v1, 1, v42
	v_add_co_u32_e32 v43, vcc, -1, v1
	v_addc_co_u32_e64 v81, s[16:17], 0, -1, vcc
	v_cmp_ne_u32_e32 vcc, 0, v1
	v_xor_b32_e32 v1, vcc_hi, v81
	v_and_b32_e32 v81, exec_hi, v1
	v_lshlrev_b32_e32 v1, 30, v42
	v_xor_b32_e32 v43, vcc_lo, v43
	v_cmp_gt_i64_e32 vcc, 0, v[0:1]
	v_not_b32_e32 v1, v1
	v_ashrrev_i32_e32 v1, 31, v1
	v_and_b32_e32 v43, exec_lo, v43
	v_xor_b32_e32 v82, vcc_hi, v1
	v_xor_b32_e32 v1, vcc_lo, v1
	v_and_b32_e32 v43, v43, v1
	v_lshlrev_b32_e32 v1, 29, v42
	v_cmp_gt_i64_e32 vcc, 0, v[0:1]
	v_not_b32_e32 v1, v1
	v_ashrrev_i32_e32 v1, 31, v1
	v_and_b32_e32 v81, v81, v82
	v_xor_b32_e32 v82, vcc_hi, v1
	v_xor_b32_e32 v1, vcc_lo, v1
	v_and_b32_e32 v43, v43, v1
	v_lshlrev_b32_e32 v1, 28, v42
	v_cmp_gt_i64_e32 vcc, 0, v[0:1]
	v_not_b32_e32 v1, v1
	v_ashrrev_i32_e32 v1, 31, v1
	v_and_b32_e32 v81, v81, v82
	;; [unrolled: 8-line block ×5, first 2 shown]
	v_xor_b32_e32 v82, vcc_hi, v1
	v_xor_b32_e32 v1, vcc_lo, v1
	v_and_b32_e32 v43, v43, v1
	v_lshlrev_b32_e32 v1, 24, v42
	v_cmp_gt_i64_e32 vcc, 0, v[0:1]
	v_not_b32_e32 v0, v1
	v_ashrrev_i32_e32 v0, 31, v0
	v_xor_b32_e32 v1, vcc_hi, v0
	v_xor_b32_e32 v0, vcc_lo, v0
	; wave barrier
	ds_read_b32 v79, v80 offset:16
	v_and_b32_e32 v81, v81, v82
	v_and_b32_e32 v0, v43, v0
	;; [unrolled: 1-line block ×3, first 2 shown]
	v_mbcnt_lo_u32_b32 v42, v0, 0
	v_mbcnt_hi_u32_b32 v81, v1, v42
	v_cmp_eq_u32_e32 vcc, 0, v81
	v_cmp_ne_u64_e64 s[16:17], 0, v[0:1]
	s_and_b64 s[20:21], s[16:17], vcc
	; wave barrier
	s_and_saveexec_b64 s[16:17], s[20:21]
	s_cbranch_execz .LBB86_34
; %bb.33:
	v_bcnt_u32_b32 v0, v0, 0
	v_bcnt_u32_b32 v0, v1, v0
	s_waitcnt lgkmcnt(0)
	v_add_u32_e32 v0, v79, v0
	ds_write_b32 v80, v0 offset:16
.LBB86_34:
	s_or_b64 exec, exec, s[16:17]
	v_and_b32_e32 v42, s18, v69
	v_and_b32_e32 v1, 1, v42
	v_add_co_u32_e32 v43, vcc, -1, v1
	v_mov_b32_e32 v86, 2
	v_addc_co_u32_e64 v85, s[16:17], 0, -1, vcc
	v_cmp_ne_u32_e32 vcc, 0, v1
	v_lshlrev_b32_sdwa v0, v86, v42 dst_sel:DWORD dst_unused:UNUSED_PAD src0_sel:DWORD src1_sel:BYTE_0
	v_xor_b32_e32 v1, vcc_hi, v85
	v_add_lshl_u32 v84, v83, v0, 2
	v_mov_b32_e32 v0, 0
	v_and_b32_e32 v85, exec_hi, v1
	v_lshlrev_b32_e32 v1, 30, v42
	v_xor_b32_e32 v43, vcc_lo, v43
	v_cmp_gt_i64_e32 vcc, 0, v[0:1]
	v_not_b32_e32 v1, v1
	v_ashrrev_i32_e32 v1, 31, v1
	v_and_b32_e32 v43, exec_lo, v43
	v_xor_b32_e32 v87, vcc_hi, v1
	v_xor_b32_e32 v1, vcc_lo, v1
	v_and_b32_e32 v43, v43, v1
	v_lshlrev_b32_e32 v1, 29, v42
	v_cmp_gt_i64_e32 vcc, 0, v[0:1]
	v_not_b32_e32 v1, v1
	v_ashrrev_i32_e32 v1, 31, v1
	v_and_b32_e32 v85, v85, v87
	v_xor_b32_e32 v87, vcc_hi, v1
	v_xor_b32_e32 v1, vcc_lo, v1
	v_and_b32_e32 v43, v43, v1
	v_lshlrev_b32_e32 v1, 28, v42
	v_cmp_gt_i64_e32 vcc, 0, v[0:1]
	v_not_b32_e32 v1, v1
	v_ashrrev_i32_e32 v1, 31, v1
	v_and_b32_e32 v85, v85, v87
	;; [unrolled: 8-line block ×5, first 2 shown]
	v_xor_b32_e32 v87, vcc_hi, v1
	v_xor_b32_e32 v1, vcc_lo, v1
	v_and_b32_e32 v85, v85, v87
	v_and_b32_e32 v87, v43, v1
	v_lshlrev_b32_e32 v1, 24, v42
	v_cmp_gt_i64_e32 vcc, 0, v[0:1]
	v_not_b32_e32 v1, v1
	v_ashrrev_i32_e32 v1, 31, v1
	v_xor_b32_e32 v42, vcc_hi, v1
	v_xor_b32_e32 v1, vcc_lo, v1
	; wave barrier
	ds_read_b32 v82, v84 offset:16
	v_and_b32_e32 v43, v85, v42
	v_and_b32_e32 v42, v87, v1
	v_mbcnt_lo_u32_b32 v1, v42, 0
	v_mbcnt_hi_u32_b32 v85, v43, v1
	v_cmp_eq_u32_e32 vcc, 0, v85
	v_cmp_ne_u64_e64 s[16:17], 0, v[42:43]
	s_and_b64 s[20:21], s[16:17], vcc
	; wave barrier
	s_and_saveexec_b64 s[16:17], s[20:21]
	s_cbranch_execz .LBB86_36
; %bb.35:
	v_bcnt_u32_b32 v1, v42, 0
	v_bcnt_u32_b32 v1, v43, v1
	s_waitcnt lgkmcnt(0)
	v_add_u32_e32 v1, v82, v1
	ds_write_b32 v84, v1 offset:16
.LBB86_36:
	s_or_b64 exec, exec, s[16:17]
	v_and_b32_e32 v42, s18, v70
	v_lshlrev_b32_sdwa v1, v86, v42 dst_sel:DWORD dst_unused:UNUSED_PAD src0_sel:DWORD src1_sel:BYTE_0
	v_add_lshl_u32 v87, v83, v1, 2
	v_and_b32_e32 v1, 1, v42
	v_add_co_u32_e32 v43, vcc, -1, v1
	v_addc_co_u32_e64 v88, s[16:17], 0, -1, vcc
	v_cmp_ne_u32_e32 vcc, 0, v1
	v_xor_b32_e32 v1, vcc_hi, v88
	v_and_b32_e32 v88, exec_hi, v1
	v_lshlrev_b32_e32 v1, 30, v42
	v_xor_b32_e32 v43, vcc_lo, v43
	v_cmp_gt_i64_e32 vcc, 0, v[0:1]
	v_not_b32_e32 v1, v1
	v_ashrrev_i32_e32 v1, 31, v1
	v_and_b32_e32 v43, exec_lo, v43
	v_xor_b32_e32 v89, vcc_hi, v1
	v_xor_b32_e32 v1, vcc_lo, v1
	v_and_b32_e32 v43, v43, v1
	v_lshlrev_b32_e32 v1, 29, v42
	v_cmp_gt_i64_e32 vcc, 0, v[0:1]
	v_not_b32_e32 v1, v1
	v_ashrrev_i32_e32 v1, 31, v1
	v_and_b32_e32 v88, v88, v89
	v_xor_b32_e32 v89, vcc_hi, v1
	v_xor_b32_e32 v1, vcc_lo, v1
	v_and_b32_e32 v43, v43, v1
	v_lshlrev_b32_e32 v1, 28, v42
	v_cmp_gt_i64_e32 vcc, 0, v[0:1]
	v_not_b32_e32 v1, v1
	v_ashrrev_i32_e32 v1, 31, v1
	v_and_b32_e32 v88, v88, v89
	v_xor_b32_e32 v89, vcc_hi, v1
	v_xor_b32_e32 v1, vcc_lo, v1
	v_and_b32_e32 v43, v43, v1
	v_lshlrev_b32_e32 v1, 27, v42
	v_cmp_gt_i64_e32 vcc, 0, v[0:1]
	v_not_b32_e32 v1, v1
	v_ashrrev_i32_e32 v1, 31, v1
	v_and_b32_e32 v88, v88, v89
	v_xor_b32_e32 v89, vcc_hi, v1
	v_xor_b32_e32 v1, vcc_lo, v1
	v_and_b32_e32 v43, v43, v1
	v_lshlrev_b32_e32 v1, 26, v42
	v_cmp_gt_i64_e32 vcc, 0, v[0:1]
	v_not_b32_e32 v1, v1
	v_ashrrev_i32_e32 v1, 31, v1
	v_and_b32_e32 v88, v88, v89
	v_xor_b32_e32 v89, vcc_hi, v1
	v_xor_b32_e32 v1, vcc_lo, v1
	v_and_b32_e32 v43, v43, v1
	v_lshlrev_b32_e32 v1, 25, v42
	v_cmp_gt_i64_e32 vcc, 0, v[0:1]
	v_not_b32_e32 v1, v1
	v_ashrrev_i32_e32 v1, 31, v1
	v_and_b32_e32 v88, v88, v89
	v_xor_b32_e32 v89, vcc_hi, v1
	v_xor_b32_e32 v1, vcc_lo, v1
	v_and_b32_e32 v43, v43, v1
	v_lshlrev_b32_e32 v1, 24, v42
	v_cmp_gt_i64_e32 vcc, 0, v[0:1]
	v_not_b32_e32 v0, v1
	v_ashrrev_i32_e32 v0, 31, v0
	v_xor_b32_e32 v1, vcc_hi, v0
	v_xor_b32_e32 v0, vcc_lo, v0
	; wave barrier
	ds_read_b32 v86, v87 offset:16
	v_and_b32_e32 v88, v88, v89
	v_and_b32_e32 v0, v43, v0
	;; [unrolled: 1-line block ×3, first 2 shown]
	v_mbcnt_lo_u32_b32 v42, v0, 0
	v_mbcnt_hi_u32_b32 v88, v1, v42
	v_cmp_eq_u32_e32 vcc, 0, v88
	v_cmp_ne_u64_e64 s[16:17], 0, v[0:1]
	s_and_b64 s[20:21], s[16:17], vcc
	; wave barrier
	s_and_saveexec_b64 s[16:17], s[20:21]
	s_cbranch_execz .LBB86_38
; %bb.37:
	v_bcnt_u32_b32 v0, v0, 0
	v_bcnt_u32_b32 v0, v1, v0
	s_waitcnt lgkmcnt(0)
	v_add_u32_e32 v0, v86, v0
	ds_write_b32 v87, v0 offset:16
.LBB86_38:
	s_or_b64 exec, exec, s[16:17]
	v_and_b32_e32 v42, s18, v71
	v_and_b32_e32 v1, 1, v42
	v_add_co_u32_e32 v43, vcc, -1, v1
	v_mov_b32_e32 v92, 2
	v_addc_co_u32_e64 v91, s[16:17], 0, -1, vcc
	v_cmp_ne_u32_e32 vcc, 0, v1
	v_lshlrev_b32_sdwa v0, v92, v42 dst_sel:DWORD dst_unused:UNUSED_PAD src0_sel:DWORD src1_sel:BYTE_0
	v_xor_b32_e32 v1, vcc_hi, v91
	v_add_lshl_u32 v90, v83, v0, 2
	v_mov_b32_e32 v0, 0
	v_and_b32_e32 v91, exec_hi, v1
	v_lshlrev_b32_e32 v1, 30, v42
	v_xor_b32_e32 v43, vcc_lo, v43
	v_cmp_gt_i64_e32 vcc, 0, v[0:1]
	v_not_b32_e32 v1, v1
	v_ashrrev_i32_e32 v1, 31, v1
	v_and_b32_e32 v43, exec_lo, v43
	v_xor_b32_e32 v93, vcc_hi, v1
	v_xor_b32_e32 v1, vcc_lo, v1
	v_and_b32_e32 v43, v43, v1
	v_lshlrev_b32_e32 v1, 29, v42
	v_cmp_gt_i64_e32 vcc, 0, v[0:1]
	v_not_b32_e32 v1, v1
	v_ashrrev_i32_e32 v1, 31, v1
	v_and_b32_e32 v91, v91, v93
	v_xor_b32_e32 v93, vcc_hi, v1
	v_xor_b32_e32 v1, vcc_lo, v1
	v_and_b32_e32 v43, v43, v1
	v_lshlrev_b32_e32 v1, 28, v42
	v_cmp_gt_i64_e32 vcc, 0, v[0:1]
	v_not_b32_e32 v1, v1
	v_ashrrev_i32_e32 v1, 31, v1
	v_and_b32_e32 v91, v91, v93
	;; [unrolled: 8-line block ×5, first 2 shown]
	v_xor_b32_e32 v93, vcc_hi, v1
	v_xor_b32_e32 v1, vcc_lo, v1
	v_and_b32_e32 v91, v91, v93
	v_and_b32_e32 v93, v43, v1
	v_lshlrev_b32_e32 v1, 24, v42
	v_cmp_gt_i64_e32 vcc, 0, v[0:1]
	v_not_b32_e32 v1, v1
	v_ashrrev_i32_e32 v1, 31, v1
	v_xor_b32_e32 v42, vcc_hi, v1
	v_xor_b32_e32 v1, vcc_lo, v1
	; wave barrier
	ds_read_b32 v89, v90 offset:16
	v_and_b32_e32 v43, v91, v42
	v_and_b32_e32 v42, v93, v1
	v_mbcnt_lo_u32_b32 v1, v42, 0
	v_mbcnt_hi_u32_b32 v91, v43, v1
	v_cmp_eq_u32_e32 vcc, 0, v91
	v_cmp_ne_u64_e64 s[16:17], 0, v[42:43]
	s_and_b64 s[20:21], s[16:17], vcc
	; wave barrier
	s_and_saveexec_b64 s[16:17], s[20:21]
	s_cbranch_execz .LBB86_40
; %bb.39:
	v_bcnt_u32_b32 v1, v42, 0
	v_bcnt_u32_b32 v1, v43, v1
	s_waitcnt lgkmcnt(0)
	v_add_u32_e32 v1, v89, v1
	ds_write_b32 v90, v1 offset:16
.LBB86_40:
	s_or_b64 exec, exec, s[16:17]
	v_and_b32_e32 v42, s18, v72
	v_lshlrev_b32_sdwa v1, v92, v42 dst_sel:DWORD dst_unused:UNUSED_PAD src0_sel:DWORD src1_sel:BYTE_0
	v_add_lshl_u32 v93, v83, v1, 2
	v_and_b32_e32 v1, 1, v42
	v_add_co_u32_e32 v43, vcc, -1, v1
	v_addc_co_u32_e64 v94, s[16:17], 0, -1, vcc
	v_cmp_ne_u32_e32 vcc, 0, v1
	v_xor_b32_e32 v1, vcc_hi, v94
	v_and_b32_e32 v94, exec_hi, v1
	v_lshlrev_b32_e32 v1, 30, v42
	v_xor_b32_e32 v43, vcc_lo, v43
	v_cmp_gt_i64_e32 vcc, 0, v[0:1]
	v_not_b32_e32 v1, v1
	v_ashrrev_i32_e32 v1, 31, v1
	v_and_b32_e32 v43, exec_lo, v43
	v_xor_b32_e32 v95, vcc_hi, v1
	v_xor_b32_e32 v1, vcc_lo, v1
	v_and_b32_e32 v43, v43, v1
	v_lshlrev_b32_e32 v1, 29, v42
	v_cmp_gt_i64_e32 vcc, 0, v[0:1]
	v_not_b32_e32 v1, v1
	v_ashrrev_i32_e32 v1, 31, v1
	v_and_b32_e32 v94, v94, v95
	v_xor_b32_e32 v95, vcc_hi, v1
	v_xor_b32_e32 v1, vcc_lo, v1
	v_and_b32_e32 v43, v43, v1
	v_lshlrev_b32_e32 v1, 28, v42
	v_cmp_gt_i64_e32 vcc, 0, v[0:1]
	v_not_b32_e32 v1, v1
	v_ashrrev_i32_e32 v1, 31, v1
	v_and_b32_e32 v94, v94, v95
	;; [unrolled: 8-line block ×5, first 2 shown]
	v_xor_b32_e32 v95, vcc_hi, v1
	v_xor_b32_e32 v1, vcc_lo, v1
	v_and_b32_e32 v43, v43, v1
	v_lshlrev_b32_e32 v1, 24, v42
	v_cmp_gt_i64_e32 vcc, 0, v[0:1]
	v_not_b32_e32 v0, v1
	v_ashrrev_i32_e32 v0, 31, v0
	v_xor_b32_e32 v1, vcc_hi, v0
	v_xor_b32_e32 v0, vcc_lo, v0
	; wave barrier
	ds_read_b32 v92, v93 offset:16
	v_and_b32_e32 v94, v94, v95
	v_and_b32_e32 v0, v43, v0
	;; [unrolled: 1-line block ×3, first 2 shown]
	v_mbcnt_lo_u32_b32 v42, v0, 0
	v_mbcnt_hi_u32_b32 v94, v1, v42
	v_cmp_eq_u32_e32 vcc, 0, v94
	v_cmp_ne_u64_e64 s[16:17], 0, v[0:1]
	s_and_b64 s[20:21], s[16:17], vcc
	; wave barrier
	s_and_saveexec_b64 s[16:17], s[20:21]
	s_cbranch_execz .LBB86_42
; %bb.41:
	v_bcnt_u32_b32 v0, v0, 0
	v_bcnt_u32_b32 v0, v1, v0
	s_waitcnt lgkmcnt(0)
	v_add_u32_e32 v0, v92, v0
	ds_write_b32 v93, v0 offset:16
.LBB86_42:
	s_or_b64 exec, exec, s[16:17]
	v_and_b32_e32 v42, s18, v73
	v_and_b32_e32 v1, 1, v42
	v_add_co_u32_e32 v43, vcc, -1, v1
	v_mov_b32_e32 v98, 2
	v_addc_co_u32_e64 v97, s[16:17], 0, -1, vcc
	v_cmp_ne_u32_e32 vcc, 0, v1
	v_lshlrev_b32_sdwa v0, v98, v42 dst_sel:DWORD dst_unused:UNUSED_PAD src0_sel:DWORD src1_sel:BYTE_0
	v_xor_b32_e32 v1, vcc_hi, v97
	v_add_lshl_u32 v96, v83, v0, 2
	v_mov_b32_e32 v0, 0
	v_and_b32_e32 v97, exec_hi, v1
	v_lshlrev_b32_e32 v1, 30, v42
	v_xor_b32_e32 v43, vcc_lo, v43
	v_cmp_gt_i64_e32 vcc, 0, v[0:1]
	v_not_b32_e32 v1, v1
	v_ashrrev_i32_e32 v1, 31, v1
	v_and_b32_e32 v43, exec_lo, v43
	v_xor_b32_e32 v99, vcc_hi, v1
	v_xor_b32_e32 v1, vcc_lo, v1
	v_and_b32_e32 v43, v43, v1
	v_lshlrev_b32_e32 v1, 29, v42
	v_cmp_gt_i64_e32 vcc, 0, v[0:1]
	v_not_b32_e32 v1, v1
	v_ashrrev_i32_e32 v1, 31, v1
	v_and_b32_e32 v97, v97, v99
	v_xor_b32_e32 v99, vcc_hi, v1
	v_xor_b32_e32 v1, vcc_lo, v1
	v_and_b32_e32 v43, v43, v1
	v_lshlrev_b32_e32 v1, 28, v42
	v_cmp_gt_i64_e32 vcc, 0, v[0:1]
	v_not_b32_e32 v1, v1
	v_ashrrev_i32_e32 v1, 31, v1
	v_and_b32_e32 v97, v97, v99
	;; [unrolled: 8-line block ×5, first 2 shown]
	v_xor_b32_e32 v99, vcc_hi, v1
	v_xor_b32_e32 v1, vcc_lo, v1
	v_and_b32_e32 v97, v97, v99
	v_and_b32_e32 v99, v43, v1
	v_lshlrev_b32_e32 v1, 24, v42
	v_cmp_gt_i64_e32 vcc, 0, v[0:1]
	v_not_b32_e32 v1, v1
	v_ashrrev_i32_e32 v1, 31, v1
	v_xor_b32_e32 v42, vcc_hi, v1
	v_xor_b32_e32 v1, vcc_lo, v1
	; wave barrier
	ds_read_b32 v95, v96 offset:16
	v_and_b32_e32 v43, v97, v42
	v_and_b32_e32 v42, v99, v1
	v_mbcnt_lo_u32_b32 v1, v42, 0
	v_mbcnt_hi_u32_b32 v97, v43, v1
	v_cmp_eq_u32_e32 vcc, 0, v97
	v_cmp_ne_u64_e64 s[16:17], 0, v[42:43]
	s_and_b64 s[20:21], s[16:17], vcc
	; wave barrier
	s_and_saveexec_b64 s[16:17], s[20:21]
	s_cbranch_execz .LBB86_44
; %bb.43:
	v_bcnt_u32_b32 v1, v42, 0
	v_bcnt_u32_b32 v1, v43, v1
	s_waitcnt lgkmcnt(0)
	v_add_u32_e32 v1, v95, v1
	ds_write_b32 v96, v1 offset:16
.LBB86_44:
	s_or_b64 exec, exec, s[16:17]
	v_and_b32_e32 v42, s18, v74
	v_lshlrev_b32_sdwa v1, v98, v42 dst_sel:DWORD dst_unused:UNUSED_PAD src0_sel:DWORD src1_sel:BYTE_0
	v_add_lshl_u32 v98, v83, v1, 2
	v_and_b32_e32 v1, 1, v42
	v_add_co_u32_e32 v43, vcc, -1, v1
	v_addc_co_u32_e64 v100, s[16:17], 0, -1, vcc
	v_cmp_ne_u32_e32 vcc, 0, v1
	v_xor_b32_e32 v1, vcc_hi, v100
	v_and_b32_e32 v100, exec_hi, v1
	v_lshlrev_b32_e32 v1, 30, v42
	v_xor_b32_e32 v43, vcc_lo, v43
	v_cmp_gt_i64_e32 vcc, 0, v[0:1]
	v_not_b32_e32 v1, v1
	v_ashrrev_i32_e32 v1, 31, v1
	v_and_b32_e32 v43, exec_lo, v43
	v_xor_b32_e32 v101, vcc_hi, v1
	v_xor_b32_e32 v1, vcc_lo, v1
	v_and_b32_e32 v43, v43, v1
	v_lshlrev_b32_e32 v1, 29, v42
	v_cmp_gt_i64_e32 vcc, 0, v[0:1]
	v_not_b32_e32 v1, v1
	v_ashrrev_i32_e32 v1, 31, v1
	v_and_b32_e32 v100, v100, v101
	v_xor_b32_e32 v101, vcc_hi, v1
	v_xor_b32_e32 v1, vcc_lo, v1
	v_and_b32_e32 v43, v43, v1
	v_lshlrev_b32_e32 v1, 28, v42
	v_cmp_gt_i64_e32 vcc, 0, v[0:1]
	v_not_b32_e32 v1, v1
	v_ashrrev_i32_e32 v1, 31, v1
	v_and_b32_e32 v100, v100, v101
	;; [unrolled: 8-line block ×5, first 2 shown]
	v_xor_b32_e32 v101, vcc_hi, v1
	v_xor_b32_e32 v1, vcc_lo, v1
	v_and_b32_e32 v43, v43, v1
	v_lshlrev_b32_e32 v1, 24, v42
	v_cmp_gt_i64_e32 vcc, 0, v[0:1]
	v_not_b32_e32 v0, v1
	v_ashrrev_i32_e32 v0, 31, v0
	v_xor_b32_e32 v1, vcc_hi, v0
	v_xor_b32_e32 v0, vcc_lo, v0
	; wave barrier
	ds_read_b32 v83, v98 offset:16
	v_and_b32_e32 v100, v100, v101
	v_and_b32_e32 v0, v43, v0
	;; [unrolled: 1-line block ×3, first 2 shown]
	v_mbcnt_lo_u32_b32 v42, v0, 0
	v_mbcnt_hi_u32_b32 v100, v1, v42
	v_cmp_eq_u32_e32 vcc, 0, v100
	v_cmp_ne_u64_e64 s[16:17], 0, v[0:1]
	v_add_u32_e32 v99, 16, v61
	s_and_b64 s[18:19], s[16:17], vcc
	; wave barrier
	s_and_saveexec_b64 s[16:17], s[18:19]
	s_cbranch_execz .LBB86_46
; %bb.45:
	v_bcnt_u32_b32 v0, v0, 0
	v_bcnt_u32_b32 v0, v1, v0
	s_waitcnt lgkmcnt(0)
	v_add_u32_e32 v0, v83, v0
	ds_write_b32 v98, v0 offset:16
.LBB86_46:
	s_or_b64 exec, exec, s[16:17]
	; wave barrier
	s_waitcnt lgkmcnt(0)
	s_barrier
	ds_read2_b32 v[0:1], v61 offset0:4 offset1:5
	ds_read2_b32 v[42:43], v99 offset0:2 offset1:3
	v_min_u32_e32 v76, 0xc0, v76
	v_or_b32_e32 v76, 63, v76
	s_waitcnt lgkmcnt(1)
	v_add_u32_e32 v101, v1, v0
	s_waitcnt lgkmcnt(0)
	v_add3_u32 v43, v101, v42, v43
	v_and_b32_e32 v101, 15, v75
	v_cmp_ne_u32_e32 vcc, 0, v101
	v_mov_b32_dpp v102, v43 row_shr:1 row_mask:0xf bank_mask:0xf
	v_cndmask_b32_e32 v102, 0, v102, vcc
	v_add_u32_e32 v43, v102, v43
	v_cmp_lt_u32_e32 vcc, 1, v101
	s_nop 0
	v_mov_b32_dpp v102, v43 row_shr:2 row_mask:0xf bank_mask:0xf
	v_cndmask_b32_e32 v102, 0, v102, vcc
	v_add_u32_e32 v43, v43, v102
	v_cmp_lt_u32_e32 vcc, 3, v101
	s_nop 0
	;; [unrolled: 5-line block ×3, first 2 shown]
	v_mov_b32_dpp v102, v43 row_shr:8 row_mask:0xf bank_mask:0xf
	v_cndmask_b32_e32 v101, 0, v102, vcc
	v_add_u32_e32 v43, v43, v101
	v_bfe_i32 v102, v75, 4, 1
	v_cmp_lt_u32_e32 vcc, 31, v75
	v_mov_b32_dpp v101, v43 row_bcast:15 row_mask:0xf bank_mask:0xf
	v_and_b32_e32 v101, v102, v101
	v_add_u32_e32 v43, v43, v101
	s_nop 1
	v_mov_b32_dpp v101, v43 row_bcast:31 row_mask:0xf bank_mask:0xf
	v_cndmask_b32_e32 v101, 0, v101, vcc
	v_add_u32_e32 v43, v43, v101
	v_lshrrev_b32_e32 v101, 6, v36
	v_cmp_eq_u32_e32 vcc, v76, v36
	s_and_saveexec_b64 s[16:17], vcc
	s_cbranch_execz .LBB86_48
; %bb.47:
	v_lshlrev_b32_e32 v76, 2, v101
	ds_write_b32 v76, v43
.LBB86_48:
	s_or_b64 exec, exec, s[16:17]
	v_cmp_gt_u32_e32 vcc, 4, v36
	s_waitcnt lgkmcnt(0)
	s_barrier
	s_and_saveexec_b64 s[16:17], vcc
	s_cbranch_execz .LBB86_50
; %bb.49:
	v_lshlrev_b32_e32 v76, 2, v36
	ds_read_b32 v102, v76
	v_and_b32_e32 v103, 3, v75
	v_cmp_ne_u32_e32 vcc, 0, v103
	s_waitcnt lgkmcnt(0)
	v_mov_b32_dpp v104, v102 row_shr:1 row_mask:0xf bank_mask:0xf
	v_cndmask_b32_e32 v104, 0, v104, vcc
	v_add_u32_e32 v102, v104, v102
	v_cmp_lt_u32_e32 vcc, 1, v103
	s_nop 0
	v_mov_b32_dpp v104, v102 row_shr:2 row_mask:0xf bank_mask:0xf
	v_cndmask_b32_e32 v103, 0, v104, vcc
	v_add_u32_e32 v102, v102, v103
	ds_write_b32 v76, v102
.LBB86_50:
	s_or_b64 exec, exec, s[16:17]
	v_cmp_lt_u32_e32 vcc, 63, v36
	v_mov_b32_e32 v76, 0
	s_waitcnt lgkmcnt(0)
	s_barrier
	s_and_saveexec_b64 s[16:17], vcc
	s_cbranch_execz .LBB86_52
; %bb.51:
	v_lshl_add_u32 v76, v101, 2, -4
	ds_read_b32 v76, v76
.LBB86_52:
	s_or_b64 exec, exec, s[16:17]
	v_add_u32_e32 v101, -1, v75
	v_and_b32_e32 v102, 64, v75
	v_cmp_lt_i32_e32 vcc, v101, v102
	v_cndmask_b32_e32 v101, v101, v75, vcc
	s_waitcnt lgkmcnt(0)
	v_add_u32_e32 v43, v76, v43
	v_lshlrev_b32_e32 v101, 2, v101
	ds_bpermute_b32 v43, v101, v43
	v_cmp_eq_u32_e32 vcc, 0, v75
	s_waitcnt lgkmcnt(0)
	v_cndmask_b32_e32 v43, v43, v76, vcc
	v_cmp_ne_u32_e32 vcc, 0, v36
	v_cndmask_b32_e32 v43, 0, v43, vcc
	v_add_u32_e32 v0, v43, v0
	v_add_u32_e32 v1, v0, v1
	;; [unrolled: 1-line block ×3, first 2 shown]
	ds_write2_b32 v61, v43, v0 offset0:4 offset1:5
	ds_write2_b32 v99, v1, v42 offset0:2 offset1:3
	s_waitcnt lgkmcnt(0)
	s_barrier
	ds_read_b32 v0, v77 offset:16
	ds_read_b32 v1, v80 offset:16
	;; [unrolled: 1-line block ×8, first 2 shown]
	s_waitcnt lgkmcnt(7)
	v_add_u32_e32 v78, v0, v78
	s_waitcnt lgkmcnt(6)
	v_add3_u32 v79, v81, v79, v1
	s_waitcnt lgkmcnt(5)
	v_add3_u32 v42, v85, v82, v42
	s_waitcnt lgkmcnt(4)
	v_add3_u32 v43, v88, v86, v43
	s_waitcnt lgkmcnt(3)
	v_add3_u32 v75, v91, v89, v75
	s_waitcnt lgkmcnt(2)
	v_add3_u32 v76, v94, v92, v76
	s_waitcnt lgkmcnt(1)
	v_add3_u32 v77, v97, v95, v77
	s_waitcnt lgkmcnt(0)
	v_add3_u32 v80, v100, v83, v80
	s_barrier
	ds_write_b8 v78, v67
	ds_write_b8 v79, v68
	;; [unrolled: 1-line block ×8, first 2 shown]
	v_lshlrev_b32_e32 v67, 3, v78
	s_waitcnt lgkmcnt(0)
	s_barrier
	ds_read_b64 v[0:1], v53
	s_waitcnt lgkmcnt(0)
	s_barrier
	ds_write_b64 v67, v[30:31]
	v_lshlrev_b32_e32 v30, 3, v79
	ds_write_b64 v30, v[32:33]
	v_lshlrev_b32_e32 v30, 3, v42
	;; [unrolled: 2-line block ×7, first 2 shown]
	v_lshlrev_b32_e32 v30, 3, v53
	ds_write_b64 v18, v[20:21]
	s_waitcnt lgkmcnt(0)
	s_barrier
	ds_read2_b64 v[18:21], v30 offset1:1
	ds_read2_b64 v[22:25], v30 offset0:2 offset1:3
	ds_read2_b64 v[26:29], v30 offset0:4 offset1:5
	;; [unrolled: 1-line block ×3, first 2 shown]
	s_branch .LBB86_84
.LBB86_53:
	v_mov_b32_e32 v35, 0
	v_lshlrev_b64 v[2:3], 3, v[34:35]
	v_mov_b32_e32 v4, s35
	v_add_co_u32_e32 v2, vcc, s33, v2
	v_addc_co_u32_e32 v3, vcc, v4, v3, vcc
	global_load_dwordx2 v[2:3], v[2:3], off
	v_mov_b32_e32 v4, v35
	v_mov_b32_e32 v5, v35
	;; [unrolled: 1-line block ×14, first 2 shown]
	s_or_b64 exec, exec, s[16:17]
	s_and_saveexec_b64 s[16:17], s[2:3]
	s_cbranch_execz .LBB86_22
.LBB86_54:
	v_mul_lo_u32 v4, v32, s34
	v_mov_b32_e32 v5, 0
	v_lshlrev_b64 v[4:5], 3, v[4:5]
	v_mov_b32_e32 v32, s35
	v_add_co_u32_e32 v4, vcc, s33, v4
	v_addc_co_u32_e32 v5, vcc, v32, v5, vcc
	global_load_dwordx2 v[4:5], v[4:5], off
	s_or_b64 exec, exec, s[16:17]
	s_and_saveexec_b64 s[16:17], s[4:5]
	s_cbranch_execz .LBB86_23
.LBB86_55:
	v_mul_lo_u32 v6, v31, s34
	v_mov_b32_e32 v7, 0
	v_lshlrev_b64 v[6:7], 3, v[6:7]
	v_mov_b32_e32 v31, s35
	v_add_co_u32_e32 v6, vcc, s33, v6
	v_addc_co_u32_e32 v7, vcc, v31, v7, vcc
	global_load_dwordx2 v[6:7], v[6:7], off
	s_or_b64 exec, exec, s[16:17]
	s_and_saveexec_b64 s[16:17], s[6:7]
	s_cbranch_execz .LBB86_24
.LBB86_56:
	v_mul_lo_u32 v8, v30, s34
	v_mov_b32_e32 v9, 0
	v_lshlrev_b64 v[8:9], 3, v[8:9]
	v_mov_b32_e32 v30, s35
	v_add_co_u32_e32 v8, vcc, s33, v8
	v_addc_co_u32_e32 v9, vcc, v30, v9, vcc
	global_load_dwordx2 v[8:9], v[8:9], off
	s_or_b64 exec, exec, s[16:17]
	s_and_saveexec_b64 s[16:17], s[8:9]
	s_cbranch_execz .LBB86_25
.LBB86_57:
	v_mul_lo_u32 v10, v29, s34
	v_mov_b32_e32 v11, 0
	v_lshlrev_b64 v[10:11], 3, v[10:11]
	v_mov_b32_e32 v29, s35
	v_add_co_u32_e32 v10, vcc, s33, v10
	v_addc_co_u32_e32 v11, vcc, v29, v11, vcc
	global_load_dwordx2 v[10:11], v[10:11], off
	s_or_b64 exec, exec, s[16:17]
	s_and_saveexec_b64 s[16:17], s[10:11]
	s_cbranch_execz .LBB86_26
.LBB86_58:
	v_mul_lo_u32 v12, v28, s34
	v_mov_b32_e32 v13, 0
	v_lshlrev_b64 v[12:13], 3, v[12:13]
	v_mov_b32_e32 v28, s35
	v_add_co_u32_e32 v12, vcc, s33, v12
	v_addc_co_u32_e32 v13, vcc, v28, v13, vcc
	global_load_dwordx2 v[12:13], v[12:13], off
	s_or_b64 exec, exec, s[16:17]
	s_and_saveexec_b64 s[16:17], s[12:13]
	s_cbranch_execz .LBB86_27
.LBB86_59:
	v_mul_lo_u32 v14, v27, s34
	v_mov_b32_e32 v15, 0
	v_lshlrev_b64 v[14:15], 3, v[14:15]
	v_mov_b32_e32 v27, s35
	v_add_co_u32_e32 v14, vcc, s33, v14
	v_addc_co_u32_e32 v15, vcc, v27, v15, vcc
	global_load_dwordx2 v[14:15], v[14:15], off
	s_or_b64 exec, exec, s[16:17]
	s_and_saveexec_b64 s[16:17], s[14:15]
	s_cbranch_execnz .LBB86_28
	s_branch .LBB86_29
.LBB86_60:
                                        ; implicit-def: $vgpr1
                                        ; implicit-def: $vgpr32_vgpr33
                                        ; implicit-def: $vgpr28_vgpr29
                                        ; implicit-def: $vgpr24_vgpr25
                                        ; implicit-def: $vgpr20_vgpr21
	s_cbranch_execz .LBB86_84
; %bb.61:
	v_mov_b32_e32 v0, -1
	v_xor_b32_sdwa v1, v65, v0 dst_sel:BYTE_1 dst_unused:UNUSED_PAD src0_sel:DWORD src1_sel:DWORD
	s_waitcnt lgkmcnt(3)
	v_xor_b32_e32 v18, -1, v39
	v_or_b32_sdwa v1, v18, v1 dst_sel:DWORD dst_unused:UNUSED_PAD src0_sel:BYTE_0 src1_sel:DWORD
	v_xor_b32_sdwa v18, v39, v0 dst_sel:DWORD dst_unused:UNUSED_PAD src0_sel:BYTE_3 src1_sel:DWORD
	v_lshlrev_b16_e32 v18, 8, v18
	v_xor_b32_sdwa v19, v39, v0 dst_sel:DWORD dst_unused:UNUSED_PAD src0_sel:WORD_1 src1_sel:DWORD
	v_or_b32_sdwa v18, v19, v18 dst_sel:WORD_1 dst_unused:UNUSED_PAD src0_sel:BYTE_0 src1_sel:DWORD
	v_or_b32_sdwa v1, v1, v18 dst_sel:DWORD dst_unused:UNUSED_PAD src0_sel:WORD_0 src1_sel:DWORD
	v_xor_b32_sdwa v18, v64, v0 dst_sel:BYTE_1 dst_unused:UNUSED_PAD src0_sel:DWORD src1_sel:DWORD
	v_xor_b32_e32 v19, -1, v38
	v_or_b32_sdwa v18, v19, v18 dst_sel:DWORD dst_unused:UNUSED_PAD src0_sel:BYTE_0 src1_sel:DWORD
	v_xor_b32_sdwa v19, v40, v0 dst_sel:BYTE_1 dst_unused:UNUSED_PAD src0_sel:DWORD src1_sel:DWORD
	v_xor_b32_sdwa v0, v38, v0 dst_sel:DWORD dst_unused:UNUSED_PAD src0_sel:WORD_1 src1_sel:DWORD
	v_or_b32_sdwa v0, v0, v19 dst_sel:WORD_1 dst_unused:UNUSED_PAD src0_sel:BYTE_0 src1_sel:DWORD
	s_waitcnt lgkmcnt(1)
	v_mbcnt_hi_u32_b32 v28, -1, v66
	v_and_b32_e32 v29, 0x3c0, v36
	v_or_b32_sdwa v0, v18, v0 dst_sel:DWORD dst_unused:UNUSED_PAD src0_sel:WORD_0 src1_sel:DWORD
	v_add_u32_e32 v18, v28, v29
	v_lshlrev_b32_e32 v19, 3, v18
	s_movk_i32 s16, 0x1e00
	ds_write_b64 v19, v[0:1]
	v_and_or_b32 v0, v53, s16, v28
	; wave barrier
	ds_read_u8 v20, v0
	ds_read_u8 v21, v0 offset:64
	ds_read_u8 v22, v0 offset:128
	ds_read_u8 v23, v0 offset:192
	ds_read_u8 v24, v0 offset:256
	ds_read_u8 v25, v0 offset:320
	ds_read_u8 v26, v0 offset:384
	ds_read_u8 v27, v0 offset:448
	v_lshlrev_b32_e32 v1, 6, v18
	v_lshlrev_b32_e32 v0, 3, v0
	s_getpc_b64 s[16:17]
	s_add_u32 s16, s16, _ZN7rocprim17ROCPRIM_400000_NS16block_radix_sortIhLj256ELj8ElLj1ELj1ELj0ELNS0_26block_radix_rank_algorithmE1ELNS0_18block_padding_hintE2ELNS0_4arch9wavefront6targetE1EE19radix_bits_per_passE@rel32@lo+4
	s_addc_u32 s17, s17, _ZN7rocprim17ROCPRIM_400000_NS16block_radix_sortIhLj256ELj8ElLj1ELj1ELj0ELNS0_26block_radix_rank_algorithmE1ELNS0_18block_padding_hintE2ELNS0_4arch9wavefront6targetE1EE19radix_bits_per_passE@rel32@hi+12
	s_waitcnt lgkmcnt(0)
	s_barrier
	ds_write2_b64 v1, v[14:15], v[16:17] offset1:1
	ds_write2_b64 v1, v[10:11], v[12:13] offset0:2 offset1:3
	ds_write2_b64 v1, v[6:7], v[8:9] offset0:4 offset1:5
	;; [unrolled: 1-line block ×3, first 2 shown]
	; wave barrier
	ds_read2st64_b64 v[12:15], v0 offset1:1
	ds_read2st64_b64 v[8:11], v0 offset0:2 offset1:3
	ds_read2st64_b64 v[4:7], v0 offset0:4 offset1:5
	;; [unrolled: 1-line block ×3, first 2 shown]
	s_waitcnt lgkmcnt(0)
	s_barrier
	s_load_dword s18, s[16:17], 0x0
	s_load_dword s19, s[42:43], 0xc
	v_mov_b32_e32 v32, 2
	v_mov_b32_e32 v16, 0
	ds_write2_b32 v61, v16, v16 offset0:4 offset1:5
	ds_write2_b32 v61, v16, v16 offset0:6 offset1:7
	s_waitcnt lgkmcnt(0)
	s_min_u32 s18, s18, 8
	s_lshr_b32 s16, s19, 16
	s_and_b32 s17, s19, 0xffff
	v_mad_u32_u24 v17, v63, s16, v62
	v_mad_u64_u32 v[18:19], s[16:17], v17, s17, v[36:37]
	s_lshl_b32 s16, -1, s18
	s_not_b32 s18, s16
	v_lshrrev_b32_e32 v40, 6, v18
	v_and_b32_e32 v18, s18, v20
	v_lshlrev_b32_sdwa v17, v32, v18 dst_sel:DWORD dst_unused:UNUSED_PAD src0_sel:DWORD src1_sel:BYTE_0
	v_add_lshl_u32 v30, v40, v17, 2
	v_and_b32_e32 v17, 1, v18
	v_add_co_u32_e32 v19, vcc, -1, v17
	v_addc_co_u32_e64 v31, s[16:17], 0, -1, vcc
	v_cmp_ne_u32_e32 vcc, 0, v17
	v_xor_b32_e32 v17, vcc_hi, v31
	v_and_b32_e32 v31, exec_hi, v17
	v_lshlrev_b32_e32 v17, 30, v18
	v_xor_b32_e32 v19, vcc_lo, v19
	v_cmp_gt_i64_e32 vcc, 0, v[16:17]
	v_not_b32_e32 v17, v17
	v_ashrrev_i32_e32 v17, 31, v17
	v_and_b32_e32 v19, exec_lo, v19
	v_xor_b32_e32 v33, vcc_hi, v17
	v_xor_b32_e32 v17, vcc_lo, v17
	v_and_b32_e32 v19, v19, v17
	v_lshlrev_b32_e32 v17, 29, v18
	v_cmp_gt_i64_e32 vcc, 0, v[16:17]
	v_not_b32_e32 v17, v17
	v_ashrrev_i32_e32 v17, 31, v17
	v_and_b32_e32 v31, v31, v33
	v_xor_b32_e32 v33, vcc_hi, v17
	v_xor_b32_e32 v17, vcc_lo, v17
	v_and_b32_e32 v19, v19, v17
	v_lshlrev_b32_e32 v17, 28, v18
	v_cmp_gt_i64_e32 vcc, 0, v[16:17]
	v_not_b32_e32 v17, v17
	v_ashrrev_i32_e32 v17, 31, v17
	v_and_b32_e32 v31, v31, v33
	;; [unrolled: 8-line block ×5, first 2 shown]
	v_xor_b32_e32 v33, vcc_hi, v17
	v_xor_b32_e32 v17, vcc_lo, v17
	v_and_b32_e32 v31, v31, v33
	v_and_b32_e32 v33, v19, v17
	v_lshlrev_b32_e32 v17, 24, v18
	v_cmp_gt_i64_e32 vcc, 0, v[16:17]
	v_not_b32_e32 v17, v17
	v_ashrrev_i32_e32 v17, 31, v17
	v_xor_b32_e32 v18, vcc_hi, v17
	v_xor_b32_e32 v17, vcc_lo, v17
	v_and_b32_e32 v19, v31, v18
	v_and_b32_e32 v18, v33, v17
	v_mbcnt_lo_u32_b32 v17, v18, 0
	v_mbcnt_hi_u32_b32 v31, v19, v17
	v_cmp_eq_u32_e32 vcc, 0, v31
	v_cmp_ne_u64_e64 s[16:17], 0, v[18:19]
	s_and_b64 s[20:21], s[16:17], vcc
	s_barrier
	s_waitcnt lgkmcnt(0)
	; wave barrier
	s_and_saveexec_b64 s[16:17], s[20:21]
	s_cbranch_execz .LBB86_63
; %bb.62:
	v_bcnt_u32_b32 v17, v18, 0
	v_bcnt_u32_b32 v17, v19, v17
	ds_write_b32 v30, v17 offset:16
.LBB86_63:
	s_or_b64 exec, exec, s[16:17]
	v_and_b32_e32 v18, s18, v21
	v_lshlrev_b32_sdwa v17, v32, v18 dst_sel:DWORD dst_unused:UNUSED_PAD src0_sel:DWORD src1_sel:BYTE_0
	v_add_lshl_u32 v33, v40, v17, 2
	v_and_b32_e32 v17, 1, v18
	v_add_co_u32_e32 v19, vcc, -1, v17
	v_addc_co_u32_e64 v38, s[16:17], 0, -1, vcc
	v_cmp_ne_u32_e32 vcc, 0, v17
	v_xor_b32_e32 v17, vcc_hi, v38
	v_and_b32_e32 v38, exec_hi, v17
	v_lshlrev_b32_e32 v17, 30, v18
	v_xor_b32_e32 v19, vcc_lo, v19
	v_cmp_gt_i64_e32 vcc, 0, v[16:17]
	v_not_b32_e32 v17, v17
	v_ashrrev_i32_e32 v17, 31, v17
	v_and_b32_e32 v19, exec_lo, v19
	v_xor_b32_e32 v39, vcc_hi, v17
	v_xor_b32_e32 v17, vcc_lo, v17
	v_and_b32_e32 v19, v19, v17
	v_lshlrev_b32_e32 v17, 29, v18
	v_cmp_gt_i64_e32 vcc, 0, v[16:17]
	v_not_b32_e32 v17, v17
	v_ashrrev_i32_e32 v17, 31, v17
	v_and_b32_e32 v38, v38, v39
	v_xor_b32_e32 v39, vcc_hi, v17
	v_xor_b32_e32 v17, vcc_lo, v17
	v_and_b32_e32 v19, v19, v17
	v_lshlrev_b32_e32 v17, 28, v18
	v_cmp_gt_i64_e32 vcc, 0, v[16:17]
	v_not_b32_e32 v17, v17
	v_ashrrev_i32_e32 v17, 31, v17
	v_and_b32_e32 v38, v38, v39
	;; [unrolled: 8-line block ×5, first 2 shown]
	v_xor_b32_e32 v39, vcc_hi, v17
	v_xor_b32_e32 v17, vcc_lo, v17
	v_and_b32_e32 v19, v19, v17
	v_lshlrev_b32_e32 v17, 24, v18
	v_cmp_gt_i64_e32 vcc, 0, v[16:17]
	v_not_b32_e32 v16, v17
	v_ashrrev_i32_e32 v16, 31, v16
	v_xor_b32_e32 v17, vcc_hi, v16
	v_xor_b32_e32 v16, vcc_lo, v16
	; wave barrier
	ds_read_b32 v32, v33 offset:16
	v_and_b32_e32 v38, v38, v39
	v_and_b32_e32 v16, v19, v16
	;; [unrolled: 1-line block ×3, first 2 shown]
	v_mbcnt_lo_u32_b32 v18, v16, 0
	v_mbcnt_hi_u32_b32 v38, v17, v18
	v_cmp_eq_u32_e32 vcc, 0, v38
	v_cmp_ne_u64_e64 s[16:17], 0, v[16:17]
	s_and_b64 s[20:21], s[16:17], vcc
	; wave barrier
	s_and_saveexec_b64 s[16:17], s[20:21]
	s_cbranch_execz .LBB86_65
; %bb.64:
	v_bcnt_u32_b32 v16, v16, 0
	v_bcnt_u32_b32 v16, v17, v16
	s_waitcnt lgkmcnt(0)
	v_add_u32_e32 v16, v32, v16
	ds_write_b32 v33, v16 offset:16
.LBB86_65:
	s_or_b64 exec, exec, s[16:17]
	v_and_b32_e32 v18, s18, v22
	v_and_b32_e32 v17, 1, v18
	v_add_co_u32_e32 v19, vcc, -1, v17
	v_mov_b32_e32 v62, 2
	v_addc_co_u32_e64 v43, s[16:17], 0, -1, vcc
	v_cmp_ne_u32_e32 vcc, 0, v17
	v_lshlrev_b32_sdwa v16, v62, v18 dst_sel:DWORD dst_unused:UNUSED_PAD src0_sel:DWORD src1_sel:BYTE_0
	v_xor_b32_e32 v17, vcc_hi, v43
	v_add_lshl_u32 v42, v40, v16, 2
	v_mov_b32_e32 v16, 0
	v_and_b32_e32 v43, exec_hi, v17
	v_lshlrev_b32_e32 v17, 30, v18
	v_xor_b32_e32 v19, vcc_lo, v19
	v_cmp_gt_i64_e32 vcc, 0, v[16:17]
	v_not_b32_e32 v17, v17
	v_ashrrev_i32_e32 v17, 31, v17
	v_and_b32_e32 v19, exec_lo, v19
	v_xor_b32_e32 v63, vcc_hi, v17
	v_xor_b32_e32 v17, vcc_lo, v17
	v_and_b32_e32 v19, v19, v17
	v_lshlrev_b32_e32 v17, 29, v18
	v_cmp_gt_i64_e32 vcc, 0, v[16:17]
	v_not_b32_e32 v17, v17
	v_ashrrev_i32_e32 v17, 31, v17
	v_and_b32_e32 v43, v43, v63
	v_xor_b32_e32 v63, vcc_hi, v17
	v_xor_b32_e32 v17, vcc_lo, v17
	v_and_b32_e32 v19, v19, v17
	v_lshlrev_b32_e32 v17, 28, v18
	v_cmp_gt_i64_e32 vcc, 0, v[16:17]
	v_not_b32_e32 v17, v17
	v_ashrrev_i32_e32 v17, 31, v17
	v_and_b32_e32 v43, v43, v63
	v_xor_b32_e32 v63, vcc_hi, v17
	v_xor_b32_e32 v17, vcc_lo, v17
	v_and_b32_e32 v19, v19, v17
	v_lshlrev_b32_e32 v17, 27, v18
	v_cmp_gt_i64_e32 vcc, 0, v[16:17]
	v_not_b32_e32 v17, v17
	v_ashrrev_i32_e32 v17, 31, v17
	v_and_b32_e32 v43, v43, v63
	v_xor_b32_e32 v63, vcc_hi, v17
	v_xor_b32_e32 v17, vcc_lo, v17
	v_and_b32_e32 v19, v19, v17
	v_lshlrev_b32_e32 v17, 26, v18
	v_cmp_gt_i64_e32 vcc, 0, v[16:17]
	v_not_b32_e32 v17, v17
	v_ashrrev_i32_e32 v17, 31, v17
	v_and_b32_e32 v43, v43, v63
	v_xor_b32_e32 v63, vcc_hi, v17
	v_xor_b32_e32 v17, vcc_lo, v17
	v_and_b32_e32 v19, v19, v17
	v_lshlrev_b32_e32 v17, 25, v18
	v_cmp_gt_i64_e32 vcc, 0, v[16:17]
	v_not_b32_e32 v17, v17
	v_ashrrev_i32_e32 v17, 31, v17
	v_and_b32_e32 v43, v43, v63
	v_xor_b32_e32 v63, vcc_hi, v17
	v_xor_b32_e32 v17, vcc_lo, v17
	v_and_b32_e32 v43, v43, v63
	v_and_b32_e32 v63, v19, v17
	v_lshlrev_b32_e32 v17, 24, v18
	v_cmp_gt_i64_e32 vcc, 0, v[16:17]
	v_not_b32_e32 v17, v17
	v_ashrrev_i32_e32 v17, 31, v17
	v_xor_b32_e32 v18, vcc_hi, v17
	v_xor_b32_e32 v17, vcc_lo, v17
	; wave barrier
	ds_read_b32 v39, v42 offset:16
	v_and_b32_e32 v19, v43, v18
	v_and_b32_e32 v18, v63, v17
	v_mbcnt_lo_u32_b32 v17, v18, 0
	v_mbcnt_hi_u32_b32 v43, v19, v17
	v_cmp_eq_u32_e32 vcc, 0, v43
	v_cmp_ne_u64_e64 s[16:17], 0, v[18:19]
	s_and_b64 s[20:21], s[16:17], vcc
	; wave barrier
	s_and_saveexec_b64 s[16:17], s[20:21]
	s_cbranch_execz .LBB86_67
; %bb.66:
	v_bcnt_u32_b32 v17, v18, 0
	v_bcnt_u32_b32 v17, v19, v17
	s_waitcnt lgkmcnt(0)
	v_add_u32_e32 v17, v39, v17
	ds_write_b32 v42, v17 offset:16
.LBB86_67:
	s_or_b64 exec, exec, s[16:17]
	v_and_b32_e32 v18, s18, v23
	v_lshlrev_b32_sdwa v17, v62, v18 dst_sel:DWORD dst_unused:UNUSED_PAD src0_sel:DWORD src1_sel:BYTE_0
	v_add_lshl_u32 v63, v40, v17, 2
	v_and_b32_e32 v17, 1, v18
	v_add_co_u32_e32 v19, vcc, -1, v17
	v_addc_co_u32_e64 v64, s[16:17], 0, -1, vcc
	v_cmp_ne_u32_e32 vcc, 0, v17
	v_xor_b32_e32 v17, vcc_hi, v64
	v_and_b32_e32 v64, exec_hi, v17
	v_lshlrev_b32_e32 v17, 30, v18
	v_xor_b32_e32 v19, vcc_lo, v19
	v_cmp_gt_i64_e32 vcc, 0, v[16:17]
	v_not_b32_e32 v17, v17
	v_ashrrev_i32_e32 v17, 31, v17
	v_and_b32_e32 v19, exec_lo, v19
	v_xor_b32_e32 v65, vcc_hi, v17
	v_xor_b32_e32 v17, vcc_lo, v17
	v_and_b32_e32 v19, v19, v17
	v_lshlrev_b32_e32 v17, 29, v18
	v_cmp_gt_i64_e32 vcc, 0, v[16:17]
	v_not_b32_e32 v17, v17
	v_ashrrev_i32_e32 v17, 31, v17
	v_and_b32_e32 v64, v64, v65
	v_xor_b32_e32 v65, vcc_hi, v17
	v_xor_b32_e32 v17, vcc_lo, v17
	v_and_b32_e32 v19, v19, v17
	v_lshlrev_b32_e32 v17, 28, v18
	v_cmp_gt_i64_e32 vcc, 0, v[16:17]
	v_not_b32_e32 v17, v17
	v_ashrrev_i32_e32 v17, 31, v17
	v_and_b32_e32 v64, v64, v65
	;; [unrolled: 8-line block ×5, first 2 shown]
	v_xor_b32_e32 v65, vcc_hi, v17
	v_xor_b32_e32 v17, vcc_lo, v17
	v_and_b32_e32 v19, v19, v17
	v_lshlrev_b32_e32 v17, 24, v18
	v_cmp_gt_i64_e32 vcc, 0, v[16:17]
	v_not_b32_e32 v16, v17
	v_ashrrev_i32_e32 v16, 31, v16
	v_xor_b32_e32 v17, vcc_hi, v16
	v_xor_b32_e32 v16, vcc_lo, v16
	; wave barrier
	ds_read_b32 v62, v63 offset:16
	v_and_b32_e32 v64, v64, v65
	v_and_b32_e32 v16, v19, v16
	;; [unrolled: 1-line block ×3, first 2 shown]
	v_mbcnt_lo_u32_b32 v18, v16, 0
	v_mbcnt_hi_u32_b32 v64, v17, v18
	v_cmp_eq_u32_e32 vcc, 0, v64
	v_cmp_ne_u64_e64 s[16:17], 0, v[16:17]
	s_and_b64 s[20:21], s[16:17], vcc
	; wave barrier
	s_and_saveexec_b64 s[16:17], s[20:21]
	s_cbranch_execz .LBB86_69
; %bb.68:
	v_bcnt_u32_b32 v16, v16, 0
	v_bcnt_u32_b32 v16, v17, v16
	s_waitcnt lgkmcnt(0)
	v_add_u32_e32 v16, v62, v16
	ds_write_b32 v63, v16 offset:16
.LBB86_69:
	s_or_b64 exec, exec, s[16:17]
	v_and_b32_e32 v18, s18, v24
	v_and_b32_e32 v17, 1, v18
	v_add_co_u32_e32 v19, vcc, -1, v17
	v_mov_b32_e32 v68, 2
	v_addc_co_u32_e64 v67, s[16:17], 0, -1, vcc
	v_cmp_ne_u32_e32 vcc, 0, v17
	v_lshlrev_b32_sdwa v16, v68, v18 dst_sel:DWORD dst_unused:UNUSED_PAD src0_sel:DWORD src1_sel:BYTE_0
	v_xor_b32_e32 v17, vcc_hi, v67
	v_add_lshl_u32 v66, v40, v16, 2
	v_mov_b32_e32 v16, 0
	v_and_b32_e32 v67, exec_hi, v17
	v_lshlrev_b32_e32 v17, 30, v18
	v_xor_b32_e32 v19, vcc_lo, v19
	v_cmp_gt_i64_e32 vcc, 0, v[16:17]
	v_not_b32_e32 v17, v17
	v_ashrrev_i32_e32 v17, 31, v17
	v_and_b32_e32 v19, exec_lo, v19
	v_xor_b32_e32 v69, vcc_hi, v17
	v_xor_b32_e32 v17, vcc_lo, v17
	v_and_b32_e32 v19, v19, v17
	v_lshlrev_b32_e32 v17, 29, v18
	v_cmp_gt_i64_e32 vcc, 0, v[16:17]
	v_not_b32_e32 v17, v17
	v_ashrrev_i32_e32 v17, 31, v17
	v_and_b32_e32 v67, v67, v69
	v_xor_b32_e32 v69, vcc_hi, v17
	v_xor_b32_e32 v17, vcc_lo, v17
	v_and_b32_e32 v19, v19, v17
	v_lshlrev_b32_e32 v17, 28, v18
	v_cmp_gt_i64_e32 vcc, 0, v[16:17]
	v_not_b32_e32 v17, v17
	v_ashrrev_i32_e32 v17, 31, v17
	v_and_b32_e32 v67, v67, v69
	v_xor_b32_e32 v69, vcc_hi, v17
	v_xor_b32_e32 v17, vcc_lo, v17
	v_and_b32_e32 v19, v19, v17
	v_lshlrev_b32_e32 v17, 27, v18
	v_cmp_gt_i64_e32 vcc, 0, v[16:17]
	v_not_b32_e32 v17, v17
	v_ashrrev_i32_e32 v17, 31, v17
	v_and_b32_e32 v67, v67, v69
	v_xor_b32_e32 v69, vcc_hi, v17
	v_xor_b32_e32 v17, vcc_lo, v17
	v_and_b32_e32 v19, v19, v17
	v_lshlrev_b32_e32 v17, 26, v18
	v_cmp_gt_i64_e32 vcc, 0, v[16:17]
	v_not_b32_e32 v17, v17
	v_ashrrev_i32_e32 v17, 31, v17
	v_and_b32_e32 v67, v67, v69
	v_xor_b32_e32 v69, vcc_hi, v17
	v_xor_b32_e32 v17, vcc_lo, v17
	v_and_b32_e32 v19, v19, v17
	v_lshlrev_b32_e32 v17, 25, v18
	v_cmp_gt_i64_e32 vcc, 0, v[16:17]
	v_not_b32_e32 v17, v17
	v_ashrrev_i32_e32 v17, 31, v17
	v_and_b32_e32 v67, v67, v69
	v_xor_b32_e32 v69, vcc_hi, v17
	v_xor_b32_e32 v17, vcc_lo, v17
	v_and_b32_e32 v67, v67, v69
	v_and_b32_e32 v69, v19, v17
	v_lshlrev_b32_e32 v17, 24, v18
	v_cmp_gt_i64_e32 vcc, 0, v[16:17]
	v_not_b32_e32 v17, v17
	v_ashrrev_i32_e32 v17, 31, v17
	v_xor_b32_e32 v18, vcc_hi, v17
	v_xor_b32_e32 v17, vcc_lo, v17
	; wave barrier
	ds_read_b32 v65, v66 offset:16
	v_and_b32_e32 v19, v67, v18
	v_and_b32_e32 v18, v69, v17
	v_mbcnt_lo_u32_b32 v17, v18, 0
	v_mbcnt_hi_u32_b32 v67, v19, v17
	v_cmp_eq_u32_e32 vcc, 0, v67
	v_cmp_ne_u64_e64 s[16:17], 0, v[18:19]
	s_and_b64 s[20:21], s[16:17], vcc
	; wave barrier
	s_and_saveexec_b64 s[16:17], s[20:21]
	s_cbranch_execz .LBB86_71
; %bb.70:
	v_bcnt_u32_b32 v17, v18, 0
	v_bcnt_u32_b32 v17, v19, v17
	s_waitcnt lgkmcnt(0)
	v_add_u32_e32 v17, v65, v17
	ds_write_b32 v66, v17 offset:16
.LBB86_71:
	s_or_b64 exec, exec, s[16:17]
	v_and_b32_e32 v18, s18, v25
	v_lshlrev_b32_sdwa v17, v68, v18 dst_sel:DWORD dst_unused:UNUSED_PAD src0_sel:DWORD src1_sel:BYTE_0
	v_add_lshl_u32 v69, v40, v17, 2
	v_and_b32_e32 v17, 1, v18
	v_add_co_u32_e32 v19, vcc, -1, v17
	v_addc_co_u32_e64 v70, s[16:17], 0, -1, vcc
	v_cmp_ne_u32_e32 vcc, 0, v17
	v_xor_b32_e32 v17, vcc_hi, v70
	v_and_b32_e32 v70, exec_hi, v17
	v_lshlrev_b32_e32 v17, 30, v18
	v_xor_b32_e32 v19, vcc_lo, v19
	v_cmp_gt_i64_e32 vcc, 0, v[16:17]
	v_not_b32_e32 v17, v17
	v_ashrrev_i32_e32 v17, 31, v17
	v_and_b32_e32 v19, exec_lo, v19
	v_xor_b32_e32 v71, vcc_hi, v17
	v_xor_b32_e32 v17, vcc_lo, v17
	v_and_b32_e32 v19, v19, v17
	v_lshlrev_b32_e32 v17, 29, v18
	v_cmp_gt_i64_e32 vcc, 0, v[16:17]
	v_not_b32_e32 v17, v17
	v_ashrrev_i32_e32 v17, 31, v17
	v_and_b32_e32 v70, v70, v71
	v_xor_b32_e32 v71, vcc_hi, v17
	v_xor_b32_e32 v17, vcc_lo, v17
	v_and_b32_e32 v19, v19, v17
	v_lshlrev_b32_e32 v17, 28, v18
	v_cmp_gt_i64_e32 vcc, 0, v[16:17]
	v_not_b32_e32 v17, v17
	v_ashrrev_i32_e32 v17, 31, v17
	v_and_b32_e32 v70, v70, v71
	;; [unrolled: 8-line block ×5, first 2 shown]
	v_xor_b32_e32 v71, vcc_hi, v17
	v_xor_b32_e32 v17, vcc_lo, v17
	v_and_b32_e32 v19, v19, v17
	v_lshlrev_b32_e32 v17, 24, v18
	v_cmp_gt_i64_e32 vcc, 0, v[16:17]
	v_not_b32_e32 v16, v17
	v_ashrrev_i32_e32 v16, 31, v16
	v_xor_b32_e32 v17, vcc_hi, v16
	v_xor_b32_e32 v16, vcc_lo, v16
	; wave barrier
	ds_read_b32 v68, v69 offset:16
	v_and_b32_e32 v70, v70, v71
	v_and_b32_e32 v16, v19, v16
	;; [unrolled: 1-line block ×3, first 2 shown]
	v_mbcnt_lo_u32_b32 v18, v16, 0
	v_mbcnt_hi_u32_b32 v70, v17, v18
	v_cmp_eq_u32_e32 vcc, 0, v70
	v_cmp_ne_u64_e64 s[16:17], 0, v[16:17]
	s_and_b64 s[20:21], s[16:17], vcc
	; wave barrier
	s_and_saveexec_b64 s[16:17], s[20:21]
	s_cbranch_execz .LBB86_73
; %bb.72:
	v_bcnt_u32_b32 v16, v16, 0
	v_bcnt_u32_b32 v16, v17, v16
	s_waitcnt lgkmcnt(0)
	v_add_u32_e32 v16, v68, v16
	ds_write_b32 v69, v16 offset:16
.LBB86_73:
	s_or_b64 exec, exec, s[16:17]
	v_and_b32_e32 v18, s18, v26
	v_and_b32_e32 v17, 1, v18
	v_add_co_u32_e32 v19, vcc, -1, v17
	v_mov_b32_e32 v74, 2
	v_addc_co_u32_e64 v73, s[16:17], 0, -1, vcc
	v_cmp_ne_u32_e32 vcc, 0, v17
	v_lshlrev_b32_sdwa v16, v74, v18 dst_sel:DWORD dst_unused:UNUSED_PAD src0_sel:DWORD src1_sel:BYTE_0
	v_xor_b32_e32 v17, vcc_hi, v73
	v_add_lshl_u32 v72, v40, v16, 2
	v_mov_b32_e32 v16, 0
	v_and_b32_e32 v73, exec_hi, v17
	v_lshlrev_b32_e32 v17, 30, v18
	v_xor_b32_e32 v19, vcc_lo, v19
	v_cmp_gt_i64_e32 vcc, 0, v[16:17]
	v_not_b32_e32 v17, v17
	v_ashrrev_i32_e32 v17, 31, v17
	v_and_b32_e32 v19, exec_lo, v19
	v_xor_b32_e32 v75, vcc_hi, v17
	v_xor_b32_e32 v17, vcc_lo, v17
	v_and_b32_e32 v19, v19, v17
	v_lshlrev_b32_e32 v17, 29, v18
	v_cmp_gt_i64_e32 vcc, 0, v[16:17]
	v_not_b32_e32 v17, v17
	v_ashrrev_i32_e32 v17, 31, v17
	v_and_b32_e32 v73, v73, v75
	v_xor_b32_e32 v75, vcc_hi, v17
	v_xor_b32_e32 v17, vcc_lo, v17
	v_and_b32_e32 v19, v19, v17
	v_lshlrev_b32_e32 v17, 28, v18
	v_cmp_gt_i64_e32 vcc, 0, v[16:17]
	v_not_b32_e32 v17, v17
	v_ashrrev_i32_e32 v17, 31, v17
	v_and_b32_e32 v73, v73, v75
	;; [unrolled: 8-line block ×5, first 2 shown]
	v_xor_b32_e32 v75, vcc_hi, v17
	v_xor_b32_e32 v17, vcc_lo, v17
	v_and_b32_e32 v73, v73, v75
	v_and_b32_e32 v75, v19, v17
	v_lshlrev_b32_e32 v17, 24, v18
	v_cmp_gt_i64_e32 vcc, 0, v[16:17]
	v_not_b32_e32 v17, v17
	v_ashrrev_i32_e32 v17, 31, v17
	v_xor_b32_e32 v18, vcc_hi, v17
	v_xor_b32_e32 v17, vcc_lo, v17
	; wave barrier
	ds_read_b32 v71, v72 offset:16
	v_and_b32_e32 v19, v73, v18
	v_and_b32_e32 v18, v75, v17
	v_mbcnt_lo_u32_b32 v17, v18, 0
	v_mbcnt_hi_u32_b32 v73, v19, v17
	v_cmp_eq_u32_e32 vcc, 0, v73
	v_cmp_ne_u64_e64 s[16:17], 0, v[18:19]
	s_and_b64 s[20:21], s[16:17], vcc
	; wave barrier
	s_and_saveexec_b64 s[16:17], s[20:21]
	s_cbranch_execz .LBB86_75
; %bb.74:
	v_bcnt_u32_b32 v17, v18, 0
	v_bcnt_u32_b32 v17, v19, v17
	s_waitcnt lgkmcnt(0)
	v_add_u32_e32 v17, v71, v17
	ds_write_b32 v72, v17 offset:16
.LBB86_75:
	s_or_b64 exec, exec, s[16:17]
	v_and_b32_e32 v18, s18, v27
	v_lshlrev_b32_sdwa v17, v74, v18 dst_sel:DWORD dst_unused:UNUSED_PAD src0_sel:DWORD src1_sel:BYTE_0
	v_add_lshl_u32 v74, v40, v17, 2
	v_and_b32_e32 v17, 1, v18
	v_add_co_u32_e32 v19, vcc, -1, v17
	v_addc_co_u32_e64 v76, s[16:17], 0, -1, vcc
	v_cmp_ne_u32_e32 vcc, 0, v17
	v_xor_b32_e32 v17, vcc_hi, v76
	v_and_b32_e32 v76, exec_hi, v17
	v_lshlrev_b32_e32 v17, 30, v18
	v_xor_b32_e32 v19, vcc_lo, v19
	v_cmp_gt_i64_e32 vcc, 0, v[16:17]
	v_not_b32_e32 v17, v17
	v_ashrrev_i32_e32 v17, 31, v17
	v_and_b32_e32 v19, exec_lo, v19
	v_xor_b32_e32 v77, vcc_hi, v17
	v_xor_b32_e32 v17, vcc_lo, v17
	v_and_b32_e32 v19, v19, v17
	v_lshlrev_b32_e32 v17, 29, v18
	v_cmp_gt_i64_e32 vcc, 0, v[16:17]
	v_not_b32_e32 v17, v17
	v_ashrrev_i32_e32 v17, 31, v17
	v_and_b32_e32 v76, v76, v77
	v_xor_b32_e32 v77, vcc_hi, v17
	v_xor_b32_e32 v17, vcc_lo, v17
	v_and_b32_e32 v19, v19, v17
	v_lshlrev_b32_e32 v17, 28, v18
	v_cmp_gt_i64_e32 vcc, 0, v[16:17]
	v_not_b32_e32 v17, v17
	v_ashrrev_i32_e32 v17, 31, v17
	v_and_b32_e32 v76, v76, v77
	;; [unrolled: 8-line block ×5, first 2 shown]
	v_xor_b32_e32 v77, vcc_hi, v17
	v_xor_b32_e32 v17, vcc_lo, v17
	v_and_b32_e32 v19, v19, v17
	v_lshlrev_b32_e32 v17, 24, v18
	v_cmp_gt_i64_e32 vcc, 0, v[16:17]
	v_not_b32_e32 v16, v17
	v_ashrrev_i32_e32 v16, 31, v16
	v_xor_b32_e32 v17, vcc_hi, v16
	v_xor_b32_e32 v16, vcc_lo, v16
	; wave barrier
	ds_read_b32 v40, v74 offset:16
	v_and_b32_e32 v76, v76, v77
	v_and_b32_e32 v16, v19, v16
	;; [unrolled: 1-line block ×3, first 2 shown]
	v_mbcnt_lo_u32_b32 v18, v16, 0
	v_mbcnt_hi_u32_b32 v76, v17, v18
	v_cmp_eq_u32_e32 vcc, 0, v76
	v_cmp_ne_u64_e64 s[16:17], 0, v[16:17]
	v_add_u32_e32 v75, 16, v61
	s_and_b64 s[18:19], s[16:17], vcc
	; wave barrier
	s_and_saveexec_b64 s[16:17], s[18:19]
	s_cbranch_execz .LBB86_77
; %bb.76:
	v_bcnt_u32_b32 v16, v16, 0
	v_bcnt_u32_b32 v16, v17, v16
	s_waitcnt lgkmcnt(0)
	v_add_u32_e32 v16, v40, v16
	ds_write_b32 v74, v16 offset:16
.LBB86_77:
	s_or_b64 exec, exec, s[16:17]
	; wave barrier
	s_waitcnt lgkmcnt(0)
	s_barrier
	ds_read2_b32 v[16:17], v61 offset0:4 offset1:5
	ds_read2_b32 v[18:19], v75 offset0:2 offset1:3
	v_min_u32_e32 v29, 0xc0, v29
	v_or_b32_e32 v29, 63, v29
	s_waitcnt lgkmcnt(1)
	v_add_u32_e32 v77, v17, v16
	s_waitcnt lgkmcnt(0)
	v_add3_u32 v19, v77, v18, v19
	v_and_b32_e32 v77, 15, v28
	v_cmp_ne_u32_e32 vcc, 0, v77
	v_mov_b32_dpp v78, v19 row_shr:1 row_mask:0xf bank_mask:0xf
	v_cndmask_b32_e32 v78, 0, v78, vcc
	v_add_u32_e32 v19, v78, v19
	v_cmp_lt_u32_e32 vcc, 1, v77
	s_nop 0
	v_mov_b32_dpp v78, v19 row_shr:2 row_mask:0xf bank_mask:0xf
	v_cndmask_b32_e32 v78, 0, v78, vcc
	v_add_u32_e32 v19, v19, v78
	v_cmp_lt_u32_e32 vcc, 3, v77
	s_nop 0
	;; [unrolled: 5-line block ×3, first 2 shown]
	v_mov_b32_dpp v78, v19 row_shr:8 row_mask:0xf bank_mask:0xf
	v_cndmask_b32_e32 v77, 0, v78, vcc
	v_add_u32_e32 v19, v19, v77
	v_bfe_i32 v78, v28, 4, 1
	v_cmp_lt_u32_e32 vcc, 31, v28
	v_mov_b32_dpp v77, v19 row_bcast:15 row_mask:0xf bank_mask:0xf
	v_and_b32_e32 v77, v78, v77
	v_add_u32_e32 v19, v19, v77
	s_nop 1
	v_mov_b32_dpp v77, v19 row_bcast:31 row_mask:0xf bank_mask:0xf
	v_cndmask_b32_e32 v77, 0, v77, vcc
	v_add_u32_e32 v19, v19, v77
	v_lshrrev_b32_e32 v77, 6, v36
	v_cmp_eq_u32_e32 vcc, v29, v36
	s_and_saveexec_b64 s[16:17], vcc
	s_cbranch_execz .LBB86_79
; %bb.78:
	v_lshlrev_b32_e32 v29, 2, v77
	ds_write_b32 v29, v19
.LBB86_79:
	s_or_b64 exec, exec, s[16:17]
	v_cmp_gt_u32_e32 vcc, 4, v36
	s_waitcnt lgkmcnt(0)
	s_barrier
	s_and_saveexec_b64 s[16:17], vcc
	s_cbranch_execz .LBB86_81
; %bb.80:
	v_lshlrev_b32_e32 v29, 2, v36
	ds_read_b32 v78, v29
	v_and_b32_e32 v79, 3, v28
	v_cmp_ne_u32_e32 vcc, 0, v79
	s_waitcnt lgkmcnt(0)
	v_mov_b32_dpp v80, v78 row_shr:1 row_mask:0xf bank_mask:0xf
	v_cndmask_b32_e32 v80, 0, v80, vcc
	v_add_u32_e32 v78, v80, v78
	v_cmp_lt_u32_e32 vcc, 1, v79
	s_nop 0
	v_mov_b32_dpp v80, v78 row_shr:2 row_mask:0xf bank_mask:0xf
	v_cndmask_b32_e32 v79, 0, v80, vcc
	v_add_u32_e32 v78, v78, v79
	ds_write_b32 v29, v78
.LBB86_81:
	s_or_b64 exec, exec, s[16:17]
	v_cmp_lt_u32_e32 vcc, 63, v36
	v_mov_b32_e32 v29, 0
	s_waitcnt lgkmcnt(0)
	s_barrier
	s_and_saveexec_b64 s[16:17], vcc
	s_cbranch_execz .LBB86_83
; %bb.82:
	v_lshl_add_u32 v29, v77, 2, -4
	ds_read_b32 v29, v29
.LBB86_83:
	s_or_b64 exec, exec, s[16:17]
	v_add_u32_e32 v77, -1, v28
	v_and_b32_e32 v78, 64, v28
	v_cmp_lt_i32_e32 vcc, v77, v78
	v_cndmask_b32_e32 v77, v77, v28, vcc
	s_waitcnt lgkmcnt(0)
	v_add_u32_e32 v19, v29, v19
	v_lshlrev_b32_e32 v77, 2, v77
	ds_bpermute_b32 v19, v77, v19
	v_cmp_eq_u32_e32 vcc, 0, v28
	s_waitcnt lgkmcnt(0)
	v_cndmask_b32_e32 v19, v19, v29, vcc
	v_cmp_ne_u32_e32 vcc, 0, v36
	v_cndmask_b32_e32 v19, 0, v19, vcc
	v_add_u32_e32 v16, v19, v16
	v_add_u32_e32 v17, v16, v17
	;; [unrolled: 1-line block ×3, first 2 shown]
	ds_write2_b32 v61, v19, v16 offset0:4 offset1:5
	ds_write2_b32 v75, v17, v18 offset0:2 offset1:3
	s_waitcnt lgkmcnt(0)
	s_barrier
	ds_read_b32 v16, v30 offset:16
	ds_read_b32 v17, v33 offset:16
	;; [unrolled: 1-line block ×8, first 2 shown]
	s_waitcnt lgkmcnt(7)
	v_add_u32_e32 v31, v16, v31
	s_waitcnt lgkmcnt(6)
	v_add3_u32 v32, v38, v32, v17
	s_waitcnt lgkmcnt(5)
	v_add3_u32 v18, v43, v39, v18
	;; [unrolled: 2-line block ×7, first 2 shown]
	s_barrier
	ds_write_b8 v31, v20
	ds_write_b8 v32, v21
	ds_write_b8 v18, v22
	ds_write_b8 v19, v23
	ds_write_b8 v28, v24
	ds_write_b8 v29, v25
	ds_write_b8 v30, v26
	ds_write_b8 v33, v27
	v_lshlrev_b32_e32 v20, 3, v31
	s_waitcnt lgkmcnt(0)
	s_barrier
	ds_read_b64 v[16:17], v53
	s_waitcnt lgkmcnt(0)
	s_barrier
	ds_write_b64 v20, v[12:13]
	v_lshlrev_b32_e32 v12, 3, v32
	ds_write_b64 v12, v[14:15]
	v_lshlrev_b32_e32 v12, 3, v18
	;; [unrolled: 2-line block ×8, first 2 shown]
	s_waitcnt lgkmcnt(0)
	s_barrier
	ds_read2_b64 v[18:21], v0 offset1:1
	ds_read2_b64 v[22:25], v0 offset0:2 offset1:3
	ds_read2_b64 v[26:29], v0 offset0:4 offset1:5
	ds_read2_b64 v[30:33], v0 offset0:6 offset1:7
	v_lshrrev_b32_e32 v36, 8, v16
	v_mov_b32_e32 v1, -1
	v_lshrrev_b32_e32 v38, 8, v17
	v_xor_b32_e32 v0, -1, v16
	v_xor_b32_sdwa v2, v36, v1 dst_sel:BYTE_1 dst_unused:UNUSED_PAD src0_sel:DWORD src1_sel:DWORD
	v_xor_b32_sdwa v3, v16, v1 dst_sel:DWORD dst_unused:UNUSED_PAD src0_sel:WORD_1 src1_sel:DWORD
	v_xor_b32_sdwa v4, v16, v1 dst_sel:BYTE_1 dst_unused:UNUSED_PAD src0_sel:BYTE_3 src1_sel:DWORD
	v_xor_b32_e32 v5, -1, v17
	v_xor_b32_sdwa v6, v38, v1 dst_sel:BYTE_1 dst_unused:UNUSED_PAD src0_sel:DWORD src1_sel:DWORD
	v_xor_b32_sdwa v7, v17, v1 dst_sel:DWORD dst_unused:UNUSED_PAD src0_sel:WORD_1 src1_sel:DWORD
	v_xor_b32_sdwa v1, v17, v1 dst_sel:BYTE_1 dst_unused:UNUSED_PAD src0_sel:BYTE_3 src1_sel:DWORD
	v_or_b32_sdwa v0, v0, v2 dst_sel:DWORD dst_unused:UNUSED_PAD src0_sel:BYTE_0 src1_sel:DWORD
	v_or_b32_sdwa v2, v3, v4 dst_sel:WORD_1 dst_unused:UNUSED_PAD src0_sel:BYTE_0 src1_sel:DWORD
	v_or_b32_sdwa v0, v0, v2 dst_sel:DWORD dst_unused:UNUSED_PAD src0_sel:WORD_0 src1_sel:DWORD
	v_or_b32_sdwa v2, v5, v6 dst_sel:DWORD dst_unused:UNUSED_PAD src0_sel:BYTE_0 src1_sel:DWORD
	v_or_b32_sdwa v1, v7, v1 dst_sel:WORD_1 dst_unused:UNUSED_PAD src0_sel:BYTE_0 src1_sel:DWORD
	v_or_b32_sdwa v1, v2, v1 dst_sel:DWORD dst_unused:UNUSED_PAD src0_sel:WORD_0 src1_sel:DWORD
.LBB86_84:
	s_waitcnt lgkmcnt(0)
	s_barrier
	ds_write_b64 v52, v[0:1]
	s_waitcnt lgkmcnt(0)
	s_barrier
	ds_read_u8 v8, v45 offset:256
	ds_read_u8 v7, v46 offset:512
	;; [unrolled: 1-line block ×7, first 2 shown]
	v_mov_b32_e32 v1, s41
	v_add_co_u32_e32 v0, vcc, s40, v37
	v_addc_co_u32_e32 v1, vcc, 0, v1, vcc
	s_and_saveexec_b64 s[16:17], s[0:1]
	s_cbranch_execnz .LBB86_103
; %bb.85:
	s_or_b64 exec, exec, s[16:17]
	s_and_saveexec_b64 s[16:17], s[2:3]
	s_cbranch_execnz .LBB86_104
.LBB86_86:
	s_or_b64 exec, exec, s[16:17]
	s_and_saveexec_b64 s[16:17], s[4:5]
	s_cbranch_execnz .LBB86_105
.LBB86_87:
	s_or_b64 exec, exec, s[16:17]
	s_and_saveexec_b64 s[16:17], s[6:7]
	s_cbranch_execnz .LBB86_106
.LBB86_88:
	s_or_b64 exec, exec, s[16:17]
	s_and_saveexec_b64 s[16:17], s[8:9]
	s_cbranch_execnz .LBB86_107
.LBB86_89:
	s_or_b64 exec, exec, s[16:17]
	s_and_saveexec_b64 s[16:17], s[10:11]
	s_cbranch_execnz .LBB86_108
.LBB86_90:
	s_or_b64 exec, exec, s[16:17]
	s_and_saveexec_b64 s[16:17], s[12:13]
	s_cbranch_execnz .LBB86_109
.LBB86_91:
	s_or_b64 exec, exec, s[16:17]
	s_and_saveexec_b64 s[16:17], s[14:15]
	s_cbranch_execz .LBB86_93
.LBB86_92:
	s_mul_i32 s18, s38, 0x700
	v_add_co_u32_e32 v0, vcc, s18, v0
	v_addc_co_u32_e32 v1, vcc, 0, v1, vcc
	s_waitcnt lgkmcnt(0)
	global_store_byte v[0:1], v2, off
.LBB86_93:
	s_or_b64 exec, exec, s[16:17]
	s_waitcnt lgkmcnt(0)
	s_barrier
	ds_write2_b64 v60, v[18:19], v[20:21] offset1:1
	ds_write2_b64 v60, v[22:23], v[24:25] offset0:2 offset1:3
	ds_write2_b64 v60, v[26:27], v[28:29] offset0:4 offset1:5
	;; [unrolled: 1-line block ×3, first 2 shown]
	s_waitcnt lgkmcnt(0)
	s_barrier
	ds_read_b64 v[14:15], v35 offset:2048
	ds_read_b64 v[12:13], v54 offset:4096
	;; [unrolled: 1-line block ×7, first 2 shown]
	v_mov_b32_e32 v35, 0
	v_lshlrev_b64 v[2:3], 3, v[34:35]
	v_mov_b32_e32 v16, s35
	v_add_co_u32_e32 v2, vcc, s33, v2
	v_addc_co_u32_e32 v3, vcc, v16, v3, vcc
	s_and_saveexec_b64 s[16:17], s[0:1]
	s_cbranch_execnz .LBB86_110
; %bb.94:
	s_or_b64 exec, exec, s[16:17]
	s_and_saveexec_b64 s[0:1], s[2:3]
	s_cbranch_execnz .LBB86_111
.LBB86_95:
	s_or_b64 exec, exec, s[0:1]
	s_and_saveexec_b64 s[0:1], s[4:5]
	s_cbranch_execnz .LBB86_112
.LBB86_96:
	s_or_b64 exec, exec, s[0:1]
	s_and_saveexec_b64 s[0:1], s[6:7]
	s_cbranch_execnz .LBB86_113
.LBB86_97:
	s_or_b64 exec, exec, s[0:1]
	s_and_saveexec_b64 s[0:1], s[8:9]
	s_cbranch_execnz .LBB86_114
.LBB86_98:
	s_or_b64 exec, exec, s[0:1]
	s_and_saveexec_b64 s[0:1], s[10:11]
	s_cbranch_execnz .LBB86_115
.LBB86_99:
	s_or_b64 exec, exec, s[0:1]
	s_and_saveexec_b64 s[0:1], s[12:13]
	s_cbranch_execnz .LBB86_116
.LBB86_100:
	s_or_b64 exec, exec, s[0:1]
	s_and_saveexec_b64 s[0:1], s[14:15]
	s_cbranch_execz .LBB86_102
.LBB86_101:
	s_mul_i32 s0, s34, 0x700
	s_mov_b32 s1, 0
	s_lshl_b64 s[0:1], s[0:1], 3
	s_waitcnt lgkmcnt(1)
	v_mov_b32_e32 v4, s1
	v_add_co_u32_e32 v2, vcc, s0, v2
	v_addc_co_u32_e32 v3, vcc, v3, v4, vcc
	s_waitcnt lgkmcnt(0)
	global_store_dwordx2 v[2:3], v[0:1], off
.LBB86_102:
	s_endpgm
.LBB86_103:
	ds_read_u8 v9, v44
	s_waitcnt lgkmcnt(0)
	global_store_byte v[0:1], v9, off
	s_or_b64 exec, exec, s[16:17]
	s_and_saveexec_b64 s[16:17], s[2:3]
	s_cbranch_execz .LBB86_86
.LBB86_104:
	s_lshl_b32 s18, s38, 8
	v_add_co_u32_e32 v10, vcc, s18, v0
	v_addc_co_u32_e32 v11, vcc, 0, v1, vcc
	s_waitcnt lgkmcnt(6)
	global_store_byte v[10:11], v8, off
	s_or_b64 exec, exec, s[16:17]
	s_and_saveexec_b64 s[16:17], s[4:5]
	s_cbranch_execz .LBB86_87
.LBB86_105:
	s_lshl_b32 s18, s38, 9
	s_waitcnt lgkmcnt(6)
	v_add_co_u32_e32 v8, vcc, s18, v0
	v_addc_co_u32_e32 v9, vcc, 0, v1, vcc
	s_waitcnt lgkmcnt(5)
	global_store_byte v[8:9], v7, off
	s_or_b64 exec, exec, s[16:17]
	s_and_saveexec_b64 s[16:17], s[6:7]
	s_cbranch_execz .LBB86_88
.LBB86_106:
	s_mul_i32 s18, s38, 0x300
	s_waitcnt lgkmcnt(6)
	v_add_co_u32_e32 v8, vcc, s18, v0
	v_addc_co_u32_e32 v9, vcc, 0, v1, vcc
	s_waitcnt lgkmcnt(4)
	global_store_byte v[8:9], v6, off
	s_or_b64 exec, exec, s[16:17]
	s_and_saveexec_b64 s[16:17], s[8:9]
	s_cbranch_execz .LBB86_89
.LBB86_107:
	s_lshl_b32 s18, s38, 10
	s_waitcnt lgkmcnt(4)
	v_add_co_u32_e32 v6, vcc, s18, v0
	v_addc_co_u32_e32 v7, vcc, 0, v1, vcc
	s_waitcnt lgkmcnt(3)
	global_store_byte v[6:7], v5, off
	s_or_b64 exec, exec, s[16:17]
	s_and_saveexec_b64 s[16:17], s[10:11]
	s_cbranch_execz .LBB86_90
.LBB86_108:
	s_mul_i32 s18, s38, 0x500
	s_waitcnt lgkmcnt(4)
	v_add_co_u32_e32 v6, vcc, s18, v0
	v_addc_co_u32_e32 v7, vcc, 0, v1, vcc
	s_waitcnt lgkmcnt(2)
	global_store_byte v[6:7], v4, off
	s_or_b64 exec, exec, s[16:17]
	s_and_saveexec_b64 s[16:17], s[12:13]
	s_cbranch_execz .LBB86_91
.LBB86_109:
	s_mul_i32 s18, s38, 0x600
	s_waitcnt lgkmcnt(2)
	v_add_co_u32_e32 v4, vcc, s18, v0
	v_addc_co_u32_e32 v5, vcc, 0, v1, vcc
	s_waitcnt lgkmcnt(1)
	global_store_byte v[4:5], v3, off
	s_or_b64 exec, exec, s[16:17]
	s_and_saveexec_b64 s[16:17], s[14:15]
	s_cbranch_execnz .LBB86_92
	s_branch .LBB86_93
.LBB86_110:
	ds_read_b64 v[16:17], v41
	s_waitcnt lgkmcnt(0)
	global_store_dwordx2 v[2:3], v[16:17], off
	s_or_b64 exec, exec, s[16:17]
	s_and_saveexec_b64 s[0:1], s[2:3]
	s_cbranch_execz .LBB86_95
.LBB86_111:
	s_lshl_b32 s2, s34, 8
	s_mov_b32 s3, 0
	s_lshl_b64 s[2:3], s[2:3], 3
	v_mov_b32_e32 v17, s3
	v_add_co_u32_e32 v16, vcc, s2, v2
	v_addc_co_u32_e32 v17, vcc, v3, v17, vcc
	s_waitcnt lgkmcnt(6)
	global_store_dwordx2 v[16:17], v[14:15], off
	s_or_b64 exec, exec, s[0:1]
	s_and_saveexec_b64 s[0:1], s[4:5]
	s_cbranch_execz .LBB86_96
.LBB86_112:
	s_lshl_b32 s2, s34, 9
	s_mov_b32 s3, 0
	s_lshl_b64 s[2:3], s[2:3], 3
	s_waitcnt lgkmcnt(6)
	v_mov_b32_e32 v15, s3
	v_add_co_u32_e32 v14, vcc, s2, v2
	v_addc_co_u32_e32 v15, vcc, v3, v15, vcc
	s_waitcnt lgkmcnt(5)
	global_store_dwordx2 v[14:15], v[12:13], off
	s_or_b64 exec, exec, s[0:1]
	s_and_saveexec_b64 s[0:1], s[6:7]
	s_cbranch_execz .LBB86_97
.LBB86_113:
	s_mul_i32 s2, s34, 0x300
	s_mov_b32 s3, 0
	s_lshl_b64 s[2:3], s[2:3], 3
	s_waitcnt lgkmcnt(5)
	v_mov_b32_e32 v13, s3
	v_add_co_u32_e32 v12, vcc, s2, v2
	v_addc_co_u32_e32 v13, vcc, v3, v13, vcc
	s_waitcnt lgkmcnt(4)
	global_store_dwordx2 v[12:13], v[10:11], off
	s_or_b64 exec, exec, s[0:1]
	s_and_saveexec_b64 s[0:1], s[8:9]
	s_cbranch_execz .LBB86_98
.LBB86_114:
	s_lshl_b32 s2, s34, 10
	s_mov_b32 s3, 0
	s_lshl_b64 s[2:3], s[2:3], 3
	s_waitcnt lgkmcnt(4)
	v_mov_b32_e32 v11, s3
	v_add_co_u32_e32 v10, vcc, s2, v2
	v_addc_co_u32_e32 v11, vcc, v3, v11, vcc
	s_waitcnt lgkmcnt(3)
	global_store_dwordx2 v[10:11], v[8:9], off
	s_or_b64 exec, exec, s[0:1]
	s_and_saveexec_b64 s[0:1], s[10:11]
	s_cbranch_execz .LBB86_99
.LBB86_115:
	s_mul_i32 s2, s34, 0x500
	s_mov_b32 s3, 0
	s_lshl_b64 s[2:3], s[2:3], 3
	s_waitcnt lgkmcnt(3)
	v_mov_b32_e32 v9, s3
	v_add_co_u32_e32 v8, vcc, s2, v2
	v_addc_co_u32_e32 v9, vcc, v3, v9, vcc
	s_waitcnt lgkmcnt(2)
	global_store_dwordx2 v[8:9], v[6:7], off
	s_or_b64 exec, exec, s[0:1]
	s_and_saveexec_b64 s[0:1], s[12:13]
	s_cbranch_execz .LBB86_100
.LBB86_116:
	s_mul_i32 s2, s34, 0x600
	s_mov_b32 s3, 0
	s_lshl_b64 s[2:3], s[2:3], 3
	s_waitcnt lgkmcnt(2)
	v_mov_b32_e32 v7, s3
	v_add_co_u32_e32 v6, vcc, s2, v2
	v_addc_co_u32_e32 v7, vcc, v3, v7, vcc
	s_waitcnt lgkmcnt(1)
	global_store_dwordx2 v[6:7], v[4:5], off
	s_or_b64 exec, exec, s[0:1]
	s_and_saveexec_b64 s[0:1], s[14:15]
	s_cbranch_execnz .LBB86_101
	s_branch .LBB86_102
	.section	.rodata,"a",@progbits
	.p2align	6, 0x0
	.amdhsa_kernel _ZN2at6native18radixSortKVInPlaceILi2ELin1ELi256ELi8EhljEEvNS_4cuda6detail10TensorInfoIT3_T5_EES6_S6_S6_NS4_IT4_S6_EES6_b
		.amdhsa_group_segment_fixed_size 16896
		.amdhsa_private_segment_fixed_size 0
		.amdhsa_kernarg_size 712
		.amdhsa_user_sgpr_count 6
		.amdhsa_user_sgpr_private_segment_buffer 1
		.amdhsa_user_sgpr_dispatch_ptr 0
		.amdhsa_user_sgpr_queue_ptr 0
		.amdhsa_user_sgpr_kernarg_segment_ptr 1
		.amdhsa_user_sgpr_dispatch_id 0
		.amdhsa_user_sgpr_flat_scratch_init 0
		.amdhsa_user_sgpr_kernarg_preload_length 0
		.amdhsa_user_sgpr_kernarg_preload_offset 0
		.amdhsa_user_sgpr_private_segment_size 0
		.amdhsa_uses_dynamic_stack 0
		.amdhsa_system_sgpr_private_segment_wavefront_offset 0
		.amdhsa_system_sgpr_workgroup_id_x 1
		.amdhsa_system_sgpr_workgroup_id_y 1
		.amdhsa_system_sgpr_workgroup_id_z 1
		.amdhsa_system_sgpr_workgroup_info 0
		.amdhsa_system_vgpr_workitem_id 2
		.amdhsa_next_free_vgpr 105
		.amdhsa_next_free_sgpr 46
		.amdhsa_accum_offset 108
		.amdhsa_reserve_vcc 1
		.amdhsa_reserve_flat_scratch 0
		.amdhsa_float_round_mode_32 0
		.amdhsa_float_round_mode_16_64 0
		.amdhsa_float_denorm_mode_32 3
		.amdhsa_float_denorm_mode_16_64 3
		.amdhsa_dx10_clamp 1
		.amdhsa_ieee_mode 1
		.amdhsa_fp16_overflow 0
		.amdhsa_tg_split 0
		.amdhsa_exception_fp_ieee_invalid_op 0
		.amdhsa_exception_fp_denorm_src 0
		.amdhsa_exception_fp_ieee_div_zero 0
		.amdhsa_exception_fp_ieee_overflow 0
		.amdhsa_exception_fp_ieee_underflow 0
		.amdhsa_exception_fp_ieee_inexact 0
		.amdhsa_exception_int_div_zero 0
	.end_amdhsa_kernel
	.section	.text._ZN2at6native18radixSortKVInPlaceILi2ELin1ELi256ELi8EhljEEvNS_4cuda6detail10TensorInfoIT3_T5_EES6_S6_S6_NS4_IT4_S6_EES6_b,"axG",@progbits,_ZN2at6native18radixSortKVInPlaceILi2ELin1ELi256ELi8EhljEEvNS_4cuda6detail10TensorInfoIT3_T5_EES6_S6_S6_NS4_IT4_S6_EES6_b,comdat
.Lfunc_end86:
	.size	_ZN2at6native18radixSortKVInPlaceILi2ELin1ELi256ELi8EhljEEvNS_4cuda6detail10TensorInfoIT3_T5_EES6_S6_S6_NS4_IT4_S6_EES6_b, .Lfunc_end86-_ZN2at6native18radixSortKVInPlaceILi2ELin1ELi256ELi8EhljEEvNS_4cuda6detail10TensorInfoIT3_T5_EES6_S6_S6_NS4_IT4_S6_EES6_b
                                        ; -- End function
	.section	.AMDGPU.csdata,"",@progbits
; Kernel info:
; codeLenInByte = 11880
; NumSgprs: 50
; NumVgprs: 105
; NumAgprs: 0
; TotalNumVgprs: 105
; ScratchSize: 0
; MemoryBound: 0
; FloatMode: 240
; IeeeMode: 1
; LDSByteSize: 16896 bytes/workgroup (compile time only)
; SGPRBlocks: 6
; VGPRBlocks: 13
; NumSGPRsForWavesPerEU: 50
; NumVGPRsForWavesPerEU: 105
; AccumOffset: 108
; Occupancy: 3
; WaveLimiterHint : 1
; COMPUTE_PGM_RSRC2:SCRATCH_EN: 0
; COMPUTE_PGM_RSRC2:USER_SGPR: 6
; COMPUTE_PGM_RSRC2:TRAP_HANDLER: 0
; COMPUTE_PGM_RSRC2:TGID_X_EN: 1
; COMPUTE_PGM_RSRC2:TGID_Y_EN: 1
; COMPUTE_PGM_RSRC2:TGID_Z_EN: 1
; COMPUTE_PGM_RSRC2:TIDIG_COMP_CNT: 2
; COMPUTE_PGM_RSRC3_GFX90A:ACCUM_OFFSET: 26
; COMPUTE_PGM_RSRC3_GFX90A:TG_SPLIT: 0
	.section	.text._ZN2at6native18radixSortKVInPlaceILi2ELin1ELi128ELi8EhljEEvNS_4cuda6detail10TensorInfoIT3_T5_EES6_S6_S6_NS4_IT4_S6_EES6_b,"axG",@progbits,_ZN2at6native18radixSortKVInPlaceILi2ELin1ELi128ELi8EhljEEvNS_4cuda6detail10TensorInfoIT3_T5_EES6_S6_S6_NS4_IT4_S6_EES6_b,comdat
	.protected	_ZN2at6native18radixSortKVInPlaceILi2ELin1ELi128ELi8EhljEEvNS_4cuda6detail10TensorInfoIT3_T5_EES6_S6_S6_NS4_IT4_S6_EES6_b ; -- Begin function _ZN2at6native18radixSortKVInPlaceILi2ELin1ELi128ELi8EhljEEvNS_4cuda6detail10TensorInfoIT3_T5_EES6_S6_S6_NS4_IT4_S6_EES6_b
	.globl	_ZN2at6native18radixSortKVInPlaceILi2ELin1ELi128ELi8EhljEEvNS_4cuda6detail10TensorInfoIT3_T5_EES6_S6_S6_NS4_IT4_S6_EES6_b
	.p2align	8
	.type	_ZN2at6native18radixSortKVInPlaceILi2ELin1ELi128ELi8EhljEEvNS_4cuda6detail10TensorInfoIT3_T5_EES6_S6_S6_NS4_IT4_S6_EES6_b,@function
_ZN2at6native18radixSortKVInPlaceILi2ELin1ELi128ELi8EhljEEvNS_4cuda6detail10TensorInfoIT3_T5_EES6_S6_S6_NS4_IT4_S6_EES6_b: ; @_ZN2at6native18radixSortKVInPlaceILi2ELin1ELi128ELi8EhljEEvNS_4cuda6detail10TensorInfoIT3_T5_EES6_S6_S6_NS4_IT4_S6_EES6_b
; %bb.0:
	s_load_dwordx2 s[0:1], s[4:5], 0x1c8
	s_load_dwordx4 s[36:39], s[4:5], 0xd8
	s_add_u32 s42, s4, 0x1c8
	s_addc_u32 s43, s5, 0
	s_waitcnt lgkmcnt(0)
	s_mul_i32 s1, s1, s8
	s_add_i32 s1, s1, s7
	s_mul_i32 s8, s1, s0
	s_add_i32 s8, s8, s6
	s_cmp_ge_u32 s8, s36
	s_cbranch_scc1 .LBB87_102
; %bb.1:
	s_load_dword s9, s[4:5], 0xc
	s_load_dwordx2 s[0:1], s[4:5], 0x6c
	s_load_dword s6, s[4:5], 0x1b8
	s_add_u32 s14, s4, 0xe8
	s_load_dwordx2 s[2:3], s[4:5], 0x0
	s_waitcnt lgkmcnt(0)
	v_cvt_f32_u32_e32 v1, s9
	s_addc_u32 s15, s5, 0
	s_sub_i32 s7, 0, s9
	s_mov_b32 s17, 0
	v_rcp_iflag_f32_e32 v1, v1
	s_mov_b32 s16, s8
	v_mul_f32_e32 v1, 0x4f7ffffe, v1
	v_cvt_u32_f32_e32 v1, v1
	v_readfirstlane_b32 s10, v1
	s_mul_i32 s7, s7, s10
	s_mul_hi_u32 s7, s10, s7
	s_add_i32 s10, s10, s7
	s_mul_hi_u32 s10, s8, s10
	s_cmp_lt_i32 s6, 2
	s_cbranch_scc1 .LBB87_4
; %bb.2:
	s_add_i32 s16, s6, -1
	s_add_i32 s11, s6, 1
	s_lshl_b64 s[6:7], s[16:17], 2
	s_add_u32 s6, s6, s14
	s_addc_u32 s7, s7, s15
	s_add_u32 s6, s6, 8
	s_addc_u32 s7, s7, 0
	s_mov_b32 s16, s8
.LBB87_3:                               ; =>This Inner Loop Header: Depth=1
	s_load_dword s12, s[6:7], 0x0
	s_load_dword s18, s[6:7], 0x64
	s_mov_b32 s13, s16
	s_waitcnt lgkmcnt(0)
	v_cvt_f32_u32_e32 v1, s12
	s_sub_i32 s16, 0, s12
	v_rcp_iflag_f32_e32 v1, v1
	v_mul_f32_e32 v1, 0x4f7ffffe, v1
	v_cvt_u32_f32_e32 v1, v1
	v_readfirstlane_b32 s19, v1
	s_mul_i32 s16, s16, s19
	s_mul_hi_u32 s16, s19, s16
	s_add_i32 s19, s19, s16
	s_mul_hi_u32 s16, s13, s19
	s_mul_i32 s19, s16, s12
	s_sub_i32 s19, s13, s19
	s_add_i32 s20, s16, 1
	s_sub_i32 s21, s19, s12
	s_cmp_ge_u32 s19, s12
	s_cselect_b32 s16, s20, s16
	s_cselect_b32 s19, s21, s19
	s_add_i32 s20, s16, 1
	s_cmp_ge_u32 s19, s12
	s_cselect_b32 s16, s20, s16
	s_mul_i32 s12, s16, s12
	s_sub_i32 s12, s13, s12
	s_mul_i32 s12, s18, s12
	s_add_i32 s11, s11, -1
	s_add_i32 s17, s12, s17
	s_add_u32 s6, s6, -4
	s_addc_u32 s7, s7, -1
	s_cmp_gt_u32 s11, 2
	s_cbranch_scc1 .LBB87_3
.LBB87_4:
	s_mul_i32 s6, s10, s9
	s_sub_i32 s6, s8, s6
	s_add_i32 s7, s10, 1
	s_sub_i32 s11, s6, s9
	s_cmp_ge_u32 s6, s9
	s_cselect_b32 s7, s7, s10
	s_cselect_b32 s6, s11, s6
	s_add_i32 s10, s7, 1
	s_cmp_ge_u32 s6, s9
	s_cselect_b32 s6, s10, s7
	s_load_dwordx2 s[34:35], s[4:5], 0x1c0
	s_mul_i32 s7, s6, s9
	s_sub_i32 s4, s8, s7
	s_mul_i32 s4, s4, s1
	s_mul_i32 s0, s6, s0
	s_add_i32 s4, s0, s4
	s_waitcnt lgkmcnt(0)
	s_bitcmp1_b32 s35, 0
	s_cselect_b64 s[0:1], -1, 0
	s_add_u32 s40, s2, s4
	s_addc_u32 s41, s3, 0
	s_xor_b64 s[44:45], s[0:1], -1
	v_cndmask_b32_e64 v1, 0, -1, s[44:45]
	v_lshlrev_b16_e32 v2, 8, v1
	v_or_b32_sdwa v2, v1, v2 dst_sel:DWORD dst_unused:UNUSED_PAD src0_sel:BYTE_0 src1_sel:DWORD
	v_lshlrev_b32_e32 v3, 16, v2
	v_and_b32_e32 v36, 0x3ff, v0
	v_or_b32_sdwa v2, v2, v3 dst_sel:DWORD dst_unused:UNUSED_PAD src0_sel:WORD_0 src1_sel:DWORD
	v_mov_b32_e32 v3, v2
	v_cmp_gt_u32_e64 s[0:1], s37, v36
	v_mul_lo_u32 v37, v36, s38
	s_and_saveexec_b64 s[2:3], s[0:1]
	s_cbranch_execz .LBB87_6
; %bb.5:
	global_load_ubyte v1, v37, s[40:41]
	s_mov_b32 s4, 0x3020104
	v_mov_b32_e32 v5, v2
	s_waitcnt vmcnt(0)
	v_perm_b32 v4, v1, v2, s4
	v_pk_mov_b32 v[2:3], v[4:5], v[4:5] op_sel:[0,1]
.LBB87_6:
	s_or_b64 exec, exec, s[2:3]
	v_add_u32_e32 v32, 0x80, v36
	v_cmp_gt_u32_e64 s[2:3], s37, v32
	s_and_saveexec_b64 s[4:5], s[2:3]
	s_cbranch_execz .LBB87_8
; %bb.7:
	v_mul_lo_u32 v4, v32, s38
	global_load_ubyte v4, v4, s[40:41]
	s_mov_b32 s6, 0x7060004
	s_waitcnt vmcnt(0)
	v_perm_b32 v2, v2, v4, s6
.LBB87_8:
	s_or_b64 exec, exec, s[4:5]
	v_add_u32_e32 v31, 0x100, v36
	v_cmp_gt_u32_e64 s[4:5], s37, v31
	s_and_saveexec_b64 s[6:7], s[4:5]
	s_cbranch_execz .LBB87_10
; %bb.9:
	v_mul_lo_u32 v4, v31, s38
	global_load_ubyte v4, v4, s[40:41]
	s_movk_i32 s8, 0xff00
	v_and_b32_sdwa v5, v2, s8 dst_sel:DWORD dst_unused:UNUSED_PAD src0_sel:WORD_1 src1_sel:DWORD
	s_mov_b32 s8, 0xffff
	s_waitcnt vmcnt(0)
	v_or_b32_sdwa v4, v4, v5 dst_sel:WORD_1 dst_unused:UNUSED_PAD src0_sel:DWORD src1_sel:DWORD
	v_and_or_b32 v2, v2, s8, v4
.LBB87_10:
	s_or_b64 exec, exec, s[6:7]
	v_add_u32_e32 v30, 0x180, v36
	v_cmp_gt_u32_e64 s[6:7], s37, v30
	s_and_saveexec_b64 s[8:9], s[6:7]
	s_cbranch_execz .LBB87_12
; %bb.11:
	v_mul_lo_u32 v4, v30, s38
	global_load_ubyte v4, v4, s[40:41]
	s_movk_i32 s10, 0xff
	v_and_b32_sdwa v5, v2, s10 dst_sel:DWORD dst_unused:UNUSED_PAD src0_sel:WORD_1 src1_sel:DWORD
	s_mov_b32 s10, 0xffff
	s_waitcnt vmcnt(0)
	v_lshlrev_b16_e32 v4, 8, v4
	v_or_b32_sdwa v4, v5, v4 dst_sel:WORD_1 dst_unused:UNUSED_PAD src0_sel:DWORD src1_sel:DWORD
	v_and_or_b32 v2, v2, s10, v4
.LBB87_12:
	s_or_b64 exec, exec, s[8:9]
	v_add_u32_e32 v29, 0x200, v36
	v_cmp_gt_u32_e64 s[8:9], s37, v29
	s_and_saveexec_b64 s[10:11], s[8:9]
	s_cbranch_execz .LBB87_14
; %bb.13:
	v_mul_lo_u32 v4, v29, s38
	global_load_ubyte v4, v4, s[40:41]
	s_mov_b32 s12, 0x3020104
	s_waitcnt vmcnt(0)
	v_perm_b32 v3, v4, v3, s12
.LBB87_14:
	s_or_b64 exec, exec, s[10:11]
	v_add_u32_e32 v28, 0x280, v36
	v_cmp_gt_u32_e64 s[10:11], s37, v28
	s_and_saveexec_b64 s[12:13], s[10:11]
	s_cbranch_execz .LBB87_16
; %bb.15:
	v_mul_lo_u32 v4, v28, s38
	global_load_ubyte v4, v4, s[40:41]
	s_mov_b32 s18, 0x7060004
	s_waitcnt vmcnt(0)
	v_perm_b32 v3, v3, v4, s18
.LBB87_16:
	s_or_b64 exec, exec, s[12:13]
	s_load_dwordx2 s[18:19], s[14:15], 0x0
	v_add_u32_e32 v27, 0x300, v36
	v_cmp_gt_u32_e64 s[12:13], s37, v27
	s_and_saveexec_b64 s[20:21], s[12:13]
	s_cbranch_execz .LBB87_18
; %bb.17:
	v_mul_lo_u32 v4, v27, s38
	global_load_ubyte v4, v4, s[40:41]
	s_mov_b32 s22, 0x7000504
	s_waitcnt vmcnt(0)
	v_perm_b32 v3, v3, v4, s22
.LBB87_18:
	s_or_b64 exec, exec, s[20:21]
	s_load_dword s22, s[14:15], 0x6c
	v_add_u32_e32 v22, 0x380, v36
	v_cmp_gt_u32_e64 s[14:15], s37, v22
	s_and_saveexec_b64 s[20:21], s[14:15]
	s_cbranch_execz .LBB87_20
; %bb.19:
	v_mul_lo_u32 v4, v22, s38
	global_load_ubyte v4, v4, s[40:41]
	s_mov_b32 s23, 0x60504
	s_waitcnt vmcnt(0)
	v_perm_b32 v3, v3, v4, s23
.LBB87_20:
	s_or_b64 exec, exec, s[20:21]
	v_lshrrev_b32_e32 v26, 5, v36
	v_and_b32_e32 v4, 28, v26
	v_add_u32_e32 v44, v4, v36
	v_lshrrev_b32_e32 v25, 5, v32
	ds_write_b8 v44, v1
	v_and_b32_e32 v1, 60, v25
	v_lshrrev_b32_e32 v24, 5, v31
	v_add_u32_e32 v45, v1, v36
	v_and_b32_e32 v1, 60, v24
	v_lshrrev_b32_e32 v23, 5, v30
	v_add_u32_e32 v46, v1, v36
	;; [unrolled: 3-line block ×3, first 2 shown]
	v_and_b32_e32 v1, 60, v21
	v_lshrrev_b32_e32 v19, 5, v28
	v_lshrrev_b32_e32 v4, 8, v2
	v_add_u32_e32 v48, v1, v36
	v_and_b32_e32 v1, 60, v19
	v_lshrrev_b32_e32 v18, 5, v27
	ds_write_b8 v45, v4 offset:128
	ds_write_b8_d16_hi v46, v2 offset:256
	v_lshrrev_b32_e32 v2, 24, v2
	v_add_u32_e32 v49, v1, v36
	v_and_b32_e32 v1, 60, v18
	ds_write_b8 v47, v2 offset:384
	v_lshrrev_b32_e32 v2, 8, v3
	v_add_u32_e32 v50, v1, v36
	v_lshrrev_b32_e32 v1, 5, v22
	ds_write_b8 v48, v3 offset:512
	ds_write_b8 v49, v2 offset:640
	v_and_b32_e32 v2, 60, v1
	v_lshrrev_b32_e32 v20, 2, v36
	v_add_u32_e32 v51, v2, v36
	v_lshlrev_b32_e32 v53, 3, v36
	v_and_b32_e32 v2, 0xfc, v20
	s_waitcnt lgkmcnt(0)
	s_mul_i32 s16, s22, s16
	ds_write_b8_d16_hi v50, v3 offset:768
	v_lshrrev_b32_e32 v3, 24, v3
	v_add_u32_e32 v52, v2, v53
	s_add_i32 s16, s16, s17
	s_mov_b32 s17, 0
	ds_write_b8 v51, v3 offset:896
	s_waitcnt lgkmcnt(0)
	s_barrier
	ds_read_b64 v[38:39], v52
	s_lshl_b64 s[20:21], s[16:17], 3
	s_add_u32 s33, s18, s20
	s_mov_b32 s16, s17
	s_addc_u32 s35, s19, s21
	s_mov_b32 s18, s17
	s_mov_b32 s19, s17
	s_mov_b32 s20, s17
	s_mov_b32 s21, s17
	s_mov_b32 s22, s17
	s_mov_b32 s23, s17
	s_mov_b32 s24, s17
	s_mov_b32 s25, s17
	s_mov_b32 s26, s17
	s_mov_b32 s27, s17
	s_mov_b32 s28, s17
	s_mov_b32 s29, s17
	s_mov_b32 s30, s17
	s_mov_b32 s31, s17
	v_pk_mov_b32 v[2:3], s[16:17], s[16:17] op_sel:[0,1]
	v_pk_mov_b32 v[4:5], s[18:19], s[18:19] op_sel:[0,1]
	;; [unrolled: 1-line block ×8, first 2 shown]
	v_pk_mov_b32 v[2:3], 0, 0
	v_mul_lo_u32 v34, v36, s34
	s_waitcnt lgkmcnt(0)
	s_barrier
	s_and_saveexec_b64 s[16:17], s[0:1]
	s_cbranch_execnz .LBB87_53
; %bb.21:
	s_or_b64 exec, exec, s[16:17]
	s_and_saveexec_b64 s[16:17], s[2:3]
	s_cbranch_execnz .LBB87_54
.LBB87_22:
	s_or_b64 exec, exec, s[16:17]
	s_and_saveexec_b64 s[16:17], s[4:5]
	s_cbranch_execnz .LBB87_55
.LBB87_23:
	s_or_b64 exec, exec, s[16:17]
	s_and_saveexec_b64 s[16:17], s[6:7]
	s_cbranch_execnz .LBB87_56
.LBB87_24:
	s_or_b64 exec, exec, s[16:17]
	s_and_saveexec_b64 s[16:17], s[8:9]
	s_cbranch_execnz .LBB87_57
.LBB87_25:
	s_or_b64 exec, exec, s[16:17]
	s_and_saveexec_b64 s[16:17], s[10:11]
	s_cbranch_execnz .LBB87_58
.LBB87_26:
	s_or_b64 exec, exec, s[16:17]
	s_and_saveexec_b64 s[16:17], s[12:13]
	s_cbranch_execnz .LBB87_59
.LBB87_27:
	s_or_b64 exec, exec, s[16:17]
	s_and_saveexec_b64 s[16:17], s[14:15]
	s_cbranch_execz .LBB87_29
.LBB87_28:
	v_mul_lo_u32 v16, v22, s34
	v_mov_b32_e32 v17, 0
	v_lshlrev_b64 v[16:17], 3, v[16:17]
	v_mov_b32_e32 v22, s35
	v_add_co_u32_e32 v16, vcc, s33, v16
	v_addc_co_u32_e32 v17, vcc, v22, v17, vcc
	global_load_dwordx2 v[16:17], v[16:17], off
.LBB87_29:
	s_or_b64 exec, exec, s[16:17]
	v_lshrrev_b64 v[40:41], 24, v[38:39]
	v_add_lshl_u32 v41, v26, v36, 3
	v_add_lshl_u32 v35, v25, v36, 3
	;; [unrolled: 1-line block ×9, first 2 shown]
	s_waitcnt vmcnt(0)
	ds_write_b64 v41, v[2:3]
	ds_write_b64 v35, v[4:5] offset:1024
	ds_write_b64 v54, v[6:7] offset:2048
	ds_write_b64 v55, v[8:9] offset:3072
	ds_write_b64 v56, v[10:11] offset:4096
	ds_write_b64 v57, v[12:13] offset:5120
	ds_write_b64 v58, v[14:15] offset:6144
	ds_write_b64 v59, v[16:17] offset:7168
	s_waitcnt lgkmcnt(0)
	s_barrier
	ds_read2_b64 v[14:17], v60 offset1:1
	ds_read2_b64 v[10:13], v60 offset0:2 offset1:3
	ds_read2_b64 v[6:9], v60 offset0:4 offset1:5
	;; [unrolled: 1-line block ×3, first 2 shown]
	v_lshrrev_b32_e32 v64, 8, v38
	v_lshrrev_b32_e32 v65, 8, v39
	s_and_b64 vcc, exec, s[44:45]
	v_bfe_u32 v62, v0, 10, 10
	v_bfe_u32 v63, v0, 20, 10
	v_mbcnt_lo_u32_b32 v66, -1, 0
	v_lshlrev_b32_e32 v61, 4, v36
	s_waitcnt lgkmcnt(0)
	s_barrier
	s_cbranch_vccz .LBB87_60
; %bb.30:
	s_movk_i32 s16, 0xff
	v_mov_b32_e32 v1, 8
	v_lshlrev_b16_e32 v0, 8, v65
	v_lshlrev_b16_sdwa v1, v1, v39 dst_sel:DWORD dst_unused:UNUSED_PAD src0_sel:DWORD src1_sel:BYTE_3
	v_and_b32_sdwa v20, v39, s16 dst_sel:DWORD dst_unused:UNUSED_PAD src0_sel:WORD_1 src1_sel:DWORD
	v_or_b32_sdwa v0, v39, v0 dst_sel:DWORD dst_unused:UNUSED_PAD src0_sel:BYTE_0 src1_sel:DWORD
	v_or_b32_sdwa v1, v20, v1 dst_sel:WORD_1 dst_unused:UNUSED_PAD src0_sel:DWORD src1_sel:DWORD
	v_mbcnt_hi_u32_b32 v75, -1, v66
	v_and_b32_e32 v76, 0x3c0, v36
	v_or_b32_sdwa v1, v0, v1 dst_sel:DWORD dst_unused:UNUSED_PAD src0_sel:WORD_0 src1_sel:DWORD
	v_lshlrev_b16_e32 v0, 8, v64
	v_lshlrev_b16_e32 v20, 8, v40
	v_and_b32_sdwa v21, v38, s16 dst_sel:DWORD dst_unused:UNUSED_PAD src0_sel:WORD_1 src1_sel:DWORD
	v_add_u32_e32 v18, v75, v76
	v_or_b32_sdwa v0, v38, v0 dst_sel:DWORD dst_unused:UNUSED_PAD src0_sel:BYTE_0 src1_sel:DWORD
	v_or_b32_sdwa v20, v21, v20 dst_sel:WORD_1 dst_unused:UNUSED_PAD src0_sel:DWORD src1_sel:DWORD
	v_lshlrev_b32_e32 v19, 3, v18
	v_or_b32_sdwa v0, v0, v20 dst_sel:DWORD dst_unused:UNUSED_PAD src0_sel:WORD_0 src1_sel:DWORD
	s_movk_i32 s16, 0x1e00
	ds_write_b64 v19, v[0:1]
	v_and_or_b32 v0, v53, s16, v75
	; wave barrier
	ds_read_u8 v67, v0
	ds_read_u8 v68, v0 offset:64
	ds_read_u8 v69, v0 offset:128
	;; [unrolled: 1-line block ×7, first 2 shown]
	v_lshlrev_b32_e32 v1, 6, v18
	v_lshlrev_b32_e32 v0, 3, v0
	s_getpc_b64 s[16:17]
	s_add_u32 s16, s16, _ZN7rocprim17ROCPRIM_400000_NS16block_radix_sortIhLj128ELj8ElLj1ELj1ELj0ELNS0_26block_radix_rank_algorithmE1ELNS0_18block_padding_hintE2ELNS0_4arch9wavefront6targetE1EE19radix_bits_per_passE@rel32@lo+4
	s_addc_u32 s17, s17, _ZN7rocprim17ROCPRIM_400000_NS16block_radix_sortIhLj128ELj8ElLj1ELj1ELj0ELNS0_26block_radix_rank_algorithmE1ELNS0_18block_padding_hintE2ELNS0_4arch9wavefront6targetE1EE19radix_bits_per_passE@rel32@hi+12
	s_waitcnt lgkmcnt(0)
	s_barrier
	ds_write2_b64 v1, v[14:15], v[16:17] offset1:1
	ds_write2_b64 v1, v[10:11], v[12:13] offset0:2 offset1:3
	ds_write2_b64 v1, v[6:7], v[8:9] offset0:4 offset1:5
	;; [unrolled: 1-line block ×3, first 2 shown]
	; wave barrier
	ds_read2st64_b64 v[30:33], v0 offset1:1
	ds_read2st64_b64 v[26:29], v0 offset0:2 offset1:3
	ds_read2st64_b64 v[22:25], v0 offset0:4 offset1:5
	;; [unrolled: 1-line block ×3, first 2 shown]
	s_waitcnt lgkmcnt(0)
	s_barrier
	s_load_dword s18, s[16:17], 0x0
	s_load_dword s19, s[42:43], 0xc
	v_mov_b32_e32 v79, 1
	v_mov_b32_e32 v0, 0
	ds_write2_b32 v61, v0, v0 offset0:2 offset1:3
	ds_write2_b32 v61, v0, v0 offset0:4 offset1:5
	s_waitcnt lgkmcnt(0)
	s_min_u32 s18, s18, 8
	s_lshr_b32 s16, s19, 16
	s_and_b32 s17, s19, 0xffff
	v_mad_u32_u24 v1, v63, s16, v62
	v_mad_u64_u32 v[42:43], s[16:17], v1, s17, v[36:37]
	s_lshl_b32 s16, -1, s18
	s_not_b32 s18, s16
	v_lshrrev_b32_e32 v82, 6, v42
	v_and_b32_e32 v42, s18, v67
	v_lshlrev_b32_sdwa v1, v79, v42 dst_sel:DWORD dst_unused:UNUSED_PAD src0_sel:DWORD src1_sel:BYTE_0
	v_add_lshl_u32 v77, v82, v1, 2
	v_and_b32_e32 v1, 1, v42
	v_add_co_u32_e32 v43, vcc, -1, v1
	v_addc_co_u32_e64 v78, s[16:17], 0, -1, vcc
	v_cmp_ne_u32_e32 vcc, 0, v1
	v_xor_b32_e32 v1, vcc_hi, v78
	v_and_b32_e32 v78, exec_hi, v1
	v_lshlrev_b32_e32 v1, 30, v42
	v_xor_b32_e32 v43, vcc_lo, v43
	v_cmp_gt_i64_e32 vcc, 0, v[0:1]
	v_not_b32_e32 v1, v1
	v_ashrrev_i32_e32 v1, 31, v1
	v_and_b32_e32 v43, exec_lo, v43
	v_xor_b32_e32 v80, vcc_hi, v1
	v_xor_b32_e32 v1, vcc_lo, v1
	v_and_b32_e32 v43, v43, v1
	v_lshlrev_b32_e32 v1, 29, v42
	v_cmp_gt_i64_e32 vcc, 0, v[0:1]
	v_not_b32_e32 v1, v1
	v_ashrrev_i32_e32 v1, 31, v1
	v_and_b32_e32 v78, v78, v80
	v_xor_b32_e32 v80, vcc_hi, v1
	v_xor_b32_e32 v1, vcc_lo, v1
	v_and_b32_e32 v43, v43, v1
	v_lshlrev_b32_e32 v1, 28, v42
	v_cmp_gt_i64_e32 vcc, 0, v[0:1]
	v_not_b32_e32 v1, v1
	v_ashrrev_i32_e32 v1, 31, v1
	v_and_b32_e32 v78, v78, v80
	;; [unrolled: 8-line block ×5, first 2 shown]
	v_xor_b32_e32 v80, vcc_hi, v1
	v_xor_b32_e32 v1, vcc_lo, v1
	v_and_b32_e32 v78, v78, v80
	v_and_b32_e32 v80, v43, v1
	v_lshlrev_b32_e32 v1, 24, v42
	v_cmp_gt_i64_e32 vcc, 0, v[0:1]
	v_not_b32_e32 v1, v1
	v_ashrrev_i32_e32 v1, 31, v1
	v_xor_b32_e32 v42, vcc_hi, v1
	v_xor_b32_e32 v1, vcc_lo, v1
	v_and_b32_e32 v43, v78, v42
	v_and_b32_e32 v42, v80, v1
	v_mbcnt_lo_u32_b32 v1, v42, 0
	v_mbcnt_hi_u32_b32 v78, v43, v1
	v_cmp_eq_u32_e32 vcc, 0, v78
	v_cmp_ne_u64_e64 s[16:17], 0, v[42:43]
	s_and_b64 s[20:21], s[16:17], vcc
	s_barrier
	s_waitcnt lgkmcnt(0)
	; wave barrier
	s_and_saveexec_b64 s[16:17], s[20:21]
	s_cbranch_execz .LBB87_32
; %bb.31:
	v_bcnt_u32_b32 v1, v42, 0
	v_bcnt_u32_b32 v1, v43, v1
	ds_write_b32 v77, v1 offset:8
.LBB87_32:
	s_or_b64 exec, exec, s[16:17]
	v_and_b32_e32 v42, s18, v68
	v_lshlrev_b32_sdwa v1, v79, v42 dst_sel:DWORD dst_unused:UNUSED_PAD src0_sel:DWORD src1_sel:BYTE_0
	v_add_lshl_u32 v80, v82, v1, 2
	v_and_b32_e32 v1, 1, v42
	v_add_co_u32_e32 v43, vcc, -1, v1
	v_addc_co_u32_e64 v81, s[16:17], 0, -1, vcc
	v_cmp_ne_u32_e32 vcc, 0, v1
	v_xor_b32_e32 v1, vcc_hi, v81
	v_and_b32_e32 v81, exec_hi, v1
	v_lshlrev_b32_e32 v1, 30, v42
	v_xor_b32_e32 v43, vcc_lo, v43
	v_cmp_gt_i64_e32 vcc, 0, v[0:1]
	v_not_b32_e32 v1, v1
	v_ashrrev_i32_e32 v1, 31, v1
	v_and_b32_e32 v43, exec_lo, v43
	v_xor_b32_e32 v83, vcc_hi, v1
	v_xor_b32_e32 v1, vcc_lo, v1
	v_and_b32_e32 v43, v43, v1
	v_lshlrev_b32_e32 v1, 29, v42
	v_cmp_gt_i64_e32 vcc, 0, v[0:1]
	v_not_b32_e32 v1, v1
	v_ashrrev_i32_e32 v1, 31, v1
	v_and_b32_e32 v81, v81, v83
	v_xor_b32_e32 v83, vcc_hi, v1
	v_xor_b32_e32 v1, vcc_lo, v1
	v_and_b32_e32 v43, v43, v1
	v_lshlrev_b32_e32 v1, 28, v42
	v_cmp_gt_i64_e32 vcc, 0, v[0:1]
	v_not_b32_e32 v1, v1
	v_ashrrev_i32_e32 v1, 31, v1
	v_and_b32_e32 v81, v81, v83
	;; [unrolled: 8-line block ×5, first 2 shown]
	v_xor_b32_e32 v83, vcc_hi, v1
	v_xor_b32_e32 v1, vcc_lo, v1
	v_and_b32_e32 v43, v43, v1
	v_lshlrev_b32_e32 v1, 24, v42
	v_cmp_gt_i64_e32 vcc, 0, v[0:1]
	v_not_b32_e32 v0, v1
	v_ashrrev_i32_e32 v0, 31, v0
	v_xor_b32_e32 v1, vcc_hi, v0
	v_xor_b32_e32 v0, vcc_lo, v0
	; wave barrier
	ds_read_b32 v79, v80 offset:8
	v_and_b32_e32 v81, v81, v83
	v_and_b32_e32 v0, v43, v0
	;; [unrolled: 1-line block ×3, first 2 shown]
	v_mbcnt_lo_u32_b32 v42, v0, 0
	v_mbcnt_hi_u32_b32 v81, v1, v42
	v_cmp_eq_u32_e32 vcc, 0, v81
	v_cmp_ne_u64_e64 s[16:17], 0, v[0:1]
	s_and_b64 s[20:21], s[16:17], vcc
	; wave barrier
	s_and_saveexec_b64 s[16:17], s[20:21]
	s_cbranch_execz .LBB87_34
; %bb.33:
	v_bcnt_u32_b32 v0, v0, 0
	v_bcnt_u32_b32 v0, v1, v0
	s_waitcnt lgkmcnt(0)
	v_add_u32_e32 v0, v79, v0
	ds_write_b32 v80, v0 offset:8
.LBB87_34:
	s_or_b64 exec, exec, s[16:17]
	v_and_b32_e32 v42, s18, v69
	v_and_b32_e32 v1, 1, v42
	v_add_co_u32_e32 v43, vcc, -1, v1
	v_mov_b32_e32 v86, 1
	v_addc_co_u32_e64 v85, s[16:17], 0, -1, vcc
	v_cmp_ne_u32_e32 vcc, 0, v1
	v_lshlrev_b32_sdwa v0, v86, v42 dst_sel:DWORD dst_unused:UNUSED_PAD src0_sel:DWORD src1_sel:BYTE_0
	v_xor_b32_e32 v1, vcc_hi, v85
	v_add_lshl_u32 v84, v82, v0, 2
	v_mov_b32_e32 v0, 0
	v_and_b32_e32 v85, exec_hi, v1
	v_lshlrev_b32_e32 v1, 30, v42
	v_xor_b32_e32 v43, vcc_lo, v43
	v_cmp_gt_i64_e32 vcc, 0, v[0:1]
	v_not_b32_e32 v1, v1
	v_ashrrev_i32_e32 v1, 31, v1
	v_and_b32_e32 v43, exec_lo, v43
	v_xor_b32_e32 v87, vcc_hi, v1
	v_xor_b32_e32 v1, vcc_lo, v1
	v_and_b32_e32 v43, v43, v1
	v_lshlrev_b32_e32 v1, 29, v42
	v_cmp_gt_i64_e32 vcc, 0, v[0:1]
	v_not_b32_e32 v1, v1
	v_ashrrev_i32_e32 v1, 31, v1
	v_and_b32_e32 v85, v85, v87
	v_xor_b32_e32 v87, vcc_hi, v1
	v_xor_b32_e32 v1, vcc_lo, v1
	v_and_b32_e32 v43, v43, v1
	v_lshlrev_b32_e32 v1, 28, v42
	v_cmp_gt_i64_e32 vcc, 0, v[0:1]
	v_not_b32_e32 v1, v1
	v_ashrrev_i32_e32 v1, 31, v1
	v_and_b32_e32 v85, v85, v87
	;; [unrolled: 8-line block ×5, first 2 shown]
	v_xor_b32_e32 v87, vcc_hi, v1
	v_xor_b32_e32 v1, vcc_lo, v1
	v_and_b32_e32 v85, v85, v87
	v_and_b32_e32 v87, v43, v1
	v_lshlrev_b32_e32 v1, 24, v42
	v_cmp_gt_i64_e32 vcc, 0, v[0:1]
	v_not_b32_e32 v1, v1
	v_ashrrev_i32_e32 v1, 31, v1
	v_xor_b32_e32 v42, vcc_hi, v1
	v_xor_b32_e32 v1, vcc_lo, v1
	; wave barrier
	ds_read_b32 v83, v84 offset:8
	v_and_b32_e32 v43, v85, v42
	v_and_b32_e32 v42, v87, v1
	v_mbcnt_lo_u32_b32 v1, v42, 0
	v_mbcnt_hi_u32_b32 v85, v43, v1
	v_cmp_eq_u32_e32 vcc, 0, v85
	v_cmp_ne_u64_e64 s[16:17], 0, v[42:43]
	s_and_b64 s[20:21], s[16:17], vcc
	; wave barrier
	s_and_saveexec_b64 s[16:17], s[20:21]
	s_cbranch_execz .LBB87_36
; %bb.35:
	v_bcnt_u32_b32 v1, v42, 0
	v_bcnt_u32_b32 v1, v43, v1
	s_waitcnt lgkmcnt(0)
	v_add_u32_e32 v1, v83, v1
	ds_write_b32 v84, v1 offset:8
.LBB87_36:
	s_or_b64 exec, exec, s[16:17]
	v_and_b32_e32 v42, s18, v70
	v_lshlrev_b32_sdwa v1, v86, v42 dst_sel:DWORD dst_unused:UNUSED_PAD src0_sel:DWORD src1_sel:BYTE_0
	v_add_lshl_u32 v87, v82, v1, 2
	v_and_b32_e32 v1, 1, v42
	v_add_co_u32_e32 v43, vcc, -1, v1
	v_addc_co_u32_e64 v88, s[16:17], 0, -1, vcc
	v_cmp_ne_u32_e32 vcc, 0, v1
	v_xor_b32_e32 v1, vcc_hi, v88
	v_and_b32_e32 v88, exec_hi, v1
	v_lshlrev_b32_e32 v1, 30, v42
	v_xor_b32_e32 v43, vcc_lo, v43
	v_cmp_gt_i64_e32 vcc, 0, v[0:1]
	v_not_b32_e32 v1, v1
	v_ashrrev_i32_e32 v1, 31, v1
	v_and_b32_e32 v43, exec_lo, v43
	v_xor_b32_e32 v89, vcc_hi, v1
	v_xor_b32_e32 v1, vcc_lo, v1
	v_and_b32_e32 v43, v43, v1
	v_lshlrev_b32_e32 v1, 29, v42
	v_cmp_gt_i64_e32 vcc, 0, v[0:1]
	v_not_b32_e32 v1, v1
	v_ashrrev_i32_e32 v1, 31, v1
	v_and_b32_e32 v88, v88, v89
	v_xor_b32_e32 v89, vcc_hi, v1
	v_xor_b32_e32 v1, vcc_lo, v1
	v_and_b32_e32 v43, v43, v1
	v_lshlrev_b32_e32 v1, 28, v42
	v_cmp_gt_i64_e32 vcc, 0, v[0:1]
	v_not_b32_e32 v1, v1
	v_ashrrev_i32_e32 v1, 31, v1
	v_and_b32_e32 v88, v88, v89
	;; [unrolled: 8-line block ×5, first 2 shown]
	v_xor_b32_e32 v89, vcc_hi, v1
	v_xor_b32_e32 v1, vcc_lo, v1
	v_and_b32_e32 v43, v43, v1
	v_lshlrev_b32_e32 v1, 24, v42
	v_cmp_gt_i64_e32 vcc, 0, v[0:1]
	v_not_b32_e32 v0, v1
	v_ashrrev_i32_e32 v0, 31, v0
	v_xor_b32_e32 v1, vcc_hi, v0
	v_xor_b32_e32 v0, vcc_lo, v0
	; wave barrier
	ds_read_b32 v86, v87 offset:8
	v_and_b32_e32 v88, v88, v89
	v_and_b32_e32 v0, v43, v0
	;; [unrolled: 1-line block ×3, first 2 shown]
	v_mbcnt_lo_u32_b32 v42, v0, 0
	v_mbcnt_hi_u32_b32 v88, v1, v42
	v_cmp_eq_u32_e32 vcc, 0, v88
	v_cmp_ne_u64_e64 s[16:17], 0, v[0:1]
	s_and_b64 s[20:21], s[16:17], vcc
	; wave barrier
	s_and_saveexec_b64 s[16:17], s[20:21]
	s_cbranch_execz .LBB87_38
; %bb.37:
	v_bcnt_u32_b32 v0, v0, 0
	v_bcnt_u32_b32 v0, v1, v0
	s_waitcnt lgkmcnt(0)
	v_add_u32_e32 v0, v86, v0
	ds_write_b32 v87, v0 offset:8
.LBB87_38:
	s_or_b64 exec, exec, s[16:17]
	v_and_b32_e32 v42, s18, v71
	v_and_b32_e32 v1, 1, v42
	v_add_co_u32_e32 v43, vcc, -1, v1
	v_mov_b32_e32 v92, 1
	v_addc_co_u32_e64 v91, s[16:17], 0, -1, vcc
	v_cmp_ne_u32_e32 vcc, 0, v1
	v_lshlrev_b32_sdwa v0, v92, v42 dst_sel:DWORD dst_unused:UNUSED_PAD src0_sel:DWORD src1_sel:BYTE_0
	v_xor_b32_e32 v1, vcc_hi, v91
	v_add_lshl_u32 v90, v82, v0, 2
	v_mov_b32_e32 v0, 0
	v_and_b32_e32 v91, exec_hi, v1
	v_lshlrev_b32_e32 v1, 30, v42
	v_xor_b32_e32 v43, vcc_lo, v43
	v_cmp_gt_i64_e32 vcc, 0, v[0:1]
	v_not_b32_e32 v1, v1
	v_ashrrev_i32_e32 v1, 31, v1
	v_and_b32_e32 v43, exec_lo, v43
	v_xor_b32_e32 v93, vcc_hi, v1
	v_xor_b32_e32 v1, vcc_lo, v1
	v_and_b32_e32 v43, v43, v1
	v_lshlrev_b32_e32 v1, 29, v42
	v_cmp_gt_i64_e32 vcc, 0, v[0:1]
	v_not_b32_e32 v1, v1
	v_ashrrev_i32_e32 v1, 31, v1
	v_and_b32_e32 v91, v91, v93
	v_xor_b32_e32 v93, vcc_hi, v1
	v_xor_b32_e32 v1, vcc_lo, v1
	v_and_b32_e32 v43, v43, v1
	v_lshlrev_b32_e32 v1, 28, v42
	v_cmp_gt_i64_e32 vcc, 0, v[0:1]
	v_not_b32_e32 v1, v1
	v_ashrrev_i32_e32 v1, 31, v1
	v_and_b32_e32 v91, v91, v93
	v_xor_b32_e32 v93, vcc_hi, v1
	v_xor_b32_e32 v1, vcc_lo, v1
	v_and_b32_e32 v43, v43, v1
	v_lshlrev_b32_e32 v1, 27, v42
	v_cmp_gt_i64_e32 vcc, 0, v[0:1]
	v_not_b32_e32 v1, v1
	v_ashrrev_i32_e32 v1, 31, v1
	v_and_b32_e32 v91, v91, v93
	v_xor_b32_e32 v93, vcc_hi, v1
	v_xor_b32_e32 v1, vcc_lo, v1
	v_and_b32_e32 v43, v43, v1
	v_lshlrev_b32_e32 v1, 26, v42
	v_cmp_gt_i64_e32 vcc, 0, v[0:1]
	v_not_b32_e32 v1, v1
	v_ashrrev_i32_e32 v1, 31, v1
	v_and_b32_e32 v91, v91, v93
	v_xor_b32_e32 v93, vcc_hi, v1
	v_xor_b32_e32 v1, vcc_lo, v1
	v_and_b32_e32 v43, v43, v1
	v_lshlrev_b32_e32 v1, 25, v42
	v_cmp_gt_i64_e32 vcc, 0, v[0:1]
	v_not_b32_e32 v1, v1
	v_ashrrev_i32_e32 v1, 31, v1
	v_and_b32_e32 v91, v91, v93
	v_xor_b32_e32 v93, vcc_hi, v1
	v_xor_b32_e32 v1, vcc_lo, v1
	v_and_b32_e32 v91, v91, v93
	v_and_b32_e32 v93, v43, v1
	v_lshlrev_b32_e32 v1, 24, v42
	v_cmp_gt_i64_e32 vcc, 0, v[0:1]
	v_not_b32_e32 v1, v1
	v_ashrrev_i32_e32 v1, 31, v1
	v_xor_b32_e32 v42, vcc_hi, v1
	v_xor_b32_e32 v1, vcc_lo, v1
	; wave barrier
	ds_read_b32 v89, v90 offset:8
	v_and_b32_e32 v43, v91, v42
	v_and_b32_e32 v42, v93, v1
	v_mbcnt_lo_u32_b32 v1, v42, 0
	v_mbcnt_hi_u32_b32 v91, v43, v1
	v_cmp_eq_u32_e32 vcc, 0, v91
	v_cmp_ne_u64_e64 s[16:17], 0, v[42:43]
	s_and_b64 s[20:21], s[16:17], vcc
	; wave barrier
	s_and_saveexec_b64 s[16:17], s[20:21]
	s_cbranch_execz .LBB87_40
; %bb.39:
	v_bcnt_u32_b32 v1, v42, 0
	v_bcnt_u32_b32 v1, v43, v1
	s_waitcnt lgkmcnt(0)
	v_add_u32_e32 v1, v89, v1
	ds_write_b32 v90, v1 offset:8
.LBB87_40:
	s_or_b64 exec, exec, s[16:17]
	v_and_b32_e32 v42, s18, v72
	v_lshlrev_b32_sdwa v1, v92, v42 dst_sel:DWORD dst_unused:UNUSED_PAD src0_sel:DWORD src1_sel:BYTE_0
	v_add_lshl_u32 v93, v82, v1, 2
	v_and_b32_e32 v1, 1, v42
	v_add_co_u32_e32 v43, vcc, -1, v1
	v_addc_co_u32_e64 v94, s[16:17], 0, -1, vcc
	v_cmp_ne_u32_e32 vcc, 0, v1
	v_xor_b32_e32 v1, vcc_hi, v94
	v_and_b32_e32 v94, exec_hi, v1
	v_lshlrev_b32_e32 v1, 30, v42
	v_xor_b32_e32 v43, vcc_lo, v43
	v_cmp_gt_i64_e32 vcc, 0, v[0:1]
	v_not_b32_e32 v1, v1
	v_ashrrev_i32_e32 v1, 31, v1
	v_and_b32_e32 v43, exec_lo, v43
	v_xor_b32_e32 v95, vcc_hi, v1
	v_xor_b32_e32 v1, vcc_lo, v1
	v_and_b32_e32 v43, v43, v1
	v_lshlrev_b32_e32 v1, 29, v42
	v_cmp_gt_i64_e32 vcc, 0, v[0:1]
	v_not_b32_e32 v1, v1
	v_ashrrev_i32_e32 v1, 31, v1
	v_and_b32_e32 v94, v94, v95
	v_xor_b32_e32 v95, vcc_hi, v1
	v_xor_b32_e32 v1, vcc_lo, v1
	v_and_b32_e32 v43, v43, v1
	v_lshlrev_b32_e32 v1, 28, v42
	v_cmp_gt_i64_e32 vcc, 0, v[0:1]
	v_not_b32_e32 v1, v1
	v_ashrrev_i32_e32 v1, 31, v1
	v_and_b32_e32 v94, v94, v95
	;; [unrolled: 8-line block ×5, first 2 shown]
	v_xor_b32_e32 v95, vcc_hi, v1
	v_xor_b32_e32 v1, vcc_lo, v1
	v_and_b32_e32 v43, v43, v1
	v_lshlrev_b32_e32 v1, 24, v42
	v_cmp_gt_i64_e32 vcc, 0, v[0:1]
	v_not_b32_e32 v0, v1
	v_ashrrev_i32_e32 v0, 31, v0
	v_xor_b32_e32 v1, vcc_hi, v0
	v_xor_b32_e32 v0, vcc_lo, v0
	; wave barrier
	ds_read_b32 v92, v93 offset:8
	v_and_b32_e32 v94, v94, v95
	v_and_b32_e32 v0, v43, v0
	;; [unrolled: 1-line block ×3, first 2 shown]
	v_mbcnt_lo_u32_b32 v42, v0, 0
	v_mbcnt_hi_u32_b32 v94, v1, v42
	v_cmp_eq_u32_e32 vcc, 0, v94
	v_cmp_ne_u64_e64 s[16:17], 0, v[0:1]
	s_and_b64 s[20:21], s[16:17], vcc
	; wave barrier
	s_and_saveexec_b64 s[16:17], s[20:21]
	s_cbranch_execz .LBB87_42
; %bb.41:
	v_bcnt_u32_b32 v0, v0, 0
	v_bcnt_u32_b32 v0, v1, v0
	s_waitcnt lgkmcnt(0)
	v_add_u32_e32 v0, v92, v0
	ds_write_b32 v93, v0 offset:8
.LBB87_42:
	s_or_b64 exec, exec, s[16:17]
	v_and_b32_e32 v42, s18, v73
	v_and_b32_e32 v1, 1, v42
	v_add_co_u32_e32 v43, vcc, -1, v1
	v_mov_b32_e32 v98, 1
	v_addc_co_u32_e64 v97, s[16:17], 0, -1, vcc
	v_cmp_ne_u32_e32 vcc, 0, v1
	v_lshlrev_b32_sdwa v0, v98, v42 dst_sel:DWORD dst_unused:UNUSED_PAD src0_sel:DWORD src1_sel:BYTE_0
	v_xor_b32_e32 v1, vcc_hi, v97
	v_add_lshl_u32 v96, v82, v0, 2
	v_mov_b32_e32 v0, 0
	v_and_b32_e32 v97, exec_hi, v1
	v_lshlrev_b32_e32 v1, 30, v42
	v_xor_b32_e32 v43, vcc_lo, v43
	v_cmp_gt_i64_e32 vcc, 0, v[0:1]
	v_not_b32_e32 v1, v1
	v_ashrrev_i32_e32 v1, 31, v1
	v_and_b32_e32 v43, exec_lo, v43
	v_xor_b32_e32 v99, vcc_hi, v1
	v_xor_b32_e32 v1, vcc_lo, v1
	v_and_b32_e32 v43, v43, v1
	v_lshlrev_b32_e32 v1, 29, v42
	v_cmp_gt_i64_e32 vcc, 0, v[0:1]
	v_not_b32_e32 v1, v1
	v_ashrrev_i32_e32 v1, 31, v1
	v_and_b32_e32 v97, v97, v99
	v_xor_b32_e32 v99, vcc_hi, v1
	v_xor_b32_e32 v1, vcc_lo, v1
	v_and_b32_e32 v43, v43, v1
	v_lshlrev_b32_e32 v1, 28, v42
	v_cmp_gt_i64_e32 vcc, 0, v[0:1]
	v_not_b32_e32 v1, v1
	v_ashrrev_i32_e32 v1, 31, v1
	v_and_b32_e32 v97, v97, v99
	;; [unrolled: 8-line block ×5, first 2 shown]
	v_xor_b32_e32 v99, vcc_hi, v1
	v_xor_b32_e32 v1, vcc_lo, v1
	v_and_b32_e32 v97, v97, v99
	v_and_b32_e32 v99, v43, v1
	v_lshlrev_b32_e32 v1, 24, v42
	v_cmp_gt_i64_e32 vcc, 0, v[0:1]
	v_not_b32_e32 v1, v1
	v_ashrrev_i32_e32 v1, 31, v1
	v_xor_b32_e32 v42, vcc_hi, v1
	v_xor_b32_e32 v1, vcc_lo, v1
	; wave barrier
	ds_read_b32 v95, v96 offset:8
	v_and_b32_e32 v43, v97, v42
	v_and_b32_e32 v42, v99, v1
	v_mbcnt_lo_u32_b32 v1, v42, 0
	v_mbcnt_hi_u32_b32 v97, v43, v1
	v_cmp_eq_u32_e32 vcc, 0, v97
	v_cmp_ne_u64_e64 s[16:17], 0, v[42:43]
	s_and_b64 s[20:21], s[16:17], vcc
	; wave barrier
	s_and_saveexec_b64 s[16:17], s[20:21]
	s_cbranch_execz .LBB87_44
; %bb.43:
	v_bcnt_u32_b32 v1, v42, 0
	v_bcnt_u32_b32 v1, v43, v1
	s_waitcnt lgkmcnt(0)
	v_add_u32_e32 v1, v95, v1
	ds_write_b32 v96, v1 offset:8
.LBB87_44:
	s_or_b64 exec, exec, s[16:17]
	v_and_b32_e32 v42, s18, v74
	v_lshlrev_b32_sdwa v1, v98, v42 dst_sel:DWORD dst_unused:UNUSED_PAD src0_sel:DWORD src1_sel:BYTE_0
	v_add_lshl_u32 v98, v82, v1, 2
	v_and_b32_e32 v1, 1, v42
	v_add_co_u32_e32 v43, vcc, -1, v1
	v_addc_co_u32_e64 v100, s[16:17], 0, -1, vcc
	v_cmp_ne_u32_e32 vcc, 0, v1
	v_xor_b32_e32 v1, vcc_hi, v100
	v_and_b32_e32 v100, exec_hi, v1
	v_lshlrev_b32_e32 v1, 30, v42
	v_xor_b32_e32 v43, vcc_lo, v43
	v_cmp_gt_i64_e32 vcc, 0, v[0:1]
	v_not_b32_e32 v1, v1
	v_ashrrev_i32_e32 v1, 31, v1
	v_and_b32_e32 v43, exec_lo, v43
	v_xor_b32_e32 v101, vcc_hi, v1
	v_xor_b32_e32 v1, vcc_lo, v1
	v_and_b32_e32 v43, v43, v1
	v_lshlrev_b32_e32 v1, 29, v42
	v_cmp_gt_i64_e32 vcc, 0, v[0:1]
	v_not_b32_e32 v1, v1
	v_ashrrev_i32_e32 v1, 31, v1
	v_and_b32_e32 v100, v100, v101
	v_xor_b32_e32 v101, vcc_hi, v1
	v_xor_b32_e32 v1, vcc_lo, v1
	v_and_b32_e32 v43, v43, v1
	v_lshlrev_b32_e32 v1, 28, v42
	v_cmp_gt_i64_e32 vcc, 0, v[0:1]
	v_not_b32_e32 v1, v1
	v_ashrrev_i32_e32 v1, 31, v1
	v_and_b32_e32 v100, v100, v101
	;; [unrolled: 8-line block ×5, first 2 shown]
	v_xor_b32_e32 v101, vcc_hi, v1
	v_xor_b32_e32 v1, vcc_lo, v1
	v_and_b32_e32 v43, v43, v1
	v_lshlrev_b32_e32 v1, 24, v42
	v_cmp_gt_i64_e32 vcc, 0, v[0:1]
	v_not_b32_e32 v0, v1
	v_ashrrev_i32_e32 v0, 31, v0
	v_xor_b32_e32 v1, vcc_hi, v0
	v_xor_b32_e32 v0, vcc_lo, v0
	; wave barrier
	ds_read_b32 v82, v98 offset:8
	v_and_b32_e32 v100, v100, v101
	v_and_b32_e32 v0, v43, v0
	;; [unrolled: 1-line block ×3, first 2 shown]
	v_mbcnt_lo_u32_b32 v42, v0, 0
	v_mbcnt_hi_u32_b32 v100, v1, v42
	v_cmp_eq_u32_e32 vcc, 0, v100
	v_cmp_ne_u64_e64 s[16:17], 0, v[0:1]
	v_or_b32_e32 v99, 8, v61
	s_and_b64 s[18:19], s[16:17], vcc
	; wave barrier
	s_and_saveexec_b64 s[16:17], s[18:19]
	s_cbranch_execz .LBB87_46
; %bb.45:
	v_bcnt_u32_b32 v0, v0, 0
	v_bcnt_u32_b32 v0, v1, v0
	s_waitcnt lgkmcnt(0)
	v_add_u32_e32 v0, v82, v0
	ds_write_b32 v98, v0 offset:8
.LBB87_46:
	s_or_b64 exec, exec, s[16:17]
	; wave barrier
	s_waitcnt lgkmcnt(0)
	s_barrier
	ds_read2_b32 v[0:1], v61 offset0:2 offset1:3
	ds_read2_b32 v[42:43], v99 offset0:2 offset1:3
	v_min_u32_e32 v76, 64, v76
	v_or_b32_e32 v76, 63, v76
	s_waitcnt lgkmcnt(1)
	v_add_u32_e32 v101, v1, v0
	s_waitcnt lgkmcnt(0)
	v_add3_u32 v43, v101, v42, v43
	v_and_b32_e32 v101, 15, v75
	v_cmp_ne_u32_e32 vcc, 0, v101
	v_mov_b32_dpp v102, v43 row_shr:1 row_mask:0xf bank_mask:0xf
	v_cndmask_b32_e32 v102, 0, v102, vcc
	v_add_u32_e32 v43, v102, v43
	v_cmp_lt_u32_e32 vcc, 1, v101
	s_nop 0
	v_mov_b32_dpp v102, v43 row_shr:2 row_mask:0xf bank_mask:0xf
	v_cndmask_b32_e32 v102, 0, v102, vcc
	v_add_u32_e32 v43, v43, v102
	v_cmp_lt_u32_e32 vcc, 3, v101
	s_nop 0
	;; [unrolled: 5-line block ×3, first 2 shown]
	v_mov_b32_dpp v102, v43 row_shr:8 row_mask:0xf bank_mask:0xf
	v_cndmask_b32_e32 v101, 0, v102, vcc
	v_add_u32_e32 v43, v43, v101
	v_bfe_i32 v102, v75, 4, 1
	v_cmp_lt_u32_e32 vcc, 31, v75
	v_mov_b32_dpp v101, v43 row_bcast:15 row_mask:0xf bank_mask:0xf
	v_and_b32_e32 v101, v102, v101
	v_add_u32_e32 v43, v43, v101
	s_nop 1
	v_mov_b32_dpp v101, v43 row_bcast:31 row_mask:0xf bank_mask:0xf
	v_cndmask_b32_e32 v101, 0, v101, vcc
	v_add_u32_e32 v43, v43, v101
	v_lshrrev_b32_e32 v101, 6, v36
	v_cmp_eq_u32_e32 vcc, v76, v36
	s_and_saveexec_b64 s[16:17], vcc
	s_cbranch_execz .LBB87_48
; %bb.47:
	v_lshlrev_b32_e32 v76, 2, v101
	ds_write_b32 v76, v43
.LBB87_48:
	s_or_b64 exec, exec, s[16:17]
	v_cmp_gt_u32_e32 vcc, 2, v36
	s_waitcnt lgkmcnt(0)
	s_barrier
	s_and_saveexec_b64 s[16:17], vcc
	s_cbranch_execz .LBB87_50
; %bb.49:
	v_lshlrev_b32_e32 v76, 2, v36
	ds_read_b32 v102, v76
	v_bfe_i32 v103, v75, 0, 1
	s_waitcnt lgkmcnt(0)
	v_mov_b32_dpp v104, v102 row_shr:1 row_mask:0xf bank_mask:0xf
	v_and_b32_e32 v103, v103, v104
	v_add_u32_e32 v102, v103, v102
	ds_write_b32 v76, v102
.LBB87_50:
	s_or_b64 exec, exec, s[16:17]
	v_cmp_lt_u32_e32 vcc, 63, v36
	v_mov_b32_e32 v76, 0
	s_waitcnt lgkmcnt(0)
	s_barrier
	s_and_saveexec_b64 s[16:17], vcc
	s_cbranch_execz .LBB87_52
; %bb.51:
	v_lshl_add_u32 v76, v101, 2, -4
	ds_read_b32 v76, v76
.LBB87_52:
	s_or_b64 exec, exec, s[16:17]
	v_add_u32_e32 v101, -1, v75
	v_and_b32_e32 v102, 64, v75
	v_cmp_lt_i32_e32 vcc, v101, v102
	v_cndmask_b32_e32 v101, v101, v75, vcc
	s_waitcnt lgkmcnt(0)
	v_add_u32_e32 v43, v76, v43
	v_lshlrev_b32_e32 v101, 2, v101
	ds_bpermute_b32 v43, v101, v43
	v_cmp_eq_u32_e32 vcc, 0, v75
	s_waitcnt lgkmcnt(0)
	v_cndmask_b32_e32 v43, v43, v76, vcc
	v_cmp_ne_u32_e32 vcc, 0, v36
	v_cndmask_b32_e32 v43, 0, v43, vcc
	v_add_u32_e32 v0, v43, v0
	v_add_u32_e32 v1, v0, v1
	;; [unrolled: 1-line block ×3, first 2 shown]
	ds_write2_b32 v61, v43, v0 offset0:2 offset1:3
	ds_write2_b32 v99, v1, v42 offset0:2 offset1:3
	s_waitcnt lgkmcnt(0)
	s_barrier
	ds_read_b32 v0, v77 offset:8
	ds_read_b32 v1, v80 offset:8
	;; [unrolled: 1-line block ×8, first 2 shown]
	s_waitcnt lgkmcnt(7)
	v_add_u32_e32 v78, v0, v78
	s_waitcnt lgkmcnt(6)
	v_add3_u32 v79, v81, v79, v1
	s_waitcnt lgkmcnt(5)
	v_add3_u32 v42, v85, v83, v42
	;; [unrolled: 2-line block ×7, first 2 shown]
	s_barrier
	ds_write_b8 v78, v67
	ds_write_b8 v79, v68
	;; [unrolled: 1-line block ×8, first 2 shown]
	v_lshlrev_b32_e32 v67, 3, v78
	s_waitcnt lgkmcnt(0)
	s_barrier
	ds_read_b64 v[0:1], v53
	s_waitcnt lgkmcnt(0)
	s_barrier
	ds_write_b64 v67, v[30:31]
	v_lshlrev_b32_e32 v30, 3, v79
	ds_write_b64 v30, v[32:33]
	v_lshlrev_b32_e32 v30, 3, v42
	;; [unrolled: 2-line block ×7, first 2 shown]
	v_lshlrev_b32_e32 v30, 3, v53
	ds_write_b64 v18, v[20:21]
	s_waitcnt lgkmcnt(0)
	s_barrier
	ds_read2_b64 v[18:21], v30 offset1:1
	ds_read2_b64 v[22:25], v30 offset0:2 offset1:3
	ds_read2_b64 v[26:29], v30 offset0:4 offset1:5
	;; [unrolled: 1-line block ×3, first 2 shown]
	s_branch .LBB87_84
.LBB87_53:
	v_mov_b32_e32 v35, 0
	v_lshlrev_b64 v[2:3], 3, v[34:35]
	v_mov_b32_e32 v4, s35
	v_add_co_u32_e32 v2, vcc, s33, v2
	v_addc_co_u32_e32 v3, vcc, v4, v3, vcc
	global_load_dwordx2 v[2:3], v[2:3], off
	v_mov_b32_e32 v4, v35
	v_mov_b32_e32 v5, v35
	;; [unrolled: 1-line block ×14, first 2 shown]
	s_or_b64 exec, exec, s[16:17]
	s_and_saveexec_b64 s[16:17], s[2:3]
	s_cbranch_execz .LBB87_22
.LBB87_54:
	v_mul_lo_u32 v4, v32, s34
	v_mov_b32_e32 v5, 0
	v_lshlrev_b64 v[4:5], 3, v[4:5]
	v_mov_b32_e32 v32, s35
	v_add_co_u32_e32 v4, vcc, s33, v4
	v_addc_co_u32_e32 v5, vcc, v32, v5, vcc
	global_load_dwordx2 v[4:5], v[4:5], off
	s_or_b64 exec, exec, s[16:17]
	s_and_saveexec_b64 s[16:17], s[4:5]
	s_cbranch_execz .LBB87_23
.LBB87_55:
	v_mul_lo_u32 v6, v31, s34
	v_mov_b32_e32 v7, 0
	v_lshlrev_b64 v[6:7], 3, v[6:7]
	v_mov_b32_e32 v31, s35
	v_add_co_u32_e32 v6, vcc, s33, v6
	v_addc_co_u32_e32 v7, vcc, v31, v7, vcc
	global_load_dwordx2 v[6:7], v[6:7], off
	s_or_b64 exec, exec, s[16:17]
	s_and_saveexec_b64 s[16:17], s[6:7]
	s_cbranch_execz .LBB87_24
.LBB87_56:
	v_mul_lo_u32 v8, v30, s34
	v_mov_b32_e32 v9, 0
	v_lshlrev_b64 v[8:9], 3, v[8:9]
	v_mov_b32_e32 v30, s35
	v_add_co_u32_e32 v8, vcc, s33, v8
	v_addc_co_u32_e32 v9, vcc, v30, v9, vcc
	global_load_dwordx2 v[8:9], v[8:9], off
	s_or_b64 exec, exec, s[16:17]
	s_and_saveexec_b64 s[16:17], s[8:9]
	s_cbranch_execz .LBB87_25
.LBB87_57:
	v_mul_lo_u32 v10, v29, s34
	v_mov_b32_e32 v11, 0
	v_lshlrev_b64 v[10:11], 3, v[10:11]
	v_mov_b32_e32 v29, s35
	v_add_co_u32_e32 v10, vcc, s33, v10
	v_addc_co_u32_e32 v11, vcc, v29, v11, vcc
	global_load_dwordx2 v[10:11], v[10:11], off
	s_or_b64 exec, exec, s[16:17]
	s_and_saveexec_b64 s[16:17], s[10:11]
	s_cbranch_execz .LBB87_26
.LBB87_58:
	v_mul_lo_u32 v12, v28, s34
	v_mov_b32_e32 v13, 0
	v_lshlrev_b64 v[12:13], 3, v[12:13]
	v_mov_b32_e32 v28, s35
	v_add_co_u32_e32 v12, vcc, s33, v12
	v_addc_co_u32_e32 v13, vcc, v28, v13, vcc
	global_load_dwordx2 v[12:13], v[12:13], off
	s_or_b64 exec, exec, s[16:17]
	s_and_saveexec_b64 s[16:17], s[12:13]
	s_cbranch_execz .LBB87_27
.LBB87_59:
	v_mul_lo_u32 v14, v27, s34
	v_mov_b32_e32 v15, 0
	v_lshlrev_b64 v[14:15], 3, v[14:15]
	v_mov_b32_e32 v27, s35
	v_add_co_u32_e32 v14, vcc, s33, v14
	v_addc_co_u32_e32 v15, vcc, v27, v15, vcc
	global_load_dwordx2 v[14:15], v[14:15], off
	s_or_b64 exec, exec, s[16:17]
	s_and_saveexec_b64 s[16:17], s[14:15]
	s_cbranch_execnz .LBB87_28
	s_branch .LBB87_29
.LBB87_60:
                                        ; implicit-def: $vgpr1
                                        ; implicit-def: $vgpr32_vgpr33
                                        ; implicit-def: $vgpr28_vgpr29
                                        ; implicit-def: $vgpr24_vgpr25
                                        ; implicit-def: $vgpr20_vgpr21
	s_cbranch_execz .LBB87_84
; %bb.61:
	v_mov_b32_e32 v0, -1
	v_xor_b32_sdwa v1, v65, v0 dst_sel:BYTE_1 dst_unused:UNUSED_PAD src0_sel:DWORD src1_sel:DWORD
	s_waitcnt lgkmcnt(3)
	v_xor_b32_e32 v18, -1, v39
	v_or_b32_sdwa v1, v18, v1 dst_sel:DWORD dst_unused:UNUSED_PAD src0_sel:BYTE_0 src1_sel:DWORD
	v_xor_b32_sdwa v18, v39, v0 dst_sel:DWORD dst_unused:UNUSED_PAD src0_sel:BYTE_3 src1_sel:DWORD
	v_lshlrev_b16_e32 v18, 8, v18
	v_xor_b32_sdwa v19, v39, v0 dst_sel:DWORD dst_unused:UNUSED_PAD src0_sel:WORD_1 src1_sel:DWORD
	v_or_b32_sdwa v18, v19, v18 dst_sel:WORD_1 dst_unused:UNUSED_PAD src0_sel:BYTE_0 src1_sel:DWORD
	v_or_b32_sdwa v1, v1, v18 dst_sel:DWORD dst_unused:UNUSED_PAD src0_sel:WORD_0 src1_sel:DWORD
	v_xor_b32_sdwa v18, v64, v0 dst_sel:BYTE_1 dst_unused:UNUSED_PAD src0_sel:DWORD src1_sel:DWORD
	v_xor_b32_e32 v19, -1, v38
	v_or_b32_sdwa v18, v19, v18 dst_sel:DWORD dst_unused:UNUSED_PAD src0_sel:BYTE_0 src1_sel:DWORD
	v_xor_b32_sdwa v19, v40, v0 dst_sel:BYTE_1 dst_unused:UNUSED_PAD src0_sel:DWORD src1_sel:DWORD
	v_xor_b32_sdwa v0, v38, v0 dst_sel:DWORD dst_unused:UNUSED_PAD src0_sel:WORD_1 src1_sel:DWORD
	v_or_b32_sdwa v0, v0, v19 dst_sel:WORD_1 dst_unused:UNUSED_PAD src0_sel:BYTE_0 src1_sel:DWORD
	s_waitcnt lgkmcnt(1)
	v_mbcnt_hi_u32_b32 v28, -1, v66
	v_and_b32_e32 v29, 0x3c0, v36
	v_or_b32_sdwa v0, v18, v0 dst_sel:DWORD dst_unused:UNUSED_PAD src0_sel:WORD_0 src1_sel:DWORD
	v_add_u32_e32 v18, v28, v29
	v_lshlrev_b32_e32 v19, 3, v18
	s_movk_i32 s16, 0x1e00
	ds_write_b64 v19, v[0:1]
	v_and_or_b32 v0, v53, s16, v28
	; wave barrier
	ds_read_u8 v20, v0
	ds_read_u8 v21, v0 offset:64
	ds_read_u8 v22, v0 offset:128
	;; [unrolled: 1-line block ×7, first 2 shown]
	v_lshlrev_b32_e32 v1, 6, v18
	v_lshlrev_b32_e32 v0, 3, v0
	s_getpc_b64 s[16:17]
	s_add_u32 s16, s16, _ZN7rocprim17ROCPRIM_400000_NS16block_radix_sortIhLj128ELj8ElLj1ELj1ELj0ELNS0_26block_radix_rank_algorithmE1ELNS0_18block_padding_hintE2ELNS0_4arch9wavefront6targetE1EE19radix_bits_per_passE@rel32@lo+4
	s_addc_u32 s17, s17, _ZN7rocprim17ROCPRIM_400000_NS16block_radix_sortIhLj128ELj8ElLj1ELj1ELj0ELNS0_26block_radix_rank_algorithmE1ELNS0_18block_padding_hintE2ELNS0_4arch9wavefront6targetE1EE19radix_bits_per_passE@rel32@hi+12
	s_waitcnt lgkmcnt(0)
	s_barrier
	ds_write2_b64 v1, v[14:15], v[16:17] offset1:1
	ds_write2_b64 v1, v[10:11], v[12:13] offset0:2 offset1:3
	ds_write2_b64 v1, v[6:7], v[8:9] offset0:4 offset1:5
	ds_write2_b64 v1, v[2:3], v[4:5] offset0:6 offset1:7
	; wave barrier
	ds_read2st64_b64 v[12:15], v0 offset1:1
	ds_read2st64_b64 v[8:11], v0 offset0:2 offset1:3
	ds_read2st64_b64 v[4:7], v0 offset0:4 offset1:5
	ds_read2st64_b64 v[0:3], v0 offset0:6 offset1:7
	s_waitcnt lgkmcnt(0)
	s_barrier
	s_load_dword s18, s[16:17], 0x0
	s_load_dword s19, s[42:43], 0xc
	v_mov_b32_e32 v32, 1
	v_mov_b32_e32 v16, 0
	ds_write2_b32 v61, v16, v16 offset0:2 offset1:3
	ds_write2_b32 v61, v16, v16 offset0:4 offset1:5
	s_waitcnt lgkmcnt(0)
	s_min_u32 s18, s18, 8
	s_lshr_b32 s16, s19, 16
	s_and_b32 s17, s19, 0xffff
	v_mad_u32_u24 v17, v63, s16, v62
	v_mad_u64_u32 v[18:19], s[16:17], v17, s17, v[36:37]
	s_lshl_b32 s16, -1, s18
	s_not_b32 s18, s16
	v_lshrrev_b32_e32 v39, 6, v18
	v_and_b32_e32 v18, s18, v20
	v_lshlrev_b32_sdwa v17, v32, v18 dst_sel:DWORD dst_unused:UNUSED_PAD src0_sel:DWORD src1_sel:BYTE_0
	v_add_lshl_u32 v30, v39, v17, 2
	v_and_b32_e32 v17, 1, v18
	v_add_co_u32_e32 v19, vcc, -1, v17
	v_addc_co_u32_e64 v31, s[16:17], 0, -1, vcc
	v_cmp_ne_u32_e32 vcc, 0, v17
	v_xor_b32_e32 v17, vcc_hi, v31
	v_and_b32_e32 v31, exec_hi, v17
	v_lshlrev_b32_e32 v17, 30, v18
	v_xor_b32_e32 v19, vcc_lo, v19
	v_cmp_gt_i64_e32 vcc, 0, v[16:17]
	v_not_b32_e32 v17, v17
	v_ashrrev_i32_e32 v17, 31, v17
	v_and_b32_e32 v19, exec_lo, v19
	v_xor_b32_e32 v33, vcc_hi, v17
	v_xor_b32_e32 v17, vcc_lo, v17
	v_and_b32_e32 v19, v19, v17
	v_lshlrev_b32_e32 v17, 29, v18
	v_cmp_gt_i64_e32 vcc, 0, v[16:17]
	v_not_b32_e32 v17, v17
	v_ashrrev_i32_e32 v17, 31, v17
	v_and_b32_e32 v31, v31, v33
	v_xor_b32_e32 v33, vcc_hi, v17
	v_xor_b32_e32 v17, vcc_lo, v17
	v_and_b32_e32 v19, v19, v17
	v_lshlrev_b32_e32 v17, 28, v18
	v_cmp_gt_i64_e32 vcc, 0, v[16:17]
	v_not_b32_e32 v17, v17
	v_ashrrev_i32_e32 v17, 31, v17
	v_and_b32_e32 v31, v31, v33
	v_xor_b32_e32 v33, vcc_hi, v17
	v_xor_b32_e32 v17, vcc_lo, v17
	v_and_b32_e32 v19, v19, v17
	v_lshlrev_b32_e32 v17, 27, v18
	v_cmp_gt_i64_e32 vcc, 0, v[16:17]
	v_not_b32_e32 v17, v17
	v_ashrrev_i32_e32 v17, 31, v17
	v_and_b32_e32 v31, v31, v33
	v_xor_b32_e32 v33, vcc_hi, v17
	v_xor_b32_e32 v17, vcc_lo, v17
	v_and_b32_e32 v19, v19, v17
	v_lshlrev_b32_e32 v17, 26, v18
	v_cmp_gt_i64_e32 vcc, 0, v[16:17]
	v_not_b32_e32 v17, v17
	v_ashrrev_i32_e32 v17, 31, v17
	v_and_b32_e32 v31, v31, v33
	v_xor_b32_e32 v33, vcc_hi, v17
	v_xor_b32_e32 v17, vcc_lo, v17
	v_and_b32_e32 v19, v19, v17
	v_lshlrev_b32_e32 v17, 25, v18
	v_cmp_gt_i64_e32 vcc, 0, v[16:17]
	v_not_b32_e32 v17, v17
	v_ashrrev_i32_e32 v17, 31, v17
	v_and_b32_e32 v31, v31, v33
	v_xor_b32_e32 v33, vcc_hi, v17
	v_xor_b32_e32 v17, vcc_lo, v17
	v_and_b32_e32 v31, v31, v33
	v_and_b32_e32 v33, v19, v17
	v_lshlrev_b32_e32 v17, 24, v18
	v_cmp_gt_i64_e32 vcc, 0, v[16:17]
	v_not_b32_e32 v17, v17
	v_ashrrev_i32_e32 v17, 31, v17
	v_xor_b32_e32 v18, vcc_hi, v17
	v_xor_b32_e32 v17, vcc_lo, v17
	v_and_b32_e32 v19, v31, v18
	v_and_b32_e32 v18, v33, v17
	v_mbcnt_lo_u32_b32 v17, v18, 0
	v_mbcnt_hi_u32_b32 v31, v19, v17
	v_cmp_eq_u32_e32 vcc, 0, v31
	v_cmp_ne_u64_e64 s[16:17], 0, v[18:19]
	s_and_b64 s[20:21], s[16:17], vcc
	s_barrier
	s_waitcnt lgkmcnt(0)
	; wave barrier
	s_and_saveexec_b64 s[16:17], s[20:21]
	s_cbranch_execz .LBB87_63
; %bb.62:
	v_bcnt_u32_b32 v17, v18, 0
	v_bcnt_u32_b32 v17, v19, v17
	ds_write_b32 v30, v17 offset:8
.LBB87_63:
	s_or_b64 exec, exec, s[16:17]
	v_and_b32_e32 v18, s18, v21
	v_lshlrev_b32_sdwa v17, v32, v18 dst_sel:DWORD dst_unused:UNUSED_PAD src0_sel:DWORD src1_sel:BYTE_0
	v_add_lshl_u32 v33, v39, v17, 2
	v_and_b32_e32 v17, 1, v18
	v_add_co_u32_e32 v19, vcc, -1, v17
	v_addc_co_u32_e64 v38, s[16:17], 0, -1, vcc
	v_cmp_ne_u32_e32 vcc, 0, v17
	v_xor_b32_e32 v17, vcc_hi, v38
	v_and_b32_e32 v38, exec_hi, v17
	v_lshlrev_b32_e32 v17, 30, v18
	v_xor_b32_e32 v19, vcc_lo, v19
	v_cmp_gt_i64_e32 vcc, 0, v[16:17]
	v_not_b32_e32 v17, v17
	v_ashrrev_i32_e32 v17, 31, v17
	v_and_b32_e32 v19, exec_lo, v19
	v_xor_b32_e32 v40, vcc_hi, v17
	v_xor_b32_e32 v17, vcc_lo, v17
	v_and_b32_e32 v19, v19, v17
	v_lshlrev_b32_e32 v17, 29, v18
	v_cmp_gt_i64_e32 vcc, 0, v[16:17]
	v_not_b32_e32 v17, v17
	v_ashrrev_i32_e32 v17, 31, v17
	v_and_b32_e32 v38, v38, v40
	v_xor_b32_e32 v40, vcc_hi, v17
	v_xor_b32_e32 v17, vcc_lo, v17
	v_and_b32_e32 v19, v19, v17
	v_lshlrev_b32_e32 v17, 28, v18
	v_cmp_gt_i64_e32 vcc, 0, v[16:17]
	v_not_b32_e32 v17, v17
	v_ashrrev_i32_e32 v17, 31, v17
	v_and_b32_e32 v38, v38, v40
	;; [unrolled: 8-line block ×5, first 2 shown]
	v_xor_b32_e32 v40, vcc_hi, v17
	v_xor_b32_e32 v17, vcc_lo, v17
	v_and_b32_e32 v19, v19, v17
	v_lshlrev_b32_e32 v17, 24, v18
	v_cmp_gt_i64_e32 vcc, 0, v[16:17]
	v_not_b32_e32 v16, v17
	v_ashrrev_i32_e32 v16, 31, v16
	v_xor_b32_e32 v17, vcc_hi, v16
	v_xor_b32_e32 v16, vcc_lo, v16
	; wave barrier
	ds_read_b32 v32, v33 offset:8
	v_and_b32_e32 v38, v38, v40
	v_and_b32_e32 v16, v19, v16
	;; [unrolled: 1-line block ×3, first 2 shown]
	v_mbcnt_lo_u32_b32 v18, v16, 0
	v_mbcnt_hi_u32_b32 v38, v17, v18
	v_cmp_eq_u32_e32 vcc, 0, v38
	v_cmp_ne_u64_e64 s[16:17], 0, v[16:17]
	s_and_b64 s[20:21], s[16:17], vcc
	; wave barrier
	s_and_saveexec_b64 s[16:17], s[20:21]
	s_cbranch_execz .LBB87_65
; %bb.64:
	v_bcnt_u32_b32 v16, v16, 0
	v_bcnt_u32_b32 v16, v17, v16
	s_waitcnt lgkmcnt(0)
	v_add_u32_e32 v16, v32, v16
	ds_write_b32 v33, v16 offset:8
.LBB87_65:
	s_or_b64 exec, exec, s[16:17]
	v_and_b32_e32 v18, s18, v22
	v_and_b32_e32 v17, 1, v18
	v_add_co_u32_e32 v19, vcc, -1, v17
	v_mov_b32_e32 v62, 1
	v_addc_co_u32_e64 v43, s[16:17], 0, -1, vcc
	v_cmp_ne_u32_e32 vcc, 0, v17
	v_lshlrev_b32_sdwa v16, v62, v18 dst_sel:DWORD dst_unused:UNUSED_PAD src0_sel:DWORD src1_sel:BYTE_0
	v_xor_b32_e32 v17, vcc_hi, v43
	v_add_lshl_u32 v42, v39, v16, 2
	v_mov_b32_e32 v16, 0
	v_and_b32_e32 v43, exec_hi, v17
	v_lshlrev_b32_e32 v17, 30, v18
	v_xor_b32_e32 v19, vcc_lo, v19
	v_cmp_gt_i64_e32 vcc, 0, v[16:17]
	v_not_b32_e32 v17, v17
	v_ashrrev_i32_e32 v17, 31, v17
	v_and_b32_e32 v19, exec_lo, v19
	v_xor_b32_e32 v63, vcc_hi, v17
	v_xor_b32_e32 v17, vcc_lo, v17
	v_and_b32_e32 v19, v19, v17
	v_lshlrev_b32_e32 v17, 29, v18
	v_cmp_gt_i64_e32 vcc, 0, v[16:17]
	v_not_b32_e32 v17, v17
	v_ashrrev_i32_e32 v17, 31, v17
	v_and_b32_e32 v43, v43, v63
	v_xor_b32_e32 v63, vcc_hi, v17
	v_xor_b32_e32 v17, vcc_lo, v17
	v_and_b32_e32 v19, v19, v17
	v_lshlrev_b32_e32 v17, 28, v18
	v_cmp_gt_i64_e32 vcc, 0, v[16:17]
	v_not_b32_e32 v17, v17
	v_ashrrev_i32_e32 v17, 31, v17
	v_and_b32_e32 v43, v43, v63
	;; [unrolled: 8-line block ×5, first 2 shown]
	v_xor_b32_e32 v63, vcc_hi, v17
	v_xor_b32_e32 v17, vcc_lo, v17
	v_and_b32_e32 v43, v43, v63
	v_and_b32_e32 v63, v19, v17
	v_lshlrev_b32_e32 v17, 24, v18
	v_cmp_gt_i64_e32 vcc, 0, v[16:17]
	v_not_b32_e32 v17, v17
	v_ashrrev_i32_e32 v17, 31, v17
	v_xor_b32_e32 v18, vcc_hi, v17
	v_xor_b32_e32 v17, vcc_lo, v17
	; wave barrier
	ds_read_b32 v40, v42 offset:8
	v_and_b32_e32 v19, v43, v18
	v_and_b32_e32 v18, v63, v17
	v_mbcnt_lo_u32_b32 v17, v18, 0
	v_mbcnt_hi_u32_b32 v43, v19, v17
	v_cmp_eq_u32_e32 vcc, 0, v43
	v_cmp_ne_u64_e64 s[16:17], 0, v[18:19]
	s_and_b64 s[20:21], s[16:17], vcc
	; wave barrier
	s_and_saveexec_b64 s[16:17], s[20:21]
	s_cbranch_execz .LBB87_67
; %bb.66:
	v_bcnt_u32_b32 v17, v18, 0
	v_bcnt_u32_b32 v17, v19, v17
	s_waitcnt lgkmcnt(0)
	v_add_u32_e32 v17, v40, v17
	ds_write_b32 v42, v17 offset:8
.LBB87_67:
	s_or_b64 exec, exec, s[16:17]
	v_and_b32_e32 v18, s18, v23
	v_lshlrev_b32_sdwa v17, v62, v18 dst_sel:DWORD dst_unused:UNUSED_PAD src0_sel:DWORD src1_sel:BYTE_0
	v_add_lshl_u32 v63, v39, v17, 2
	v_and_b32_e32 v17, 1, v18
	v_add_co_u32_e32 v19, vcc, -1, v17
	v_addc_co_u32_e64 v64, s[16:17], 0, -1, vcc
	v_cmp_ne_u32_e32 vcc, 0, v17
	v_xor_b32_e32 v17, vcc_hi, v64
	v_and_b32_e32 v64, exec_hi, v17
	v_lshlrev_b32_e32 v17, 30, v18
	v_xor_b32_e32 v19, vcc_lo, v19
	v_cmp_gt_i64_e32 vcc, 0, v[16:17]
	v_not_b32_e32 v17, v17
	v_ashrrev_i32_e32 v17, 31, v17
	v_and_b32_e32 v19, exec_lo, v19
	v_xor_b32_e32 v65, vcc_hi, v17
	v_xor_b32_e32 v17, vcc_lo, v17
	v_and_b32_e32 v19, v19, v17
	v_lshlrev_b32_e32 v17, 29, v18
	v_cmp_gt_i64_e32 vcc, 0, v[16:17]
	v_not_b32_e32 v17, v17
	v_ashrrev_i32_e32 v17, 31, v17
	v_and_b32_e32 v64, v64, v65
	v_xor_b32_e32 v65, vcc_hi, v17
	v_xor_b32_e32 v17, vcc_lo, v17
	v_and_b32_e32 v19, v19, v17
	v_lshlrev_b32_e32 v17, 28, v18
	v_cmp_gt_i64_e32 vcc, 0, v[16:17]
	v_not_b32_e32 v17, v17
	v_ashrrev_i32_e32 v17, 31, v17
	v_and_b32_e32 v64, v64, v65
	v_xor_b32_e32 v65, vcc_hi, v17
	v_xor_b32_e32 v17, vcc_lo, v17
	v_and_b32_e32 v19, v19, v17
	v_lshlrev_b32_e32 v17, 27, v18
	v_cmp_gt_i64_e32 vcc, 0, v[16:17]
	v_not_b32_e32 v17, v17
	v_ashrrev_i32_e32 v17, 31, v17
	v_and_b32_e32 v64, v64, v65
	v_xor_b32_e32 v65, vcc_hi, v17
	v_xor_b32_e32 v17, vcc_lo, v17
	v_and_b32_e32 v19, v19, v17
	v_lshlrev_b32_e32 v17, 26, v18
	v_cmp_gt_i64_e32 vcc, 0, v[16:17]
	v_not_b32_e32 v17, v17
	v_ashrrev_i32_e32 v17, 31, v17
	v_and_b32_e32 v64, v64, v65
	v_xor_b32_e32 v65, vcc_hi, v17
	v_xor_b32_e32 v17, vcc_lo, v17
	v_and_b32_e32 v19, v19, v17
	v_lshlrev_b32_e32 v17, 25, v18
	v_cmp_gt_i64_e32 vcc, 0, v[16:17]
	v_not_b32_e32 v17, v17
	v_ashrrev_i32_e32 v17, 31, v17
	v_and_b32_e32 v64, v64, v65
	v_xor_b32_e32 v65, vcc_hi, v17
	v_xor_b32_e32 v17, vcc_lo, v17
	v_and_b32_e32 v19, v19, v17
	v_lshlrev_b32_e32 v17, 24, v18
	v_cmp_gt_i64_e32 vcc, 0, v[16:17]
	v_not_b32_e32 v16, v17
	v_ashrrev_i32_e32 v16, 31, v16
	v_xor_b32_e32 v17, vcc_hi, v16
	v_xor_b32_e32 v16, vcc_lo, v16
	; wave barrier
	ds_read_b32 v62, v63 offset:8
	v_and_b32_e32 v64, v64, v65
	v_and_b32_e32 v16, v19, v16
	;; [unrolled: 1-line block ×3, first 2 shown]
	v_mbcnt_lo_u32_b32 v18, v16, 0
	v_mbcnt_hi_u32_b32 v64, v17, v18
	v_cmp_eq_u32_e32 vcc, 0, v64
	v_cmp_ne_u64_e64 s[16:17], 0, v[16:17]
	s_and_b64 s[20:21], s[16:17], vcc
	; wave barrier
	s_and_saveexec_b64 s[16:17], s[20:21]
	s_cbranch_execz .LBB87_69
; %bb.68:
	v_bcnt_u32_b32 v16, v16, 0
	v_bcnt_u32_b32 v16, v17, v16
	s_waitcnt lgkmcnt(0)
	v_add_u32_e32 v16, v62, v16
	ds_write_b32 v63, v16 offset:8
.LBB87_69:
	s_or_b64 exec, exec, s[16:17]
	v_and_b32_e32 v18, s18, v24
	v_and_b32_e32 v17, 1, v18
	v_add_co_u32_e32 v19, vcc, -1, v17
	v_mov_b32_e32 v68, 1
	v_addc_co_u32_e64 v67, s[16:17], 0, -1, vcc
	v_cmp_ne_u32_e32 vcc, 0, v17
	v_lshlrev_b32_sdwa v16, v68, v18 dst_sel:DWORD dst_unused:UNUSED_PAD src0_sel:DWORD src1_sel:BYTE_0
	v_xor_b32_e32 v17, vcc_hi, v67
	v_add_lshl_u32 v66, v39, v16, 2
	v_mov_b32_e32 v16, 0
	v_and_b32_e32 v67, exec_hi, v17
	v_lshlrev_b32_e32 v17, 30, v18
	v_xor_b32_e32 v19, vcc_lo, v19
	v_cmp_gt_i64_e32 vcc, 0, v[16:17]
	v_not_b32_e32 v17, v17
	v_ashrrev_i32_e32 v17, 31, v17
	v_and_b32_e32 v19, exec_lo, v19
	v_xor_b32_e32 v69, vcc_hi, v17
	v_xor_b32_e32 v17, vcc_lo, v17
	v_and_b32_e32 v19, v19, v17
	v_lshlrev_b32_e32 v17, 29, v18
	v_cmp_gt_i64_e32 vcc, 0, v[16:17]
	v_not_b32_e32 v17, v17
	v_ashrrev_i32_e32 v17, 31, v17
	v_and_b32_e32 v67, v67, v69
	v_xor_b32_e32 v69, vcc_hi, v17
	v_xor_b32_e32 v17, vcc_lo, v17
	v_and_b32_e32 v19, v19, v17
	v_lshlrev_b32_e32 v17, 28, v18
	v_cmp_gt_i64_e32 vcc, 0, v[16:17]
	v_not_b32_e32 v17, v17
	v_ashrrev_i32_e32 v17, 31, v17
	v_and_b32_e32 v67, v67, v69
	;; [unrolled: 8-line block ×5, first 2 shown]
	v_xor_b32_e32 v69, vcc_hi, v17
	v_xor_b32_e32 v17, vcc_lo, v17
	v_and_b32_e32 v67, v67, v69
	v_and_b32_e32 v69, v19, v17
	v_lshlrev_b32_e32 v17, 24, v18
	v_cmp_gt_i64_e32 vcc, 0, v[16:17]
	v_not_b32_e32 v17, v17
	v_ashrrev_i32_e32 v17, 31, v17
	v_xor_b32_e32 v18, vcc_hi, v17
	v_xor_b32_e32 v17, vcc_lo, v17
	; wave barrier
	ds_read_b32 v65, v66 offset:8
	v_and_b32_e32 v19, v67, v18
	v_and_b32_e32 v18, v69, v17
	v_mbcnt_lo_u32_b32 v17, v18, 0
	v_mbcnt_hi_u32_b32 v67, v19, v17
	v_cmp_eq_u32_e32 vcc, 0, v67
	v_cmp_ne_u64_e64 s[16:17], 0, v[18:19]
	s_and_b64 s[20:21], s[16:17], vcc
	; wave barrier
	s_and_saveexec_b64 s[16:17], s[20:21]
	s_cbranch_execz .LBB87_71
; %bb.70:
	v_bcnt_u32_b32 v17, v18, 0
	v_bcnt_u32_b32 v17, v19, v17
	s_waitcnt lgkmcnt(0)
	v_add_u32_e32 v17, v65, v17
	ds_write_b32 v66, v17 offset:8
.LBB87_71:
	s_or_b64 exec, exec, s[16:17]
	v_and_b32_e32 v18, s18, v25
	v_lshlrev_b32_sdwa v17, v68, v18 dst_sel:DWORD dst_unused:UNUSED_PAD src0_sel:DWORD src1_sel:BYTE_0
	v_add_lshl_u32 v69, v39, v17, 2
	v_and_b32_e32 v17, 1, v18
	v_add_co_u32_e32 v19, vcc, -1, v17
	v_addc_co_u32_e64 v70, s[16:17], 0, -1, vcc
	v_cmp_ne_u32_e32 vcc, 0, v17
	v_xor_b32_e32 v17, vcc_hi, v70
	v_and_b32_e32 v70, exec_hi, v17
	v_lshlrev_b32_e32 v17, 30, v18
	v_xor_b32_e32 v19, vcc_lo, v19
	v_cmp_gt_i64_e32 vcc, 0, v[16:17]
	v_not_b32_e32 v17, v17
	v_ashrrev_i32_e32 v17, 31, v17
	v_and_b32_e32 v19, exec_lo, v19
	v_xor_b32_e32 v71, vcc_hi, v17
	v_xor_b32_e32 v17, vcc_lo, v17
	v_and_b32_e32 v19, v19, v17
	v_lshlrev_b32_e32 v17, 29, v18
	v_cmp_gt_i64_e32 vcc, 0, v[16:17]
	v_not_b32_e32 v17, v17
	v_ashrrev_i32_e32 v17, 31, v17
	v_and_b32_e32 v70, v70, v71
	v_xor_b32_e32 v71, vcc_hi, v17
	v_xor_b32_e32 v17, vcc_lo, v17
	v_and_b32_e32 v19, v19, v17
	v_lshlrev_b32_e32 v17, 28, v18
	v_cmp_gt_i64_e32 vcc, 0, v[16:17]
	v_not_b32_e32 v17, v17
	v_ashrrev_i32_e32 v17, 31, v17
	v_and_b32_e32 v70, v70, v71
	;; [unrolled: 8-line block ×5, first 2 shown]
	v_xor_b32_e32 v71, vcc_hi, v17
	v_xor_b32_e32 v17, vcc_lo, v17
	v_and_b32_e32 v19, v19, v17
	v_lshlrev_b32_e32 v17, 24, v18
	v_cmp_gt_i64_e32 vcc, 0, v[16:17]
	v_not_b32_e32 v16, v17
	v_ashrrev_i32_e32 v16, 31, v16
	v_xor_b32_e32 v17, vcc_hi, v16
	v_xor_b32_e32 v16, vcc_lo, v16
	; wave barrier
	ds_read_b32 v68, v69 offset:8
	v_and_b32_e32 v70, v70, v71
	v_and_b32_e32 v16, v19, v16
	;; [unrolled: 1-line block ×3, first 2 shown]
	v_mbcnt_lo_u32_b32 v18, v16, 0
	v_mbcnt_hi_u32_b32 v70, v17, v18
	v_cmp_eq_u32_e32 vcc, 0, v70
	v_cmp_ne_u64_e64 s[16:17], 0, v[16:17]
	s_and_b64 s[20:21], s[16:17], vcc
	; wave barrier
	s_and_saveexec_b64 s[16:17], s[20:21]
	s_cbranch_execz .LBB87_73
; %bb.72:
	v_bcnt_u32_b32 v16, v16, 0
	v_bcnt_u32_b32 v16, v17, v16
	s_waitcnt lgkmcnt(0)
	v_add_u32_e32 v16, v68, v16
	ds_write_b32 v69, v16 offset:8
.LBB87_73:
	s_or_b64 exec, exec, s[16:17]
	v_and_b32_e32 v18, s18, v26
	v_and_b32_e32 v17, 1, v18
	v_add_co_u32_e32 v19, vcc, -1, v17
	v_mov_b32_e32 v74, 1
	v_addc_co_u32_e64 v73, s[16:17], 0, -1, vcc
	v_cmp_ne_u32_e32 vcc, 0, v17
	v_lshlrev_b32_sdwa v16, v74, v18 dst_sel:DWORD dst_unused:UNUSED_PAD src0_sel:DWORD src1_sel:BYTE_0
	v_xor_b32_e32 v17, vcc_hi, v73
	v_add_lshl_u32 v72, v39, v16, 2
	v_mov_b32_e32 v16, 0
	v_and_b32_e32 v73, exec_hi, v17
	v_lshlrev_b32_e32 v17, 30, v18
	v_xor_b32_e32 v19, vcc_lo, v19
	v_cmp_gt_i64_e32 vcc, 0, v[16:17]
	v_not_b32_e32 v17, v17
	v_ashrrev_i32_e32 v17, 31, v17
	v_and_b32_e32 v19, exec_lo, v19
	v_xor_b32_e32 v75, vcc_hi, v17
	v_xor_b32_e32 v17, vcc_lo, v17
	v_and_b32_e32 v19, v19, v17
	v_lshlrev_b32_e32 v17, 29, v18
	v_cmp_gt_i64_e32 vcc, 0, v[16:17]
	v_not_b32_e32 v17, v17
	v_ashrrev_i32_e32 v17, 31, v17
	v_and_b32_e32 v73, v73, v75
	v_xor_b32_e32 v75, vcc_hi, v17
	v_xor_b32_e32 v17, vcc_lo, v17
	v_and_b32_e32 v19, v19, v17
	v_lshlrev_b32_e32 v17, 28, v18
	v_cmp_gt_i64_e32 vcc, 0, v[16:17]
	v_not_b32_e32 v17, v17
	v_ashrrev_i32_e32 v17, 31, v17
	v_and_b32_e32 v73, v73, v75
	;; [unrolled: 8-line block ×5, first 2 shown]
	v_xor_b32_e32 v75, vcc_hi, v17
	v_xor_b32_e32 v17, vcc_lo, v17
	v_and_b32_e32 v73, v73, v75
	v_and_b32_e32 v75, v19, v17
	v_lshlrev_b32_e32 v17, 24, v18
	v_cmp_gt_i64_e32 vcc, 0, v[16:17]
	v_not_b32_e32 v17, v17
	v_ashrrev_i32_e32 v17, 31, v17
	v_xor_b32_e32 v18, vcc_hi, v17
	v_xor_b32_e32 v17, vcc_lo, v17
	; wave barrier
	ds_read_b32 v71, v72 offset:8
	v_and_b32_e32 v19, v73, v18
	v_and_b32_e32 v18, v75, v17
	v_mbcnt_lo_u32_b32 v17, v18, 0
	v_mbcnt_hi_u32_b32 v73, v19, v17
	v_cmp_eq_u32_e32 vcc, 0, v73
	v_cmp_ne_u64_e64 s[16:17], 0, v[18:19]
	s_and_b64 s[20:21], s[16:17], vcc
	; wave barrier
	s_and_saveexec_b64 s[16:17], s[20:21]
	s_cbranch_execz .LBB87_75
; %bb.74:
	v_bcnt_u32_b32 v17, v18, 0
	v_bcnt_u32_b32 v17, v19, v17
	s_waitcnt lgkmcnt(0)
	v_add_u32_e32 v17, v71, v17
	ds_write_b32 v72, v17 offset:8
.LBB87_75:
	s_or_b64 exec, exec, s[16:17]
	v_and_b32_e32 v18, s18, v27
	v_lshlrev_b32_sdwa v17, v74, v18 dst_sel:DWORD dst_unused:UNUSED_PAD src0_sel:DWORD src1_sel:BYTE_0
	v_add_lshl_u32 v74, v39, v17, 2
	v_and_b32_e32 v17, 1, v18
	v_add_co_u32_e32 v19, vcc, -1, v17
	v_addc_co_u32_e64 v76, s[16:17], 0, -1, vcc
	v_cmp_ne_u32_e32 vcc, 0, v17
	v_xor_b32_e32 v17, vcc_hi, v76
	v_and_b32_e32 v76, exec_hi, v17
	v_lshlrev_b32_e32 v17, 30, v18
	v_xor_b32_e32 v19, vcc_lo, v19
	v_cmp_gt_i64_e32 vcc, 0, v[16:17]
	v_not_b32_e32 v17, v17
	v_ashrrev_i32_e32 v17, 31, v17
	v_and_b32_e32 v19, exec_lo, v19
	v_xor_b32_e32 v77, vcc_hi, v17
	v_xor_b32_e32 v17, vcc_lo, v17
	v_and_b32_e32 v19, v19, v17
	v_lshlrev_b32_e32 v17, 29, v18
	v_cmp_gt_i64_e32 vcc, 0, v[16:17]
	v_not_b32_e32 v17, v17
	v_ashrrev_i32_e32 v17, 31, v17
	v_and_b32_e32 v76, v76, v77
	v_xor_b32_e32 v77, vcc_hi, v17
	v_xor_b32_e32 v17, vcc_lo, v17
	v_and_b32_e32 v19, v19, v17
	v_lshlrev_b32_e32 v17, 28, v18
	v_cmp_gt_i64_e32 vcc, 0, v[16:17]
	v_not_b32_e32 v17, v17
	v_ashrrev_i32_e32 v17, 31, v17
	v_and_b32_e32 v76, v76, v77
	;; [unrolled: 8-line block ×5, first 2 shown]
	v_xor_b32_e32 v77, vcc_hi, v17
	v_xor_b32_e32 v17, vcc_lo, v17
	v_and_b32_e32 v19, v19, v17
	v_lshlrev_b32_e32 v17, 24, v18
	v_cmp_gt_i64_e32 vcc, 0, v[16:17]
	v_not_b32_e32 v16, v17
	v_ashrrev_i32_e32 v16, 31, v16
	v_xor_b32_e32 v17, vcc_hi, v16
	v_xor_b32_e32 v16, vcc_lo, v16
	; wave barrier
	ds_read_b32 v39, v74 offset:8
	v_and_b32_e32 v76, v76, v77
	v_and_b32_e32 v16, v19, v16
	;; [unrolled: 1-line block ×3, first 2 shown]
	v_mbcnt_lo_u32_b32 v18, v16, 0
	v_mbcnt_hi_u32_b32 v76, v17, v18
	v_cmp_eq_u32_e32 vcc, 0, v76
	v_cmp_ne_u64_e64 s[16:17], 0, v[16:17]
	v_or_b32_e32 v75, 8, v61
	s_and_b64 s[18:19], s[16:17], vcc
	; wave barrier
	s_and_saveexec_b64 s[16:17], s[18:19]
	s_cbranch_execz .LBB87_77
; %bb.76:
	v_bcnt_u32_b32 v16, v16, 0
	v_bcnt_u32_b32 v16, v17, v16
	s_waitcnt lgkmcnt(0)
	v_add_u32_e32 v16, v39, v16
	ds_write_b32 v74, v16 offset:8
.LBB87_77:
	s_or_b64 exec, exec, s[16:17]
	; wave barrier
	s_waitcnt lgkmcnt(0)
	s_barrier
	ds_read2_b32 v[16:17], v61 offset0:2 offset1:3
	ds_read2_b32 v[18:19], v75 offset0:2 offset1:3
	v_min_u32_e32 v29, 64, v29
	v_or_b32_e32 v29, 63, v29
	s_waitcnt lgkmcnt(1)
	v_add_u32_e32 v77, v17, v16
	s_waitcnt lgkmcnt(0)
	v_add3_u32 v19, v77, v18, v19
	v_and_b32_e32 v77, 15, v28
	v_cmp_ne_u32_e32 vcc, 0, v77
	v_mov_b32_dpp v78, v19 row_shr:1 row_mask:0xf bank_mask:0xf
	v_cndmask_b32_e32 v78, 0, v78, vcc
	v_add_u32_e32 v19, v78, v19
	v_cmp_lt_u32_e32 vcc, 1, v77
	s_nop 0
	v_mov_b32_dpp v78, v19 row_shr:2 row_mask:0xf bank_mask:0xf
	v_cndmask_b32_e32 v78, 0, v78, vcc
	v_add_u32_e32 v19, v19, v78
	v_cmp_lt_u32_e32 vcc, 3, v77
	s_nop 0
	;; [unrolled: 5-line block ×3, first 2 shown]
	v_mov_b32_dpp v78, v19 row_shr:8 row_mask:0xf bank_mask:0xf
	v_cndmask_b32_e32 v77, 0, v78, vcc
	v_add_u32_e32 v19, v19, v77
	v_bfe_i32 v78, v28, 4, 1
	v_cmp_lt_u32_e32 vcc, 31, v28
	v_mov_b32_dpp v77, v19 row_bcast:15 row_mask:0xf bank_mask:0xf
	v_and_b32_e32 v77, v78, v77
	v_add_u32_e32 v19, v19, v77
	s_nop 1
	v_mov_b32_dpp v77, v19 row_bcast:31 row_mask:0xf bank_mask:0xf
	v_cndmask_b32_e32 v77, 0, v77, vcc
	v_add_u32_e32 v19, v19, v77
	v_lshrrev_b32_e32 v77, 6, v36
	v_cmp_eq_u32_e32 vcc, v29, v36
	s_and_saveexec_b64 s[16:17], vcc
	s_cbranch_execz .LBB87_79
; %bb.78:
	v_lshlrev_b32_e32 v29, 2, v77
	ds_write_b32 v29, v19
.LBB87_79:
	s_or_b64 exec, exec, s[16:17]
	v_cmp_gt_u32_e32 vcc, 2, v36
	s_waitcnt lgkmcnt(0)
	s_barrier
	s_and_saveexec_b64 s[16:17], vcc
	s_cbranch_execz .LBB87_81
; %bb.80:
	v_lshlrev_b32_e32 v29, 2, v36
	ds_read_b32 v78, v29
	v_bfe_i32 v79, v28, 0, 1
	s_waitcnt lgkmcnt(0)
	v_mov_b32_dpp v80, v78 row_shr:1 row_mask:0xf bank_mask:0xf
	v_and_b32_e32 v79, v79, v80
	v_add_u32_e32 v78, v79, v78
	ds_write_b32 v29, v78
.LBB87_81:
	s_or_b64 exec, exec, s[16:17]
	v_cmp_lt_u32_e32 vcc, 63, v36
	v_mov_b32_e32 v29, 0
	s_waitcnt lgkmcnt(0)
	s_barrier
	s_and_saveexec_b64 s[16:17], vcc
	s_cbranch_execz .LBB87_83
; %bb.82:
	v_lshl_add_u32 v29, v77, 2, -4
	ds_read_b32 v29, v29
.LBB87_83:
	s_or_b64 exec, exec, s[16:17]
	v_add_u32_e32 v77, -1, v28
	v_and_b32_e32 v78, 64, v28
	v_cmp_lt_i32_e32 vcc, v77, v78
	v_cndmask_b32_e32 v77, v77, v28, vcc
	s_waitcnt lgkmcnt(0)
	v_add_u32_e32 v19, v29, v19
	v_lshlrev_b32_e32 v77, 2, v77
	ds_bpermute_b32 v19, v77, v19
	v_cmp_eq_u32_e32 vcc, 0, v28
	s_waitcnt lgkmcnt(0)
	v_cndmask_b32_e32 v19, v19, v29, vcc
	v_cmp_ne_u32_e32 vcc, 0, v36
	v_cndmask_b32_e32 v19, 0, v19, vcc
	v_add_u32_e32 v16, v19, v16
	v_add_u32_e32 v17, v16, v17
	;; [unrolled: 1-line block ×3, first 2 shown]
	ds_write2_b32 v61, v19, v16 offset0:2 offset1:3
	ds_write2_b32 v75, v17, v18 offset0:2 offset1:3
	s_waitcnt lgkmcnt(0)
	s_barrier
	ds_read_b32 v16, v30 offset:8
	ds_read_b32 v17, v33 offset:8
	;; [unrolled: 1-line block ×8, first 2 shown]
	s_waitcnt lgkmcnt(7)
	v_add_u32_e32 v31, v16, v31
	s_waitcnt lgkmcnt(6)
	v_add3_u32 v32, v38, v32, v17
	s_waitcnt lgkmcnt(5)
	v_add3_u32 v18, v43, v40, v18
	;; [unrolled: 2-line block ×7, first 2 shown]
	s_barrier
	ds_write_b8 v31, v20
	ds_write_b8 v32, v21
	;; [unrolled: 1-line block ×8, first 2 shown]
	v_lshlrev_b32_e32 v20, 3, v31
	s_waitcnt lgkmcnt(0)
	s_barrier
	ds_read_b64 v[16:17], v53
	s_waitcnt lgkmcnt(0)
	s_barrier
	ds_write_b64 v20, v[12:13]
	v_lshlrev_b32_e32 v12, 3, v32
	ds_write_b64 v12, v[14:15]
	v_lshlrev_b32_e32 v12, 3, v18
	;; [unrolled: 2-line block ×8, first 2 shown]
	s_waitcnt lgkmcnt(0)
	s_barrier
	ds_read2_b64 v[18:21], v0 offset1:1
	ds_read2_b64 v[22:25], v0 offset0:2 offset1:3
	ds_read2_b64 v[26:29], v0 offset0:4 offset1:5
	;; [unrolled: 1-line block ×3, first 2 shown]
	v_lshrrev_b32_e32 v36, 8, v16
	v_mov_b32_e32 v1, -1
	v_lshrrev_b32_e32 v38, 8, v17
	v_xor_b32_e32 v0, -1, v16
	v_xor_b32_sdwa v2, v36, v1 dst_sel:BYTE_1 dst_unused:UNUSED_PAD src0_sel:DWORD src1_sel:DWORD
	v_xor_b32_sdwa v3, v16, v1 dst_sel:DWORD dst_unused:UNUSED_PAD src0_sel:WORD_1 src1_sel:DWORD
	v_xor_b32_sdwa v4, v16, v1 dst_sel:BYTE_1 dst_unused:UNUSED_PAD src0_sel:BYTE_3 src1_sel:DWORD
	v_xor_b32_e32 v5, -1, v17
	v_xor_b32_sdwa v6, v38, v1 dst_sel:BYTE_1 dst_unused:UNUSED_PAD src0_sel:DWORD src1_sel:DWORD
	v_xor_b32_sdwa v7, v17, v1 dst_sel:DWORD dst_unused:UNUSED_PAD src0_sel:WORD_1 src1_sel:DWORD
	v_xor_b32_sdwa v1, v17, v1 dst_sel:BYTE_1 dst_unused:UNUSED_PAD src0_sel:BYTE_3 src1_sel:DWORD
	v_or_b32_sdwa v0, v0, v2 dst_sel:DWORD dst_unused:UNUSED_PAD src0_sel:BYTE_0 src1_sel:DWORD
	v_or_b32_sdwa v2, v3, v4 dst_sel:WORD_1 dst_unused:UNUSED_PAD src0_sel:BYTE_0 src1_sel:DWORD
	v_or_b32_sdwa v0, v0, v2 dst_sel:DWORD dst_unused:UNUSED_PAD src0_sel:WORD_0 src1_sel:DWORD
	v_or_b32_sdwa v2, v5, v6 dst_sel:DWORD dst_unused:UNUSED_PAD src0_sel:BYTE_0 src1_sel:DWORD
	v_or_b32_sdwa v1, v7, v1 dst_sel:WORD_1 dst_unused:UNUSED_PAD src0_sel:BYTE_0 src1_sel:DWORD
	v_or_b32_sdwa v1, v2, v1 dst_sel:DWORD dst_unused:UNUSED_PAD src0_sel:WORD_0 src1_sel:DWORD
.LBB87_84:
	s_waitcnt lgkmcnt(0)
	s_barrier
	ds_write_b64 v52, v[0:1]
	s_waitcnt lgkmcnt(0)
	s_barrier
	ds_read_u8 v8, v45 offset:128
	ds_read_u8 v7, v46 offset:256
	;; [unrolled: 1-line block ×7, first 2 shown]
	v_mov_b32_e32 v1, s41
	v_add_co_u32_e32 v0, vcc, s40, v37
	v_addc_co_u32_e32 v1, vcc, 0, v1, vcc
	s_and_saveexec_b64 s[16:17], s[0:1]
	s_cbranch_execnz .LBB87_103
; %bb.85:
	s_or_b64 exec, exec, s[16:17]
	s_and_saveexec_b64 s[16:17], s[2:3]
	s_cbranch_execnz .LBB87_104
.LBB87_86:
	s_or_b64 exec, exec, s[16:17]
	s_and_saveexec_b64 s[16:17], s[4:5]
	s_cbranch_execnz .LBB87_105
.LBB87_87:
	s_or_b64 exec, exec, s[16:17]
	s_and_saveexec_b64 s[16:17], s[6:7]
	s_cbranch_execnz .LBB87_106
.LBB87_88:
	s_or_b64 exec, exec, s[16:17]
	s_and_saveexec_b64 s[16:17], s[8:9]
	s_cbranch_execnz .LBB87_107
.LBB87_89:
	s_or_b64 exec, exec, s[16:17]
	s_and_saveexec_b64 s[16:17], s[10:11]
	s_cbranch_execnz .LBB87_108
.LBB87_90:
	s_or_b64 exec, exec, s[16:17]
	s_and_saveexec_b64 s[16:17], s[12:13]
	s_cbranch_execnz .LBB87_109
.LBB87_91:
	s_or_b64 exec, exec, s[16:17]
	s_and_saveexec_b64 s[16:17], s[14:15]
	s_cbranch_execz .LBB87_93
.LBB87_92:
	s_mul_i32 s18, s38, 0x380
	v_add_co_u32_e32 v0, vcc, s18, v0
	v_addc_co_u32_e32 v1, vcc, 0, v1, vcc
	s_waitcnt lgkmcnt(0)
	global_store_byte v[0:1], v2, off
.LBB87_93:
	s_or_b64 exec, exec, s[16:17]
	s_waitcnt lgkmcnt(0)
	s_barrier
	ds_write2_b64 v60, v[18:19], v[20:21] offset1:1
	ds_write2_b64 v60, v[22:23], v[24:25] offset0:2 offset1:3
	ds_write2_b64 v60, v[26:27], v[28:29] offset0:4 offset1:5
	;; [unrolled: 1-line block ×3, first 2 shown]
	s_waitcnt lgkmcnt(0)
	s_barrier
	ds_read_b64 v[14:15], v35 offset:1024
	ds_read_b64 v[12:13], v54 offset:2048
	;; [unrolled: 1-line block ×7, first 2 shown]
	v_mov_b32_e32 v35, 0
	v_lshlrev_b64 v[2:3], 3, v[34:35]
	v_mov_b32_e32 v16, s35
	v_add_co_u32_e32 v2, vcc, s33, v2
	v_addc_co_u32_e32 v3, vcc, v16, v3, vcc
	s_and_saveexec_b64 s[16:17], s[0:1]
	s_cbranch_execnz .LBB87_110
; %bb.94:
	s_or_b64 exec, exec, s[16:17]
	s_and_saveexec_b64 s[0:1], s[2:3]
	s_cbranch_execnz .LBB87_111
.LBB87_95:
	s_or_b64 exec, exec, s[0:1]
	s_and_saveexec_b64 s[0:1], s[4:5]
	s_cbranch_execnz .LBB87_112
.LBB87_96:
	s_or_b64 exec, exec, s[0:1]
	s_and_saveexec_b64 s[0:1], s[6:7]
	s_cbranch_execnz .LBB87_113
.LBB87_97:
	s_or_b64 exec, exec, s[0:1]
	s_and_saveexec_b64 s[0:1], s[8:9]
	s_cbranch_execnz .LBB87_114
.LBB87_98:
	s_or_b64 exec, exec, s[0:1]
	s_and_saveexec_b64 s[0:1], s[10:11]
	s_cbranch_execnz .LBB87_115
.LBB87_99:
	s_or_b64 exec, exec, s[0:1]
	s_and_saveexec_b64 s[0:1], s[12:13]
	s_cbranch_execnz .LBB87_116
.LBB87_100:
	s_or_b64 exec, exec, s[0:1]
	s_and_saveexec_b64 s[0:1], s[14:15]
	s_cbranch_execz .LBB87_102
.LBB87_101:
	s_mul_i32 s0, s34, 0x380
	s_mov_b32 s1, 0
	s_lshl_b64 s[0:1], s[0:1], 3
	s_waitcnt lgkmcnt(1)
	v_mov_b32_e32 v4, s1
	v_add_co_u32_e32 v2, vcc, s0, v2
	v_addc_co_u32_e32 v3, vcc, v3, v4, vcc
	s_waitcnt lgkmcnt(0)
	global_store_dwordx2 v[2:3], v[0:1], off
.LBB87_102:
	s_endpgm
.LBB87_103:
	ds_read_u8 v9, v44
	s_waitcnt lgkmcnt(0)
	global_store_byte v[0:1], v9, off
	s_or_b64 exec, exec, s[16:17]
	s_and_saveexec_b64 s[16:17], s[2:3]
	s_cbranch_execz .LBB87_86
.LBB87_104:
	s_lshl_b32 s18, s38, 7
	v_add_co_u32_e32 v10, vcc, s18, v0
	v_addc_co_u32_e32 v11, vcc, 0, v1, vcc
	s_waitcnt lgkmcnt(6)
	global_store_byte v[10:11], v8, off
	s_or_b64 exec, exec, s[16:17]
	s_and_saveexec_b64 s[16:17], s[4:5]
	s_cbranch_execz .LBB87_87
.LBB87_105:
	s_lshl_b32 s18, s38, 8
	s_waitcnt lgkmcnt(6)
	v_add_co_u32_e32 v8, vcc, s18, v0
	v_addc_co_u32_e32 v9, vcc, 0, v1, vcc
	s_waitcnt lgkmcnt(5)
	global_store_byte v[8:9], v7, off
	s_or_b64 exec, exec, s[16:17]
	s_and_saveexec_b64 s[16:17], s[6:7]
	s_cbranch_execz .LBB87_88
.LBB87_106:
	s_mul_i32 s18, s38, 0x180
	s_waitcnt lgkmcnt(6)
	v_add_co_u32_e32 v8, vcc, s18, v0
	v_addc_co_u32_e32 v9, vcc, 0, v1, vcc
	s_waitcnt lgkmcnt(4)
	global_store_byte v[8:9], v6, off
	s_or_b64 exec, exec, s[16:17]
	s_and_saveexec_b64 s[16:17], s[8:9]
	s_cbranch_execz .LBB87_89
.LBB87_107:
	s_lshl_b32 s18, s38, 9
	s_waitcnt lgkmcnt(4)
	v_add_co_u32_e32 v6, vcc, s18, v0
	v_addc_co_u32_e32 v7, vcc, 0, v1, vcc
	s_waitcnt lgkmcnt(3)
	global_store_byte v[6:7], v5, off
	s_or_b64 exec, exec, s[16:17]
	s_and_saveexec_b64 s[16:17], s[10:11]
	s_cbranch_execz .LBB87_90
.LBB87_108:
	s_mul_i32 s18, s38, 0x280
	s_waitcnt lgkmcnt(4)
	v_add_co_u32_e32 v6, vcc, s18, v0
	v_addc_co_u32_e32 v7, vcc, 0, v1, vcc
	s_waitcnt lgkmcnt(2)
	global_store_byte v[6:7], v4, off
	s_or_b64 exec, exec, s[16:17]
	s_and_saveexec_b64 s[16:17], s[12:13]
	s_cbranch_execz .LBB87_91
.LBB87_109:
	s_mul_i32 s18, s38, 0x300
	s_waitcnt lgkmcnt(2)
	v_add_co_u32_e32 v4, vcc, s18, v0
	v_addc_co_u32_e32 v5, vcc, 0, v1, vcc
	s_waitcnt lgkmcnt(1)
	global_store_byte v[4:5], v3, off
	s_or_b64 exec, exec, s[16:17]
	s_and_saveexec_b64 s[16:17], s[14:15]
	s_cbranch_execnz .LBB87_92
	s_branch .LBB87_93
.LBB87_110:
	ds_read_b64 v[16:17], v41
	s_waitcnt lgkmcnt(0)
	global_store_dwordx2 v[2:3], v[16:17], off
	s_or_b64 exec, exec, s[16:17]
	s_and_saveexec_b64 s[0:1], s[2:3]
	s_cbranch_execz .LBB87_95
.LBB87_111:
	s_lshl_b32 s2, s34, 7
	s_mov_b32 s3, 0
	s_lshl_b64 s[2:3], s[2:3], 3
	v_mov_b32_e32 v17, s3
	v_add_co_u32_e32 v16, vcc, s2, v2
	v_addc_co_u32_e32 v17, vcc, v3, v17, vcc
	s_waitcnt lgkmcnt(6)
	global_store_dwordx2 v[16:17], v[14:15], off
	s_or_b64 exec, exec, s[0:1]
	s_and_saveexec_b64 s[0:1], s[4:5]
	s_cbranch_execz .LBB87_96
.LBB87_112:
	s_lshl_b32 s2, s34, 8
	s_mov_b32 s3, 0
	s_lshl_b64 s[2:3], s[2:3], 3
	s_waitcnt lgkmcnt(6)
	v_mov_b32_e32 v15, s3
	v_add_co_u32_e32 v14, vcc, s2, v2
	v_addc_co_u32_e32 v15, vcc, v3, v15, vcc
	s_waitcnt lgkmcnt(5)
	global_store_dwordx2 v[14:15], v[12:13], off
	s_or_b64 exec, exec, s[0:1]
	s_and_saveexec_b64 s[0:1], s[6:7]
	s_cbranch_execz .LBB87_97
.LBB87_113:
	s_mul_i32 s2, s34, 0x180
	s_mov_b32 s3, 0
	s_lshl_b64 s[2:3], s[2:3], 3
	s_waitcnt lgkmcnt(5)
	v_mov_b32_e32 v13, s3
	v_add_co_u32_e32 v12, vcc, s2, v2
	v_addc_co_u32_e32 v13, vcc, v3, v13, vcc
	s_waitcnt lgkmcnt(4)
	global_store_dwordx2 v[12:13], v[10:11], off
	s_or_b64 exec, exec, s[0:1]
	s_and_saveexec_b64 s[0:1], s[8:9]
	s_cbranch_execz .LBB87_98
.LBB87_114:
	s_lshl_b32 s2, s34, 9
	s_mov_b32 s3, 0
	s_lshl_b64 s[2:3], s[2:3], 3
	s_waitcnt lgkmcnt(4)
	v_mov_b32_e32 v11, s3
	v_add_co_u32_e32 v10, vcc, s2, v2
	v_addc_co_u32_e32 v11, vcc, v3, v11, vcc
	s_waitcnt lgkmcnt(3)
	global_store_dwordx2 v[10:11], v[8:9], off
	s_or_b64 exec, exec, s[0:1]
	s_and_saveexec_b64 s[0:1], s[10:11]
	s_cbranch_execz .LBB87_99
.LBB87_115:
	s_mul_i32 s2, s34, 0x280
	s_mov_b32 s3, 0
	s_lshl_b64 s[2:3], s[2:3], 3
	s_waitcnt lgkmcnt(3)
	v_mov_b32_e32 v9, s3
	v_add_co_u32_e32 v8, vcc, s2, v2
	v_addc_co_u32_e32 v9, vcc, v3, v9, vcc
	s_waitcnt lgkmcnt(2)
	global_store_dwordx2 v[8:9], v[6:7], off
	s_or_b64 exec, exec, s[0:1]
	s_and_saveexec_b64 s[0:1], s[12:13]
	s_cbranch_execz .LBB87_100
.LBB87_116:
	s_mul_i32 s2, s34, 0x300
	s_mov_b32 s3, 0
	s_lshl_b64 s[2:3], s[2:3], 3
	s_waitcnt lgkmcnt(2)
	v_mov_b32_e32 v7, s3
	v_add_co_u32_e32 v6, vcc, s2, v2
	v_addc_co_u32_e32 v7, vcc, v3, v7, vcc
	s_waitcnt lgkmcnt(1)
	global_store_dwordx2 v[6:7], v[4:5], off
	s_or_b64 exec, exec, s[0:1]
	s_and_saveexec_b64 s[0:1], s[14:15]
	s_cbranch_execnz .LBB87_101
	s_branch .LBB87_102
	.section	.rodata,"a",@progbits
	.p2align	6, 0x0
	.amdhsa_kernel _ZN2at6native18radixSortKVInPlaceILi2ELin1ELi128ELi8EhljEEvNS_4cuda6detail10TensorInfoIT3_T5_EES6_S6_S6_NS4_IT4_S6_EES6_b
		.amdhsa_group_segment_fixed_size 8448
		.amdhsa_private_segment_fixed_size 0
		.amdhsa_kernarg_size 712
		.amdhsa_user_sgpr_count 6
		.amdhsa_user_sgpr_private_segment_buffer 1
		.amdhsa_user_sgpr_dispatch_ptr 0
		.amdhsa_user_sgpr_queue_ptr 0
		.amdhsa_user_sgpr_kernarg_segment_ptr 1
		.amdhsa_user_sgpr_dispatch_id 0
		.amdhsa_user_sgpr_flat_scratch_init 0
		.amdhsa_user_sgpr_kernarg_preload_length 0
		.amdhsa_user_sgpr_kernarg_preload_offset 0
		.amdhsa_user_sgpr_private_segment_size 0
		.amdhsa_uses_dynamic_stack 0
		.amdhsa_system_sgpr_private_segment_wavefront_offset 0
		.amdhsa_system_sgpr_workgroup_id_x 1
		.amdhsa_system_sgpr_workgroup_id_y 1
		.amdhsa_system_sgpr_workgroup_id_z 1
		.amdhsa_system_sgpr_workgroup_info 0
		.amdhsa_system_vgpr_workitem_id 2
		.amdhsa_next_free_vgpr 105
		.amdhsa_next_free_sgpr 46
		.amdhsa_accum_offset 108
		.amdhsa_reserve_vcc 1
		.amdhsa_reserve_flat_scratch 0
		.amdhsa_float_round_mode_32 0
		.amdhsa_float_round_mode_16_64 0
		.amdhsa_float_denorm_mode_32 3
		.amdhsa_float_denorm_mode_16_64 3
		.amdhsa_dx10_clamp 1
		.amdhsa_ieee_mode 1
		.amdhsa_fp16_overflow 0
		.amdhsa_tg_split 0
		.amdhsa_exception_fp_ieee_invalid_op 0
		.amdhsa_exception_fp_denorm_src 0
		.amdhsa_exception_fp_ieee_div_zero 0
		.amdhsa_exception_fp_ieee_overflow 0
		.amdhsa_exception_fp_ieee_underflow 0
		.amdhsa_exception_fp_ieee_inexact 0
		.amdhsa_exception_int_div_zero 0
	.end_amdhsa_kernel
	.section	.text._ZN2at6native18radixSortKVInPlaceILi2ELin1ELi128ELi8EhljEEvNS_4cuda6detail10TensorInfoIT3_T5_EES6_S6_S6_NS4_IT4_S6_EES6_b,"axG",@progbits,_ZN2at6native18radixSortKVInPlaceILi2ELin1ELi128ELi8EhljEEvNS_4cuda6detail10TensorInfoIT3_T5_EES6_S6_S6_NS4_IT4_S6_EES6_b,comdat
.Lfunc_end87:
	.size	_ZN2at6native18radixSortKVInPlaceILi2ELin1ELi128ELi8EhljEEvNS_4cuda6detail10TensorInfoIT3_T5_EES6_S6_S6_NS4_IT4_S6_EES6_b, .Lfunc_end87-_ZN2at6native18radixSortKVInPlaceILi2ELin1ELi128ELi8EhljEEvNS_4cuda6detail10TensorInfoIT3_T5_EES6_S6_S6_NS4_IT4_S6_EES6_b
                                        ; -- End function
	.section	.AMDGPU.csdata,"",@progbits
; Kernel info:
; codeLenInByte = 11812
; NumSgprs: 50
; NumVgprs: 105
; NumAgprs: 0
; TotalNumVgprs: 105
; ScratchSize: 0
; MemoryBound: 0
; FloatMode: 240
; IeeeMode: 1
; LDSByteSize: 8448 bytes/workgroup (compile time only)
; SGPRBlocks: 6
; VGPRBlocks: 13
; NumSGPRsForWavesPerEU: 50
; NumVGPRsForWavesPerEU: 105
; AccumOffset: 108
; Occupancy: 4
; WaveLimiterHint : 1
; COMPUTE_PGM_RSRC2:SCRATCH_EN: 0
; COMPUTE_PGM_RSRC2:USER_SGPR: 6
; COMPUTE_PGM_RSRC2:TRAP_HANDLER: 0
; COMPUTE_PGM_RSRC2:TGID_X_EN: 1
; COMPUTE_PGM_RSRC2:TGID_Y_EN: 1
; COMPUTE_PGM_RSRC2:TGID_Z_EN: 1
; COMPUTE_PGM_RSRC2:TIDIG_COMP_CNT: 2
; COMPUTE_PGM_RSRC3_GFX90A:ACCUM_OFFSET: 26
; COMPUTE_PGM_RSRC3_GFX90A:TG_SPLIT: 0
	.section	.text._ZN2at6native18radixSortKVInPlaceILi2ELin1ELi32ELi4EhljEEvNS_4cuda6detail10TensorInfoIT3_T5_EES6_S6_S6_NS4_IT4_S6_EES6_b,"axG",@progbits,_ZN2at6native18radixSortKVInPlaceILi2ELin1ELi32ELi4EhljEEvNS_4cuda6detail10TensorInfoIT3_T5_EES6_S6_S6_NS4_IT4_S6_EES6_b,comdat
	.protected	_ZN2at6native18radixSortKVInPlaceILi2ELin1ELi32ELi4EhljEEvNS_4cuda6detail10TensorInfoIT3_T5_EES6_S6_S6_NS4_IT4_S6_EES6_b ; -- Begin function _ZN2at6native18radixSortKVInPlaceILi2ELin1ELi32ELi4EhljEEvNS_4cuda6detail10TensorInfoIT3_T5_EES6_S6_S6_NS4_IT4_S6_EES6_b
	.globl	_ZN2at6native18radixSortKVInPlaceILi2ELin1ELi32ELi4EhljEEvNS_4cuda6detail10TensorInfoIT3_T5_EES6_S6_S6_NS4_IT4_S6_EES6_b
	.p2align	8
	.type	_ZN2at6native18radixSortKVInPlaceILi2ELin1ELi32ELi4EhljEEvNS_4cuda6detail10TensorInfoIT3_T5_EES6_S6_S6_NS4_IT4_S6_EES6_b,@function
_ZN2at6native18radixSortKVInPlaceILi2ELin1ELi32ELi4EhljEEvNS_4cuda6detail10TensorInfoIT3_T5_EES6_S6_S6_NS4_IT4_S6_EES6_b: ; @_ZN2at6native18radixSortKVInPlaceILi2ELin1ELi32ELi4EhljEEvNS_4cuda6detail10TensorInfoIT3_T5_EES6_S6_S6_NS4_IT4_S6_EES6_b
; %bb.0:
	s_load_dwordx2 s[0:1], s[4:5], 0x1c8
	s_load_dwordx4 s[20:23], s[4:5], 0xd8
	s_waitcnt lgkmcnt(0)
	s_mul_i32 s1, s1, s8
	s_add_i32 s1, s1, s7
	s_mul_i32 s12, s1, s0
	s_add_i32 s12, s12, s6
	s_cmp_ge_u32 s12, s20
	s_cbranch_scc1 .LBB88_70
; %bb.1:
	s_load_dword s13, s[4:5], 0xc
	s_load_dwordx2 s[0:1], s[4:5], 0x6c
	s_load_dword s8, s[4:5], 0x1b8
	s_add_u32 s2, s4, 0xe8
	s_load_dwordx2 s[6:7], s[4:5], 0x0
	s_waitcnt lgkmcnt(0)
	v_cvt_f32_u32_e32 v1, s13
	s_addc_u32 s3, s5, 0
	s_sub_i32 s9, 0, s13
	s_mov_b32 s11, 0
	v_rcp_iflag_f32_e32 v1, v1
	v_mul_f32_e32 v1, 0x4f7ffffe, v1
	v_cvt_u32_f32_e32 v1, v1
	v_readfirstlane_b32 s10, v1
	s_mul_i32 s9, s9, s10
	s_mul_hi_u32 s9, s10, s9
	s_add_i32 s10, s10, s9
	s_mul_hi_u32 s14, s12, s10
	s_cmp_lt_i32 s8, 2
	s_mov_b32 s10, s12
	s_cbranch_scc1 .LBB88_4
; %bb.2:
	s_add_i32 s10, s8, -1
	s_add_i32 s15, s8, 1
	s_lshl_b64 s[8:9], s[10:11], 2
	s_add_u32 s8, s8, s2
	s_addc_u32 s9, s9, s3
	s_add_u32 s8, s8, 8
	s_addc_u32 s9, s9, 0
	s_mov_b32 s10, s12
.LBB88_3:                               ; =>This Inner Loop Header: Depth=1
	s_load_dword s16, s[8:9], 0x0
	s_load_dword s18, s[8:9], 0x64
	s_mov_b32 s17, s10
	s_waitcnt lgkmcnt(0)
	v_cvt_f32_u32_e32 v1, s16
	s_sub_i32 s10, 0, s16
	v_rcp_iflag_f32_e32 v1, v1
	v_mul_f32_e32 v1, 0x4f7ffffe, v1
	v_cvt_u32_f32_e32 v1, v1
	v_readfirstlane_b32 s19, v1
	s_mul_i32 s10, s10, s19
	s_mul_hi_u32 s10, s19, s10
	s_add_i32 s19, s19, s10
	s_mul_hi_u32 s10, s17, s19
	s_mul_i32 s19, s10, s16
	s_sub_i32 s19, s17, s19
	s_add_i32 s20, s10, 1
	s_sub_i32 s23, s19, s16
	s_cmp_ge_u32 s19, s16
	s_cselect_b32 s10, s20, s10
	s_cselect_b32 s19, s23, s19
	s_add_i32 s20, s10, 1
	s_cmp_ge_u32 s19, s16
	s_cselect_b32 s10, s20, s10
	s_mul_i32 s16, s10, s16
	s_sub_i32 s16, s17, s16
	s_mul_i32 s16, s18, s16
	s_add_i32 s15, s15, -1
	s_add_i32 s11, s16, s11
	s_add_u32 s8, s8, -4
	s_addc_u32 s9, s9, -1
	s_cmp_gt_u32 s15, 2
	s_cbranch_scc1 .LBB88_3
.LBB88_4:
	s_mul_i32 s8, s14, s13
	s_sub_i32 s8, s12, s8
	s_add_i32 s9, s14, 1
	s_sub_i32 s15, s8, s13
	s_cmp_ge_u32 s8, s13
	s_cselect_b32 s9, s9, s14
	s_cselect_b32 s8, s15, s8
	s_add_i32 s14, s9, 1
	s_cmp_ge_u32 s8, s13
	s_cselect_b32 s8, s14, s9
	s_load_dwordx2 s[24:25], s[4:5], 0x1c0
	s_mul_i32 s9, s8, s13
	s_sub_i32 s4, s12, s9
	s_mul_i32 s4, s4, s1
	s_mul_i32 s0, s8, s0
	s_add_i32 s4, s0, s4
	s_waitcnt lgkmcnt(0)
	s_bitcmp1_b32 s25, 0
	s_cselect_b64 s[0:1], -1, 0
	s_add_u32 s26, s6, s4
	s_addc_u32 s27, s7, 0
	s_xor_b64 s[8:9], s[0:1], -1
	v_cndmask_b32_e64 v3, 0, -1, s[8:9]
	v_lshlrev_b16_e32 v1, 8, v3
	v_or_b32_sdwa v1, v3, v1 dst_sel:DWORD dst_unused:UNUSED_PAD src0_sel:BYTE_0 src1_sel:DWORD
	v_lshlrev_b32_e32 v2, 16, v1
	v_or_b32_sdwa v2, v1, v2 dst_sel:DWORD dst_unused:UNUSED_PAD src0_sel:WORD_0 src1_sel:DWORD
	v_cmp_gt_u32_e64 s[0:1], s21, v0
	v_mul_lo_u32 v28, v0, s22
	s_and_saveexec_b64 s[4:5], s[0:1]
	s_cbranch_execz .LBB88_6
; %bb.5:
	global_load_ubyte v3, v28, s[26:27]
	s_mov_b32 s6, 0x3020104
	s_waitcnt vmcnt(0)
	v_perm_b32 v2, v3, v2, s6
.LBB88_6:
	s_or_b64 exec, exec, s[4:5]
	v_or_b32_e32 v1, 32, v0
	v_cmp_gt_u32_e64 s[6:7], s21, v1
	s_and_saveexec_b64 s[4:5], s[6:7]
	s_cbranch_execz .LBB88_8
; %bb.7:
	v_mul_lo_u32 v4, v1, s22
	global_load_ubyte v4, v4, s[26:27]
	s_mov_b32 s12, 0x7060004
	s_waitcnt vmcnt(0)
	v_perm_b32 v2, v2, v4, s12
.LBB88_8:
	s_or_b64 exec, exec, s[4:5]
	s_load_dwordx2 s[12:13], s[2:3], 0x0
	v_or_b32_e32 v10, 64, v0
	v_cmp_gt_u32_e64 s[4:5], s21, v10
	s_and_saveexec_b64 s[14:15], s[4:5]
	s_cbranch_execz .LBB88_10
; %bb.9:
	v_mul_lo_u32 v4, v10, s22
	global_load_ubyte v4, v4, s[26:27]
	s_mov_b32 s16, 0x7000504
	s_waitcnt vmcnt(0)
	v_perm_b32 v2, v2, v4, s16
.LBB88_10:
	s_or_b64 exec, exec, s[14:15]
	s_load_dword s16, s[2:3], 0x6c
	v_or_b32_e32 v11, 0x60, v0
	v_cmp_gt_u32_e64 s[2:3], s21, v11
	s_and_saveexec_b64 s[14:15], s[2:3]
	s_cbranch_execz .LBB88_12
; %bb.11:
	v_mul_lo_u32 v4, v11, s22
	global_load_ubyte v4, v4, s[26:27]
	s_mov_b32 s17, 0x60504
	s_waitcnt vmcnt(0)
	v_perm_b32 v2, v2, v4, s17
.LBB88_12:
	s_or_b64 exec, exec, s[14:15]
	ds_write_b8 v0, v3
	v_lshrrev_b32_e32 v3, 8, v2
	ds_write_b8 v0, v3 offset:32
	ds_write_b8_d16_hi v0, v2 offset:64
	v_lshrrev_b32_e32 v2, 24, v2
	v_lshlrev_b32_e32 v29, 2, v0
	ds_write_b8 v0, v2 offset:96
	s_waitcnt lgkmcnt(0)
	; wave barrier
	s_waitcnt lgkmcnt(0)
	ds_read_u8 v37, v29
	ds_read_u8 v36, v29 offset:1
	ds_read_u8 v35, v29 offset:2
	ds_read_u8 v34, v29 offset:3
	s_mul_i32 s10, s16, s10
	s_add_i32 s36, s10, s11
	s_mov_b32 s37, 0
	s_lshl_b64 s[10:11], s[36:37], 3
	s_mov_b32 s36, s37
	s_add_u32 s23, s12, s10
	s_mov_b32 s38, s37
	s_mov_b32 s39, s37
	s_mov_b32 s40, s37
	s_mov_b32 s41, s37
	s_mov_b32 s42, s37
	s_mov_b32 s43, s37
	v_pk_mov_b32 v[2:3], s[36:37], s[36:37] op_sel:[0,1]
	s_addc_u32 s25, s13, s11
	v_pk_mov_b32 v[4:5], s[38:39], s[38:39] op_sel:[0,1]
	v_pk_mov_b32 v[6:7], s[40:41], s[40:41] op_sel:[0,1]
	;; [unrolled: 1-line block ×3, first 2 shown]
	v_pk_mov_b32 v[2:3], 0, 0
	v_mul_lo_u32 v18, v0, s24
	s_waitcnt lgkmcnt(0)
	; wave barrier
	s_waitcnt lgkmcnt(0)
	s_and_saveexec_b64 s[10:11], s[0:1]
	s_cbranch_execnz .LBB88_26
; %bb.13:
	s_or_b64 exec, exec, s[10:11]
	s_and_saveexec_b64 s[10:11], s[6:7]
	s_cbranch_execnz .LBB88_27
.LBB88_14:
	s_or_b64 exec, exec, s[10:11]
	s_and_saveexec_b64 s[10:11], s[4:5]
	s_cbranch_execz .LBB88_16
.LBB88_15:
	v_mul_lo_u32 v6, v10, s24
	v_mov_b32_e32 v7, 0
	v_lshlrev_b64 v[6:7], 3, v[6:7]
	v_mov_b32_e32 v12, s25
	v_add_co_u32_e32 v6, vcc, s23, v6
	v_addc_co_u32_e32 v7, vcc, v12, v7, vcc
	global_load_dwordx2 v[6:7], v[6:7], off
.LBB88_16:
	s_or_b64 exec, exec, s[10:11]
	v_lshrrev_b32_e32 v14, 5, v1
	v_lshrrev_b32_e32 v13, 5, v10
	;; [unrolled: 1-line block ×4, first 2 shown]
	s_and_saveexec_b64 s[10:11], s[2:3]
	s_cbranch_execz .LBB88_18
; %bb.17:
	v_mul_lo_u32 v8, v11, s24
	v_mov_b32_e32 v9, 0
	v_lshlrev_b64 v[8:9], 3, v[8:9]
	v_mov_b32_e32 v11, s25
	v_add_co_u32_e32 v8, vcc, s23, v8
	v_addc_co_u32_e32 v9, vcc, v11, v9, vcc
	global_load_dwordx2 v[8:9], v[8:9], off
.LBB88_18:
	s_or_b64 exec, exec, s[10:11]
	v_lshlrev_b32_e32 v30, 3, v0
	v_add_lshl_u32 v19, v14, v0, 3
	v_add_lshl_u32 v31, v13, v0, 3
	;; [unrolled: 1-line block ×4, first 2 shown]
	s_waitcnt vmcnt(0)
	ds_write_b64 v30, v[2:3]
	ds_write_b64 v19, v[4:5] offset:256
	ds_write_b64 v31, v[6:7] offset:512
	;; [unrolled: 1-line block ×3, first 2 shown]
	s_waitcnt lgkmcnt(0)
	; wave barrier
	s_waitcnt lgkmcnt(0)
	ds_read2_b64 v[2:5], v33 offset1:1
	ds_read2_b64 v[6:9], v33 offset0:2 offset1:3
	s_and_b64 vcc, exec, s[8:9]
	s_waitcnt lgkmcnt(0)
	; wave barrier
	s_waitcnt lgkmcnt(0)
	s_cbranch_vccz .LBB88_28
; %bb.19:
	s_movk_i32 s8, 0x100
	v_cmp_gt_u32_e64 s[8:9], s8, v0
	s_getpc_b64 s[10:11]
	s_add_u32 s10, s10, _ZN7rocprim17ROCPRIM_400000_NS16block_radix_sortIhLj32ELj4ElLj1ELj1ELj0ELNS0_26block_radix_rank_algorithmE1ELNS0_18block_padding_hintE2ELNS0_4arch9wavefront6targetE1EE19radix_bits_per_passE@rel32@lo+4
	s_addc_u32 s11, s11, _ZN7rocprim17ROCPRIM_400000_NS16block_radix_sortIhLj32ELj4ElLj1ELj1ELj0ELNS0_26block_radix_rank_algorithmE1ELNS0_18block_padding_hintE2ELNS0_4arch9wavefront6targetE1EE19radix_bits_per_passE@rel32@hi+12
	s_and_saveexec_b64 s[12:13], s[8:9]
	s_cbranch_execz .LBB88_29
; %bb.20:
	s_mov_b32 s20, 0
	s_mov_b64 s[14:15], 0
	v_mov_b32_e32 v12, 0
	v_pk_mov_b32 v[10:11], v[0:1], v[0:1] op_sel:[0,1]
	s_branch .LBB88_22
.LBB88_21:                              ;   in Loop: Header=BB88_22 Depth=1
	s_or_b64 exec, exec, s[18:19]
	s_add_i32 s20, s20, 2
	v_cmp_eq_u32_e64 s[16:17], 8, s20
	v_add_u32_e32 v11, 64, v11
	s_or_b64 s[14:15], s[16:17], s[14:15]
	v_add_u32_e32 v10, 64, v10
	s_andn2_b64 exec, exec, s[14:15]
	s_cbranch_execz .LBB88_29
.LBB88_22:                              ; =>This Inner Loop Header: Depth=1
	s_or_b32 s16, s20, 1
	v_cmp_le_u32_e64 s[16:17], s16, 7
	v_cmp_le_u32_e64 s[28:29], s20, 7
	s_and_saveexec_b64 s[18:19], s[28:29]
	s_cbranch_execz .LBB88_24
; %bb.23:                               ;   in Loop: Header=BB88_22 Depth=1
	v_lshlrev_b32_e32 v13, 2, v10
	ds_write_b32 v13, v12
.LBB88_24:                              ;   in Loop: Header=BB88_22 Depth=1
	s_or_b64 exec, exec, s[18:19]
	s_and_saveexec_b64 s[18:19], s[16:17]
	s_cbranch_execz .LBB88_21
; %bb.25:                               ;   in Loop: Header=BB88_22 Depth=1
	v_lshlrev_b32_e32 v13, 2, v11
	ds_write_b32 v13, v12
	s_branch .LBB88_21
.LBB88_26:
	v_mov_b32_e32 v19, 0
	v_lshlrev_b64 v[2:3], 3, v[18:19]
	v_mov_b32_e32 v4, s25
	v_add_co_u32_e32 v2, vcc, s23, v2
	v_addc_co_u32_e32 v3, vcc, v4, v3, vcc
	global_load_dwordx2 v[2:3], v[2:3], off
	v_mov_b32_e32 v4, v19
	v_mov_b32_e32 v5, v19
	;; [unrolled: 1-line block ×6, first 2 shown]
	s_or_b64 exec, exec, s[10:11]
	s_and_saveexec_b64 s[10:11], s[6:7]
	s_cbranch_execz .LBB88_14
.LBB88_27:
	v_mul_lo_u32 v4, v1, s24
	v_mov_b32_e32 v5, 0
	v_lshlrev_b64 v[4:5], 3, v[4:5]
	v_mov_b32_e32 v12, s25
	v_add_co_u32_e32 v4, vcc, s23, v4
	v_addc_co_u32_e32 v5, vcc, v12, v5, vcc
	global_load_dwordx2 v[4:5], v[4:5], off
	s_or_b64 exec, exec, s[10:11]
	s_and_saveexec_b64 s[10:11], s[4:5]
	s_cbranch_execnz .LBB88_15
	s_branch .LBB88_16
.LBB88_28:
                                        ; implicit-def: $vgpr16_vgpr17
                                        ; implicit-def: $vgpr12_vgpr13
                                        ; implicit-def: $vgpr20
	s_cbranch_execnz .LBB88_41
	s_branch .LBB88_60
.LBB88_29:
	s_or_b64 exec, exec, s[12:13]
	s_load_dword s33, s[10:11], 0x0
	s_movk_i32 s11, 0xe0
	v_lshlrev_b32_e32 v38, 5, v0
	s_waitcnt lgkmcnt(0)
	s_min_u32 s10, s33, 8
	s_lshl_b32 s10, -1, s10
	s_not_b32 s10, s10
	v_and_b32_e32 v10, s10, v37
	v_bfe_u32 v11, v10, 3, 5
	v_lshlrev_b32_e32 v10, 5, v10
	v_and_or_b32 v10, v10, s11, v0
	v_lshlrev_b32_e32 v10, 1, v10
	v_add_lshl_u32 v21, v10, v11, 1
	ds_read_u16 v20, v21
	v_and_b32_e32 v10, s10, v36
	v_bfe_u32 v11, v10, 3, 5
	v_lshlrev_b32_e32 v10, 5, v10
	v_and_or_b32 v10, v10, s11, v0
	s_waitcnt lgkmcnt(0)
	v_add_u16_e32 v12, 1, v20
	v_lshlrev_b32_e32 v10, 1, v10
	ds_write_b16 v21, v12
	v_add_lshl_u32 v24, v10, v11, 1
	ds_read_u16 v23, v24
	v_and_b32_e32 v10, s10, v35
	s_waitcnt lgkmcnt(0)
	v_add_u16_e32 v11, 1, v23
	ds_write_b16 v24, v11
	v_bfe_u32 v11, v10, 3, 5
	v_lshlrev_b32_e32 v10, 5, v10
	v_and_or_b32 v10, v10, s11, v0
	v_lshlrev_b32_e32 v10, 1, v10
	v_add_lshl_u32 v26, v10, v11, 1
	ds_read_u16 v25, v26
	v_mbcnt_lo_u32_b32 v10, -1, 0
	v_mbcnt_hi_u32_b32 v41, -1, v10
	v_and_b32_e32 v10, s10, v34
	v_and_b32_e32 v22, 15, v41
	s_waitcnt lgkmcnt(0)
	v_add_u16_e32 v11, 1, v25
	ds_write_b16 v26, v11
	v_bfe_u32 v11, v10, 3, 5
	v_lshlrev_b32_e32 v10, 5, v10
	v_and_or_b32 v10, v10, s11, v0
	v_lshlrev_b32_e32 v10, 1, v10
	v_add_lshl_u32 v39, v10, v11, 1
	ds_read_u16 v27, v39
	v_and_b32_e32 v10, 16, v41
	v_cmp_eq_u32_e32 vcc, 0, v10
	v_cmp_eq_u32_e64 s[14:15], 0, v22
	v_cmp_lt_u32_e64 s[16:17], 1, v22
	s_waitcnt lgkmcnt(0)
	v_add_u16_e32 v10, 1, v27
	ds_write_b16 v39, v10
	s_waitcnt lgkmcnt(0)
	; wave barrier
	s_waitcnt lgkmcnt(0)
	ds_read2_b32 v[16:17], v38 offset1:1
	ds_read2_b32 v[14:15], v38 offset0:2 offset1:3
	ds_read2_b32 v[10:11], v38 offset0:4 offset1:5
	;; [unrolled: 1-line block ×3, first 2 shown]
	v_cmp_lt_u32_e64 s[18:19], 3, v22
	s_waitcnt lgkmcnt(3)
	v_add_u32_e32 v42, v17, v16
	s_waitcnt lgkmcnt(2)
	v_add3_u32 v42, v42, v14, v15
	s_waitcnt lgkmcnt(1)
	v_add3_u32 v42, v42, v10, v11
	;; [unrolled: 2-line block ×3, first 2 shown]
	v_cmp_lt_u32_e64 s[20:21], 7, v22
	v_bfe_i32 v40, v41, 4, 1
	v_mov_b32_dpp v42, v13 row_shr:1 row_mask:0xf bank_mask:0xf
	v_cndmask_b32_e64 v42, v42, 0, s[14:15]
	v_add_u32_e32 v13, v42, v13
	v_cmp_eq_u32_e64 s[10:11], 31, v0
	s_nop 0
	v_mov_b32_dpp v42, v13 row_shr:2 row_mask:0xf bank_mask:0xf
	v_cndmask_b32_e64 v42, 0, v42, s[16:17]
	v_add_u32_e32 v13, v13, v42
	s_nop 1
	v_mov_b32_dpp v42, v13 row_shr:4 row_mask:0xf bank_mask:0xf
	v_cndmask_b32_e64 v42, 0, v42, s[18:19]
	v_add_u32_e32 v13, v13, v42
	;; [unrolled: 4-line block ×3, first 2 shown]
	s_nop 1
	v_mov_b32_dpp v22, v13 row_bcast:15 row_mask:0xf bank_mask:0xf
	v_and_b32_e32 v22, v40, v22
	v_add_u32_e32 v13, v13, v22
	s_and_saveexec_b64 s[12:13], s[10:11]
	s_cbranch_execz .LBB88_31
; %bb.30:
	v_mov_b32_e32 v22, 0
	ds_write_b32 v22, v13 offset:1024
.LBB88_31:
	s_or_b64 exec, exec, s[12:13]
	v_add_u32_e32 v22, -1, v41
	v_and_b32_e32 v40, 0x60, v41
	v_cmp_lt_i32_e64 s[12:13], v22, v40
	v_cndmask_b32_e64 v22, v22, v41, s[12:13]
	v_lshlrev_b32_e32 v40, 2, v22
	ds_bpermute_b32 v13, v40, v13
	v_mov_b32_e32 v22, 0
	s_waitcnt lgkmcnt(0)
	; wave barrier
	s_waitcnt lgkmcnt(0)
	ds_read_b32 v42, v22 offset:1024
	v_cmp_eq_u32_e64 s[12:13], 0, v41
	v_cndmask_b32_e64 v13, v13, 0, s[12:13]
	s_waitcnt lgkmcnt(0)
	v_lshl_add_u32 v13, v42, 16, v13
	v_add_u32_e32 v16, v13, v16
	v_add_u32_e32 v17, v16, v17
	;; [unrolled: 1-line block ×7, first 2 shown]
	ds_write2_b32 v38, v13, v16 offset1:1
	ds_write2_b32 v38, v17, v14 offset0:2 offset1:3
	ds_write2_b32 v38, v15, v10 offset0:4 offset1:5
	;; [unrolled: 1-line block ×3, first 2 shown]
	s_waitcnt lgkmcnt(0)
	; wave barrier
	s_waitcnt lgkmcnt(0)
	ds_read_u16 v10, v21
	ds_read_u16 v11, v24
	;; [unrolled: 1-line block ×4, first 2 shown]
	s_waitcnt lgkmcnt(0)
	v_add_u32_sdwa v10, v10, v20 dst_sel:DWORD dst_unused:UNUSED_PAD src0_sel:DWORD src1_sel:WORD_0
	v_add_u32_sdwa v11, v11, v23 dst_sel:DWORD dst_unused:UNUSED_PAD src0_sel:DWORD src1_sel:WORD_0
	;; [unrolled: 1-line block ×4, first 2 shown]
	; wave barrier
	ds_write_b8 v10, v37
	ds_write_b8 v11, v36
	;; [unrolled: 1-line block ×4, first 2 shown]
	v_lshlrev_b32_e32 v10, 3, v10
	s_waitcnt lgkmcnt(0)
	; wave barrier
	s_waitcnt lgkmcnt(0)
	ds_read_u8 v41, v29
	ds_read_u8 v42, v29 offset:1
	ds_read_u8 v43, v29 offset:2
	;; [unrolled: 1-line block ×3, first 2 shown]
	s_waitcnt lgkmcnt(0)
	; wave barrier
	s_waitcnt lgkmcnt(0)
	ds_write_b64 v10, v[2:3]
	v_lshlrev_b32_e32 v10, 3, v11
	ds_write_b64 v10, v[4:5]
	v_lshlrev_b32_e32 v10, 3, v12
	v_lshlrev_b32_e32 v39, 3, v29
	ds_write_b64 v10, v[6:7]
	v_lshlrev_b32_e32 v10, 3, v13
	ds_write_b64 v10, v[8:9]
	s_waitcnt lgkmcnt(0)
	; wave barrier
	s_waitcnt lgkmcnt(0)
	ds_read2_b64 v[14:17], v39 offset1:1
	ds_read2_b64 v[10:13], v39 offset0:2 offset1:3
	s_waitcnt lgkmcnt(0)
	; wave barrier
	s_waitcnt lgkmcnt(0)
	s_and_saveexec_b64 s[28:29], s[8:9]
	s_cbranch_execz .LBB88_38
; %bb.32:
	s_mov_b32 s36, 0
	s_mov_b64 s[8:9], 0
	v_pk_mov_b32 v[20:21], v[0:1], v[0:1] op_sel:[0,1]
	s_branch .LBB88_34
.LBB88_33:                              ;   in Loop: Header=BB88_34 Depth=1
	s_or_b64 exec, exec, s[34:35]
	s_add_i32 s36, s36, 2
	v_cmp_eq_u32_e64 s[30:31], 8, s36
	v_add_u32_e32 v21, 64, v21
	s_or_b64 s[8:9], s[30:31], s[8:9]
	v_add_u32_e32 v20, 64, v20
	s_andn2_b64 exec, exec, s[8:9]
	s_cbranch_execz .LBB88_38
.LBB88_34:                              ; =>This Inner Loop Header: Depth=1
	s_or_b32 s30, s36, 1
	v_cmp_le_u32_e64 s[30:31], s30, 7
	v_cmp_le_u32_e64 s[38:39], s36, 7
	s_and_saveexec_b64 s[34:35], s[38:39]
	s_cbranch_execz .LBB88_36
; %bb.35:                               ;   in Loop: Header=BB88_34 Depth=1
	v_lshlrev_b32_e32 v23, 2, v20
	ds_write_b32 v23, v22
.LBB88_36:                              ;   in Loop: Header=BB88_34 Depth=1
	s_or_b64 exec, exec, s[34:35]
	s_and_saveexec_b64 s[34:35], s[30:31]
	s_cbranch_execz .LBB88_33
; %bb.37:                               ;   in Loop: Header=BB88_34 Depth=1
	v_lshlrev_b32_e32 v23, 2, v21
	ds_write_b32 v23, v22
	s_branch .LBB88_33
.LBB88_38:
	s_or_b64 exec, exec, s[28:29]
	s_min_u32 s8, s33, 4
	s_lshl_b32 s8, -1, s8
	v_lshrrev_b16_e32 v20, 4, v41
	s_not_b32 s8, s8
	v_and_b32_e32 v20, 15, v20
	v_and_b32_sdwa v20, v20, s8 dst_sel:DWORD dst_unused:UNUSED_PAD src0_sel:WORD_0 src1_sel:DWORD
	v_lshlrev_b32_e32 v21, 5, v20
	s_movk_i32 s9, 0xe0
	v_lshrrev_b32_e32 v20, 2, v20
	v_and_or_b32 v21, v21, s9, v0
	v_and_b32_e32 v20, 2, v20
	v_lshl_or_b32 v46, v21, 2, v20
	ds_read_u16 v45, v46
	s_waitcnt lgkmcnt(0)
	v_add_u16_e32 v20, 1, v45
	ds_write_b16 v46, v20
	v_lshrrev_b16_e32 v20, 4, v42
	v_and_b32_e32 v20, 15, v20
	v_and_b32_sdwa v20, v20, s8 dst_sel:DWORD dst_unused:UNUSED_PAD src0_sel:WORD_0 src1_sel:DWORD
	v_lshlrev_b32_e32 v21, 5, v20
	v_lshrrev_b32_e32 v20, 2, v20
	v_and_or_b32 v21, v21, s9, v0
	v_and_b32_e32 v20, 2, v20
	v_lshl_or_b32 v48, v21, 2, v20
	ds_read_u16 v47, v48
	s_waitcnt lgkmcnt(0)
	v_add_u16_e32 v20, 1, v47
	ds_write_b16 v48, v20
	v_lshrrev_b16_e32 v20, 4, v43
	v_and_b32_e32 v20, 15, v20
	v_and_b32_sdwa v20, v20, s8 dst_sel:DWORD dst_unused:UNUSED_PAD src0_sel:WORD_0 src1_sel:DWORD
	v_lshlrev_b32_e32 v21, 5, v20
	;; [unrolled: 12-line block ×3, first 2 shown]
	v_lshrrev_b32_e32 v20, 2, v20
	v_and_or_b32 v21, v21, s9, v0
	v_and_b32_e32 v20, 2, v20
	v_lshl_or_b32 v52, v21, 2, v20
	ds_read_u16 v51, v52
	s_waitcnt lgkmcnt(0)
	v_add_u16_e32 v20, 1, v51
	ds_write_b16 v52, v20
	s_waitcnt lgkmcnt(0)
	; wave barrier
	s_waitcnt lgkmcnt(0)
	ds_read2_b32 v[26:27], v38 offset1:1
	ds_read2_b32 v[24:25], v38 offset0:2 offset1:3
	ds_read2_b32 v[20:21], v38 offset0:4 offset1:5
	ds_read2_b32 v[22:23], v38 offset0:6 offset1:7
	s_waitcnt lgkmcnt(3)
	v_add_u32_e32 v53, v27, v26
	s_waitcnt lgkmcnt(2)
	v_add3_u32 v53, v53, v24, v25
	s_waitcnt lgkmcnt(1)
	v_add3_u32 v53, v53, v20, v21
	;; [unrolled: 2-line block ×3, first 2 shown]
	s_nop 1
	v_mov_b32_dpp v53, v23 row_shr:1 row_mask:0xf bank_mask:0xf
	v_cndmask_b32_e64 v53, v53, 0, s[14:15]
	v_add_u32_e32 v23, v53, v23
	s_nop 1
	v_mov_b32_dpp v53, v23 row_shr:2 row_mask:0xf bank_mask:0xf
	v_cndmask_b32_e64 v53, 0, v53, s[16:17]
	v_add_u32_e32 v23, v23, v53
	;; [unrolled: 4-line block ×4, first 2 shown]
	s_nop 1
	v_mov_b32_dpp v53, v23 row_bcast:15 row_mask:0xf bank_mask:0xf
	v_cndmask_b32_e64 v53, v53, 0, vcc
	v_add_u32_e32 v23, v23, v53
	s_and_saveexec_b64 s[8:9], s[10:11]
	s_cbranch_execz .LBB88_40
; %bb.39:
	v_mov_b32_e32 v53, 0
	ds_write_b32 v53, v23 offset:1024
.LBB88_40:
	s_or_b64 exec, exec, s[8:9]
	ds_bpermute_b32 v23, v40, v23
	v_mov_b32_e32 v40, 0
	s_waitcnt lgkmcnt(0)
	; wave barrier
	s_waitcnt lgkmcnt(0)
	ds_read_b32 v40, v40 offset:1024
	v_cndmask_b32_e64 v23, v23, 0, s[12:13]
	s_waitcnt lgkmcnt(0)
	v_lshl_add_u32 v23, v40, 16, v23
	v_add_u32_e32 v26, v23, v26
	v_add_u32_e32 v27, v26, v27
	;; [unrolled: 1-line block ×7, first 2 shown]
	ds_write2_b32 v38, v23, v26 offset1:1
	ds_write2_b32 v38, v27, v24 offset0:2 offset1:3
	ds_write2_b32 v38, v25, v20 offset0:4 offset1:5
	;; [unrolled: 1-line block ×3, first 2 shown]
	s_waitcnt lgkmcnt(0)
	; wave barrier
	s_waitcnt lgkmcnt(0)
	ds_read_u16 v20, v52
	ds_read_u16 v21, v50
	;; [unrolled: 1-line block ×4, first 2 shown]
	s_waitcnt lgkmcnt(0)
	v_add_u32_sdwa v20, v20, v51 dst_sel:DWORD dst_unused:UNUSED_PAD src0_sel:DWORD src1_sel:WORD_0
	v_add_u32_sdwa v21, v21, v49 dst_sel:DWORD dst_unused:UNUSED_PAD src0_sel:DWORD src1_sel:WORD_0
	;; [unrolled: 1-line block ×4, first 2 shown]
	; wave barrier
	ds_write_b8 v23, v41
	ds_write_b8 v22, v42
	ds_write_b8 v21, v43
	ds_write_b8 v20, v44
	v_lshlrev_b32_e32 v23, 3, v23
	s_waitcnt lgkmcnt(0)
	; wave barrier
	s_waitcnt lgkmcnt(0)
	ds_read_u8 v24, v29 offset:1
	ds_read_u8 v25, v29
	ds_read_u8 v26, v29 offset:2
	ds_read_u8 v27, v29 offset:3
	s_waitcnt lgkmcnt(0)
	; wave barrier
	s_waitcnt lgkmcnt(0)
	ds_write_b64 v23, v[14:15]
	v_lshlrev_b32_e32 v14, 3, v22
	ds_write_b64 v14, v[16:17]
	v_lshlrev_b32_e32 v14, 3, v21
	;; [unrolled: 2-line block ×3, first 2 shown]
	ds_write_b64 v10, v[12:13]
	s_waitcnt lgkmcnt(0)
	; wave barrier
	s_waitcnt lgkmcnt(0)
	ds_read2_b64 v[10:13], v39 offset1:1
	ds_read2_b64 v[14:17], v39 offset0:2 offset1:3
	v_lshlrev_b16_e32 v24, 8, v24
	v_lshlrev_b16_e32 v20, 8, v27
	v_or_b32_e32 v24, v25, v24
	v_or_b32_sdwa v20, v26, v20 dst_sel:WORD_1 dst_unused:UNUSED_PAD src0_sel:DWORD src1_sel:DWORD
	v_or_b32_sdwa v20, v24, v20 dst_sel:DWORD dst_unused:UNUSED_PAD src0_sel:WORD_0 src1_sel:DWORD
	s_branch .LBB88_60
.LBB88_41:
	s_movk_i32 s8, 0x100
	v_cmp_gt_u32_e64 s[8:9], s8, v0
	s_getpc_b64 s[10:11]
	s_add_u32 s10, s10, _ZN7rocprim17ROCPRIM_400000_NS16block_radix_sortIhLj32ELj4ElLj1ELj1ELj0ELNS0_26block_radix_rank_algorithmE1ELNS0_18block_padding_hintE2ELNS0_4arch9wavefront6targetE1EE19radix_bits_per_passE@rel32@lo+4
	s_addc_u32 s11, s11, _ZN7rocprim17ROCPRIM_400000_NS16block_radix_sortIhLj32ELj4ElLj1ELj1ELj0ELNS0_26block_radix_rank_algorithmE1ELNS0_18block_padding_hintE2ELNS0_4arch9wavefront6targetE1EE19radix_bits_per_passE@rel32@hi+12
	s_and_saveexec_b64 s[12:13], s[8:9]
	s_cbranch_execz .LBB88_48
; %bb.42:
	s_mov_b32 s20, 0
	s_mov_b64 s[14:15], 0
	s_waitcnt lgkmcnt(1)
	v_mov_b32_e32 v12, 0
	v_pk_mov_b32 v[10:11], v[0:1], v[0:1] op_sel:[0,1]
	s_branch .LBB88_44
.LBB88_43:                              ;   in Loop: Header=BB88_44 Depth=1
	s_or_b64 exec, exec, s[18:19]
	s_add_i32 s20, s20, 2
	v_cmp_eq_u32_e64 s[16:17], 8, s20
	v_add_u32_e32 v11, 64, v11
	s_or_b64 s[14:15], s[16:17], s[14:15]
	v_add_u32_e32 v10, 64, v10
	s_andn2_b64 exec, exec, s[14:15]
	s_cbranch_execz .LBB88_48
.LBB88_44:                              ; =>This Inner Loop Header: Depth=1
	s_or_b32 s16, s20, 1
	v_cmp_le_u32_e64 s[16:17], s16, 7
	v_cmp_le_u32_e64 s[28:29], s20, 7
	s_and_saveexec_b64 s[18:19], s[28:29]
	s_cbranch_execz .LBB88_46
; %bb.45:                               ;   in Loop: Header=BB88_44 Depth=1
	v_lshlrev_b32_e32 v13, 2, v10
	ds_write_b32 v13, v12
.LBB88_46:                              ;   in Loop: Header=BB88_44 Depth=1
	s_or_b64 exec, exec, s[18:19]
	s_and_saveexec_b64 s[18:19], s[16:17]
	s_cbranch_execz .LBB88_43
; %bb.47:                               ;   in Loop: Header=BB88_44 Depth=1
	v_lshlrev_b32_e32 v13, 2, v11
	ds_write_b32 v13, v12
	s_branch .LBB88_43
.LBB88_48:
	s_or_b64 exec, exec, s[12:13]
	s_load_dword s33, s[10:11], 0x0
	v_xor_b32_e32 v23, -1, v37
	s_movk_i32 s11, 0xe0
	v_xor_b32_e32 v24, -1, v36
	v_xor_b32_e32 v26, -1, v35
	s_waitcnt lgkmcnt(0)
	s_min_u32 s10, s33, 8
	s_lshl_b32 s10, -1, s10
	s_not_b32 s10, s10
	v_and_b32_e32 v10, s10, v23
	v_bfe_u32 v11, v10, 3, 5
	v_lshlrev_b32_e32 v10, 5, v10
	v_and_or_b32 v10, v10, s11, v0
	v_lshlrev_b32_e32 v10, 1, v10
	v_add_lshl_u32 v21, v10, v11, 1
	ds_read_u16 v25, v21
	v_xor_b32_e32 v34, -1, v34
	v_lshlrev_b32_e32 v20, 5, v0
	s_waitcnt lgkmcnt(0)
	v_add_u16_e32 v10, 1, v25
	ds_write_b16 v21, v10
	v_and_b32_e32 v10, s10, v24
	v_bfe_u32 v11, v10, 3, 5
	v_lshlrev_b32_e32 v10, 5, v10
	v_and_or_b32 v10, v10, s11, v0
	v_lshlrev_b32_e32 v10, 1, v10
	v_add_lshl_u32 v36, v10, v11, 1
	ds_read_u16 v27, v36
	s_waitcnt lgkmcnt(0)
	v_add_u16_e32 v10, 1, v27
	ds_write_b16 v36, v10
	v_and_b32_e32 v10, s10, v26
	v_bfe_u32 v11, v10, 3, 5
	v_lshlrev_b32_e32 v10, 5, v10
	v_and_or_b32 v10, v10, s11, v0
	v_lshlrev_b32_e32 v10, 1, v10
	v_add_lshl_u32 v37, v10, v11, 1
	ds_read_u16 v35, v37
	v_mbcnt_lo_u32_b32 v10, -1, 0
	v_mbcnt_hi_u32_b32 v40, -1, v10
	v_and_b32_e32 v22, 15, v40
	v_cmp_eq_u32_e64 s[14:15], 0, v22
	s_waitcnt lgkmcnt(0)
	v_add_u16_e32 v10, 1, v35
	ds_write_b16 v37, v10
	v_and_b32_e32 v10, s10, v34
	v_bfe_u32 v11, v10, 3, 5
	v_lshlrev_b32_e32 v10, 5, v10
	v_and_or_b32 v10, v10, s11, v0
	v_lshlrev_b32_e32 v10, 1, v10
	v_add_lshl_u32 v39, v10, v11, 1
	ds_read_u16 v38, v39
	v_and_b32_e32 v10, 16, v40
	v_cmp_eq_u32_e32 vcc, 0, v10
	v_cmp_lt_u32_e64 s[16:17], 1, v22
	v_cmp_lt_u32_e64 s[18:19], 3, v22
	s_waitcnt lgkmcnt(0)
	v_add_u16_e32 v10, 1, v38
	ds_write_b16 v39, v10
	s_waitcnt lgkmcnt(0)
	; wave barrier
	s_waitcnt lgkmcnt(0)
	ds_read2_b32 v[16:17], v20 offset1:1
	ds_read2_b32 v[14:15], v20 offset0:2 offset1:3
	ds_read2_b32 v[10:11], v20 offset0:4 offset1:5
	;; [unrolled: 1-line block ×3, first 2 shown]
	v_cmp_lt_u32_e64 s[20:21], 7, v22
	s_waitcnt lgkmcnt(3)
	v_add_u32_e32 v42, v17, v16
	s_waitcnt lgkmcnt(2)
	v_add3_u32 v42, v42, v14, v15
	s_waitcnt lgkmcnt(1)
	v_add3_u32 v42, v42, v10, v11
	;; [unrolled: 2-line block ×3, first 2 shown]
	v_bfe_i32 v41, v40, 4, 1
	v_cmp_eq_u32_e64 s[10:11], 31, v0
	v_mov_b32_dpp v42, v13 row_shr:1 row_mask:0xf bank_mask:0xf
	v_cndmask_b32_e64 v42, v42, 0, s[14:15]
	v_add_u32_e32 v13, v42, v13
	s_nop 1
	v_mov_b32_dpp v42, v13 row_shr:2 row_mask:0xf bank_mask:0xf
	v_cndmask_b32_e64 v42, 0, v42, s[16:17]
	v_add_u32_e32 v13, v13, v42
	s_nop 1
	;; [unrolled: 4-line block ×4, first 2 shown]
	v_mov_b32_dpp v22, v13 row_bcast:15 row_mask:0xf bank_mask:0xf
	v_and_b32_e32 v22, v41, v22
	v_add_u32_e32 v13, v13, v22
	s_and_saveexec_b64 s[12:13], s[10:11]
	s_cbranch_execz .LBB88_50
; %bb.49:
	v_mov_b32_e32 v22, 0
	ds_write_b32 v22, v13 offset:1024
.LBB88_50:
	s_or_b64 exec, exec, s[12:13]
	v_add_u32_e32 v22, -1, v40
	v_and_b32_e32 v41, 0x60, v40
	v_cmp_lt_i32_e64 s[12:13], v22, v41
	v_cndmask_b32_e64 v22, v22, v40, s[12:13]
	v_lshlrev_b32_e32 v22, 2, v22
	ds_bpermute_b32 v41, v22, v13
	v_mov_b32_e32 v13, 0
	s_waitcnt lgkmcnt(0)
	; wave barrier
	s_waitcnt lgkmcnt(0)
	ds_read_b32 v42, v13 offset:1024
	v_cmp_eq_u32_e64 s[12:13], 0, v40
	v_cndmask_b32_e64 v40, v41, 0, s[12:13]
	s_waitcnt lgkmcnt(0)
	v_lshl_add_u32 v40, v42, 16, v40
	v_add_u32_e32 v16, v40, v16
	v_add_u32_e32 v17, v16, v17
	;; [unrolled: 1-line block ×7, first 2 shown]
	ds_write2_b32 v20, v40, v16 offset1:1
	ds_write2_b32 v20, v17, v14 offset0:2 offset1:3
	ds_write2_b32 v20, v15, v10 offset0:4 offset1:5
	;; [unrolled: 1-line block ×3, first 2 shown]
	s_waitcnt lgkmcnt(0)
	; wave barrier
	s_waitcnt lgkmcnt(0)
	ds_read_u16 v10, v21
	ds_read_u16 v11, v36
	;; [unrolled: 1-line block ×4, first 2 shown]
	s_waitcnt lgkmcnt(0)
	v_add_u32_sdwa v10, v10, v25 dst_sel:DWORD dst_unused:UNUSED_PAD src0_sel:DWORD src1_sel:WORD_0
	v_add_u32_sdwa v11, v11, v27 dst_sel:DWORD dst_unused:UNUSED_PAD src0_sel:DWORD src1_sel:WORD_0
	v_add_u32_sdwa v12, v12, v35 dst_sel:DWORD dst_unused:UNUSED_PAD src0_sel:DWORD src1_sel:WORD_0
	v_add_u32_sdwa v14, v14, v38 dst_sel:DWORD dst_unused:UNUSED_PAD src0_sel:DWORD src1_sel:WORD_0
	; wave barrier
	ds_write_b8 v10, v23
	ds_write_b8 v11, v24
	ds_write_b8 v12, v26
	ds_write_b8 v14, v34
	v_lshlrev_b32_e32 v10, 3, v10
	s_waitcnt lgkmcnt(0)
	; wave barrier
	s_waitcnt lgkmcnt(0)
	ds_read_u8 v23, v29
	ds_read_u8 v24, v29 offset:1
	ds_read_u8 v25, v29 offset:2
	ds_read_u8 v26, v29 offset:3
	s_waitcnt lgkmcnt(0)
	; wave barrier
	s_waitcnt lgkmcnt(0)
	ds_write_b64 v10, v[2:3]
	v_lshlrev_b32_e32 v2, 3, v11
	ds_write_b64 v2, v[4:5]
	v_lshlrev_b32_e32 v2, 3, v12
	v_lshlrev_b32_e32 v21, 3, v29
	ds_write_b64 v2, v[6:7]
	v_lshlrev_b32_e32 v2, 3, v14
	ds_write_b64 v2, v[8:9]
	s_waitcnt lgkmcnt(0)
	; wave barrier
	s_waitcnt lgkmcnt(0)
	ds_read2_b64 v[6:9], v21 offset1:1
	ds_read2_b64 v[2:5], v21 offset0:2 offset1:3
	s_waitcnt lgkmcnt(0)
	; wave barrier
	s_waitcnt lgkmcnt(0)
	s_and_saveexec_b64 s[28:29], s[8:9]
	s_cbranch_execz .LBB88_57
; %bb.51:
	s_mov_b32 s36, 0
	s_mov_b64 s[8:9], 0
	v_pk_mov_b32 v[10:11], v[0:1], v[0:1] op_sel:[0,1]
	s_branch .LBB88_53
.LBB88_52:                              ;   in Loop: Header=BB88_53 Depth=1
	s_or_b64 exec, exec, s[34:35]
	s_add_i32 s36, s36, 2
	v_cmp_eq_u32_e64 s[30:31], 8, s36
	v_add_u32_e32 v11, 64, v11
	s_or_b64 s[8:9], s[30:31], s[8:9]
	v_add_u32_e32 v10, 64, v10
	s_andn2_b64 exec, exec, s[8:9]
	s_cbranch_execz .LBB88_57
.LBB88_53:                              ; =>This Inner Loop Header: Depth=1
	s_or_b32 s30, s36, 1
	v_cmp_le_u32_e64 s[30:31], s30, 7
	v_cmp_le_u32_e64 s[38:39], s36, 7
	s_and_saveexec_b64 s[34:35], s[38:39]
	s_cbranch_execz .LBB88_55
; %bb.54:                               ;   in Loop: Header=BB88_53 Depth=1
	v_lshlrev_b32_e32 v1, 2, v10
	ds_write_b32 v1, v13
.LBB88_55:                              ;   in Loop: Header=BB88_53 Depth=1
	s_or_b64 exec, exec, s[34:35]
	s_and_saveexec_b64 s[34:35], s[30:31]
	s_cbranch_execz .LBB88_52
; %bb.56:                               ;   in Loop: Header=BB88_53 Depth=1
	v_lshlrev_b32_e32 v1, 2, v11
	ds_write_b32 v1, v13
	s_branch .LBB88_52
.LBB88_57:
	s_or_b64 exec, exec, s[28:29]
	s_min_u32 s8, s33, 4
	s_lshl_b32 s8, -1, s8
	v_lshrrev_b16_e32 v1, 4, v23
	s_not_b32 s8, s8
	v_and_b32_e32 v1, 15, v1
	v_and_b32_sdwa v1, v1, s8 dst_sel:DWORD dst_unused:UNUSED_PAD src0_sel:WORD_0 src1_sel:DWORD
	v_lshlrev_b32_e32 v10, 5, v1
	s_movk_i32 s9, 0xe0
	v_lshrrev_b32_e32 v1, 2, v1
	v_and_or_b32 v10, v10, s9, v0
	v_and_b32_e32 v1, 2, v1
	v_lshl_or_b32 v27, v10, 2, v1
	ds_read_u16 v1, v27
	s_waitcnt lgkmcnt(0)
	v_add_u16_e32 v10, 1, v1
	ds_write_b16 v27, v10
	v_lshrrev_b16_e32 v10, 4, v24
	v_and_b32_e32 v10, 15, v10
	v_and_b32_sdwa v10, v10, s8 dst_sel:DWORD dst_unused:UNUSED_PAD src0_sel:WORD_0 src1_sel:DWORD
	v_lshlrev_b32_e32 v11, 5, v10
	v_lshrrev_b32_e32 v10, 2, v10
	v_and_or_b32 v11, v11, s9, v0
	v_and_b32_e32 v10, 2, v10
	v_lshl_or_b32 v35, v11, 2, v10
	ds_read_u16 v34, v35
	s_waitcnt lgkmcnt(0)
	v_add_u16_e32 v10, 1, v34
	ds_write_b16 v35, v10
	v_lshrrev_b16_e32 v10, 4, v25
	v_and_b32_e32 v10, 15, v10
	v_and_b32_sdwa v10, v10, s8 dst_sel:DWORD dst_unused:UNUSED_PAD src0_sel:WORD_0 src1_sel:DWORD
	v_lshlrev_b32_e32 v11, 5, v10
	;; [unrolled: 12-line block ×3, first 2 shown]
	v_lshrrev_b32_e32 v10, 2, v10
	v_and_or_b32 v11, v11, s9, v0
	v_and_b32_e32 v10, 2, v10
	v_lshl_or_b32 v39, v11, 2, v10
	ds_read_u16 v38, v39
	s_waitcnt lgkmcnt(0)
	v_add_u16_e32 v10, 1, v38
	ds_write_b16 v39, v10
	s_waitcnt lgkmcnt(0)
	; wave barrier
	s_waitcnt lgkmcnt(0)
	ds_read2_b32 v[16:17], v20 offset1:1
	ds_read2_b32 v[14:15], v20 offset0:2 offset1:3
	ds_read2_b32 v[10:11], v20 offset0:4 offset1:5
	;; [unrolled: 1-line block ×3, first 2 shown]
	s_waitcnt lgkmcnt(3)
	v_add_u32_e32 v40, v17, v16
	s_waitcnt lgkmcnt(2)
	v_add3_u32 v40, v40, v14, v15
	s_waitcnt lgkmcnt(1)
	v_add3_u32 v40, v40, v10, v11
	;; [unrolled: 2-line block ×3, first 2 shown]
	s_nop 1
	v_mov_b32_dpp v40, v13 row_shr:1 row_mask:0xf bank_mask:0xf
	v_cndmask_b32_e64 v40, v40, 0, s[14:15]
	v_add_u32_e32 v13, v40, v13
	s_nop 1
	v_mov_b32_dpp v40, v13 row_shr:2 row_mask:0xf bank_mask:0xf
	v_cndmask_b32_e64 v40, 0, v40, s[16:17]
	v_add_u32_e32 v13, v13, v40
	;; [unrolled: 4-line block ×4, first 2 shown]
	s_nop 1
	v_mov_b32_dpp v40, v13 row_bcast:15 row_mask:0xf bank_mask:0xf
	v_cndmask_b32_e64 v40, v40, 0, vcc
	v_add_u32_e32 v13, v13, v40
	s_and_saveexec_b64 s[8:9], s[10:11]
	s_cbranch_execz .LBB88_59
; %bb.58:
	v_mov_b32_e32 v40, 0
	ds_write_b32 v40, v13 offset:1024
.LBB88_59:
	s_or_b64 exec, exec, s[8:9]
	ds_bpermute_b32 v13, v22, v13
	v_mov_b32_e32 v22, 0
	s_waitcnt lgkmcnt(0)
	; wave barrier
	s_waitcnt lgkmcnt(0)
	ds_read_b32 v22, v22 offset:1024
	v_cndmask_b32_e64 v13, v13, 0, s[12:13]
	s_waitcnt lgkmcnt(0)
	v_lshl_add_u32 v13, v22, 16, v13
	v_add_u32_e32 v16, v13, v16
	v_add_u32_e32 v17, v16, v17
	;; [unrolled: 1-line block ×7, first 2 shown]
	ds_write2_b32 v20, v13, v16 offset1:1
	ds_write2_b32 v20, v17, v14 offset0:2 offset1:3
	ds_write2_b32 v20, v15, v10 offset0:4 offset1:5
	;; [unrolled: 1-line block ×3, first 2 shown]
	s_waitcnt lgkmcnt(0)
	; wave barrier
	s_waitcnt lgkmcnt(0)
	ds_read_u16 v10, v39
	ds_read_u16 v11, v37
	;; [unrolled: 1-line block ×4, first 2 shown]
	s_waitcnt lgkmcnt(0)
	v_add_u32_sdwa v10, v10, v38 dst_sel:DWORD dst_unused:UNUSED_PAD src0_sel:DWORD src1_sel:WORD_0
	v_add_u32_sdwa v11, v11, v36 dst_sel:DWORD dst_unused:UNUSED_PAD src0_sel:DWORD src1_sel:WORD_0
	v_add_u32_sdwa v12, v12, v34 dst_sel:DWORD dst_unused:UNUSED_PAD src0_sel:DWORD src1_sel:WORD_0
	v_add_u32_sdwa v1, v13, v1 dst_sel:DWORD dst_unused:UNUSED_PAD src0_sel:DWORD src1_sel:WORD_0
	; wave barrier
	ds_write_b8 v1, v23
	ds_write_b8 v12, v24
	;; [unrolled: 1-line block ×4, first 2 shown]
	v_lshlrev_b32_e32 v1, 3, v1
	s_waitcnt lgkmcnt(0)
	; wave barrier
	s_waitcnt lgkmcnt(0)
	ds_read_u8 v20, v29
	ds_read_u8 v22, v29 offset:1
	ds_read_u8 v23, v29 offset:2
	;; [unrolled: 1-line block ×3, first 2 shown]
	s_waitcnt lgkmcnt(0)
	; wave barrier
	s_waitcnt lgkmcnt(0)
	ds_write_b64 v1, v[6:7]
	v_lshlrev_b32_e32 v1, 3, v12
	ds_write_b64 v1, v[8:9]
	v_lshlrev_b32_e32 v1, 3, v11
	;; [unrolled: 2-line block ×3, first 2 shown]
	ds_write_b64 v1, v[4:5]
	s_waitcnt lgkmcnt(0)
	; wave barrier
	s_waitcnt lgkmcnt(0)
	ds_read2_b64 v[10:13], v21 offset1:1
	ds_read2_b64 v[14:17], v21 offset0:2 offset1:3
	v_mov_b32_e32 v2, -1
	v_xor_b32_e32 v1, 0xff, v20
	v_xor_b32_sdwa v3, v22, v2 dst_sel:BYTE_1 dst_unused:UNUSED_PAD src0_sel:DWORD src1_sel:DWORD
	v_xor_b32_e32 v4, 0xff, v23
	v_xor_b32_sdwa v2, v24, v2 dst_sel:BYTE_1 dst_unused:UNUSED_PAD src0_sel:DWORD src1_sel:DWORD
	v_or_b32_e32 v1, v1, v3
	v_or_b32_sdwa v2, v4, v2 dst_sel:WORD_1 dst_unused:UNUSED_PAD src0_sel:DWORD src1_sel:DWORD
	v_or_b32_sdwa v20, v1, v2 dst_sel:DWORD dst_unused:UNUSED_PAD src0_sel:WORD_0 src1_sel:DWORD
.LBB88_60:
	s_waitcnt lgkmcnt(0)
	; wave barrier
	s_waitcnt lgkmcnt(0)
	ds_write_b32 v29, v20
	s_waitcnt lgkmcnt(0)
	; wave barrier
	s_waitcnt lgkmcnt(0)
	ds_read_u8 v5, v0 offset:32
	ds_read_u8 v4, v0 offset:64
	;; [unrolled: 1-line block ×3, first 2 shown]
	v_mov_b32_e32 v3, s27
	v_add_co_u32_e32 v2, vcc, s26, v28
	v_addc_co_u32_e32 v3, vcc, 0, v3, vcc
	s_and_saveexec_b64 s[8:9], s[0:1]
	s_cbranch_execnz .LBB88_71
; %bb.61:
	s_or_b64 exec, exec, s[8:9]
	s_and_saveexec_b64 s[8:9], s[6:7]
	s_cbranch_execnz .LBB88_72
.LBB88_62:
	s_or_b64 exec, exec, s[8:9]
	s_and_saveexec_b64 s[8:9], s[4:5]
	s_cbranch_execnz .LBB88_73
.LBB88_63:
	s_or_b64 exec, exec, s[8:9]
	s_and_saveexec_b64 s[8:9], s[2:3]
	s_cbranch_execz .LBB88_65
.LBB88_64:
	s_mul_i32 s10, s22, 0x60
	v_add_co_u32_e32 v2, vcc, s10, v2
	v_addc_co_u32_e32 v3, vcc, 0, v3, vcc
	s_waitcnt lgkmcnt(0)
	global_store_byte v[2:3], v1, off
.LBB88_65:
	s_or_b64 exec, exec, s[8:9]
	s_waitcnt lgkmcnt(0)
	; wave barrier
	s_waitcnt lgkmcnt(0)
	ds_write2_b64 v33, v[10:11], v[12:13] offset1:1
	ds_write2_b64 v33, v[14:15], v[16:17] offset0:2 offset1:3
	s_waitcnt lgkmcnt(0)
	; wave barrier
	s_waitcnt lgkmcnt(0)
	ds_read_b64 v[6:7], v19 offset:256
	ds_read_b64 v[4:5], v31 offset:512
	;; [unrolled: 1-line block ×3, first 2 shown]
	v_mov_b32_e32 v19, 0
	v_lshlrev_b64 v[2:3], 3, v[18:19]
	v_mov_b32_e32 v8, s25
	v_add_co_u32_e32 v2, vcc, s23, v2
	v_addc_co_u32_e32 v3, vcc, v8, v3, vcc
	s_and_saveexec_b64 s[8:9], s[0:1]
	s_cbranch_execnz .LBB88_74
; %bb.66:
	s_or_b64 exec, exec, s[8:9]
	s_and_saveexec_b64 s[0:1], s[6:7]
	s_cbranch_execnz .LBB88_75
.LBB88_67:
	s_or_b64 exec, exec, s[0:1]
	s_and_saveexec_b64 s[0:1], s[4:5]
	s_cbranch_execnz .LBB88_76
.LBB88_68:
	s_or_b64 exec, exec, s[0:1]
	s_and_saveexec_b64 s[0:1], s[2:3]
	s_cbranch_execz .LBB88_70
.LBB88_69:
	s_mul_i32 s0, s24, 0x60
	s_mov_b32 s1, 0
	s_lshl_b64 s[0:1], s[0:1], 3
	s_waitcnt lgkmcnt(1)
	v_mov_b32_e32 v4, s1
	v_add_co_u32_e32 v2, vcc, s0, v2
	v_addc_co_u32_e32 v3, vcc, v3, v4, vcc
	s_waitcnt lgkmcnt(0)
	global_store_dwordx2 v[2:3], v[0:1], off
.LBB88_70:
	s_endpgm
.LBB88_71:
	ds_read_u8 v0, v0
	s_waitcnt lgkmcnt(0)
	global_store_byte v[2:3], v0, off
	s_or_b64 exec, exec, s[8:9]
	s_and_saveexec_b64 s[8:9], s[6:7]
	s_cbranch_execz .LBB88_62
.LBB88_72:
	s_lshl_b32 s10, s22, 5
	v_add_co_u32_e32 v6, vcc, s10, v2
	v_addc_co_u32_e32 v7, vcc, 0, v3, vcc
	s_waitcnt lgkmcnt(2)
	global_store_byte v[6:7], v5, off
	s_or_b64 exec, exec, s[8:9]
	s_and_saveexec_b64 s[8:9], s[4:5]
	s_cbranch_execz .LBB88_63
.LBB88_73:
	s_lshl_b32 s10, s22, 6
	v_add_co_u32_e32 v6, vcc, s10, v2
	v_addc_co_u32_e32 v7, vcc, 0, v3, vcc
	s_waitcnt lgkmcnt(1)
	global_store_byte v[6:7], v4, off
	s_or_b64 exec, exec, s[8:9]
	s_and_saveexec_b64 s[8:9], s[2:3]
	s_cbranch_execnz .LBB88_64
	s_branch .LBB88_65
.LBB88_74:
	ds_read_b64 v[8:9], v30
	s_waitcnt lgkmcnt(0)
	global_store_dwordx2 v[2:3], v[8:9], off
	s_or_b64 exec, exec, s[8:9]
	s_and_saveexec_b64 s[0:1], s[6:7]
	s_cbranch_execz .LBB88_67
.LBB88_75:
	s_lshl_b32 s6, s24, 5
	s_mov_b32 s7, 0
	s_lshl_b64 s[6:7], s[6:7], 3
	v_mov_b32_e32 v9, s7
	v_add_co_u32_e32 v8, vcc, s6, v2
	v_addc_co_u32_e32 v9, vcc, v3, v9, vcc
	s_waitcnt lgkmcnt(2)
	global_store_dwordx2 v[8:9], v[6:7], off
	s_or_b64 exec, exec, s[0:1]
	s_and_saveexec_b64 s[0:1], s[4:5]
	s_cbranch_execz .LBB88_68
.LBB88_76:
	s_lshl_b32 s4, s24, 6
	s_mov_b32 s5, 0
	s_lshl_b64 s[4:5], s[4:5], 3
	s_waitcnt lgkmcnt(2)
	v_mov_b32_e32 v7, s5
	v_add_co_u32_e32 v6, vcc, s4, v2
	v_addc_co_u32_e32 v7, vcc, v3, v7, vcc
	s_waitcnt lgkmcnt(1)
	global_store_dwordx2 v[6:7], v[4:5], off
	s_or_b64 exec, exec, s[0:1]
	s_and_saveexec_b64 s[0:1], s[2:3]
	s_cbranch_execnz .LBB88_69
	s_branch .LBB88_70
	.section	.rodata,"a",@progbits
	.p2align	6, 0x0
	.amdhsa_kernel _ZN2at6native18radixSortKVInPlaceILi2ELin1ELi32ELi4EhljEEvNS_4cuda6detail10TensorInfoIT3_T5_EES6_S6_S6_NS4_IT4_S6_EES6_b
		.amdhsa_group_segment_fixed_size 1056
		.amdhsa_private_segment_fixed_size 0
		.amdhsa_kernarg_size 712
		.amdhsa_user_sgpr_count 6
		.amdhsa_user_sgpr_private_segment_buffer 1
		.amdhsa_user_sgpr_dispatch_ptr 0
		.amdhsa_user_sgpr_queue_ptr 0
		.amdhsa_user_sgpr_kernarg_segment_ptr 1
		.amdhsa_user_sgpr_dispatch_id 0
		.amdhsa_user_sgpr_flat_scratch_init 0
		.amdhsa_user_sgpr_kernarg_preload_length 0
		.amdhsa_user_sgpr_kernarg_preload_offset 0
		.amdhsa_user_sgpr_private_segment_size 0
		.amdhsa_uses_dynamic_stack 0
		.amdhsa_system_sgpr_private_segment_wavefront_offset 0
		.amdhsa_system_sgpr_workgroup_id_x 1
		.amdhsa_system_sgpr_workgroup_id_y 1
		.amdhsa_system_sgpr_workgroup_id_z 1
		.amdhsa_system_sgpr_workgroup_info 0
		.amdhsa_system_vgpr_workitem_id 0
		.amdhsa_next_free_vgpr 54
		.amdhsa_next_free_sgpr 44
		.amdhsa_accum_offset 56
		.amdhsa_reserve_vcc 1
		.amdhsa_reserve_flat_scratch 0
		.amdhsa_float_round_mode_32 0
		.amdhsa_float_round_mode_16_64 0
		.amdhsa_float_denorm_mode_32 3
		.amdhsa_float_denorm_mode_16_64 3
		.amdhsa_dx10_clamp 1
		.amdhsa_ieee_mode 1
		.amdhsa_fp16_overflow 0
		.amdhsa_tg_split 0
		.amdhsa_exception_fp_ieee_invalid_op 0
		.amdhsa_exception_fp_denorm_src 0
		.amdhsa_exception_fp_ieee_div_zero 0
		.amdhsa_exception_fp_ieee_overflow 0
		.amdhsa_exception_fp_ieee_underflow 0
		.amdhsa_exception_fp_ieee_inexact 0
		.amdhsa_exception_int_div_zero 0
	.end_amdhsa_kernel
	.section	.text._ZN2at6native18radixSortKVInPlaceILi2ELin1ELi32ELi4EhljEEvNS_4cuda6detail10TensorInfoIT3_T5_EES6_S6_S6_NS4_IT4_S6_EES6_b,"axG",@progbits,_ZN2at6native18radixSortKVInPlaceILi2ELin1ELi32ELi4EhljEEvNS_4cuda6detail10TensorInfoIT3_T5_EES6_S6_S6_NS4_IT4_S6_EES6_b,comdat
.Lfunc_end88:
	.size	_ZN2at6native18radixSortKVInPlaceILi2ELin1ELi32ELi4EhljEEvNS_4cuda6detail10TensorInfoIT3_T5_EES6_S6_S6_NS4_IT4_S6_EES6_b, .Lfunc_end88-_ZN2at6native18radixSortKVInPlaceILi2ELin1ELi32ELi4EhljEEvNS_4cuda6detail10TensorInfoIT3_T5_EES6_S6_S6_NS4_IT4_S6_EES6_b
                                        ; -- End function
	.section	.AMDGPU.csdata,"",@progbits
; Kernel info:
; codeLenInByte = 6180
; NumSgprs: 48
; NumVgprs: 54
; NumAgprs: 0
; TotalNumVgprs: 54
; ScratchSize: 0
; MemoryBound: 0
; FloatMode: 240
; IeeeMode: 1
; LDSByteSize: 1056 bytes/workgroup (compile time only)
; SGPRBlocks: 5
; VGPRBlocks: 6
; NumSGPRsForWavesPerEU: 48
; NumVGPRsForWavesPerEU: 54
; AccumOffset: 56
; Occupancy: 8
; WaveLimiterHint : 1
; COMPUTE_PGM_RSRC2:SCRATCH_EN: 0
; COMPUTE_PGM_RSRC2:USER_SGPR: 6
; COMPUTE_PGM_RSRC2:TRAP_HANDLER: 0
; COMPUTE_PGM_RSRC2:TGID_X_EN: 1
; COMPUTE_PGM_RSRC2:TGID_Y_EN: 1
; COMPUTE_PGM_RSRC2:TGID_Z_EN: 1
; COMPUTE_PGM_RSRC2:TIDIG_COMP_CNT: 0
; COMPUTE_PGM_RSRC3_GFX90A:ACCUM_OFFSET: 13
; COMPUTE_PGM_RSRC3_GFX90A:TG_SPLIT: 0
	.section	.text._ZN2at6native18radixSortKVInPlaceILi2ELin1ELi16ELi2EhljEEvNS_4cuda6detail10TensorInfoIT3_T5_EES6_S6_S6_NS4_IT4_S6_EES6_b,"axG",@progbits,_ZN2at6native18radixSortKVInPlaceILi2ELin1ELi16ELi2EhljEEvNS_4cuda6detail10TensorInfoIT3_T5_EES6_S6_S6_NS4_IT4_S6_EES6_b,comdat
	.protected	_ZN2at6native18radixSortKVInPlaceILi2ELin1ELi16ELi2EhljEEvNS_4cuda6detail10TensorInfoIT3_T5_EES6_S6_S6_NS4_IT4_S6_EES6_b ; -- Begin function _ZN2at6native18radixSortKVInPlaceILi2ELin1ELi16ELi2EhljEEvNS_4cuda6detail10TensorInfoIT3_T5_EES6_S6_S6_NS4_IT4_S6_EES6_b
	.globl	_ZN2at6native18radixSortKVInPlaceILi2ELin1ELi16ELi2EhljEEvNS_4cuda6detail10TensorInfoIT3_T5_EES6_S6_S6_NS4_IT4_S6_EES6_b
	.p2align	8
	.type	_ZN2at6native18radixSortKVInPlaceILi2ELin1ELi16ELi2EhljEEvNS_4cuda6detail10TensorInfoIT3_T5_EES6_S6_S6_NS4_IT4_S6_EES6_b,@function
_ZN2at6native18radixSortKVInPlaceILi2ELin1ELi16ELi2EhljEEvNS_4cuda6detail10TensorInfoIT3_T5_EES6_S6_S6_NS4_IT4_S6_EES6_b: ; @_ZN2at6native18radixSortKVInPlaceILi2ELin1ELi16ELi2EhljEEvNS_4cuda6detail10TensorInfoIT3_T5_EES6_S6_S6_NS4_IT4_S6_EES6_b
; %bb.0:
	s_load_dwordx2 s[0:1], s[4:5], 0x1c8
	s_load_dwordx4 s[16:19], s[4:5], 0xd8
	s_waitcnt lgkmcnt(0)
	s_mul_i32 s1, s1, s8
	s_add_i32 s1, s1, s7
	s_mul_i32 s12, s1, s0
	s_add_i32 s12, s12, s6
	s_cmp_ge_u32 s12, s16
	s_cbranch_scc1 .LBB89_60
; %bb.1:
	s_load_dword s13, s[4:5], 0xc
	s_load_dwordx2 s[0:1], s[4:5], 0x6c
	s_load_dword s10, s[4:5], 0x1b8
	s_add_u32 s2, s4, 0xe8
	s_load_dwordx2 s[8:9], s[4:5], 0x0
	s_waitcnt lgkmcnt(0)
	v_cvt_f32_u32_e32 v1, s13
	s_addc_u32 s3, s5, 0
	s_sub_i32 s6, 0, s13
	s_mov_b32 s7, 0
	v_rcp_iflag_f32_e32 v1, v1
	v_mul_f32_e32 v1, 0x4f7ffffe, v1
	v_cvt_u32_f32_e32 v1, v1
	v_readfirstlane_b32 s11, v1
	s_mul_i32 s6, s6, s11
	s_mul_hi_u32 s6, s11, s6
	s_add_i32 s11, s11, s6
	s_mul_hi_u32 s14, s12, s11
	s_cmp_lt_i32 s10, 2
	s_mov_b32 s6, s12
	s_cbranch_scc1 .LBB89_4
; %bb.2:
	s_add_i32 s6, s10, -1
	s_add_i32 s15, s10, 1
	s_lshl_b64 s[10:11], s[6:7], 2
	s_add_u32 s6, s10, s2
	s_addc_u32 s11, s11, s3
	s_add_u32 s10, s6, 8
	s_addc_u32 s11, s11, 0
	s_mov_b32 s6, s12
.LBB89_3:                               ; =>This Inner Loop Header: Depth=1
	s_load_dword s16, s[10:11], 0x0
	s_load_dword s20, s[10:11], 0x64
	s_mov_b32 s19, s6
	s_waitcnt lgkmcnt(0)
	v_cvt_f32_u32_e32 v1, s16
	s_sub_i32 s6, 0, s16
	v_rcp_iflag_f32_e32 v1, v1
	v_mul_f32_e32 v1, 0x4f7ffffe, v1
	v_cvt_u32_f32_e32 v1, v1
	v_readfirstlane_b32 s21, v1
	s_mul_i32 s6, s6, s21
	s_mul_hi_u32 s6, s21, s6
	s_add_i32 s21, s21, s6
	s_mul_hi_u32 s6, s19, s21
	s_mul_i32 s21, s6, s16
	s_sub_i32 s21, s19, s21
	s_add_i32 s22, s6, 1
	s_sub_i32 s23, s21, s16
	s_cmp_ge_u32 s21, s16
	s_cselect_b32 s6, s22, s6
	s_cselect_b32 s21, s23, s21
	s_add_i32 s22, s6, 1
	s_cmp_ge_u32 s21, s16
	s_cselect_b32 s6, s22, s6
	s_mul_i32 s16, s6, s16
	s_sub_i32 s16, s19, s16
	s_mul_i32 s16, s20, s16
	s_add_i32 s15, s15, -1
	s_add_i32 s7, s16, s7
	s_add_u32 s10, s10, -4
	s_addc_u32 s11, s11, -1
	s_cmp_gt_u32 s15, 2
	s_cbranch_scc1 .LBB89_3
.LBB89_4:
	s_mul_i32 s10, s14, s13
	s_sub_i32 s10, s12, s10
	s_add_i32 s11, s14, 1
	s_sub_i32 s15, s10, s13
	s_cmp_ge_u32 s10, s13
	s_cselect_b32 s11, s11, s14
	s_cselect_b32 s10, s15, s10
	s_add_i32 s14, s11, 1
	s_cmp_ge_u32 s10, s13
	s_cselect_b32 s10, s14, s11
	s_load_dwordx2 s[20:21], s[4:5], 0x1c0
	s_mul_i32 s11, s10, s13
	s_sub_i32 s11, s12, s11
	s_mul_i32 s11, s11, s1
	s_mul_i32 s0, s10, s0
	s_add_i32 s4, s0, s11
	s_waitcnt lgkmcnt(0)
	s_bitcmp1_b32 s21, 0
	s_cselect_b64 s[0:1], -1, 0
	s_add_u32 s22, s8, s4
	s_load_dwordx2 s[10:11], s[2:3], 0x0
	s_addc_u32 s23, s9, 0
	s_xor_b64 s[4:5], s[0:1], -1
	v_cndmask_b32_e64 v2, 0, -1, s[4:5]
	v_lshlrev_b16_e32 v1, 8, v2
	v_or_b32_sdwa v1, v2, v1 dst_sel:DWORD dst_unused:UNUSED_PAD src0_sel:BYTE_0 src1_sel:DWORD
	v_and_b32_e32 v3, 0xffff, v1
	v_cmp_gt_u32_e64 s[0:1], s17, v0
	v_mul_lo_u32 v20, v0, s18
	s_and_saveexec_b64 s[8:9], s[0:1]
	s_cbranch_execz .LBB89_6
; %bb.5:
	global_load_ubyte v2, v20, s[22:23]
	v_and_b32_e32 v1, 0xffffff00, v3
	s_waitcnt vmcnt(0)
	v_or_b32_e32 v1, v2, v1
	v_and_b32_e32 v3, 0xffff, v1
.LBB89_6:
	s_or_b64 exec, exec, s[8:9]
	s_load_dword s12, s[2:3], 0x6c
	v_or_b32_e32 v1, 16, v0
	v_cmp_gt_u32_e64 s[2:3], s17, v1
	s_and_saveexec_b64 s[8:9], s[2:3]
	s_cbranch_execz .LBB89_8
; %bb.7:
	v_mul_lo_u32 v4, v1, s18
	global_load_ubyte v4, v4, s[22:23]
	s_waitcnt vmcnt(0)
	v_lshlrev_b16_e32 v4, 8, v4
	v_or_b32_sdwa v3, v3, v4 dst_sel:DWORD dst_unused:UNUSED_PAD src0_sel:BYTE_0 src1_sel:DWORD
	v_and_b32_e32 v3, 0xffff, v3
.LBB89_8:
	s_or_b64 exec, exec, s[8:9]
	s_waitcnt lgkmcnt(0)
	s_mul_i32 s6, s12, s6
	ds_write_b8 v0, v2
	v_lshrrev_b16_e32 v2, 8, v3
	v_lshlrev_b32_e32 v21, 1, v0
	s_add_i32 s8, s6, s7
	s_mov_b32 s9, 0
	ds_write_b8 v0, v2 offset:16
	s_waitcnt lgkmcnt(0)
	; wave barrier
	s_waitcnt lgkmcnt(0)
	ds_read_u8 v24, v21
	ds_read_u8 v23, v21 offset:1
	s_lshl_b64 s[6:7], s[8:9], 3
	s_add_u32 s19, s10, s6
	s_mov_b32 s8, s9
	s_addc_u32 s21, s11, s7
	s_mov_b32 s10, s9
	s_mov_b32 s11, s9
	v_pk_mov_b32 v[2:3], s[8:9], s[8:9] op_sel:[0,1]
	v_pk_mov_b32 v[4:5], s[10:11], s[10:11] op_sel:[0,1]
	v_pk_mov_b32 v[2:3], 0, 0
	v_mul_lo_u32 v10, v0, s20
	s_waitcnt lgkmcnt(0)
	; wave barrier
	s_waitcnt lgkmcnt(0)
	s_and_saveexec_b64 s[6:7], s[0:1]
	s_cbranch_execz .LBB89_10
; %bb.9:
	v_mov_b32_e32 v11, 0
	v_lshlrev_b64 v[2:3], 3, v[10:11]
	v_mov_b32_e32 v4, s21
	v_add_co_u32_e32 v2, vcc, s19, v2
	v_addc_co_u32_e32 v3, vcc, v4, v3, vcc
	global_load_dwordx2 v[2:3], v[2:3], off
	v_mov_b32_e32 v4, v11
	v_mov_b32_e32 v5, v11
.LBB89_10:
	s_or_b64 exec, exec, s[6:7]
	s_and_saveexec_b64 s[6:7], s[2:3]
	s_cbranch_execz .LBB89_12
; %bb.11:
	v_mul_lo_u32 v4, v1, s20
	v_mov_b32_e32 v5, 0
	v_lshlrev_b64 v[4:5], 3, v[4:5]
	v_mov_b32_e32 v6, s21
	v_add_co_u32_e32 v4, vcc, s19, v4
	v_addc_co_u32_e32 v5, vcc, v6, v5, vcc
	global_load_dwordx2 v[4:5], v[4:5], off
.LBB89_12:
	s_or_b64 exec, exec, s[6:7]
	v_lshlrev_b32_e32 v22, 3, v0
	v_lshlrev_b32_e32 v11, 3, v21
	s_waitcnt vmcnt(0)
	ds_write2_b64 v22, v[2:3], v[4:5] offset1:16
	s_waitcnt lgkmcnt(0)
	; wave barrier
	s_waitcnt lgkmcnt(0)
	ds_read2_b64 v[2:5], v11 offset1:1
	s_and_b64 vcc, exec, s[4:5]
	s_waitcnt lgkmcnt(0)
	; wave barrier
	s_waitcnt lgkmcnt(0)
	s_cbranch_vccz .LBB89_20
; %bb.13:
	s_movk_i32 s4, 0x80
	v_cmp_gt_u32_e64 s[4:5], s4, v0
	s_getpc_b64 s[6:7]
	s_add_u32 s6, s6, _ZN7rocprim17ROCPRIM_400000_NS16block_radix_sortIhLj16ELj2ElLj1ELj1ELj0ELNS0_26block_radix_rank_algorithmE1ELNS0_18block_padding_hintE2ELNS0_4arch9wavefront6targetE1EE19radix_bits_per_passE@rel32@lo+4
	s_addc_u32 s7, s7, _ZN7rocprim17ROCPRIM_400000_NS16block_radix_sortIhLj16ELj2ElLj1ELj1ELj0ELNS0_26block_radix_rank_algorithmE1ELNS0_18block_padding_hintE2ELNS0_4arch9wavefront6targetE1EE19radix_bits_per_passE@rel32@hi+12
	s_and_saveexec_b64 s[8:9], s[4:5]
	s_cbranch_execz .LBB89_21
; %bb.14:
	s_mov_b32 s16, 0
	s_mov_b64 s[10:11], 0
	v_mov_b32_e32 v8, 0
	v_pk_mov_b32 v[6:7], v[0:1], v[0:1] op_sel:[0,1]
	s_branch .LBB89_16
.LBB89_15:                              ;   in Loop: Header=BB89_16 Depth=1
	s_or_b64 exec, exec, s[14:15]
	s_add_i32 s16, s16, 2
	v_cmp_eq_u32_e64 s[12:13], 8, s16
	v_add_u32_e32 v7, 32, v7
	s_or_b64 s[10:11], s[12:13], s[10:11]
	v_add_u32_e32 v6, 32, v6
	s_andn2_b64 exec, exec, s[10:11]
	s_cbranch_execz .LBB89_21
.LBB89_16:                              ; =>This Inner Loop Header: Depth=1
	s_or_b32 s12, s16, 1
	v_cmp_le_u32_e64 s[12:13], s12, 7
	v_cmp_le_u32_e64 s[24:25], s16, 7
	s_and_saveexec_b64 s[14:15], s[24:25]
	s_cbranch_execz .LBB89_18
; %bb.17:                               ;   in Loop: Header=BB89_16 Depth=1
	v_lshlrev_b32_e32 v9, 2, v6
	ds_write_b32 v9, v8
.LBB89_18:                              ;   in Loop: Header=BB89_16 Depth=1
	s_or_b64 exec, exec, s[14:15]
	s_and_saveexec_b64 s[14:15], s[12:13]
	s_cbranch_execz .LBB89_15
; %bb.19:                               ;   in Loop: Header=BB89_16 Depth=1
	v_lshlrev_b32_e32 v9, 2, v7
	ds_write_b32 v9, v8
	s_branch .LBB89_15
.LBB89_20:
                                        ; implicit-def: $vgpr8_vgpr9
                                        ; implicit-def: $vgpr12
	s_cbranch_execnz .LBB89_33
	s_branch .LBB89_52
.LBB89_21:
	s_or_b64 exec, exec, s[8:9]
	s_load_dword s28, s[6:7], 0x0
	s_movk_i32 s7, 0x70
	v_lshlrev_b32_e32 v25, 5, v0
	v_cmp_eq_u32_e32 vcc, 15, v0
	s_waitcnt lgkmcnt(0)
	s_min_u32 s6, s28, 8
	s_lshl_b32 s6, -1, s6
	s_not_b32 s6, s6
	v_and_b32_e32 v6, s6, v24
	v_bfe_u32 v7, v6, 3, 5
	v_lshlrev_b32_e32 v6, 4, v6
	v_and_or_b32 v6, v6, s7, v0
	v_lshlrev_b32_e32 v6, 1, v6
	v_add_lshl_u32 v18, v6, v7, 1
	ds_read_u16 v17, v18
	v_and_b32_e32 v6, s6, v23
	v_bfe_u32 v7, v6, 3, 5
	v_lshlrev_b32_e32 v6, 4, v6
	v_and_or_b32 v6, v6, s7, v0
	s_waitcnt lgkmcnt(0)
	v_add_u16_e32 v8, 1, v17
	v_lshlrev_b32_e32 v6, 1, v6
	ds_write_b16 v18, v8
	v_add_lshl_u32 v27, v6, v7, 1
	ds_read_u16 v19, v27
	v_mbcnt_lo_u32_b32 v6, -1, 0
	v_mbcnt_hi_u32_b32 v28, -1, v6
	v_and_b32_e32 v16, 15, v28
	v_cmp_eq_u32_e64 s[6:7], 0, v16
	s_waitcnt lgkmcnt(0)
	v_add_u16_e32 v6, 1, v19
	ds_write_b16 v27, v6
	s_waitcnt lgkmcnt(0)
	; wave barrier
	s_waitcnt lgkmcnt(0)
	ds_read2_b32 v[14:15], v25 offset1:1
	ds_read2_b32 v[12:13], v25 offset0:2 offset1:3
	ds_read2_b32 v[6:7], v25 offset0:4 offset1:5
	;; [unrolled: 1-line block ×3, first 2 shown]
	v_cmp_lt_u32_e64 s[8:9], 1, v16
	s_waitcnt lgkmcnt(3)
	v_add_u32_e32 v26, v15, v14
	s_waitcnt lgkmcnt(2)
	v_add3_u32 v26, v26, v12, v13
	s_waitcnt lgkmcnt(1)
	v_add3_u32 v26, v26, v6, v7
	s_waitcnt lgkmcnt(0)
	v_add3_u32 v9, v26, v8, v9
	v_cmp_lt_u32_e64 s[10:11], 3, v16
	v_cmp_lt_u32_e64 s[14:15], 7, v16
	v_mov_b32_dpp v26, v9 row_shr:1 row_mask:0xf bank_mask:0xf
	v_cndmask_b32_e64 v26, v26, 0, s[6:7]
	v_add_u32_e32 v9, v26, v9
	s_nop 1
	v_mov_b32_dpp v26, v9 row_shr:2 row_mask:0xf bank_mask:0xf
	v_cndmask_b32_e64 v26, 0, v26, s[8:9]
	v_add_u32_e32 v9, v9, v26
	s_nop 1
	;; [unrolled: 4-line block ×3, first 2 shown]
	v_mov_b32_dpp v26, v9 row_shr:8 row_mask:0xf bank_mask:0xf
	v_cndmask_b32_e64 v16, 0, v26, s[14:15]
	v_add_u32_e32 v9, v9, v16
	s_and_saveexec_b64 s[12:13], vcc
	s_cbranch_execz .LBB89_23
; %bb.22:
	v_mov_b32_e32 v16, 0
	ds_write_b32 v16, v9 offset:512
.LBB89_23:
	s_or_b64 exec, exec, s[12:13]
	v_add_u32_e32 v16, -1, v28
	v_and_b32_e32 v26, 0x70, v28
	v_cmp_lt_i32_e64 s[12:13], v16, v26
	v_cndmask_b32_e64 v16, v16, v28, s[12:13]
	v_lshlrev_b32_e32 v26, 2, v16
	ds_bpermute_b32 v9, v26, v9
	v_mov_b32_e32 v16, 0
	s_waitcnt lgkmcnt(0)
	; wave barrier
	s_waitcnt lgkmcnt(0)
	ds_read_b32 v29, v16 offset:512
	v_cmp_eq_u32_e64 s[12:13], 0, v28
	v_cndmask_b32_e64 v9, v9, 0, s[12:13]
	s_waitcnt lgkmcnt(0)
	v_lshl_add_u32 v9, v29, 16, v9
	v_add_u32_e32 v14, v9, v14
	v_add_u32_e32 v15, v14, v15
	;; [unrolled: 1-line block ×7, first 2 shown]
	ds_write2_b32 v25, v9, v14 offset1:1
	ds_write2_b32 v25, v15, v12 offset0:2 offset1:3
	ds_write2_b32 v25, v13, v6 offset0:4 offset1:5
	;; [unrolled: 1-line block ×3, first 2 shown]
	s_waitcnt lgkmcnt(0)
	; wave barrier
	s_waitcnt lgkmcnt(0)
	ds_read_u16 v6, v18
	ds_read_u16 v7, v27
	s_waitcnt lgkmcnt(0)
	; wave barrier
	s_waitcnt lgkmcnt(0)
	v_add_u32_sdwa v6, v6, v17 dst_sel:DWORD dst_unused:UNUSED_PAD src0_sel:DWORD src1_sel:WORD_0
	v_add_u32_sdwa v7, v7, v19 dst_sel:DWORD dst_unused:UNUSED_PAD src0_sel:DWORD src1_sel:WORD_0
	ds_write_b8 v6, v24
	ds_write_b8 v7, v23
	v_lshlrev_b32_e32 v6, 3, v6
	s_waitcnt lgkmcnt(0)
	; wave barrier
	s_waitcnt lgkmcnt(0)
	ds_read_u8 v27, v21
	ds_read_u8 v28, v21 offset:1
	s_waitcnt lgkmcnt(0)
	; wave barrier
	s_waitcnt lgkmcnt(0)
	ds_write_b64 v6, v[2:3]
	v_lshlrev_b32_e32 v6, 3, v7
	ds_write_b64 v6, v[4:5]
	s_waitcnt lgkmcnt(0)
	; wave barrier
	s_waitcnt lgkmcnt(0)
	ds_read2_b64 v[6:9], v11 offset1:1
	s_waitcnt lgkmcnt(0)
	; wave barrier
	s_waitcnt lgkmcnt(0)
	s_and_saveexec_b64 s[16:17], s[4:5]
	s_cbranch_execz .LBB89_30
; %bb.24:
	s_mov_b32 s29, 0
	s_mov_b64 s[4:5], 0
	v_pk_mov_b32 v[12:13], v[0:1], v[0:1] op_sel:[0,1]
	s_branch .LBB89_26
.LBB89_25:                              ;   in Loop: Header=BB89_26 Depth=1
	s_or_b64 exec, exec, s[26:27]
	s_add_i32 s29, s29, 2
	v_cmp_eq_u32_e64 s[24:25], 8, s29
	v_add_u32_e32 v13, 32, v13
	s_or_b64 s[4:5], s[24:25], s[4:5]
	v_add_u32_e32 v12, 32, v12
	s_andn2_b64 exec, exec, s[4:5]
	s_cbranch_execz .LBB89_30
.LBB89_26:                              ; =>This Inner Loop Header: Depth=1
	s_or_b32 s24, s29, 1
	v_cmp_le_u32_e64 s[24:25], s24, 7
	v_cmp_le_u32_e64 s[30:31], s29, 7
	s_and_saveexec_b64 s[26:27], s[30:31]
	s_cbranch_execz .LBB89_28
; %bb.27:                               ;   in Loop: Header=BB89_26 Depth=1
	v_lshlrev_b32_e32 v14, 2, v12
	ds_write_b32 v14, v16
.LBB89_28:                              ;   in Loop: Header=BB89_26 Depth=1
	s_or_b64 exec, exec, s[26:27]
	s_and_saveexec_b64 s[26:27], s[24:25]
	s_cbranch_execz .LBB89_25
; %bb.29:                               ;   in Loop: Header=BB89_26 Depth=1
	v_lshlrev_b32_e32 v14, 2, v13
	ds_write_b32 v14, v16
	s_branch .LBB89_25
.LBB89_30:
	s_or_b64 exec, exec, s[16:17]
	s_min_u32 s4, s28, 4
	s_lshl_b32 s4, -1, s4
	v_lshrrev_b16_e32 v12, 4, v27
	s_not_b32 s4, s4
	v_and_b32_e32 v12, 15, v12
	v_and_b32_sdwa v12, v12, s4 dst_sel:DWORD dst_unused:UNUSED_PAD src0_sel:WORD_0 src1_sel:DWORD
	v_lshlrev_b32_e32 v13, 4, v12
	s_movk_i32 s5, 0x70
	v_lshrrev_b32_e32 v12, 2, v12
	v_and_or_b32 v13, v13, s5, v0
	v_and_b32_e32 v12, 2, v12
	v_lshl_or_b32 v30, v13, 2, v12
	ds_read_u16 v29, v30
	s_waitcnt lgkmcnt(0)
	v_add_u16_e32 v12, 1, v29
	ds_write_b16 v30, v12
	v_lshrrev_b16_e32 v12, 4, v28
	v_and_b32_e32 v12, 15, v12
	v_and_b32_sdwa v12, v12, s4 dst_sel:DWORD dst_unused:UNUSED_PAD src0_sel:WORD_0 src1_sel:DWORD
	v_lshlrev_b32_e32 v13, 4, v12
	v_lshrrev_b32_e32 v12, 2, v12
	v_and_or_b32 v13, v13, s5, v0
	v_and_b32_e32 v12, 2, v12
	v_lshl_or_b32 v32, v13, 2, v12
	ds_read_u16 v31, v32
	s_waitcnt lgkmcnt(0)
	v_add_u16_e32 v12, 1, v31
	ds_write_b16 v32, v12
	s_waitcnt lgkmcnt(0)
	; wave barrier
	s_waitcnt lgkmcnt(0)
	ds_read2_b32 v[18:19], v25 offset1:1
	ds_read2_b32 v[16:17], v25 offset0:2 offset1:3
	ds_read2_b32 v[12:13], v25 offset0:4 offset1:5
	;; [unrolled: 1-line block ×3, first 2 shown]
	s_waitcnt lgkmcnt(3)
	v_add_u32_e32 v33, v19, v18
	s_waitcnt lgkmcnt(2)
	v_add3_u32 v33, v33, v16, v17
	s_waitcnt lgkmcnt(1)
	v_add3_u32 v33, v33, v12, v13
	;; [unrolled: 2-line block ×3, first 2 shown]
	s_nop 1
	v_mov_b32_dpp v33, v15 row_shr:1 row_mask:0xf bank_mask:0xf
	v_cndmask_b32_e64 v33, v33, 0, s[6:7]
	v_add_u32_e32 v15, v33, v15
	s_nop 1
	v_mov_b32_dpp v33, v15 row_shr:2 row_mask:0xf bank_mask:0xf
	v_cndmask_b32_e64 v33, 0, v33, s[8:9]
	v_add_u32_e32 v15, v15, v33
	;; [unrolled: 4-line block ×4, first 2 shown]
	s_and_saveexec_b64 s[4:5], vcc
	s_cbranch_execz .LBB89_32
; %bb.31:
	v_mov_b32_e32 v33, 0
	ds_write_b32 v33, v15 offset:512
.LBB89_32:
	s_or_b64 exec, exec, s[4:5]
	ds_bpermute_b32 v15, v26, v15
	v_mov_b32_e32 v26, 0
	s_waitcnt lgkmcnt(0)
	; wave barrier
	s_waitcnt lgkmcnt(0)
	ds_read_b32 v26, v26 offset:512
	v_cndmask_b32_e64 v15, v15, 0, s[12:13]
	s_waitcnt lgkmcnt(0)
	v_lshl_add_u32 v15, v26, 16, v15
	v_add_u32_e32 v18, v15, v18
	v_add_u32_e32 v19, v18, v19
	;; [unrolled: 1-line block ×7, first 2 shown]
	ds_write2_b32 v25, v15, v18 offset1:1
	ds_write2_b32 v25, v19, v16 offset0:2 offset1:3
	ds_write2_b32 v25, v17, v12 offset0:4 offset1:5
	;; [unrolled: 1-line block ×3, first 2 shown]
	s_waitcnt lgkmcnt(0)
	; wave barrier
	s_waitcnt lgkmcnt(0)
	ds_read_u16 v12, v32
	ds_read_u16 v13, v30
	s_waitcnt lgkmcnt(0)
	; wave barrier
	s_waitcnt lgkmcnt(0)
	v_add_u32_sdwa v12, v12, v31 dst_sel:DWORD dst_unused:UNUSED_PAD src0_sel:DWORD src1_sel:WORD_0
	v_add_u32_sdwa v13, v13, v29 dst_sel:DWORD dst_unused:UNUSED_PAD src0_sel:DWORD src1_sel:WORD_0
	ds_write_b8 v13, v27
	ds_write_b8 v12, v28
	s_waitcnt lgkmcnt(0)
	; wave barrier
	s_waitcnt lgkmcnt(0)
	ds_read_u8 v14, v21
	ds_read_u8 v15, v21 offset:1
	v_lshlrev_b32_e32 v13, 3, v13
	s_waitcnt lgkmcnt(0)
	; wave barrier
	s_waitcnt lgkmcnt(0)
	ds_write_b64 v13, v[6:7]
	v_lshlrev_b32_e32 v6, 3, v12
	ds_write_b64 v6, v[8:9]
	s_waitcnt lgkmcnt(0)
	; wave barrier
	s_waitcnt lgkmcnt(0)
	ds_read2_b64 v[6:9], v11 offset1:1
	v_lshlrev_b16_e32 v12, 8, v15
	v_or_b32_e32 v12, v14, v12
	v_and_b32_e32 v12, 0xffff, v12
	s_branch .LBB89_52
.LBB89_33:
	s_movk_i32 s4, 0x80
	v_cmp_gt_u32_e64 s[4:5], s4, v0
	s_getpc_b64 s[6:7]
	s_add_u32 s6, s6, _ZN7rocprim17ROCPRIM_400000_NS16block_radix_sortIhLj16ELj2ElLj1ELj1ELj0ELNS0_26block_radix_rank_algorithmE1ELNS0_18block_padding_hintE2ELNS0_4arch9wavefront6targetE1EE19radix_bits_per_passE@rel32@lo+4
	s_addc_u32 s7, s7, _ZN7rocprim17ROCPRIM_400000_NS16block_radix_sortIhLj16ELj2ElLj1ELj1ELj0ELNS0_26block_radix_rank_algorithmE1ELNS0_18block_padding_hintE2ELNS0_4arch9wavefront6targetE1EE19radix_bits_per_passE@rel32@hi+12
	s_and_saveexec_b64 s[8:9], s[4:5]
	s_cbranch_execz .LBB89_40
; %bb.34:
	s_mov_b32 s16, 0
	s_mov_b64 s[10:11], 0
	s_waitcnt lgkmcnt(0)
	v_mov_b32_e32 v8, 0
	v_pk_mov_b32 v[6:7], v[0:1], v[0:1] op_sel:[0,1]
	s_branch .LBB89_36
.LBB89_35:                              ;   in Loop: Header=BB89_36 Depth=1
	s_or_b64 exec, exec, s[14:15]
	s_add_i32 s16, s16, 2
	v_cmp_eq_u32_e64 s[12:13], 8, s16
	v_add_u32_e32 v7, 32, v7
	s_or_b64 s[10:11], s[12:13], s[10:11]
	v_add_u32_e32 v6, 32, v6
	s_andn2_b64 exec, exec, s[10:11]
	s_cbranch_execz .LBB89_40
.LBB89_36:                              ; =>This Inner Loop Header: Depth=1
	s_or_b32 s12, s16, 1
	v_cmp_le_u32_e64 s[12:13], s12, 7
	v_cmp_le_u32_e64 s[24:25], s16, 7
	s_and_saveexec_b64 s[14:15], s[24:25]
	s_cbranch_execz .LBB89_38
; %bb.37:                               ;   in Loop: Header=BB89_36 Depth=1
	v_lshlrev_b32_e32 v9, 2, v6
	ds_write_b32 v9, v8
.LBB89_38:                              ;   in Loop: Header=BB89_36 Depth=1
	s_or_b64 exec, exec, s[14:15]
	s_and_saveexec_b64 s[14:15], s[12:13]
	s_cbranch_execz .LBB89_35
; %bb.39:                               ;   in Loop: Header=BB89_36 Depth=1
	v_lshlrev_b32_e32 v9, 2, v7
	ds_write_b32 v9, v8
	s_branch .LBB89_35
.LBB89_40:
	s_or_b64 exec, exec, s[8:9]
	s_load_dword s28, s[6:7], 0x0
	v_xor_b32_e32 v18, -1, v24
	s_movk_i32 s7, 0x70
	v_xor_b32_e32 v19, -1, v23
	v_lshlrev_b32_e32 v16, 5, v0
	s_waitcnt lgkmcnt(0)
	s_min_u32 s6, s28, 8
	s_lshl_b32 s6, -1, s6
	s_not_b32 s6, s6
	v_and_b32_e32 v6, s6, v18
	v_bfe_u32 v7, v6, 3, 5
	v_lshlrev_b32_e32 v6, 4, v6
	v_and_or_b32 v6, v6, s7, v0
	v_lshlrev_b32_e32 v6, 1, v6
	v_add_lshl_u32 v25, v6, v7, 1
	ds_read_u16 v24, v25
	v_cmp_eq_u32_e32 vcc, 15, v0
	s_waitcnt lgkmcnt(0)
	v_add_u16_e32 v6, 1, v24
	ds_write_b16 v25, v6
	v_and_b32_e32 v6, s6, v19
	v_bfe_u32 v7, v6, 3, 5
	v_lshlrev_b32_e32 v6, 4, v6
	v_and_or_b32 v6, v6, s7, v0
	v_lshlrev_b32_e32 v6, 1, v6
	v_add_lshl_u32 v26, v6, v7, 1
	ds_read_u16 v23, v26
	v_mbcnt_lo_u32_b32 v6, -1, 0
	v_mbcnt_hi_u32_b32 v27, -1, v6
	v_and_b32_e32 v17, 15, v27
	v_cmp_eq_u32_e64 s[6:7], 0, v17
	s_waitcnt lgkmcnt(0)
	v_add_u16_e32 v6, 1, v23
	ds_write_b16 v26, v6
	s_waitcnt lgkmcnt(0)
	; wave barrier
	s_waitcnt lgkmcnt(0)
	ds_read2_b32 v[14:15], v16 offset1:1
	ds_read2_b32 v[12:13], v16 offset0:2 offset1:3
	ds_read2_b32 v[6:7], v16 offset0:4 offset1:5
	;; [unrolled: 1-line block ×3, first 2 shown]
	v_cmp_lt_u32_e64 s[8:9], 1, v17
	s_waitcnt lgkmcnt(3)
	v_add_u32_e32 v28, v15, v14
	s_waitcnt lgkmcnt(2)
	v_add3_u32 v28, v28, v12, v13
	s_waitcnt lgkmcnt(1)
	v_add3_u32 v28, v28, v6, v7
	;; [unrolled: 2-line block ×3, first 2 shown]
	v_cmp_lt_u32_e64 s[10:11], 3, v17
	v_cmp_lt_u32_e64 s[14:15], 7, v17
	v_mov_b32_dpp v28, v9 row_shr:1 row_mask:0xf bank_mask:0xf
	v_cndmask_b32_e64 v28, v28, 0, s[6:7]
	v_add_u32_e32 v9, v28, v9
	s_nop 1
	v_mov_b32_dpp v28, v9 row_shr:2 row_mask:0xf bank_mask:0xf
	v_cndmask_b32_e64 v28, 0, v28, s[8:9]
	v_add_u32_e32 v9, v9, v28
	s_nop 1
	;; [unrolled: 4-line block ×3, first 2 shown]
	v_mov_b32_dpp v28, v9 row_shr:8 row_mask:0xf bank_mask:0xf
	v_cndmask_b32_e64 v17, 0, v28, s[14:15]
	v_add_u32_e32 v9, v9, v17
	s_and_saveexec_b64 s[12:13], vcc
	s_cbranch_execz .LBB89_42
; %bb.41:
	v_mov_b32_e32 v17, 0
	ds_write_b32 v17, v9 offset:512
.LBB89_42:
	s_or_b64 exec, exec, s[12:13]
	v_add_u32_e32 v17, -1, v27
	v_and_b32_e32 v28, 0x70, v27
	v_cmp_lt_i32_e64 s[12:13], v17, v28
	v_cndmask_b32_e64 v17, v17, v27, s[12:13]
	v_lshlrev_b32_e32 v17, 2, v17
	ds_bpermute_b32 v28, v17, v9
	v_mov_b32_e32 v9, 0
	s_waitcnt lgkmcnt(0)
	; wave barrier
	s_waitcnt lgkmcnt(0)
	ds_read_b32 v29, v9 offset:512
	v_cmp_eq_u32_e64 s[12:13], 0, v27
	v_cndmask_b32_e64 v27, v28, 0, s[12:13]
	s_waitcnt lgkmcnt(0)
	v_lshl_add_u32 v27, v29, 16, v27
	v_add_u32_e32 v14, v27, v14
	v_add_u32_e32 v15, v14, v15
	;; [unrolled: 1-line block ×7, first 2 shown]
	ds_write2_b32 v16, v27, v14 offset1:1
	ds_write2_b32 v16, v15, v12 offset0:2 offset1:3
	ds_write2_b32 v16, v13, v6 offset0:4 offset1:5
	;; [unrolled: 1-line block ×3, first 2 shown]
	s_waitcnt lgkmcnt(0)
	; wave barrier
	s_waitcnt lgkmcnt(0)
	ds_read_u16 v6, v25
	ds_read_u16 v7, v26
	s_waitcnt lgkmcnt(0)
	; wave barrier
	s_waitcnt lgkmcnt(0)
	v_add_u32_sdwa v6, v6, v24 dst_sel:DWORD dst_unused:UNUSED_PAD src0_sel:DWORD src1_sel:WORD_0
	v_add_u32_sdwa v7, v7, v23 dst_sel:DWORD dst_unused:UNUSED_PAD src0_sel:DWORD src1_sel:WORD_0
	ds_write_b8 v6, v18
	ds_write_b8 v7, v19
	v_lshlrev_b32_e32 v6, 3, v6
	s_waitcnt lgkmcnt(0)
	; wave barrier
	s_waitcnt lgkmcnt(0)
	ds_read_u8 v18, v21
	ds_read_u8 v19, v21 offset:1
	s_waitcnt lgkmcnt(0)
	; wave barrier
	s_waitcnt lgkmcnt(0)
	ds_write_b64 v6, v[2:3]
	v_lshlrev_b32_e32 v2, 3, v7
	ds_write_b64 v2, v[4:5]
	s_waitcnt lgkmcnt(0)
	; wave barrier
	s_waitcnt lgkmcnt(0)
	ds_read2_b64 v[2:5], v11 offset1:1
	s_waitcnt lgkmcnt(0)
	; wave barrier
	s_waitcnt lgkmcnt(0)
	s_and_saveexec_b64 s[16:17], s[4:5]
	s_cbranch_execz .LBB89_49
; %bb.43:
	s_mov_b32 s29, 0
	s_mov_b64 s[4:5], 0
	v_pk_mov_b32 v[6:7], v[0:1], v[0:1] op_sel:[0,1]
	s_branch .LBB89_45
.LBB89_44:                              ;   in Loop: Header=BB89_45 Depth=1
	s_or_b64 exec, exec, s[26:27]
	s_add_i32 s29, s29, 2
	v_cmp_eq_u32_e64 s[24:25], 8, s29
	v_add_u32_e32 v7, 32, v7
	s_or_b64 s[4:5], s[24:25], s[4:5]
	v_add_u32_e32 v6, 32, v6
	s_andn2_b64 exec, exec, s[4:5]
	s_cbranch_execz .LBB89_49
.LBB89_45:                              ; =>This Inner Loop Header: Depth=1
	s_or_b32 s24, s29, 1
	v_cmp_le_u32_e64 s[24:25], s24, 7
	v_cmp_le_u32_e64 s[30:31], s29, 7
	s_and_saveexec_b64 s[26:27], s[30:31]
	s_cbranch_execz .LBB89_47
; %bb.46:                               ;   in Loop: Header=BB89_45 Depth=1
	v_lshlrev_b32_e32 v1, 2, v6
	ds_write_b32 v1, v9
.LBB89_47:                              ;   in Loop: Header=BB89_45 Depth=1
	s_or_b64 exec, exec, s[26:27]
	s_and_saveexec_b64 s[26:27], s[24:25]
	s_cbranch_execz .LBB89_44
; %bb.48:                               ;   in Loop: Header=BB89_45 Depth=1
	v_lshlrev_b32_e32 v1, 2, v7
	ds_write_b32 v1, v9
	s_branch .LBB89_44
.LBB89_49:
	s_or_b64 exec, exec, s[16:17]
	s_min_u32 s4, s28, 4
	s_lshl_b32 s4, -1, s4
	v_lshrrev_b16_e32 v1, 4, v18
	s_not_b32 s4, s4
	v_and_b32_e32 v1, 15, v1
	v_and_b32_sdwa v1, v1, s4 dst_sel:DWORD dst_unused:UNUSED_PAD src0_sel:WORD_0 src1_sel:DWORD
	v_lshlrev_b32_e32 v6, 4, v1
	s_movk_i32 s5, 0x70
	v_lshrrev_b32_e32 v1, 2, v1
	v_and_or_b32 v6, v6, s5, v0
	v_and_b32_e32 v1, 2, v1
	v_lshl_or_b32 v23, v6, 2, v1
	ds_read_u16 v1, v23
	s_waitcnt lgkmcnt(0)
	v_add_u16_e32 v6, 1, v1
	ds_write_b16 v23, v6
	v_lshrrev_b16_e32 v6, 4, v19
	v_and_b32_e32 v6, 15, v6
	v_and_b32_sdwa v6, v6, s4 dst_sel:DWORD dst_unused:UNUSED_PAD src0_sel:WORD_0 src1_sel:DWORD
	v_lshlrev_b32_e32 v7, 4, v6
	v_lshrrev_b32_e32 v6, 2, v6
	v_and_or_b32 v7, v7, s5, v0
	v_and_b32_e32 v6, 2, v6
	v_lshl_or_b32 v25, v7, 2, v6
	ds_read_u16 v24, v25
	s_waitcnt lgkmcnt(0)
	v_add_u16_e32 v6, 1, v24
	ds_write_b16 v25, v6
	s_waitcnt lgkmcnt(0)
	; wave barrier
	s_waitcnt lgkmcnt(0)
	ds_read2_b32 v[14:15], v16 offset1:1
	ds_read2_b32 v[12:13], v16 offset0:2 offset1:3
	ds_read2_b32 v[6:7], v16 offset0:4 offset1:5
	;; [unrolled: 1-line block ×3, first 2 shown]
	s_waitcnt lgkmcnt(3)
	v_add_u32_e32 v26, v15, v14
	s_waitcnt lgkmcnt(2)
	v_add3_u32 v26, v26, v12, v13
	s_waitcnt lgkmcnt(1)
	v_add3_u32 v26, v26, v6, v7
	;; [unrolled: 2-line block ×3, first 2 shown]
	s_nop 1
	v_mov_b32_dpp v26, v9 row_shr:1 row_mask:0xf bank_mask:0xf
	v_cndmask_b32_e64 v26, v26, 0, s[6:7]
	v_add_u32_e32 v9, v26, v9
	s_nop 1
	v_mov_b32_dpp v26, v9 row_shr:2 row_mask:0xf bank_mask:0xf
	v_cndmask_b32_e64 v26, 0, v26, s[8:9]
	v_add_u32_e32 v9, v9, v26
	;; [unrolled: 4-line block ×4, first 2 shown]
	s_and_saveexec_b64 s[4:5], vcc
	s_cbranch_execz .LBB89_51
; %bb.50:
	v_mov_b32_e32 v26, 0
	ds_write_b32 v26, v9 offset:512
.LBB89_51:
	s_or_b64 exec, exec, s[4:5]
	ds_bpermute_b32 v9, v17, v9
	v_mov_b32_e32 v17, 0
	s_waitcnt lgkmcnt(0)
	; wave barrier
	s_waitcnt lgkmcnt(0)
	ds_read_b32 v17, v17 offset:512
	v_cndmask_b32_e64 v9, v9, 0, s[12:13]
	s_waitcnt lgkmcnt(0)
	v_lshl_add_u32 v9, v17, 16, v9
	v_add_u32_e32 v14, v9, v14
	v_add_u32_e32 v15, v14, v15
	;; [unrolled: 1-line block ×7, first 2 shown]
	ds_write2_b32 v16, v9, v14 offset1:1
	ds_write2_b32 v16, v15, v12 offset0:2 offset1:3
	ds_write2_b32 v16, v13, v6 offset0:4 offset1:5
	ds_write2_b32 v16, v7, v8 offset0:6 offset1:7
	s_waitcnt lgkmcnt(0)
	; wave barrier
	s_waitcnt lgkmcnt(0)
	ds_read_u16 v6, v25
	ds_read_u16 v7, v23
	s_waitcnt lgkmcnt(0)
	; wave barrier
	s_waitcnt lgkmcnt(0)
	v_add_u32_sdwa v6, v6, v24 dst_sel:DWORD dst_unused:UNUSED_PAD src0_sel:DWORD src1_sel:WORD_0
	v_add_u32_sdwa v1, v7, v1 dst_sel:DWORD dst_unused:UNUSED_PAD src0_sel:DWORD src1_sel:WORD_0
	ds_write_b8 v1, v18
	ds_write_b8 v6, v19
	s_waitcnt lgkmcnt(0)
	; wave barrier
	s_waitcnt lgkmcnt(0)
	ds_read_u8 v12, v21
	ds_read_u8 v13, v21 offset:1
	v_lshlrev_b32_e32 v1, 3, v1
	s_waitcnt lgkmcnt(0)
	; wave barrier
	s_waitcnt lgkmcnt(0)
	ds_write_b64 v1, v[2:3]
	v_lshlrev_b32_e32 v1, 3, v6
	ds_write_b64 v1, v[4:5]
	s_waitcnt lgkmcnt(0)
	; wave barrier
	s_waitcnt lgkmcnt(0)
	ds_read2_b64 v[6:9], v11 offset1:1
	v_mov_b32_e32 v2, -1
	v_xor_b32_e32 v1, 0xff, v12
	v_xor_b32_sdwa v2, v13, v2 dst_sel:BYTE_1 dst_unused:UNUSED_PAD src0_sel:DWORD src1_sel:DWORD
	v_or_b32_e32 v1, v1, v2
	v_and_b32_e32 v12, 0xffff, v1
.LBB89_52:
	v_lshrrev_b16_e32 v1, 8, v12
	s_waitcnt lgkmcnt(0)
	; wave barrier
	s_waitcnt lgkmcnt(0)
	ds_write_b8 v21, v12
	ds_write_b8 v21, v1 offset:1
	s_waitcnt lgkmcnt(0)
	; wave barrier
	s_waitcnt lgkmcnt(0)
	ds_read_u8 v1, v0 offset:16
	v_mov_b32_e32 v3, s23
	v_add_co_u32_e32 v2, vcc, s22, v20
	v_addc_co_u32_e32 v3, vcc, 0, v3, vcc
	s_and_saveexec_b64 s[4:5], s[0:1]
	s_cbranch_execz .LBB89_54
; %bb.53:
	ds_read_u8 v0, v0
	s_waitcnt lgkmcnt(0)
	global_store_byte v[2:3], v0, off
.LBB89_54:
	s_or_b64 exec, exec, s[4:5]
	s_and_saveexec_b64 s[4:5], s[2:3]
	s_cbranch_execz .LBB89_56
; %bb.55:
	s_lshl_b32 s6, s18, 4
	v_add_co_u32_e32 v2, vcc, s6, v2
	v_addc_co_u32_e32 v3, vcc, 0, v3, vcc
	s_waitcnt lgkmcnt(0)
	global_store_byte v[2:3], v1, off
.LBB89_56:
	s_or_b64 exec, exec, s[4:5]
	s_waitcnt lgkmcnt(0)
	; wave barrier
	s_waitcnt lgkmcnt(0)
	ds_write2_b64 v11, v[6:7], v[8:9] offset1:1
	s_waitcnt lgkmcnt(0)
	; wave barrier
	s_waitcnt lgkmcnt(0)
	ds_read_b64 v[0:1], v22 offset:128
	v_mov_b32_e32 v11, 0
	v_lshlrev_b64 v[2:3], 3, v[10:11]
	v_mov_b32_e32 v4, s21
	v_add_co_u32_e32 v2, vcc, s19, v2
	v_addc_co_u32_e32 v3, vcc, v4, v3, vcc
	s_and_saveexec_b64 s[4:5], s[0:1]
	s_cbranch_execz .LBB89_58
; %bb.57:
	ds_read_b64 v[4:5], v22
	s_waitcnt lgkmcnt(0)
	global_store_dwordx2 v[2:3], v[4:5], off
.LBB89_58:
	s_or_b64 exec, exec, s[4:5]
	s_and_saveexec_b64 s[0:1], s[2:3]
	s_cbranch_execz .LBB89_60
; %bb.59:
	s_lshl_b32 s0, s20, 4
	s_mov_b32 s1, 0
	s_lshl_b64 s[0:1], s[0:1], 3
	v_mov_b32_e32 v4, s1
	v_add_co_u32_e32 v2, vcc, s0, v2
	v_addc_co_u32_e32 v3, vcc, v3, v4, vcc
	s_waitcnt lgkmcnt(0)
	global_store_dwordx2 v[2:3], v[0:1], off
.LBB89_60:
	s_endpgm
	.section	.rodata,"a",@progbits
	.p2align	6, 0x0
	.amdhsa_kernel _ZN2at6native18radixSortKVInPlaceILi2ELin1ELi16ELi2EhljEEvNS_4cuda6detail10TensorInfoIT3_T5_EES6_S6_S6_NS4_IT4_S6_EES6_b
		.amdhsa_group_segment_fixed_size 528
		.amdhsa_private_segment_fixed_size 0
		.amdhsa_kernarg_size 712
		.amdhsa_user_sgpr_count 6
		.amdhsa_user_sgpr_private_segment_buffer 1
		.amdhsa_user_sgpr_dispatch_ptr 0
		.amdhsa_user_sgpr_queue_ptr 0
		.amdhsa_user_sgpr_kernarg_segment_ptr 1
		.amdhsa_user_sgpr_dispatch_id 0
		.amdhsa_user_sgpr_flat_scratch_init 0
		.amdhsa_user_sgpr_kernarg_preload_length 0
		.amdhsa_user_sgpr_kernarg_preload_offset 0
		.amdhsa_user_sgpr_private_segment_size 0
		.amdhsa_uses_dynamic_stack 0
		.amdhsa_system_sgpr_private_segment_wavefront_offset 0
		.amdhsa_system_sgpr_workgroup_id_x 1
		.amdhsa_system_sgpr_workgroup_id_y 1
		.amdhsa_system_sgpr_workgroup_id_z 1
		.amdhsa_system_sgpr_workgroup_info 0
		.amdhsa_system_vgpr_workitem_id 0
		.amdhsa_next_free_vgpr 34
		.amdhsa_next_free_sgpr 32
		.amdhsa_accum_offset 36
		.amdhsa_reserve_vcc 1
		.amdhsa_reserve_flat_scratch 0
		.amdhsa_float_round_mode_32 0
		.amdhsa_float_round_mode_16_64 0
		.amdhsa_float_denorm_mode_32 3
		.amdhsa_float_denorm_mode_16_64 3
		.amdhsa_dx10_clamp 1
		.amdhsa_ieee_mode 1
		.amdhsa_fp16_overflow 0
		.amdhsa_tg_split 0
		.amdhsa_exception_fp_ieee_invalid_op 0
		.amdhsa_exception_fp_denorm_src 0
		.amdhsa_exception_fp_ieee_div_zero 0
		.amdhsa_exception_fp_ieee_overflow 0
		.amdhsa_exception_fp_ieee_underflow 0
		.amdhsa_exception_fp_ieee_inexact 0
		.amdhsa_exception_int_div_zero 0
	.end_amdhsa_kernel
	.section	.text._ZN2at6native18radixSortKVInPlaceILi2ELin1ELi16ELi2EhljEEvNS_4cuda6detail10TensorInfoIT3_T5_EES6_S6_S6_NS4_IT4_S6_EES6_b,"axG",@progbits,_ZN2at6native18radixSortKVInPlaceILi2ELin1ELi16ELi2EhljEEvNS_4cuda6detail10TensorInfoIT3_T5_EES6_S6_S6_NS4_IT4_S6_EES6_b,comdat
.Lfunc_end89:
	.size	_ZN2at6native18radixSortKVInPlaceILi2ELin1ELi16ELi2EhljEEvNS_4cuda6detail10TensorInfoIT3_T5_EES6_S6_S6_NS4_IT4_S6_EES6_b, .Lfunc_end89-_ZN2at6native18radixSortKVInPlaceILi2ELin1ELi16ELi2EhljEEvNS_4cuda6detail10TensorInfoIT3_T5_EES6_S6_S6_NS4_IT4_S6_EES6_b
                                        ; -- End function
	.section	.AMDGPU.csdata,"",@progbits
; Kernel info:
; codeLenInByte = 4420
; NumSgprs: 36
; NumVgprs: 34
; NumAgprs: 0
; TotalNumVgprs: 34
; ScratchSize: 0
; MemoryBound: 0
; FloatMode: 240
; IeeeMode: 1
; LDSByteSize: 528 bytes/workgroup (compile time only)
; SGPRBlocks: 4
; VGPRBlocks: 4
; NumSGPRsForWavesPerEU: 36
; NumVGPRsForWavesPerEU: 34
; AccumOffset: 36
; Occupancy: 8
; WaveLimiterHint : 1
; COMPUTE_PGM_RSRC2:SCRATCH_EN: 0
; COMPUTE_PGM_RSRC2:USER_SGPR: 6
; COMPUTE_PGM_RSRC2:TRAP_HANDLER: 0
; COMPUTE_PGM_RSRC2:TGID_X_EN: 1
; COMPUTE_PGM_RSRC2:TGID_Y_EN: 1
; COMPUTE_PGM_RSRC2:TGID_Z_EN: 1
; COMPUTE_PGM_RSRC2:TIDIG_COMP_CNT: 0
; COMPUTE_PGM_RSRC3_GFX90A:ACCUM_OFFSET: 8
; COMPUTE_PGM_RSRC3_GFX90A:TG_SPLIT: 0
	.section	.text._ZN2at6native18radixSortKVInPlaceILin1ELin1ELi512ELi8EhljEEvNS_4cuda6detail10TensorInfoIT3_T5_EES6_S6_S6_NS4_IT4_S6_EES6_b,"axG",@progbits,_ZN2at6native18radixSortKVInPlaceILin1ELin1ELi512ELi8EhljEEvNS_4cuda6detail10TensorInfoIT3_T5_EES6_S6_S6_NS4_IT4_S6_EES6_b,comdat
	.protected	_ZN2at6native18radixSortKVInPlaceILin1ELin1ELi512ELi8EhljEEvNS_4cuda6detail10TensorInfoIT3_T5_EES6_S6_S6_NS4_IT4_S6_EES6_b ; -- Begin function _ZN2at6native18radixSortKVInPlaceILin1ELin1ELi512ELi8EhljEEvNS_4cuda6detail10TensorInfoIT3_T5_EES6_S6_S6_NS4_IT4_S6_EES6_b
	.globl	_ZN2at6native18radixSortKVInPlaceILin1ELin1ELi512ELi8EhljEEvNS_4cuda6detail10TensorInfoIT3_T5_EES6_S6_S6_NS4_IT4_S6_EES6_b
	.p2align	8
	.type	_ZN2at6native18radixSortKVInPlaceILin1ELin1ELi512ELi8EhljEEvNS_4cuda6detail10TensorInfoIT3_T5_EES6_S6_S6_NS4_IT4_S6_EES6_b,@function
_ZN2at6native18radixSortKVInPlaceILin1ELin1ELi512ELi8EhljEEvNS_4cuda6detail10TensorInfoIT3_T5_EES6_S6_S6_NS4_IT4_S6_EES6_b: ; @_ZN2at6native18radixSortKVInPlaceILin1ELin1ELi512ELi8EhljEEvNS_4cuda6detail10TensorInfoIT3_T5_EES6_S6_S6_NS4_IT4_S6_EES6_b
; %bb.0:
	s_load_dwordx2 s[0:1], s[4:5], 0x1c8
	s_load_dwordx4 s[20:23], s[4:5], 0xd8
	s_add_u32 s26, s4, 0x1c8
	s_addc_u32 s27, s5, 0
	s_waitcnt lgkmcnt(0)
	s_mul_i32 s1, s1, s8
	s_add_i32 s1, s1, s7
	s_mul_i32 s0, s1, s0
	s_add_i32 s23, s0, s6
	s_cmp_ge_u32 s23, s20
	s_cbranch_scc1 .LBB90_105
; %bb.1:
	s_load_dword s2, s[4:5], 0xd0
	s_mov_b32 s1, 0
	s_mov_b32 s0, s23
	s_waitcnt lgkmcnt(0)
	s_cmp_lt_i32 s2, 2
	s_cbranch_scc1 .LBB90_4
; %bb.2:
	s_add_i32 s0, s2, -1
	s_add_i32 s6, s2, 1
	s_lshl_b64 s[2:3], s[0:1], 2
	s_add_u32 s0, s2, s4
	s_addc_u32 s3, s3, s5
	s_add_u32 s2, s0, 8
	s_addc_u32 s3, s3, 0
	s_mov_b32 s0, s23
.LBB90_3:                               ; =>This Inner Loop Header: Depth=1
	s_load_dword s7, s[2:3], 0x0
	s_load_dword s9, s[2:3], 0x64
	s_mov_b32 s8, s0
	s_waitcnt lgkmcnt(0)
	v_cvt_f32_u32_e32 v1, s7
	s_sub_i32 s0, 0, s7
	v_rcp_iflag_f32_e32 v1, v1
	v_mul_f32_e32 v1, 0x4f7ffffe, v1
	v_cvt_u32_f32_e32 v1, v1
	v_readfirstlane_b32 s10, v1
	s_mul_i32 s0, s0, s10
	s_mul_hi_u32 s0, s10, s0
	s_add_i32 s10, s10, s0
	s_mul_hi_u32 s0, s8, s10
	s_mul_i32 s10, s0, s7
	s_sub_i32 s10, s8, s10
	s_add_i32 s11, s0, 1
	s_sub_i32 s12, s10, s7
	s_cmp_ge_u32 s10, s7
	s_cselect_b32 s0, s11, s0
	s_cselect_b32 s10, s12, s10
	s_add_i32 s11, s0, 1
	s_cmp_ge_u32 s10, s7
	s_cselect_b32 s0, s11, s0
	s_mul_i32 s7, s0, s7
	s_sub_i32 s7, s8, s7
	s_mul_i32 s7, s9, s7
	s_add_i32 s6, s6, -1
	s_add_i32 s1, s7, s1
	s_add_u32 s2, s2, -4
	s_addc_u32 s3, s3, -1
	s_cmp_gt_u32 s6, 2
	s_cbranch_scc1 .LBB90_3
.LBB90_4:
	s_load_dword s2, s[4:5], 0x1b8
	s_mov_b32 s31, 0
	s_waitcnt lgkmcnt(0)
	s_cmp_lt_i32 s2, 2
	s_cbranch_scc1 .LBB90_7
; %bb.5:
	s_add_i32 s30, s2, -1
	s_add_i32 s6, s2, 1
	s_lshl_b64 s[2:3], s[30:31], 2
	s_add_u32 s2, s2, s4
	s_addc_u32 s3, s3, s5
	s_add_u32 s2, s2, 0xf0
	s_addc_u32 s3, s3, 0
.LBB90_6:                               ; =>This Inner Loop Header: Depth=1
	s_load_dword s7, s[2:3], 0x0
	s_load_dword s9, s[2:3], 0x64
	s_mov_b32 s8, s23
	s_waitcnt lgkmcnt(0)
	v_cvt_f32_u32_e32 v1, s7
	s_sub_i32 s10, 0, s7
	v_rcp_iflag_f32_e32 v1, v1
	v_mul_f32_e32 v1, 0x4f7ffffe, v1
	v_cvt_u32_f32_e32 v1, v1
	v_readfirstlane_b32 s11, v1
	s_mul_i32 s10, s10, s11
	s_mul_hi_u32 s10, s11, s10
	s_add_i32 s11, s11, s10
	s_mul_hi_u32 s10, s23, s11
	s_mul_i32 s11, s10, s7
	s_sub_i32 s11, s23, s11
	s_add_i32 s12, s10, 1
	s_sub_i32 s13, s11, s7
	s_cmp_ge_u32 s11, s7
	s_cselect_b32 s10, s12, s10
	s_cselect_b32 s11, s13, s11
	s_add_i32 s12, s10, 1
	s_cmp_ge_u32 s11, s7
	s_cselect_b32 s23, s12, s10
	s_mul_i32 s7, s23, s7
	s_sub_i32 s7, s8, s7
	s_mul_i32 s7, s9, s7
	s_add_i32 s6, s6, -1
	s_add_i32 s31, s7, s31
	s_add_u32 s2, s2, -4
	s_addc_u32 s3, s3, -1
	s_cmp_gt_u32 s6, 2
	s_cbranch_scc1 .LBB90_6
.LBB90_7:
	s_load_dword s2, s[4:5], 0x6c
	s_load_dwordx2 s[18:19], s[4:5], 0x1c0
	s_load_dwordx2 s[6:7], s[4:5], 0x0
	v_and_b32_e32 v36, 0x3ff, v0
	v_mul_lo_u32 v37, v36, s22
	s_waitcnt lgkmcnt(0)
	s_mul_i32 s0, s2, s0
	s_add_i32 s2, s0, s1
	s_bitcmp1_b32 s19, 0
	s_cselect_b64 s[0:1], -1, 0
	s_add_u32 s24, s6, s2
	s_addc_u32 s25, s7, 0
	s_xor_b64 s[28:29], s[0:1], -1
	v_cndmask_b32_e64 v1, 0, -1, s[28:29]
	v_lshlrev_b16_e32 v2, 8, v1
	v_or_b32_sdwa v2, v1, v2 dst_sel:DWORD dst_unused:UNUSED_PAD src0_sel:BYTE_0 src1_sel:DWORD
	v_lshlrev_b32_e32 v3, 16, v2
	v_or_b32_sdwa v2, v2, v3 dst_sel:DWORD dst_unused:UNUSED_PAD src0_sel:WORD_0 src1_sel:DWORD
	v_mov_b32_e32 v3, v2
	v_cmp_gt_u32_e64 s[0:1], s21, v36
	s_and_saveexec_b64 s[2:3], s[0:1]
	s_cbranch_execz .LBB90_9
; %bb.8:
	global_load_ubyte v1, v37, s[24:25]
	s_mov_b32 s6, 0x3020104
	v_mov_b32_e32 v5, v2
	s_waitcnt vmcnt(0)
	v_perm_b32 v4, v1, v2, s6
	v_pk_mov_b32 v[2:3], v[4:5], v[4:5] op_sel:[0,1]
.LBB90_9:
	s_or_b64 exec, exec, s[2:3]
	v_add_u32_e32 v32, 0x200, v36
	v_cmp_gt_u32_e64 s[2:3], s21, v32
	s_and_saveexec_b64 s[6:7], s[2:3]
	s_cbranch_execz .LBB90_11
; %bb.10:
	v_mul_lo_u32 v4, v32, s22
	global_load_ubyte v4, v4, s[24:25]
	s_mov_b32 s8, 0x7060004
	s_waitcnt vmcnt(0)
	v_perm_b32 v2, v2, v4, s8
.LBB90_11:
	s_or_b64 exec, exec, s[6:7]
	v_or_b32_e32 v31, 0x400, v36
	v_cmp_gt_u32_e64 s[16:17], s21, v31
	s_and_saveexec_b64 s[6:7], s[16:17]
	s_cbranch_execz .LBB90_13
; %bb.12:
	v_mul_lo_u32 v4, v31, s22
	global_load_ubyte v4, v4, s[24:25]
	s_movk_i32 s8, 0xff00
	v_and_b32_sdwa v5, v2, s8 dst_sel:DWORD dst_unused:UNUSED_PAD src0_sel:WORD_1 src1_sel:DWORD
	s_mov_b32 s8, 0xffff
	s_waitcnt vmcnt(0)
	v_or_b32_sdwa v4, v4, v5 dst_sel:WORD_1 dst_unused:UNUSED_PAD src0_sel:DWORD src1_sel:DWORD
	v_and_or_b32 v2, v2, s8, v4
.LBB90_13:
	s_or_b64 exec, exec, s[6:7]
	v_add_u32_e32 v30, 0x600, v36
	v_cmp_gt_u32_e64 s[6:7], s21, v30
	s_and_saveexec_b64 s[8:9], s[6:7]
	s_cbranch_execz .LBB90_15
; %bb.14:
	v_mul_lo_u32 v4, v30, s22
	global_load_ubyte v4, v4, s[24:25]
	s_movk_i32 s10, 0xff
	v_and_b32_sdwa v5, v2, s10 dst_sel:DWORD dst_unused:UNUSED_PAD src0_sel:WORD_1 src1_sel:DWORD
	s_mov_b32 s10, 0xffff
	s_waitcnt vmcnt(0)
	v_lshlrev_b16_e32 v4, 8, v4
	v_or_b32_sdwa v4, v5, v4 dst_sel:WORD_1 dst_unused:UNUSED_PAD src0_sel:DWORD src1_sel:DWORD
	v_and_or_b32 v2, v2, s10, v4
.LBB90_15:
	s_or_b64 exec, exec, s[8:9]
	v_or_b32_e32 v29, 0x800, v36
	v_cmp_gt_u32_e64 s[8:9], s21, v29
	s_and_saveexec_b64 s[10:11], s[8:9]
	s_cbranch_execz .LBB90_17
; %bb.16:
	v_mul_lo_u32 v4, v29, s22
	global_load_ubyte v4, v4, s[24:25]
	s_mov_b32 s12, 0x3020104
	s_waitcnt vmcnt(0)
	v_perm_b32 v3, v4, v3, s12
.LBB90_17:
	s_or_b64 exec, exec, s[10:11]
	v_add_u32_e32 v28, 0xa00, v36
	v_cmp_gt_u32_e64 s[10:11], s21, v28
	s_and_saveexec_b64 s[12:13], s[10:11]
	s_cbranch_execz .LBB90_19
; %bb.18:
	v_mul_lo_u32 v4, v28, s22
	global_load_ubyte v4, v4, s[24:25]
	s_mov_b32 s14, 0x7060004
	s_waitcnt vmcnt(0)
	v_perm_b32 v3, v3, v4, s14
.LBB90_19:
	s_or_b64 exec, exec, s[12:13]
	s_load_dwordx2 s[34:35], s[4:5], 0xe8
	v_or_b32_e32 v27, 0xc00, v36
	v_cmp_gt_u32_e64 s[12:13], s21, v27
	s_and_saveexec_b64 s[14:15], s[12:13]
	s_cbranch_execz .LBB90_21
; %bb.20:
	v_mul_lo_u32 v4, v27, s22
	global_load_ubyte v4, v4, s[24:25]
	s_mov_b32 s19, 0x7000504
	s_waitcnt vmcnt(0)
	v_perm_b32 v3, v3, v4, s19
.LBB90_21:
	s_or_b64 exec, exec, s[14:15]
	s_load_dword s19, s[4:5], 0x154
	v_add_u32_e32 v22, 0xe00, v36
	v_cmp_gt_u32_e64 s[14:15], s21, v22
	s_and_saveexec_b64 s[4:5], s[14:15]
	s_cbranch_execz .LBB90_23
; %bb.22:
	v_mul_lo_u32 v4, v22, s22
	global_load_ubyte v4, v4, s[24:25]
	s_mov_b32 s20, 0x60504
	s_waitcnt vmcnt(0)
	v_perm_b32 v3, v3, v4, s20
.LBB90_23:
	s_or_b64 exec, exec, s[4:5]
	v_lshrrev_b32_e32 v26, 5, v36
	v_and_b32_e32 v4, 28, v26
	v_add_u32_e32 v44, v4, v36
	v_lshrrev_b32_e32 v25, 5, v32
	ds_write_b8 v44, v1
	v_and_b32_e32 v1, 60, v25
	v_lshrrev_b32_e32 v24, 5, v31
	v_add_u32_e32 v45, v1, v36
	v_and_b32_e32 v1, 60, v24
	v_lshrrev_b32_e32 v23, 5, v30
	v_add_u32_e32 v46, v1, v36
	;; [unrolled: 3-line block ×3, first 2 shown]
	v_and_b32_e32 v1, 0x5c, v21
	v_lshrrev_b32_e32 v19, 5, v28
	v_lshrrev_b32_e32 v4, 8, v2
	v_add_u32_e32 v48, v1, v36
	v_and_b32_e32 v1, 0x7c, v19
	v_lshrrev_b32_e32 v18, 5, v27
	ds_write_b8 v45, v4 offset:512
	ds_write_b8_d16_hi v46, v2 offset:1024
	v_lshrrev_b32_e32 v2, 24, v2
	v_add_u32_e32 v49, v1, v36
	v_and_b32_e32 v1, 0x7c, v18
	ds_write_b8 v47, v2 offset:1536
	v_lshrrev_b32_e32 v2, 8, v3
	v_add_u32_e32 v50, v1, v36
	v_lshrrev_b32_e32 v1, 5, v22
	ds_write_b8 v48, v3 offset:2048
	ds_write_b8 v49, v2 offset:2560
	v_and_b32_e32 v2, 0xfc, v1
	v_lshrrev_b32_e32 v20, 2, v36
	v_add_u32_e32 v51, v2, v36
	v_lshlrev_b32_e32 v53, 3, v36
	v_and_b32_e32 v2, 0xfc, v20
	ds_write_b8_d16_hi v50, v3 offset:3072
	v_lshrrev_b32_e32 v3, 24, v3
	v_add_u32_e32 v52, v2, v53
	s_waitcnt lgkmcnt(0)
	s_mul_i32 s4, s19, s23
	ds_write_b8 v51, v3 offset:3584
	s_waitcnt lgkmcnt(0)
	s_barrier
	ds_read_b64 v[38:39], v52
	s_add_i32 s36, s4, s31
	s_mov_b32 s37, 0
	s_lshl_b64 s[4:5], s[36:37], 3
	s_mov_b32 s36, s37
	s_add_u32 s19, s34, s4
	s_mov_b32 s38, s37
	s_mov_b32 s39, s37
	;; [unrolled: 1-line block ×14, first 2 shown]
	v_pk_mov_b32 v[2:3], s[36:37], s[36:37] op_sel:[0,1]
	s_addc_u32 s20, s35, s5
	v_pk_mov_b32 v[4:5], s[38:39], s[38:39] op_sel:[0,1]
	v_pk_mov_b32 v[6:7], s[40:41], s[40:41] op_sel:[0,1]
	;; [unrolled: 1-line block ×7, first 2 shown]
	v_pk_mov_b32 v[2:3], 0, 0
	v_mul_lo_u32 v34, v36, s18
	s_waitcnt lgkmcnt(0)
	s_barrier
	s_and_saveexec_b64 s[4:5], s[0:1]
	s_cbranch_execnz .LBB90_56
; %bb.24:
	s_or_b64 exec, exec, s[4:5]
	s_and_saveexec_b64 s[4:5], s[2:3]
	s_cbranch_execnz .LBB90_57
.LBB90_25:
	s_or_b64 exec, exec, s[4:5]
	s_and_saveexec_b64 s[4:5], s[16:17]
	s_cbranch_execnz .LBB90_58
.LBB90_26:
	s_or_b64 exec, exec, s[4:5]
	s_and_saveexec_b64 s[4:5], s[6:7]
	s_cbranch_execnz .LBB90_59
.LBB90_27:
	s_or_b64 exec, exec, s[4:5]
	s_and_saveexec_b64 s[4:5], s[8:9]
	s_cbranch_execnz .LBB90_60
.LBB90_28:
	s_or_b64 exec, exec, s[4:5]
	s_and_saveexec_b64 s[4:5], s[10:11]
	s_cbranch_execnz .LBB90_61
.LBB90_29:
	s_or_b64 exec, exec, s[4:5]
	s_and_saveexec_b64 s[4:5], s[12:13]
	s_cbranch_execnz .LBB90_62
.LBB90_30:
	s_or_b64 exec, exec, s[4:5]
	s_and_saveexec_b64 s[4:5], s[14:15]
	s_cbranch_execz .LBB90_32
.LBB90_31:
	v_mul_lo_u32 v16, v22, s18
	v_mov_b32_e32 v17, 0
	v_lshlrev_b64 v[16:17], 3, v[16:17]
	v_mov_b32_e32 v22, s20
	v_add_co_u32_e32 v16, vcc, s19, v16
	v_addc_co_u32_e32 v17, vcc, v22, v17, vcc
	global_load_dwordx2 v[16:17], v[16:17], off
.LBB90_32:
	s_or_b64 exec, exec, s[4:5]
	v_lshrrev_b64 v[40:41], 24, v[38:39]
	v_add_lshl_u32 v41, v26, v36, 3
	v_add_lshl_u32 v35, v25, v36, 3
	;; [unrolled: 1-line block ×9, first 2 shown]
	s_waitcnt vmcnt(0)
	ds_write_b64 v41, v[2:3]
	ds_write_b64 v35, v[4:5] offset:4096
	ds_write_b64 v54, v[6:7] offset:8192
	ds_write_b64 v55, v[8:9] offset:12288
	ds_write_b64 v56, v[10:11] offset:16384
	ds_write_b64 v57, v[12:13] offset:20480
	ds_write_b64 v58, v[14:15] offset:24576
	ds_write_b64 v59, v[16:17] offset:28672
	s_waitcnt lgkmcnt(0)
	s_barrier
	ds_read2_b64 v[14:17], v60 offset1:1
	ds_read2_b64 v[10:13], v60 offset0:2 offset1:3
	ds_read2_b64 v[6:9], v60 offset0:4 offset1:5
	;; [unrolled: 1-line block ×3, first 2 shown]
	v_lshrrev_b32_e32 v64, 8, v38
	v_lshrrev_b32_e32 v65, 8, v39
	s_and_b64 vcc, exec, s[28:29]
	v_bfe_u32 v62, v0, 10, 10
	v_bfe_u32 v63, v0, 20, 10
	v_mbcnt_lo_u32_b32 v66, -1, 0
	v_lshlrev_b32_e32 v61, 4, v36
	s_waitcnt lgkmcnt(0)
	s_barrier
	s_cbranch_vccz .LBB90_63
; %bb.33:
	s_movk_i32 s4, 0xff
	v_mov_b32_e32 v1, 8
	v_lshlrev_b16_e32 v0, 8, v65
	v_lshlrev_b16_sdwa v1, v1, v39 dst_sel:DWORD dst_unused:UNUSED_PAD src0_sel:DWORD src1_sel:BYTE_3
	v_and_b32_sdwa v20, v39, s4 dst_sel:DWORD dst_unused:UNUSED_PAD src0_sel:WORD_1 src1_sel:DWORD
	v_or_b32_sdwa v0, v39, v0 dst_sel:DWORD dst_unused:UNUSED_PAD src0_sel:BYTE_0 src1_sel:DWORD
	v_or_b32_sdwa v1, v20, v1 dst_sel:WORD_1 dst_unused:UNUSED_PAD src0_sel:DWORD src1_sel:DWORD
	v_mbcnt_hi_u32_b32 v75, -1, v66
	v_and_b32_e32 v76, 0x3c0, v36
	v_or_b32_sdwa v1, v0, v1 dst_sel:DWORD dst_unused:UNUSED_PAD src0_sel:WORD_0 src1_sel:DWORD
	v_lshlrev_b16_e32 v0, 8, v64
	v_lshlrev_b16_e32 v20, 8, v40
	v_and_b32_sdwa v21, v38, s4 dst_sel:DWORD dst_unused:UNUSED_PAD src0_sel:WORD_1 src1_sel:DWORD
	v_add_u32_e32 v18, v75, v76
	v_or_b32_sdwa v0, v38, v0 dst_sel:DWORD dst_unused:UNUSED_PAD src0_sel:BYTE_0 src1_sel:DWORD
	v_or_b32_sdwa v20, v21, v20 dst_sel:WORD_1 dst_unused:UNUSED_PAD src0_sel:DWORD src1_sel:DWORD
	v_lshlrev_b32_e32 v19, 3, v18
	v_or_b32_sdwa v0, v0, v20 dst_sel:DWORD dst_unused:UNUSED_PAD src0_sel:WORD_0 src1_sel:DWORD
	s_movk_i32 s4, 0x1e00
	ds_write_b64 v19, v[0:1]
	v_and_or_b32 v0, v53, s4, v75
	; wave barrier
	ds_read_u8 v67, v0
	ds_read_u8 v68, v0 offset:64
	ds_read_u8 v69, v0 offset:128
	;; [unrolled: 1-line block ×7, first 2 shown]
	v_lshlrev_b32_e32 v1, 6, v18
	v_lshlrev_b32_e32 v0, 3, v0
	s_getpc_b64 s[4:5]
	s_add_u32 s4, s4, _ZN7rocprim17ROCPRIM_400000_NS16block_radix_sortIhLj512ELj8ElLj1ELj1ELj0ELNS0_26block_radix_rank_algorithmE1ELNS0_18block_padding_hintE2ELNS0_4arch9wavefront6targetE1EE19radix_bits_per_passE@rel32@lo+4
	s_addc_u32 s5, s5, _ZN7rocprim17ROCPRIM_400000_NS16block_radix_sortIhLj512ELj8ElLj1ELj1ELj0ELNS0_26block_radix_rank_algorithmE1ELNS0_18block_padding_hintE2ELNS0_4arch9wavefront6targetE1EE19radix_bits_per_passE@rel32@hi+12
	s_waitcnt lgkmcnt(0)
	s_barrier
	ds_write2_b64 v1, v[14:15], v[16:17] offset1:1
	ds_write2_b64 v1, v[10:11], v[12:13] offset0:2 offset1:3
	ds_write2_b64 v1, v[6:7], v[8:9] offset0:4 offset1:5
	;; [unrolled: 1-line block ×3, first 2 shown]
	; wave barrier
	ds_read2st64_b64 v[30:33], v0 offset1:1
	ds_read2st64_b64 v[26:29], v0 offset0:2 offset1:3
	ds_read2st64_b64 v[22:25], v0 offset0:4 offset1:5
	ds_read2st64_b64 v[18:21], v0 offset0:6 offset1:7
	s_waitcnt lgkmcnt(0)
	s_barrier
	s_load_dword s21, s[4:5], 0x0
	s_load_dword s23, s[26:27], 0xc
	v_mov_b32_e32 v79, 3
	v_mov_b32_e32 v0, 0
	ds_write2_b32 v61, v0, v0 offset0:8 offset1:9
	ds_write2_b32 v61, v0, v0 offset0:10 offset1:11
	s_waitcnt lgkmcnt(0)
	s_min_u32 s21, s21, 8
	s_lshr_b32 s4, s23, 16
	s_and_b32 s5, s23, 0xffff
	v_mad_u32_u24 v1, v63, s4, v62
	v_mad_u64_u32 v[42:43], s[4:5], v1, s5, v[36:37]
	s_lshl_b32 s4, -1, s21
	s_not_b32 s21, s4
	v_lshrrev_b32_e32 v83, 6, v42
	v_and_b32_e32 v42, s21, v67
	v_lshlrev_b32_sdwa v1, v79, v42 dst_sel:DWORD dst_unused:UNUSED_PAD src0_sel:DWORD src1_sel:BYTE_0
	v_add_lshl_u32 v77, v83, v1, 2
	v_and_b32_e32 v1, 1, v42
	v_add_co_u32_e32 v43, vcc, -1, v1
	v_addc_co_u32_e64 v78, s[4:5], 0, -1, vcc
	v_cmp_ne_u32_e32 vcc, 0, v1
	v_xor_b32_e32 v1, vcc_hi, v78
	v_and_b32_e32 v78, exec_hi, v1
	v_lshlrev_b32_e32 v1, 30, v42
	v_xor_b32_e32 v43, vcc_lo, v43
	v_cmp_gt_i64_e32 vcc, 0, v[0:1]
	v_not_b32_e32 v1, v1
	v_ashrrev_i32_e32 v1, 31, v1
	v_and_b32_e32 v43, exec_lo, v43
	v_xor_b32_e32 v80, vcc_hi, v1
	v_xor_b32_e32 v1, vcc_lo, v1
	v_and_b32_e32 v43, v43, v1
	v_lshlrev_b32_e32 v1, 29, v42
	v_cmp_gt_i64_e32 vcc, 0, v[0:1]
	v_not_b32_e32 v1, v1
	v_ashrrev_i32_e32 v1, 31, v1
	v_and_b32_e32 v78, v78, v80
	v_xor_b32_e32 v80, vcc_hi, v1
	v_xor_b32_e32 v1, vcc_lo, v1
	v_and_b32_e32 v43, v43, v1
	v_lshlrev_b32_e32 v1, 28, v42
	v_cmp_gt_i64_e32 vcc, 0, v[0:1]
	v_not_b32_e32 v1, v1
	v_ashrrev_i32_e32 v1, 31, v1
	v_and_b32_e32 v78, v78, v80
	;; [unrolled: 8-line block ×5, first 2 shown]
	v_xor_b32_e32 v80, vcc_hi, v1
	v_xor_b32_e32 v1, vcc_lo, v1
	v_and_b32_e32 v78, v78, v80
	v_and_b32_e32 v80, v43, v1
	v_lshlrev_b32_e32 v1, 24, v42
	v_cmp_gt_i64_e32 vcc, 0, v[0:1]
	v_not_b32_e32 v1, v1
	v_ashrrev_i32_e32 v1, 31, v1
	v_xor_b32_e32 v42, vcc_hi, v1
	v_xor_b32_e32 v1, vcc_lo, v1
	v_and_b32_e32 v43, v78, v42
	v_and_b32_e32 v42, v80, v1
	v_mbcnt_lo_u32_b32 v1, v42, 0
	v_mbcnt_hi_u32_b32 v78, v43, v1
	v_cmp_eq_u32_e32 vcc, 0, v78
	v_cmp_ne_u64_e64 s[4:5], 0, v[42:43]
	s_and_b64 s[28:29], s[4:5], vcc
	s_barrier
	s_waitcnt lgkmcnt(0)
	; wave barrier
	s_and_saveexec_b64 s[4:5], s[28:29]
	s_cbranch_execz .LBB90_35
; %bb.34:
	v_bcnt_u32_b32 v1, v42, 0
	v_bcnt_u32_b32 v1, v43, v1
	ds_write_b32 v77, v1 offset:32
.LBB90_35:
	s_or_b64 exec, exec, s[4:5]
	v_and_b32_e32 v42, s21, v68
	v_lshlrev_b32_sdwa v1, v79, v42 dst_sel:DWORD dst_unused:UNUSED_PAD src0_sel:DWORD src1_sel:BYTE_0
	v_add_lshl_u32 v80, v83, v1, 2
	v_and_b32_e32 v1, 1, v42
	v_add_co_u32_e32 v43, vcc, -1, v1
	v_addc_co_u32_e64 v81, s[4:5], 0, -1, vcc
	v_cmp_ne_u32_e32 vcc, 0, v1
	v_xor_b32_e32 v1, vcc_hi, v81
	v_and_b32_e32 v81, exec_hi, v1
	v_lshlrev_b32_e32 v1, 30, v42
	v_xor_b32_e32 v43, vcc_lo, v43
	v_cmp_gt_i64_e32 vcc, 0, v[0:1]
	v_not_b32_e32 v1, v1
	v_ashrrev_i32_e32 v1, 31, v1
	v_and_b32_e32 v43, exec_lo, v43
	v_xor_b32_e32 v82, vcc_hi, v1
	v_xor_b32_e32 v1, vcc_lo, v1
	v_and_b32_e32 v43, v43, v1
	v_lshlrev_b32_e32 v1, 29, v42
	v_cmp_gt_i64_e32 vcc, 0, v[0:1]
	v_not_b32_e32 v1, v1
	v_ashrrev_i32_e32 v1, 31, v1
	v_and_b32_e32 v81, v81, v82
	v_xor_b32_e32 v82, vcc_hi, v1
	v_xor_b32_e32 v1, vcc_lo, v1
	v_and_b32_e32 v43, v43, v1
	v_lshlrev_b32_e32 v1, 28, v42
	v_cmp_gt_i64_e32 vcc, 0, v[0:1]
	v_not_b32_e32 v1, v1
	v_ashrrev_i32_e32 v1, 31, v1
	v_and_b32_e32 v81, v81, v82
	v_xor_b32_e32 v82, vcc_hi, v1
	v_xor_b32_e32 v1, vcc_lo, v1
	v_and_b32_e32 v43, v43, v1
	v_lshlrev_b32_e32 v1, 27, v42
	v_cmp_gt_i64_e32 vcc, 0, v[0:1]
	v_not_b32_e32 v1, v1
	v_ashrrev_i32_e32 v1, 31, v1
	v_and_b32_e32 v81, v81, v82
	v_xor_b32_e32 v82, vcc_hi, v1
	v_xor_b32_e32 v1, vcc_lo, v1
	v_and_b32_e32 v43, v43, v1
	v_lshlrev_b32_e32 v1, 26, v42
	v_cmp_gt_i64_e32 vcc, 0, v[0:1]
	v_not_b32_e32 v1, v1
	v_ashrrev_i32_e32 v1, 31, v1
	v_and_b32_e32 v81, v81, v82
	v_xor_b32_e32 v82, vcc_hi, v1
	v_xor_b32_e32 v1, vcc_lo, v1
	v_and_b32_e32 v43, v43, v1
	v_lshlrev_b32_e32 v1, 25, v42
	v_cmp_gt_i64_e32 vcc, 0, v[0:1]
	v_not_b32_e32 v1, v1
	v_ashrrev_i32_e32 v1, 31, v1
	v_and_b32_e32 v81, v81, v82
	v_xor_b32_e32 v82, vcc_hi, v1
	v_xor_b32_e32 v1, vcc_lo, v1
	v_and_b32_e32 v43, v43, v1
	v_lshlrev_b32_e32 v1, 24, v42
	v_cmp_gt_i64_e32 vcc, 0, v[0:1]
	v_not_b32_e32 v0, v1
	v_ashrrev_i32_e32 v0, 31, v0
	v_xor_b32_e32 v1, vcc_hi, v0
	v_xor_b32_e32 v0, vcc_lo, v0
	; wave barrier
	ds_read_b32 v79, v80 offset:32
	v_and_b32_e32 v81, v81, v82
	v_and_b32_e32 v0, v43, v0
	;; [unrolled: 1-line block ×3, first 2 shown]
	v_mbcnt_lo_u32_b32 v42, v0, 0
	v_mbcnt_hi_u32_b32 v81, v1, v42
	v_cmp_eq_u32_e32 vcc, 0, v81
	v_cmp_ne_u64_e64 s[4:5], 0, v[0:1]
	s_and_b64 s[28:29], s[4:5], vcc
	; wave barrier
	s_and_saveexec_b64 s[4:5], s[28:29]
	s_cbranch_execz .LBB90_37
; %bb.36:
	v_bcnt_u32_b32 v0, v0, 0
	v_bcnt_u32_b32 v0, v1, v0
	s_waitcnt lgkmcnt(0)
	v_add_u32_e32 v0, v79, v0
	ds_write_b32 v80, v0 offset:32
.LBB90_37:
	s_or_b64 exec, exec, s[4:5]
	v_and_b32_e32 v42, s21, v69
	v_and_b32_e32 v1, 1, v42
	v_add_co_u32_e32 v43, vcc, -1, v1
	v_mov_b32_e32 v86, 3
	v_addc_co_u32_e64 v85, s[4:5], 0, -1, vcc
	v_cmp_ne_u32_e32 vcc, 0, v1
	v_lshlrev_b32_sdwa v0, v86, v42 dst_sel:DWORD dst_unused:UNUSED_PAD src0_sel:DWORD src1_sel:BYTE_0
	v_xor_b32_e32 v1, vcc_hi, v85
	v_add_lshl_u32 v84, v83, v0, 2
	v_mov_b32_e32 v0, 0
	v_and_b32_e32 v85, exec_hi, v1
	v_lshlrev_b32_e32 v1, 30, v42
	v_xor_b32_e32 v43, vcc_lo, v43
	v_cmp_gt_i64_e32 vcc, 0, v[0:1]
	v_not_b32_e32 v1, v1
	v_ashrrev_i32_e32 v1, 31, v1
	v_and_b32_e32 v43, exec_lo, v43
	v_xor_b32_e32 v87, vcc_hi, v1
	v_xor_b32_e32 v1, vcc_lo, v1
	v_and_b32_e32 v43, v43, v1
	v_lshlrev_b32_e32 v1, 29, v42
	v_cmp_gt_i64_e32 vcc, 0, v[0:1]
	v_not_b32_e32 v1, v1
	v_ashrrev_i32_e32 v1, 31, v1
	v_and_b32_e32 v85, v85, v87
	v_xor_b32_e32 v87, vcc_hi, v1
	v_xor_b32_e32 v1, vcc_lo, v1
	v_and_b32_e32 v43, v43, v1
	v_lshlrev_b32_e32 v1, 28, v42
	v_cmp_gt_i64_e32 vcc, 0, v[0:1]
	v_not_b32_e32 v1, v1
	v_ashrrev_i32_e32 v1, 31, v1
	v_and_b32_e32 v85, v85, v87
	v_xor_b32_e32 v87, vcc_hi, v1
	v_xor_b32_e32 v1, vcc_lo, v1
	v_and_b32_e32 v43, v43, v1
	v_lshlrev_b32_e32 v1, 27, v42
	v_cmp_gt_i64_e32 vcc, 0, v[0:1]
	v_not_b32_e32 v1, v1
	v_ashrrev_i32_e32 v1, 31, v1
	v_and_b32_e32 v85, v85, v87
	v_xor_b32_e32 v87, vcc_hi, v1
	v_xor_b32_e32 v1, vcc_lo, v1
	v_and_b32_e32 v43, v43, v1
	v_lshlrev_b32_e32 v1, 26, v42
	v_cmp_gt_i64_e32 vcc, 0, v[0:1]
	v_not_b32_e32 v1, v1
	v_ashrrev_i32_e32 v1, 31, v1
	v_and_b32_e32 v85, v85, v87
	v_xor_b32_e32 v87, vcc_hi, v1
	v_xor_b32_e32 v1, vcc_lo, v1
	v_and_b32_e32 v43, v43, v1
	v_lshlrev_b32_e32 v1, 25, v42
	v_cmp_gt_i64_e32 vcc, 0, v[0:1]
	v_not_b32_e32 v1, v1
	v_ashrrev_i32_e32 v1, 31, v1
	v_and_b32_e32 v85, v85, v87
	v_xor_b32_e32 v87, vcc_hi, v1
	v_xor_b32_e32 v1, vcc_lo, v1
	v_and_b32_e32 v85, v85, v87
	v_and_b32_e32 v87, v43, v1
	v_lshlrev_b32_e32 v1, 24, v42
	v_cmp_gt_i64_e32 vcc, 0, v[0:1]
	v_not_b32_e32 v1, v1
	v_ashrrev_i32_e32 v1, 31, v1
	v_xor_b32_e32 v42, vcc_hi, v1
	v_xor_b32_e32 v1, vcc_lo, v1
	; wave barrier
	ds_read_b32 v82, v84 offset:32
	v_and_b32_e32 v43, v85, v42
	v_and_b32_e32 v42, v87, v1
	v_mbcnt_lo_u32_b32 v1, v42, 0
	v_mbcnt_hi_u32_b32 v85, v43, v1
	v_cmp_eq_u32_e32 vcc, 0, v85
	v_cmp_ne_u64_e64 s[4:5], 0, v[42:43]
	s_and_b64 s[28:29], s[4:5], vcc
	; wave barrier
	s_and_saveexec_b64 s[4:5], s[28:29]
	s_cbranch_execz .LBB90_39
; %bb.38:
	v_bcnt_u32_b32 v1, v42, 0
	v_bcnt_u32_b32 v1, v43, v1
	s_waitcnt lgkmcnt(0)
	v_add_u32_e32 v1, v82, v1
	ds_write_b32 v84, v1 offset:32
.LBB90_39:
	s_or_b64 exec, exec, s[4:5]
	v_and_b32_e32 v42, s21, v70
	v_lshlrev_b32_sdwa v1, v86, v42 dst_sel:DWORD dst_unused:UNUSED_PAD src0_sel:DWORD src1_sel:BYTE_0
	v_add_lshl_u32 v87, v83, v1, 2
	v_and_b32_e32 v1, 1, v42
	v_add_co_u32_e32 v43, vcc, -1, v1
	v_addc_co_u32_e64 v88, s[4:5], 0, -1, vcc
	v_cmp_ne_u32_e32 vcc, 0, v1
	v_xor_b32_e32 v1, vcc_hi, v88
	v_and_b32_e32 v88, exec_hi, v1
	v_lshlrev_b32_e32 v1, 30, v42
	v_xor_b32_e32 v43, vcc_lo, v43
	v_cmp_gt_i64_e32 vcc, 0, v[0:1]
	v_not_b32_e32 v1, v1
	v_ashrrev_i32_e32 v1, 31, v1
	v_and_b32_e32 v43, exec_lo, v43
	v_xor_b32_e32 v89, vcc_hi, v1
	v_xor_b32_e32 v1, vcc_lo, v1
	v_and_b32_e32 v43, v43, v1
	v_lshlrev_b32_e32 v1, 29, v42
	v_cmp_gt_i64_e32 vcc, 0, v[0:1]
	v_not_b32_e32 v1, v1
	v_ashrrev_i32_e32 v1, 31, v1
	v_and_b32_e32 v88, v88, v89
	v_xor_b32_e32 v89, vcc_hi, v1
	v_xor_b32_e32 v1, vcc_lo, v1
	v_and_b32_e32 v43, v43, v1
	v_lshlrev_b32_e32 v1, 28, v42
	v_cmp_gt_i64_e32 vcc, 0, v[0:1]
	v_not_b32_e32 v1, v1
	v_ashrrev_i32_e32 v1, 31, v1
	v_and_b32_e32 v88, v88, v89
	;; [unrolled: 8-line block ×5, first 2 shown]
	v_xor_b32_e32 v89, vcc_hi, v1
	v_xor_b32_e32 v1, vcc_lo, v1
	v_and_b32_e32 v43, v43, v1
	v_lshlrev_b32_e32 v1, 24, v42
	v_cmp_gt_i64_e32 vcc, 0, v[0:1]
	v_not_b32_e32 v0, v1
	v_ashrrev_i32_e32 v0, 31, v0
	v_xor_b32_e32 v1, vcc_hi, v0
	v_xor_b32_e32 v0, vcc_lo, v0
	; wave barrier
	ds_read_b32 v86, v87 offset:32
	v_and_b32_e32 v88, v88, v89
	v_and_b32_e32 v0, v43, v0
	;; [unrolled: 1-line block ×3, first 2 shown]
	v_mbcnt_lo_u32_b32 v42, v0, 0
	v_mbcnt_hi_u32_b32 v88, v1, v42
	v_cmp_eq_u32_e32 vcc, 0, v88
	v_cmp_ne_u64_e64 s[4:5], 0, v[0:1]
	s_and_b64 s[28:29], s[4:5], vcc
	; wave barrier
	s_and_saveexec_b64 s[4:5], s[28:29]
	s_cbranch_execz .LBB90_41
; %bb.40:
	v_bcnt_u32_b32 v0, v0, 0
	v_bcnt_u32_b32 v0, v1, v0
	s_waitcnt lgkmcnt(0)
	v_add_u32_e32 v0, v86, v0
	ds_write_b32 v87, v0 offset:32
.LBB90_41:
	s_or_b64 exec, exec, s[4:5]
	v_and_b32_e32 v42, s21, v71
	v_and_b32_e32 v1, 1, v42
	v_add_co_u32_e32 v43, vcc, -1, v1
	v_mov_b32_e32 v92, 3
	v_addc_co_u32_e64 v91, s[4:5], 0, -1, vcc
	v_cmp_ne_u32_e32 vcc, 0, v1
	v_lshlrev_b32_sdwa v0, v92, v42 dst_sel:DWORD dst_unused:UNUSED_PAD src0_sel:DWORD src1_sel:BYTE_0
	v_xor_b32_e32 v1, vcc_hi, v91
	v_add_lshl_u32 v90, v83, v0, 2
	v_mov_b32_e32 v0, 0
	v_and_b32_e32 v91, exec_hi, v1
	v_lshlrev_b32_e32 v1, 30, v42
	v_xor_b32_e32 v43, vcc_lo, v43
	v_cmp_gt_i64_e32 vcc, 0, v[0:1]
	v_not_b32_e32 v1, v1
	v_ashrrev_i32_e32 v1, 31, v1
	v_and_b32_e32 v43, exec_lo, v43
	v_xor_b32_e32 v93, vcc_hi, v1
	v_xor_b32_e32 v1, vcc_lo, v1
	v_and_b32_e32 v43, v43, v1
	v_lshlrev_b32_e32 v1, 29, v42
	v_cmp_gt_i64_e32 vcc, 0, v[0:1]
	v_not_b32_e32 v1, v1
	v_ashrrev_i32_e32 v1, 31, v1
	v_and_b32_e32 v91, v91, v93
	v_xor_b32_e32 v93, vcc_hi, v1
	v_xor_b32_e32 v1, vcc_lo, v1
	v_and_b32_e32 v43, v43, v1
	v_lshlrev_b32_e32 v1, 28, v42
	v_cmp_gt_i64_e32 vcc, 0, v[0:1]
	v_not_b32_e32 v1, v1
	v_ashrrev_i32_e32 v1, 31, v1
	v_and_b32_e32 v91, v91, v93
	;; [unrolled: 8-line block ×5, first 2 shown]
	v_xor_b32_e32 v93, vcc_hi, v1
	v_xor_b32_e32 v1, vcc_lo, v1
	v_and_b32_e32 v91, v91, v93
	v_and_b32_e32 v93, v43, v1
	v_lshlrev_b32_e32 v1, 24, v42
	v_cmp_gt_i64_e32 vcc, 0, v[0:1]
	v_not_b32_e32 v1, v1
	v_ashrrev_i32_e32 v1, 31, v1
	v_xor_b32_e32 v42, vcc_hi, v1
	v_xor_b32_e32 v1, vcc_lo, v1
	; wave barrier
	ds_read_b32 v89, v90 offset:32
	v_and_b32_e32 v43, v91, v42
	v_and_b32_e32 v42, v93, v1
	v_mbcnt_lo_u32_b32 v1, v42, 0
	v_mbcnt_hi_u32_b32 v91, v43, v1
	v_cmp_eq_u32_e32 vcc, 0, v91
	v_cmp_ne_u64_e64 s[4:5], 0, v[42:43]
	s_and_b64 s[28:29], s[4:5], vcc
	; wave barrier
	s_and_saveexec_b64 s[4:5], s[28:29]
	s_cbranch_execz .LBB90_43
; %bb.42:
	v_bcnt_u32_b32 v1, v42, 0
	v_bcnt_u32_b32 v1, v43, v1
	s_waitcnt lgkmcnt(0)
	v_add_u32_e32 v1, v89, v1
	ds_write_b32 v90, v1 offset:32
.LBB90_43:
	s_or_b64 exec, exec, s[4:5]
	v_and_b32_e32 v42, s21, v72
	v_lshlrev_b32_sdwa v1, v92, v42 dst_sel:DWORD dst_unused:UNUSED_PAD src0_sel:DWORD src1_sel:BYTE_0
	v_add_lshl_u32 v93, v83, v1, 2
	v_and_b32_e32 v1, 1, v42
	v_add_co_u32_e32 v43, vcc, -1, v1
	v_addc_co_u32_e64 v94, s[4:5], 0, -1, vcc
	v_cmp_ne_u32_e32 vcc, 0, v1
	v_xor_b32_e32 v1, vcc_hi, v94
	v_and_b32_e32 v94, exec_hi, v1
	v_lshlrev_b32_e32 v1, 30, v42
	v_xor_b32_e32 v43, vcc_lo, v43
	v_cmp_gt_i64_e32 vcc, 0, v[0:1]
	v_not_b32_e32 v1, v1
	v_ashrrev_i32_e32 v1, 31, v1
	v_and_b32_e32 v43, exec_lo, v43
	v_xor_b32_e32 v95, vcc_hi, v1
	v_xor_b32_e32 v1, vcc_lo, v1
	v_and_b32_e32 v43, v43, v1
	v_lshlrev_b32_e32 v1, 29, v42
	v_cmp_gt_i64_e32 vcc, 0, v[0:1]
	v_not_b32_e32 v1, v1
	v_ashrrev_i32_e32 v1, 31, v1
	v_and_b32_e32 v94, v94, v95
	v_xor_b32_e32 v95, vcc_hi, v1
	v_xor_b32_e32 v1, vcc_lo, v1
	v_and_b32_e32 v43, v43, v1
	v_lshlrev_b32_e32 v1, 28, v42
	v_cmp_gt_i64_e32 vcc, 0, v[0:1]
	v_not_b32_e32 v1, v1
	v_ashrrev_i32_e32 v1, 31, v1
	v_and_b32_e32 v94, v94, v95
	;; [unrolled: 8-line block ×5, first 2 shown]
	v_xor_b32_e32 v95, vcc_hi, v1
	v_xor_b32_e32 v1, vcc_lo, v1
	v_and_b32_e32 v43, v43, v1
	v_lshlrev_b32_e32 v1, 24, v42
	v_cmp_gt_i64_e32 vcc, 0, v[0:1]
	v_not_b32_e32 v0, v1
	v_ashrrev_i32_e32 v0, 31, v0
	v_xor_b32_e32 v1, vcc_hi, v0
	v_xor_b32_e32 v0, vcc_lo, v0
	; wave barrier
	ds_read_b32 v92, v93 offset:32
	v_and_b32_e32 v94, v94, v95
	v_and_b32_e32 v0, v43, v0
	;; [unrolled: 1-line block ×3, first 2 shown]
	v_mbcnt_lo_u32_b32 v42, v0, 0
	v_mbcnt_hi_u32_b32 v94, v1, v42
	v_cmp_eq_u32_e32 vcc, 0, v94
	v_cmp_ne_u64_e64 s[4:5], 0, v[0:1]
	s_and_b64 s[28:29], s[4:5], vcc
	; wave barrier
	s_and_saveexec_b64 s[4:5], s[28:29]
	s_cbranch_execz .LBB90_45
; %bb.44:
	v_bcnt_u32_b32 v0, v0, 0
	v_bcnt_u32_b32 v0, v1, v0
	s_waitcnt lgkmcnt(0)
	v_add_u32_e32 v0, v92, v0
	ds_write_b32 v93, v0 offset:32
.LBB90_45:
	s_or_b64 exec, exec, s[4:5]
	v_and_b32_e32 v42, s21, v73
	v_and_b32_e32 v1, 1, v42
	v_add_co_u32_e32 v43, vcc, -1, v1
	v_mov_b32_e32 v98, 3
	v_addc_co_u32_e64 v97, s[4:5], 0, -1, vcc
	v_cmp_ne_u32_e32 vcc, 0, v1
	v_lshlrev_b32_sdwa v0, v98, v42 dst_sel:DWORD dst_unused:UNUSED_PAD src0_sel:DWORD src1_sel:BYTE_0
	v_xor_b32_e32 v1, vcc_hi, v97
	v_add_lshl_u32 v96, v83, v0, 2
	v_mov_b32_e32 v0, 0
	v_and_b32_e32 v97, exec_hi, v1
	v_lshlrev_b32_e32 v1, 30, v42
	v_xor_b32_e32 v43, vcc_lo, v43
	v_cmp_gt_i64_e32 vcc, 0, v[0:1]
	v_not_b32_e32 v1, v1
	v_ashrrev_i32_e32 v1, 31, v1
	v_and_b32_e32 v43, exec_lo, v43
	v_xor_b32_e32 v99, vcc_hi, v1
	v_xor_b32_e32 v1, vcc_lo, v1
	v_and_b32_e32 v43, v43, v1
	v_lshlrev_b32_e32 v1, 29, v42
	v_cmp_gt_i64_e32 vcc, 0, v[0:1]
	v_not_b32_e32 v1, v1
	v_ashrrev_i32_e32 v1, 31, v1
	v_and_b32_e32 v97, v97, v99
	v_xor_b32_e32 v99, vcc_hi, v1
	v_xor_b32_e32 v1, vcc_lo, v1
	v_and_b32_e32 v43, v43, v1
	v_lshlrev_b32_e32 v1, 28, v42
	v_cmp_gt_i64_e32 vcc, 0, v[0:1]
	v_not_b32_e32 v1, v1
	v_ashrrev_i32_e32 v1, 31, v1
	v_and_b32_e32 v97, v97, v99
	;; [unrolled: 8-line block ×5, first 2 shown]
	v_xor_b32_e32 v99, vcc_hi, v1
	v_xor_b32_e32 v1, vcc_lo, v1
	v_and_b32_e32 v97, v97, v99
	v_and_b32_e32 v99, v43, v1
	v_lshlrev_b32_e32 v1, 24, v42
	v_cmp_gt_i64_e32 vcc, 0, v[0:1]
	v_not_b32_e32 v1, v1
	v_ashrrev_i32_e32 v1, 31, v1
	v_xor_b32_e32 v42, vcc_hi, v1
	v_xor_b32_e32 v1, vcc_lo, v1
	; wave barrier
	ds_read_b32 v95, v96 offset:32
	v_and_b32_e32 v43, v97, v42
	v_and_b32_e32 v42, v99, v1
	v_mbcnt_lo_u32_b32 v1, v42, 0
	v_mbcnt_hi_u32_b32 v97, v43, v1
	v_cmp_eq_u32_e32 vcc, 0, v97
	v_cmp_ne_u64_e64 s[4:5], 0, v[42:43]
	s_and_b64 s[28:29], s[4:5], vcc
	; wave barrier
	s_and_saveexec_b64 s[4:5], s[28:29]
	s_cbranch_execz .LBB90_47
; %bb.46:
	v_bcnt_u32_b32 v1, v42, 0
	v_bcnt_u32_b32 v1, v43, v1
	s_waitcnt lgkmcnt(0)
	v_add_u32_e32 v1, v95, v1
	ds_write_b32 v96, v1 offset:32
.LBB90_47:
	s_or_b64 exec, exec, s[4:5]
	v_and_b32_e32 v42, s21, v74
	v_lshlrev_b32_sdwa v1, v98, v42 dst_sel:DWORD dst_unused:UNUSED_PAD src0_sel:DWORD src1_sel:BYTE_0
	v_add_lshl_u32 v98, v83, v1, 2
	v_and_b32_e32 v1, 1, v42
	v_add_co_u32_e32 v43, vcc, -1, v1
	v_addc_co_u32_e64 v100, s[4:5], 0, -1, vcc
	v_cmp_ne_u32_e32 vcc, 0, v1
	v_xor_b32_e32 v1, vcc_hi, v100
	v_and_b32_e32 v100, exec_hi, v1
	v_lshlrev_b32_e32 v1, 30, v42
	v_xor_b32_e32 v43, vcc_lo, v43
	v_cmp_gt_i64_e32 vcc, 0, v[0:1]
	v_not_b32_e32 v1, v1
	v_ashrrev_i32_e32 v1, 31, v1
	v_and_b32_e32 v43, exec_lo, v43
	v_xor_b32_e32 v101, vcc_hi, v1
	v_xor_b32_e32 v1, vcc_lo, v1
	v_and_b32_e32 v43, v43, v1
	v_lshlrev_b32_e32 v1, 29, v42
	v_cmp_gt_i64_e32 vcc, 0, v[0:1]
	v_not_b32_e32 v1, v1
	v_ashrrev_i32_e32 v1, 31, v1
	v_and_b32_e32 v100, v100, v101
	v_xor_b32_e32 v101, vcc_hi, v1
	v_xor_b32_e32 v1, vcc_lo, v1
	v_and_b32_e32 v43, v43, v1
	v_lshlrev_b32_e32 v1, 28, v42
	v_cmp_gt_i64_e32 vcc, 0, v[0:1]
	v_not_b32_e32 v1, v1
	v_ashrrev_i32_e32 v1, 31, v1
	v_and_b32_e32 v100, v100, v101
	;; [unrolled: 8-line block ×5, first 2 shown]
	v_xor_b32_e32 v101, vcc_hi, v1
	v_xor_b32_e32 v1, vcc_lo, v1
	v_and_b32_e32 v43, v43, v1
	v_lshlrev_b32_e32 v1, 24, v42
	v_cmp_gt_i64_e32 vcc, 0, v[0:1]
	v_not_b32_e32 v0, v1
	v_ashrrev_i32_e32 v0, 31, v0
	v_xor_b32_e32 v1, vcc_hi, v0
	v_xor_b32_e32 v0, vcc_lo, v0
	; wave barrier
	ds_read_b32 v83, v98 offset:32
	v_and_b32_e32 v100, v100, v101
	v_and_b32_e32 v0, v43, v0
	;; [unrolled: 1-line block ×3, first 2 shown]
	v_mbcnt_lo_u32_b32 v42, v0, 0
	v_mbcnt_hi_u32_b32 v100, v1, v42
	v_cmp_eq_u32_e32 vcc, 0, v100
	v_cmp_ne_u64_e64 s[4:5], 0, v[0:1]
	v_add_u32_e32 v99, 32, v61
	s_and_b64 s[28:29], s[4:5], vcc
	; wave barrier
	s_and_saveexec_b64 s[4:5], s[28:29]
	s_cbranch_execz .LBB90_49
; %bb.48:
	v_bcnt_u32_b32 v0, v0, 0
	v_bcnt_u32_b32 v0, v1, v0
	s_waitcnt lgkmcnt(0)
	v_add_u32_e32 v0, v83, v0
	ds_write_b32 v98, v0 offset:32
.LBB90_49:
	s_or_b64 exec, exec, s[4:5]
	; wave barrier
	s_waitcnt lgkmcnt(0)
	s_barrier
	ds_read2_b32 v[0:1], v61 offset0:8 offset1:9
	ds_read2_b32 v[42:43], v99 offset0:2 offset1:3
	v_min_u32_e32 v76, 0x1c0, v76
	v_or_b32_e32 v76, 63, v76
	s_waitcnt lgkmcnt(1)
	v_add_u32_e32 v101, v1, v0
	s_waitcnt lgkmcnt(0)
	v_add3_u32 v43, v101, v42, v43
	v_and_b32_e32 v101, 15, v75
	v_cmp_ne_u32_e32 vcc, 0, v101
	v_mov_b32_dpp v102, v43 row_shr:1 row_mask:0xf bank_mask:0xf
	v_cndmask_b32_e32 v102, 0, v102, vcc
	v_add_u32_e32 v43, v102, v43
	v_cmp_lt_u32_e32 vcc, 1, v101
	s_nop 0
	v_mov_b32_dpp v102, v43 row_shr:2 row_mask:0xf bank_mask:0xf
	v_cndmask_b32_e32 v102, 0, v102, vcc
	v_add_u32_e32 v43, v43, v102
	v_cmp_lt_u32_e32 vcc, 3, v101
	s_nop 0
	v_mov_b32_dpp v102, v43 row_shr:4 row_mask:0xf bank_mask:0xf
	v_cndmask_b32_e32 v102, 0, v102, vcc
	v_add_u32_e32 v43, v43, v102
	v_cmp_lt_u32_e32 vcc, 7, v101
	s_nop 0
	v_mov_b32_dpp v102, v43 row_shr:8 row_mask:0xf bank_mask:0xf
	v_cndmask_b32_e32 v101, 0, v102, vcc
	v_add_u32_e32 v43, v43, v101
	v_bfe_i32 v102, v75, 4, 1
	v_cmp_lt_u32_e32 vcc, 31, v75
	v_mov_b32_dpp v101, v43 row_bcast:15 row_mask:0xf bank_mask:0xf
	v_and_b32_e32 v101, v102, v101
	v_add_u32_e32 v43, v43, v101
	s_nop 1
	v_mov_b32_dpp v101, v43 row_bcast:31 row_mask:0xf bank_mask:0xf
	v_cndmask_b32_e32 v101, 0, v101, vcc
	v_add_u32_e32 v43, v43, v101
	v_lshrrev_b32_e32 v101, 6, v36
	v_cmp_eq_u32_e32 vcc, v76, v36
	s_and_saveexec_b64 s[4:5], vcc
	s_cbranch_execz .LBB90_51
; %bb.50:
	v_lshlrev_b32_e32 v76, 2, v101
	ds_write_b32 v76, v43
.LBB90_51:
	s_or_b64 exec, exec, s[4:5]
	v_cmp_gt_u32_e32 vcc, 8, v36
	s_waitcnt lgkmcnt(0)
	s_barrier
	s_and_saveexec_b64 s[4:5], vcc
	s_cbranch_execz .LBB90_53
; %bb.52:
	v_lshlrev_b32_e32 v76, 2, v36
	ds_read_b32 v102, v76
	v_and_b32_e32 v103, 7, v75
	v_cmp_ne_u32_e32 vcc, 0, v103
	s_waitcnt lgkmcnt(0)
	v_mov_b32_dpp v104, v102 row_shr:1 row_mask:0xf bank_mask:0xf
	v_cndmask_b32_e32 v104, 0, v104, vcc
	v_add_u32_e32 v102, v104, v102
	v_cmp_lt_u32_e32 vcc, 1, v103
	s_nop 0
	v_mov_b32_dpp v104, v102 row_shr:2 row_mask:0xf bank_mask:0xf
	v_cndmask_b32_e32 v104, 0, v104, vcc
	v_add_u32_e32 v102, v102, v104
	v_cmp_lt_u32_e32 vcc, 3, v103
	s_nop 0
	v_mov_b32_dpp v104, v102 row_shr:4 row_mask:0xf bank_mask:0xf
	v_cndmask_b32_e32 v103, 0, v104, vcc
	v_add_u32_e32 v102, v102, v103
	ds_write_b32 v76, v102
.LBB90_53:
	s_or_b64 exec, exec, s[4:5]
	v_cmp_lt_u32_e32 vcc, 63, v36
	v_mov_b32_e32 v76, 0
	s_waitcnt lgkmcnt(0)
	s_barrier
	s_and_saveexec_b64 s[4:5], vcc
	s_cbranch_execz .LBB90_55
; %bb.54:
	v_lshl_add_u32 v76, v101, 2, -4
	ds_read_b32 v76, v76
.LBB90_55:
	s_or_b64 exec, exec, s[4:5]
	v_add_u32_e32 v101, -1, v75
	v_and_b32_e32 v102, 64, v75
	v_cmp_lt_i32_e32 vcc, v101, v102
	v_cndmask_b32_e32 v101, v101, v75, vcc
	s_waitcnt lgkmcnt(0)
	v_add_u32_e32 v43, v76, v43
	v_lshlrev_b32_e32 v101, 2, v101
	ds_bpermute_b32 v43, v101, v43
	v_cmp_eq_u32_e32 vcc, 0, v75
	s_waitcnt lgkmcnt(0)
	v_cndmask_b32_e32 v43, v43, v76, vcc
	v_cmp_ne_u32_e32 vcc, 0, v36
	v_cndmask_b32_e32 v43, 0, v43, vcc
	v_add_u32_e32 v0, v43, v0
	v_add_u32_e32 v1, v0, v1
	;; [unrolled: 1-line block ×3, first 2 shown]
	ds_write2_b32 v61, v43, v0 offset0:8 offset1:9
	ds_write2_b32 v99, v1, v42 offset0:2 offset1:3
	s_waitcnt lgkmcnt(0)
	s_barrier
	ds_read_b32 v0, v77 offset:32
	ds_read_b32 v1, v80 offset:32
	;; [unrolled: 1-line block ×8, first 2 shown]
	s_waitcnt lgkmcnt(7)
	v_add_u32_e32 v78, v0, v78
	s_waitcnt lgkmcnt(6)
	v_add3_u32 v79, v81, v79, v1
	s_waitcnt lgkmcnt(5)
	v_add3_u32 v42, v85, v82, v42
	;; [unrolled: 2-line block ×7, first 2 shown]
	s_barrier
	ds_write_b8 v78, v67
	ds_write_b8 v79, v68
	ds_write_b8 v42, v69
	ds_write_b8 v43, v70
	ds_write_b8 v75, v71
	ds_write_b8 v76, v72
	ds_write_b8 v77, v73
	ds_write_b8 v80, v74
	v_lshlrev_b32_e32 v67, 3, v78
	s_waitcnt lgkmcnt(0)
	s_barrier
	ds_read_b64 v[0:1], v53
	s_waitcnt lgkmcnt(0)
	s_barrier
	ds_write_b64 v67, v[30:31]
	v_lshlrev_b32_e32 v30, 3, v79
	ds_write_b64 v30, v[32:33]
	v_lshlrev_b32_e32 v30, 3, v42
	;; [unrolled: 2-line block ×7, first 2 shown]
	v_lshlrev_b32_e32 v30, 3, v53
	ds_write_b64 v18, v[20:21]
	s_waitcnt lgkmcnt(0)
	s_barrier
	ds_read2_b64 v[18:21], v30 offset1:1
	ds_read2_b64 v[22:25], v30 offset0:2 offset1:3
	ds_read2_b64 v[26:29], v30 offset0:4 offset1:5
	;; [unrolled: 1-line block ×3, first 2 shown]
	s_branch .LBB90_87
.LBB90_56:
	v_mov_b32_e32 v35, 0
	v_lshlrev_b64 v[2:3], 3, v[34:35]
	v_mov_b32_e32 v4, s20
	v_add_co_u32_e32 v2, vcc, s19, v2
	v_addc_co_u32_e32 v3, vcc, v4, v3, vcc
	global_load_dwordx2 v[2:3], v[2:3], off
	v_mov_b32_e32 v4, v35
	v_mov_b32_e32 v5, v35
	;; [unrolled: 1-line block ×14, first 2 shown]
	s_or_b64 exec, exec, s[4:5]
	s_and_saveexec_b64 s[4:5], s[2:3]
	s_cbranch_execz .LBB90_25
.LBB90_57:
	v_mul_lo_u32 v4, v32, s18
	v_mov_b32_e32 v5, 0
	v_lshlrev_b64 v[4:5], 3, v[4:5]
	v_mov_b32_e32 v32, s20
	v_add_co_u32_e32 v4, vcc, s19, v4
	v_addc_co_u32_e32 v5, vcc, v32, v5, vcc
	global_load_dwordx2 v[4:5], v[4:5], off
	s_or_b64 exec, exec, s[4:5]
	s_and_saveexec_b64 s[4:5], s[16:17]
	s_cbranch_execz .LBB90_26
.LBB90_58:
	v_mul_lo_u32 v6, v31, s18
	v_mov_b32_e32 v7, 0
	v_lshlrev_b64 v[6:7], 3, v[6:7]
	v_mov_b32_e32 v31, s20
	v_add_co_u32_e32 v6, vcc, s19, v6
	v_addc_co_u32_e32 v7, vcc, v31, v7, vcc
	global_load_dwordx2 v[6:7], v[6:7], off
	s_or_b64 exec, exec, s[4:5]
	s_and_saveexec_b64 s[4:5], s[6:7]
	s_cbranch_execz .LBB90_27
.LBB90_59:
	v_mul_lo_u32 v8, v30, s18
	v_mov_b32_e32 v9, 0
	v_lshlrev_b64 v[8:9], 3, v[8:9]
	v_mov_b32_e32 v30, s20
	v_add_co_u32_e32 v8, vcc, s19, v8
	v_addc_co_u32_e32 v9, vcc, v30, v9, vcc
	global_load_dwordx2 v[8:9], v[8:9], off
	s_or_b64 exec, exec, s[4:5]
	s_and_saveexec_b64 s[4:5], s[8:9]
	s_cbranch_execz .LBB90_28
.LBB90_60:
	v_mul_lo_u32 v10, v29, s18
	v_mov_b32_e32 v11, 0
	v_lshlrev_b64 v[10:11], 3, v[10:11]
	v_mov_b32_e32 v29, s20
	v_add_co_u32_e32 v10, vcc, s19, v10
	v_addc_co_u32_e32 v11, vcc, v29, v11, vcc
	global_load_dwordx2 v[10:11], v[10:11], off
	s_or_b64 exec, exec, s[4:5]
	s_and_saveexec_b64 s[4:5], s[10:11]
	s_cbranch_execz .LBB90_29
.LBB90_61:
	v_mul_lo_u32 v12, v28, s18
	v_mov_b32_e32 v13, 0
	v_lshlrev_b64 v[12:13], 3, v[12:13]
	v_mov_b32_e32 v28, s20
	v_add_co_u32_e32 v12, vcc, s19, v12
	v_addc_co_u32_e32 v13, vcc, v28, v13, vcc
	global_load_dwordx2 v[12:13], v[12:13], off
	s_or_b64 exec, exec, s[4:5]
	s_and_saveexec_b64 s[4:5], s[12:13]
	s_cbranch_execz .LBB90_30
.LBB90_62:
	v_mul_lo_u32 v14, v27, s18
	v_mov_b32_e32 v15, 0
	v_lshlrev_b64 v[14:15], 3, v[14:15]
	v_mov_b32_e32 v27, s20
	v_add_co_u32_e32 v14, vcc, s19, v14
	v_addc_co_u32_e32 v15, vcc, v27, v15, vcc
	global_load_dwordx2 v[14:15], v[14:15], off
	s_or_b64 exec, exec, s[4:5]
	s_and_saveexec_b64 s[4:5], s[14:15]
	s_cbranch_execnz .LBB90_31
	s_branch .LBB90_32
.LBB90_63:
                                        ; implicit-def: $vgpr1
                                        ; implicit-def: $vgpr32_vgpr33
                                        ; implicit-def: $vgpr28_vgpr29
                                        ; implicit-def: $vgpr24_vgpr25
                                        ; implicit-def: $vgpr20_vgpr21
	s_cbranch_execz .LBB90_87
; %bb.64:
	v_mov_b32_e32 v0, -1
	v_xor_b32_sdwa v1, v65, v0 dst_sel:BYTE_1 dst_unused:UNUSED_PAD src0_sel:DWORD src1_sel:DWORD
	s_waitcnt lgkmcnt(3)
	v_xor_b32_e32 v18, -1, v39
	v_or_b32_sdwa v1, v18, v1 dst_sel:DWORD dst_unused:UNUSED_PAD src0_sel:BYTE_0 src1_sel:DWORD
	v_xor_b32_sdwa v18, v39, v0 dst_sel:DWORD dst_unused:UNUSED_PAD src0_sel:BYTE_3 src1_sel:DWORD
	v_lshlrev_b16_e32 v18, 8, v18
	v_xor_b32_sdwa v19, v39, v0 dst_sel:DWORD dst_unused:UNUSED_PAD src0_sel:WORD_1 src1_sel:DWORD
	v_or_b32_sdwa v18, v19, v18 dst_sel:WORD_1 dst_unused:UNUSED_PAD src0_sel:BYTE_0 src1_sel:DWORD
	v_or_b32_sdwa v1, v1, v18 dst_sel:DWORD dst_unused:UNUSED_PAD src0_sel:WORD_0 src1_sel:DWORD
	v_xor_b32_sdwa v18, v64, v0 dst_sel:BYTE_1 dst_unused:UNUSED_PAD src0_sel:DWORD src1_sel:DWORD
	v_xor_b32_e32 v19, -1, v38
	v_or_b32_sdwa v18, v19, v18 dst_sel:DWORD dst_unused:UNUSED_PAD src0_sel:BYTE_0 src1_sel:DWORD
	v_xor_b32_sdwa v19, v40, v0 dst_sel:BYTE_1 dst_unused:UNUSED_PAD src0_sel:DWORD src1_sel:DWORD
	v_xor_b32_sdwa v0, v38, v0 dst_sel:DWORD dst_unused:UNUSED_PAD src0_sel:WORD_1 src1_sel:DWORD
	v_or_b32_sdwa v0, v0, v19 dst_sel:WORD_1 dst_unused:UNUSED_PAD src0_sel:BYTE_0 src1_sel:DWORD
	s_waitcnt lgkmcnt(1)
	v_mbcnt_hi_u32_b32 v28, -1, v66
	s_waitcnt lgkmcnt(0)
	v_and_b32_e32 v30, 0x3c0, v36
	v_or_b32_sdwa v0, v18, v0 dst_sel:DWORD dst_unused:UNUSED_PAD src0_sel:WORD_0 src1_sel:DWORD
	v_add_u32_e32 v18, v28, v30
	v_lshlrev_b32_e32 v19, 3, v18
	s_movk_i32 s4, 0x1e00
	ds_write_b64 v19, v[0:1]
	v_and_or_b32 v0, v53, s4, v28
	; wave barrier
	ds_read_u8 v20, v0
	ds_read_u8 v21, v0 offset:64
	ds_read_u8 v22, v0 offset:128
	;; [unrolled: 1-line block ×7, first 2 shown]
	v_lshlrev_b32_e32 v1, 6, v18
	v_lshlrev_b32_e32 v0, 3, v0
	s_getpc_b64 s[4:5]
	s_add_u32 s4, s4, _ZN7rocprim17ROCPRIM_400000_NS16block_radix_sortIhLj512ELj8ElLj1ELj1ELj0ELNS0_26block_radix_rank_algorithmE1ELNS0_18block_padding_hintE2ELNS0_4arch9wavefront6targetE1EE19radix_bits_per_passE@rel32@lo+4
	s_addc_u32 s5, s5, _ZN7rocprim17ROCPRIM_400000_NS16block_radix_sortIhLj512ELj8ElLj1ELj1ELj0ELNS0_26block_radix_rank_algorithmE1ELNS0_18block_padding_hintE2ELNS0_4arch9wavefront6targetE1EE19radix_bits_per_passE@rel32@hi+12
	s_waitcnt lgkmcnt(0)
	s_barrier
	ds_write2_b64 v1, v[14:15], v[16:17] offset1:1
	ds_write2_b64 v1, v[10:11], v[12:13] offset0:2 offset1:3
	ds_write2_b64 v1, v[6:7], v[8:9] offset0:4 offset1:5
	;; [unrolled: 1-line block ×3, first 2 shown]
	; wave barrier
	ds_read2st64_b64 v[12:15], v0 offset1:1
	ds_read2st64_b64 v[8:11], v0 offset0:2 offset1:3
	ds_read2st64_b64 v[4:7], v0 offset0:4 offset1:5
	;; [unrolled: 1-line block ×3, first 2 shown]
	s_waitcnt lgkmcnt(0)
	s_barrier
	s_load_dword s21, s[4:5], 0x0
	s_load_dword s23, s[26:27], 0xc
	v_mov_b32_e32 v32, 3
	v_mov_b32_e32 v16, 0
	ds_write2_b32 v61, v16, v16 offset0:8 offset1:9
	ds_write2_b32 v61, v16, v16 offset0:10 offset1:11
	s_waitcnt lgkmcnt(0)
	s_min_u32 s21, s21, 8
	s_lshr_b32 s4, s23, 16
	s_and_b32 s5, s23, 0xffff
	v_mad_u32_u24 v17, v63, s4, v62
	v_mad_u64_u32 v[18:19], s[4:5], v17, s5, v[36:37]
	s_lshl_b32 s4, -1, s21
	s_not_b32 s21, s4
	v_lshrrev_b32_e32 v40, 6, v18
	v_and_b32_e32 v18, s21, v20
	v_lshlrev_b32_sdwa v17, v32, v18 dst_sel:DWORD dst_unused:UNUSED_PAD src0_sel:DWORD src1_sel:BYTE_0
	v_add_lshl_u32 v29, v40, v17, 2
	v_and_b32_e32 v17, 1, v18
	v_add_co_u32_e32 v19, vcc, -1, v17
	v_addc_co_u32_e64 v31, s[4:5], 0, -1, vcc
	v_cmp_ne_u32_e32 vcc, 0, v17
	v_xor_b32_e32 v17, vcc_hi, v31
	v_and_b32_e32 v31, exec_hi, v17
	v_lshlrev_b32_e32 v17, 30, v18
	v_xor_b32_e32 v19, vcc_lo, v19
	v_cmp_gt_i64_e32 vcc, 0, v[16:17]
	v_not_b32_e32 v17, v17
	v_ashrrev_i32_e32 v17, 31, v17
	v_and_b32_e32 v19, exec_lo, v19
	v_xor_b32_e32 v33, vcc_hi, v17
	v_xor_b32_e32 v17, vcc_lo, v17
	v_and_b32_e32 v19, v19, v17
	v_lshlrev_b32_e32 v17, 29, v18
	v_cmp_gt_i64_e32 vcc, 0, v[16:17]
	v_not_b32_e32 v17, v17
	v_ashrrev_i32_e32 v17, 31, v17
	v_and_b32_e32 v31, v31, v33
	v_xor_b32_e32 v33, vcc_hi, v17
	v_xor_b32_e32 v17, vcc_lo, v17
	v_and_b32_e32 v19, v19, v17
	v_lshlrev_b32_e32 v17, 28, v18
	v_cmp_gt_i64_e32 vcc, 0, v[16:17]
	v_not_b32_e32 v17, v17
	v_ashrrev_i32_e32 v17, 31, v17
	v_and_b32_e32 v31, v31, v33
	;; [unrolled: 8-line block ×5, first 2 shown]
	v_xor_b32_e32 v33, vcc_hi, v17
	v_xor_b32_e32 v17, vcc_lo, v17
	v_and_b32_e32 v31, v31, v33
	v_and_b32_e32 v33, v19, v17
	v_lshlrev_b32_e32 v17, 24, v18
	v_cmp_gt_i64_e32 vcc, 0, v[16:17]
	v_not_b32_e32 v17, v17
	v_ashrrev_i32_e32 v17, 31, v17
	v_xor_b32_e32 v18, vcc_hi, v17
	v_xor_b32_e32 v17, vcc_lo, v17
	v_and_b32_e32 v19, v31, v18
	v_and_b32_e32 v18, v33, v17
	v_mbcnt_lo_u32_b32 v17, v18, 0
	v_mbcnt_hi_u32_b32 v31, v19, v17
	v_cmp_eq_u32_e32 vcc, 0, v31
	v_cmp_ne_u64_e64 s[4:5], 0, v[18:19]
	s_and_b64 s[26:27], s[4:5], vcc
	s_barrier
	s_waitcnt lgkmcnt(0)
	; wave barrier
	s_and_saveexec_b64 s[4:5], s[26:27]
	s_cbranch_execz .LBB90_66
; %bb.65:
	v_bcnt_u32_b32 v17, v18, 0
	v_bcnt_u32_b32 v17, v19, v17
	ds_write_b32 v29, v17 offset:32
.LBB90_66:
	s_or_b64 exec, exec, s[4:5]
	v_and_b32_e32 v18, s21, v21
	v_lshlrev_b32_sdwa v17, v32, v18 dst_sel:DWORD dst_unused:UNUSED_PAD src0_sel:DWORD src1_sel:BYTE_0
	v_add_lshl_u32 v33, v40, v17, 2
	v_and_b32_e32 v17, 1, v18
	v_add_co_u32_e32 v19, vcc, -1, v17
	v_addc_co_u32_e64 v38, s[4:5], 0, -1, vcc
	v_cmp_ne_u32_e32 vcc, 0, v17
	v_xor_b32_e32 v17, vcc_hi, v38
	v_and_b32_e32 v38, exec_hi, v17
	v_lshlrev_b32_e32 v17, 30, v18
	v_xor_b32_e32 v19, vcc_lo, v19
	v_cmp_gt_i64_e32 vcc, 0, v[16:17]
	v_not_b32_e32 v17, v17
	v_ashrrev_i32_e32 v17, 31, v17
	v_and_b32_e32 v19, exec_lo, v19
	v_xor_b32_e32 v39, vcc_hi, v17
	v_xor_b32_e32 v17, vcc_lo, v17
	v_and_b32_e32 v19, v19, v17
	v_lshlrev_b32_e32 v17, 29, v18
	v_cmp_gt_i64_e32 vcc, 0, v[16:17]
	v_not_b32_e32 v17, v17
	v_ashrrev_i32_e32 v17, 31, v17
	v_and_b32_e32 v38, v38, v39
	v_xor_b32_e32 v39, vcc_hi, v17
	v_xor_b32_e32 v17, vcc_lo, v17
	v_and_b32_e32 v19, v19, v17
	v_lshlrev_b32_e32 v17, 28, v18
	v_cmp_gt_i64_e32 vcc, 0, v[16:17]
	v_not_b32_e32 v17, v17
	v_ashrrev_i32_e32 v17, 31, v17
	v_and_b32_e32 v38, v38, v39
	;; [unrolled: 8-line block ×5, first 2 shown]
	v_xor_b32_e32 v39, vcc_hi, v17
	v_xor_b32_e32 v17, vcc_lo, v17
	v_and_b32_e32 v19, v19, v17
	v_lshlrev_b32_e32 v17, 24, v18
	v_cmp_gt_i64_e32 vcc, 0, v[16:17]
	v_not_b32_e32 v16, v17
	v_ashrrev_i32_e32 v16, 31, v16
	v_xor_b32_e32 v17, vcc_hi, v16
	v_xor_b32_e32 v16, vcc_lo, v16
	; wave barrier
	ds_read_b32 v32, v33 offset:32
	v_and_b32_e32 v38, v38, v39
	v_and_b32_e32 v16, v19, v16
	;; [unrolled: 1-line block ×3, first 2 shown]
	v_mbcnt_lo_u32_b32 v18, v16, 0
	v_mbcnt_hi_u32_b32 v38, v17, v18
	v_cmp_eq_u32_e32 vcc, 0, v38
	v_cmp_ne_u64_e64 s[4:5], 0, v[16:17]
	s_and_b64 s[26:27], s[4:5], vcc
	; wave barrier
	s_and_saveexec_b64 s[4:5], s[26:27]
	s_cbranch_execz .LBB90_68
; %bb.67:
	v_bcnt_u32_b32 v16, v16, 0
	v_bcnt_u32_b32 v16, v17, v16
	s_waitcnt lgkmcnt(0)
	v_add_u32_e32 v16, v32, v16
	ds_write_b32 v33, v16 offset:32
.LBB90_68:
	s_or_b64 exec, exec, s[4:5]
	v_and_b32_e32 v18, s21, v22
	v_and_b32_e32 v17, 1, v18
	v_add_co_u32_e32 v19, vcc, -1, v17
	v_mov_b32_e32 v62, 3
	v_addc_co_u32_e64 v43, s[4:5], 0, -1, vcc
	v_cmp_ne_u32_e32 vcc, 0, v17
	v_lshlrev_b32_sdwa v16, v62, v18 dst_sel:DWORD dst_unused:UNUSED_PAD src0_sel:DWORD src1_sel:BYTE_0
	v_xor_b32_e32 v17, vcc_hi, v43
	v_add_lshl_u32 v42, v40, v16, 2
	v_mov_b32_e32 v16, 0
	v_and_b32_e32 v43, exec_hi, v17
	v_lshlrev_b32_e32 v17, 30, v18
	v_xor_b32_e32 v19, vcc_lo, v19
	v_cmp_gt_i64_e32 vcc, 0, v[16:17]
	v_not_b32_e32 v17, v17
	v_ashrrev_i32_e32 v17, 31, v17
	v_and_b32_e32 v19, exec_lo, v19
	v_xor_b32_e32 v63, vcc_hi, v17
	v_xor_b32_e32 v17, vcc_lo, v17
	v_and_b32_e32 v19, v19, v17
	v_lshlrev_b32_e32 v17, 29, v18
	v_cmp_gt_i64_e32 vcc, 0, v[16:17]
	v_not_b32_e32 v17, v17
	v_ashrrev_i32_e32 v17, 31, v17
	v_and_b32_e32 v43, v43, v63
	v_xor_b32_e32 v63, vcc_hi, v17
	v_xor_b32_e32 v17, vcc_lo, v17
	v_and_b32_e32 v19, v19, v17
	v_lshlrev_b32_e32 v17, 28, v18
	v_cmp_gt_i64_e32 vcc, 0, v[16:17]
	v_not_b32_e32 v17, v17
	v_ashrrev_i32_e32 v17, 31, v17
	v_and_b32_e32 v43, v43, v63
	;; [unrolled: 8-line block ×5, first 2 shown]
	v_xor_b32_e32 v63, vcc_hi, v17
	v_xor_b32_e32 v17, vcc_lo, v17
	v_and_b32_e32 v43, v43, v63
	v_and_b32_e32 v63, v19, v17
	v_lshlrev_b32_e32 v17, 24, v18
	v_cmp_gt_i64_e32 vcc, 0, v[16:17]
	v_not_b32_e32 v17, v17
	v_ashrrev_i32_e32 v17, 31, v17
	v_xor_b32_e32 v18, vcc_hi, v17
	v_xor_b32_e32 v17, vcc_lo, v17
	; wave barrier
	ds_read_b32 v39, v42 offset:32
	v_and_b32_e32 v19, v43, v18
	v_and_b32_e32 v18, v63, v17
	v_mbcnt_lo_u32_b32 v17, v18, 0
	v_mbcnt_hi_u32_b32 v43, v19, v17
	v_cmp_eq_u32_e32 vcc, 0, v43
	v_cmp_ne_u64_e64 s[4:5], 0, v[18:19]
	s_and_b64 s[26:27], s[4:5], vcc
	; wave barrier
	s_and_saveexec_b64 s[4:5], s[26:27]
	s_cbranch_execz .LBB90_70
; %bb.69:
	v_bcnt_u32_b32 v17, v18, 0
	v_bcnt_u32_b32 v17, v19, v17
	s_waitcnt lgkmcnt(0)
	v_add_u32_e32 v17, v39, v17
	ds_write_b32 v42, v17 offset:32
.LBB90_70:
	s_or_b64 exec, exec, s[4:5]
	v_and_b32_e32 v18, s21, v23
	v_lshlrev_b32_sdwa v17, v62, v18 dst_sel:DWORD dst_unused:UNUSED_PAD src0_sel:DWORD src1_sel:BYTE_0
	v_add_lshl_u32 v63, v40, v17, 2
	v_and_b32_e32 v17, 1, v18
	v_add_co_u32_e32 v19, vcc, -1, v17
	v_addc_co_u32_e64 v64, s[4:5], 0, -1, vcc
	v_cmp_ne_u32_e32 vcc, 0, v17
	v_xor_b32_e32 v17, vcc_hi, v64
	v_and_b32_e32 v64, exec_hi, v17
	v_lshlrev_b32_e32 v17, 30, v18
	v_xor_b32_e32 v19, vcc_lo, v19
	v_cmp_gt_i64_e32 vcc, 0, v[16:17]
	v_not_b32_e32 v17, v17
	v_ashrrev_i32_e32 v17, 31, v17
	v_and_b32_e32 v19, exec_lo, v19
	v_xor_b32_e32 v65, vcc_hi, v17
	v_xor_b32_e32 v17, vcc_lo, v17
	v_and_b32_e32 v19, v19, v17
	v_lshlrev_b32_e32 v17, 29, v18
	v_cmp_gt_i64_e32 vcc, 0, v[16:17]
	v_not_b32_e32 v17, v17
	v_ashrrev_i32_e32 v17, 31, v17
	v_and_b32_e32 v64, v64, v65
	v_xor_b32_e32 v65, vcc_hi, v17
	v_xor_b32_e32 v17, vcc_lo, v17
	v_and_b32_e32 v19, v19, v17
	v_lshlrev_b32_e32 v17, 28, v18
	v_cmp_gt_i64_e32 vcc, 0, v[16:17]
	v_not_b32_e32 v17, v17
	v_ashrrev_i32_e32 v17, 31, v17
	v_and_b32_e32 v64, v64, v65
	;; [unrolled: 8-line block ×5, first 2 shown]
	v_xor_b32_e32 v65, vcc_hi, v17
	v_xor_b32_e32 v17, vcc_lo, v17
	v_and_b32_e32 v19, v19, v17
	v_lshlrev_b32_e32 v17, 24, v18
	v_cmp_gt_i64_e32 vcc, 0, v[16:17]
	v_not_b32_e32 v16, v17
	v_ashrrev_i32_e32 v16, 31, v16
	v_xor_b32_e32 v17, vcc_hi, v16
	v_xor_b32_e32 v16, vcc_lo, v16
	; wave barrier
	ds_read_b32 v62, v63 offset:32
	v_and_b32_e32 v64, v64, v65
	v_and_b32_e32 v16, v19, v16
	;; [unrolled: 1-line block ×3, first 2 shown]
	v_mbcnt_lo_u32_b32 v18, v16, 0
	v_mbcnt_hi_u32_b32 v64, v17, v18
	v_cmp_eq_u32_e32 vcc, 0, v64
	v_cmp_ne_u64_e64 s[4:5], 0, v[16:17]
	s_and_b64 s[26:27], s[4:5], vcc
	; wave barrier
	s_and_saveexec_b64 s[4:5], s[26:27]
	s_cbranch_execz .LBB90_72
; %bb.71:
	v_bcnt_u32_b32 v16, v16, 0
	v_bcnt_u32_b32 v16, v17, v16
	s_waitcnt lgkmcnt(0)
	v_add_u32_e32 v16, v62, v16
	ds_write_b32 v63, v16 offset:32
.LBB90_72:
	s_or_b64 exec, exec, s[4:5]
	v_and_b32_e32 v18, s21, v24
	v_and_b32_e32 v17, 1, v18
	v_add_co_u32_e32 v19, vcc, -1, v17
	v_mov_b32_e32 v68, 3
	v_addc_co_u32_e64 v67, s[4:5], 0, -1, vcc
	v_cmp_ne_u32_e32 vcc, 0, v17
	v_lshlrev_b32_sdwa v16, v68, v18 dst_sel:DWORD dst_unused:UNUSED_PAD src0_sel:DWORD src1_sel:BYTE_0
	v_xor_b32_e32 v17, vcc_hi, v67
	v_add_lshl_u32 v66, v40, v16, 2
	v_mov_b32_e32 v16, 0
	v_and_b32_e32 v67, exec_hi, v17
	v_lshlrev_b32_e32 v17, 30, v18
	v_xor_b32_e32 v19, vcc_lo, v19
	v_cmp_gt_i64_e32 vcc, 0, v[16:17]
	v_not_b32_e32 v17, v17
	v_ashrrev_i32_e32 v17, 31, v17
	v_and_b32_e32 v19, exec_lo, v19
	v_xor_b32_e32 v69, vcc_hi, v17
	v_xor_b32_e32 v17, vcc_lo, v17
	v_and_b32_e32 v19, v19, v17
	v_lshlrev_b32_e32 v17, 29, v18
	v_cmp_gt_i64_e32 vcc, 0, v[16:17]
	v_not_b32_e32 v17, v17
	v_ashrrev_i32_e32 v17, 31, v17
	v_and_b32_e32 v67, v67, v69
	v_xor_b32_e32 v69, vcc_hi, v17
	v_xor_b32_e32 v17, vcc_lo, v17
	v_and_b32_e32 v19, v19, v17
	v_lshlrev_b32_e32 v17, 28, v18
	v_cmp_gt_i64_e32 vcc, 0, v[16:17]
	v_not_b32_e32 v17, v17
	v_ashrrev_i32_e32 v17, 31, v17
	v_and_b32_e32 v67, v67, v69
	;; [unrolled: 8-line block ×5, first 2 shown]
	v_xor_b32_e32 v69, vcc_hi, v17
	v_xor_b32_e32 v17, vcc_lo, v17
	v_and_b32_e32 v67, v67, v69
	v_and_b32_e32 v69, v19, v17
	v_lshlrev_b32_e32 v17, 24, v18
	v_cmp_gt_i64_e32 vcc, 0, v[16:17]
	v_not_b32_e32 v17, v17
	v_ashrrev_i32_e32 v17, 31, v17
	v_xor_b32_e32 v18, vcc_hi, v17
	v_xor_b32_e32 v17, vcc_lo, v17
	; wave barrier
	ds_read_b32 v65, v66 offset:32
	v_and_b32_e32 v19, v67, v18
	v_and_b32_e32 v18, v69, v17
	v_mbcnt_lo_u32_b32 v17, v18, 0
	v_mbcnt_hi_u32_b32 v67, v19, v17
	v_cmp_eq_u32_e32 vcc, 0, v67
	v_cmp_ne_u64_e64 s[4:5], 0, v[18:19]
	s_and_b64 s[26:27], s[4:5], vcc
	; wave barrier
	s_and_saveexec_b64 s[4:5], s[26:27]
	s_cbranch_execz .LBB90_74
; %bb.73:
	v_bcnt_u32_b32 v17, v18, 0
	v_bcnt_u32_b32 v17, v19, v17
	s_waitcnt lgkmcnt(0)
	v_add_u32_e32 v17, v65, v17
	ds_write_b32 v66, v17 offset:32
.LBB90_74:
	s_or_b64 exec, exec, s[4:5]
	v_and_b32_e32 v18, s21, v25
	v_lshlrev_b32_sdwa v17, v68, v18 dst_sel:DWORD dst_unused:UNUSED_PAD src0_sel:DWORD src1_sel:BYTE_0
	v_add_lshl_u32 v69, v40, v17, 2
	v_and_b32_e32 v17, 1, v18
	v_add_co_u32_e32 v19, vcc, -1, v17
	v_addc_co_u32_e64 v70, s[4:5], 0, -1, vcc
	v_cmp_ne_u32_e32 vcc, 0, v17
	v_xor_b32_e32 v17, vcc_hi, v70
	v_and_b32_e32 v70, exec_hi, v17
	v_lshlrev_b32_e32 v17, 30, v18
	v_xor_b32_e32 v19, vcc_lo, v19
	v_cmp_gt_i64_e32 vcc, 0, v[16:17]
	v_not_b32_e32 v17, v17
	v_ashrrev_i32_e32 v17, 31, v17
	v_and_b32_e32 v19, exec_lo, v19
	v_xor_b32_e32 v71, vcc_hi, v17
	v_xor_b32_e32 v17, vcc_lo, v17
	v_and_b32_e32 v19, v19, v17
	v_lshlrev_b32_e32 v17, 29, v18
	v_cmp_gt_i64_e32 vcc, 0, v[16:17]
	v_not_b32_e32 v17, v17
	v_ashrrev_i32_e32 v17, 31, v17
	v_and_b32_e32 v70, v70, v71
	v_xor_b32_e32 v71, vcc_hi, v17
	v_xor_b32_e32 v17, vcc_lo, v17
	v_and_b32_e32 v19, v19, v17
	v_lshlrev_b32_e32 v17, 28, v18
	v_cmp_gt_i64_e32 vcc, 0, v[16:17]
	v_not_b32_e32 v17, v17
	v_ashrrev_i32_e32 v17, 31, v17
	v_and_b32_e32 v70, v70, v71
	;; [unrolled: 8-line block ×5, first 2 shown]
	v_xor_b32_e32 v71, vcc_hi, v17
	v_xor_b32_e32 v17, vcc_lo, v17
	v_and_b32_e32 v19, v19, v17
	v_lshlrev_b32_e32 v17, 24, v18
	v_cmp_gt_i64_e32 vcc, 0, v[16:17]
	v_not_b32_e32 v16, v17
	v_ashrrev_i32_e32 v16, 31, v16
	v_xor_b32_e32 v17, vcc_hi, v16
	v_xor_b32_e32 v16, vcc_lo, v16
	; wave barrier
	ds_read_b32 v68, v69 offset:32
	v_and_b32_e32 v70, v70, v71
	v_and_b32_e32 v16, v19, v16
	;; [unrolled: 1-line block ×3, first 2 shown]
	v_mbcnt_lo_u32_b32 v18, v16, 0
	v_mbcnt_hi_u32_b32 v70, v17, v18
	v_cmp_eq_u32_e32 vcc, 0, v70
	v_cmp_ne_u64_e64 s[4:5], 0, v[16:17]
	s_and_b64 s[26:27], s[4:5], vcc
	; wave barrier
	s_and_saveexec_b64 s[4:5], s[26:27]
	s_cbranch_execz .LBB90_76
; %bb.75:
	v_bcnt_u32_b32 v16, v16, 0
	v_bcnt_u32_b32 v16, v17, v16
	s_waitcnt lgkmcnt(0)
	v_add_u32_e32 v16, v68, v16
	ds_write_b32 v69, v16 offset:32
.LBB90_76:
	s_or_b64 exec, exec, s[4:5]
	v_and_b32_e32 v18, s21, v26
	v_and_b32_e32 v17, 1, v18
	v_add_co_u32_e32 v19, vcc, -1, v17
	v_mov_b32_e32 v74, 3
	v_addc_co_u32_e64 v73, s[4:5], 0, -1, vcc
	v_cmp_ne_u32_e32 vcc, 0, v17
	v_lshlrev_b32_sdwa v16, v74, v18 dst_sel:DWORD dst_unused:UNUSED_PAD src0_sel:DWORD src1_sel:BYTE_0
	v_xor_b32_e32 v17, vcc_hi, v73
	v_add_lshl_u32 v72, v40, v16, 2
	v_mov_b32_e32 v16, 0
	v_and_b32_e32 v73, exec_hi, v17
	v_lshlrev_b32_e32 v17, 30, v18
	v_xor_b32_e32 v19, vcc_lo, v19
	v_cmp_gt_i64_e32 vcc, 0, v[16:17]
	v_not_b32_e32 v17, v17
	v_ashrrev_i32_e32 v17, 31, v17
	v_and_b32_e32 v19, exec_lo, v19
	v_xor_b32_e32 v75, vcc_hi, v17
	v_xor_b32_e32 v17, vcc_lo, v17
	v_and_b32_e32 v19, v19, v17
	v_lshlrev_b32_e32 v17, 29, v18
	v_cmp_gt_i64_e32 vcc, 0, v[16:17]
	v_not_b32_e32 v17, v17
	v_ashrrev_i32_e32 v17, 31, v17
	v_and_b32_e32 v73, v73, v75
	v_xor_b32_e32 v75, vcc_hi, v17
	v_xor_b32_e32 v17, vcc_lo, v17
	v_and_b32_e32 v19, v19, v17
	v_lshlrev_b32_e32 v17, 28, v18
	v_cmp_gt_i64_e32 vcc, 0, v[16:17]
	v_not_b32_e32 v17, v17
	v_ashrrev_i32_e32 v17, 31, v17
	v_and_b32_e32 v73, v73, v75
	;; [unrolled: 8-line block ×5, first 2 shown]
	v_xor_b32_e32 v75, vcc_hi, v17
	v_xor_b32_e32 v17, vcc_lo, v17
	v_and_b32_e32 v73, v73, v75
	v_and_b32_e32 v75, v19, v17
	v_lshlrev_b32_e32 v17, 24, v18
	v_cmp_gt_i64_e32 vcc, 0, v[16:17]
	v_not_b32_e32 v17, v17
	v_ashrrev_i32_e32 v17, 31, v17
	v_xor_b32_e32 v18, vcc_hi, v17
	v_xor_b32_e32 v17, vcc_lo, v17
	; wave barrier
	ds_read_b32 v71, v72 offset:32
	v_and_b32_e32 v19, v73, v18
	v_and_b32_e32 v18, v75, v17
	v_mbcnt_lo_u32_b32 v17, v18, 0
	v_mbcnt_hi_u32_b32 v73, v19, v17
	v_cmp_eq_u32_e32 vcc, 0, v73
	v_cmp_ne_u64_e64 s[4:5], 0, v[18:19]
	s_and_b64 s[26:27], s[4:5], vcc
	; wave barrier
	s_and_saveexec_b64 s[4:5], s[26:27]
	s_cbranch_execz .LBB90_78
; %bb.77:
	v_bcnt_u32_b32 v17, v18, 0
	v_bcnt_u32_b32 v17, v19, v17
	s_waitcnt lgkmcnt(0)
	v_add_u32_e32 v17, v71, v17
	ds_write_b32 v72, v17 offset:32
.LBB90_78:
	s_or_b64 exec, exec, s[4:5]
	v_and_b32_e32 v18, s21, v27
	v_lshlrev_b32_sdwa v17, v74, v18 dst_sel:DWORD dst_unused:UNUSED_PAD src0_sel:DWORD src1_sel:BYTE_0
	v_add_lshl_u32 v74, v40, v17, 2
	v_and_b32_e32 v17, 1, v18
	v_add_co_u32_e32 v19, vcc, -1, v17
	v_addc_co_u32_e64 v76, s[4:5], 0, -1, vcc
	v_cmp_ne_u32_e32 vcc, 0, v17
	v_xor_b32_e32 v17, vcc_hi, v76
	v_and_b32_e32 v76, exec_hi, v17
	v_lshlrev_b32_e32 v17, 30, v18
	v_xor_b32_e32 v19, vcc_lo, v19
	v_cmp_gt_i64_e32 vcc, 0, v[16:17]
	v_not_b32_e32 v17, v17
	v_ashrrev_i32_e32 v17, 31, v17
	v_and_b32_e32 v19, exec_lo, v19
	v_xor_b32_e32 v77, vcc_hi, v17
	v_xor_b32_e32 v17, vcc_lo, v17
	v_and_b32_e32 v19, v19, v17
	v_lshlrev_b32_e32 v17, 29, v18
	v_cmp_gt_i64_e32 vcc, 0, v[16:17]
	v_not_b32_e32 v17, v17
	v_ashrrev_i32_e32 v17, 31, v17
	v_and_b32_e32 v76, v76, v77
	v_xor_b32_e32 v77, vcc_hi, v17
	v_xor_b32_e32 v17, vcc_lo, v17
	v_and_b32_e32 v19, v19, v17
	v_lshlrev_b32_e32 v17, 28, v18
	v_cmp_gt_i64_e32 vcc, 0, v[16:17]
	v_not_b32_e32 v17, v17
	v_ashrrev_i32_e32 v17, 31, v17
	v_and_b32_e32 v76, v76, v77
	;; [unrolled: 8-line block ×5, first 2 shown]
	v_xor_b32_e32 v77, vcc_hi, v17
	v_xor_b32_e32 v17, vcc_lo, v17
	v_and_b32_e32 v19, v19, v17
	v_lshlrev_b32_e32 v17, 24, v18
	v_cmp_gt_i64_e32 vcc, 0, v[16:17]
	v_not_b32_e32 v16, v17
	v_ashrrev_i32_e32 v16, 31, v16
	v_xor_b32_e32 v17, vcc_hi, v16
	v_xor_b32_e32 v16, vcc_lo, v16
	; wave barrier
	ds_read_b32 v40, v74 offset:32
	v_and_b32_e32 v76, v76, v77
	v_and_b32_e32 v16, v19, v16
	;; [unrolled: 1-line block ×3, first 2 shown]
	v_mbcnt_lo_u32_b32 v18, v16, 0
	v_mbcnt_hi_u32_b32 v76, v17, v18
	v_cmp_eq_u32_e32 vcc, 0, v76
	v_cmp_ne_u64_e64 s[4:5], 0, v[16:17]
	v_add_u32_e32 v75, 32, v61
	s_and_b64 s[26:27], s[4:5], vcc
	; wave barrier
	s_and_saveexec_b64 s[4:5], s[26:27]
	s_cbranch_execz .LBB90_80
; %bb.79:
	v_bcnt_u32_b32 v16, v16, 0
	v_bcnt_u32_b32 v16, v17, v16
	s_waitcnt lgkmcnt(0)
	v_add_u32_e32 v16, v40, v16
	ds_write_b32 v74, v16 offset:32
.LBB90_80:
	s_or_b64 exec, exec, s[4:5]
	; wave barrier
	s_waitcnt lgkmcnt(0)
	s_barrier
	ds_read2_b32 v[16:17], v61 offset0:8 offset1:9
	ds_read2_b32 v[18:19], v75 offset0:2 offset1:3
	v_min_u32_e32 v30, 0x1c0, v30
	v_or_b32_e32 v30, 63, v30
	s_waitcnt lgkmcnt(1)
	v_add_u32_e32 v77, v17, v16
	s_waitcnt lgkmcnt(0)
	v_add3_u32 v19, v77, v18, v19
	v_and_b32_e32 v77, 15, v28
	v_cmp_ne_u32_e32 vcc, 0, v77
	v_mov_b32_dpp v78, v19 row_shr:1 row_mask:0xf bank_mask:0xf
	v_cndmask_b32_e32 v78, 0, v78, vcc
	v_add_u32_e32 v19, v78, v19
	v_cmp_lt_u32_e32 vcc, 1, v77
	s_nop 0
	v_mov_b32_dpp v78, v19 row_shr:2 row_mask:0xf bank_mask:0xf
	v_cndmask_b32_e32 v78, 0, v78, vcc
	v_add_u32_e32 v19, v19, v78
	v_cmp_lt_u32_e32 vcc, 3, v77
	s_nop 0
	;; [unrolled: 5-line block ×3, first 2 shown]
	v_mov_b32_dpp v78, v19 row_shr:8 row_mask:0xf bank_mask:0xf
	v_cndmask_b32_e32 v77, 0, v78, vcc
	v_add_u32_e32 v19, v19, v77
	v_bfe_i32 v78, v28, 4, 1
	v_cmp_lt_u32_e32 vcc, 31, v28
	v_mov_b32_dpp v77, v19 row_bcast:15 row_mask:0xf bank_mask:0xf
	v_and_b32_e32 v77, v78, v77
	v_add_u32_e32 v19, v19, v77
	s_nop 1
	v_mov_b32_dpp v77, v19 row_bcast:31 row_mask:0xf bank_mask:0xf
	v_cndmask_b32_e32 v77, 0, v77, vcc
	v_add_u32_e32 v19, v19, v77
	v_lshrrev_b32_e32 v77, 6, v36
	v_cmp_eq_u32_e32 vcc, v30, v36
	s_and_saveexec_b64 s[4:5], vcc
	s_cbranch_execz .LBB90_82
; %bb.81:
	v_lshlrev_b32_e32 v30, 2, v77
	ds_write_b32 v30, v19
.LBB90_82:
	s_or_b64 exec, exec, s[4:5]
	v_cmp_gt_u32_e32 vcc, 8, v36
	s_waitcnt lgkmcnt(0)
	s_barrier
	s_and_saveexec_b64 s[4:5], vcc
	s_cbranch_execz .LBB90_84
; %bb.83:
	v_lshlrev_b32_e32 v30, 2, v36
	ds_read_b32 v78, v30
	v_and_b32_e32 v79, 7, v28
	v_cmp_ne_u32_e32 vcc, 0, v79
	s_waitcnt lgkmcnt(0)
	v_mov_b32_dpp v80, v78 row_shr:1 row_mask:0xf bank_mask:0xf
	v_cndmask_b32_e32 v80, 0, v80, vcc
	v_add_u32_e32 v78, v80, v78
	v_cmp_lt_u32_e32 vcc, 1, v79
	s_nop 0
	v_mov_b32_dpp v80, v78 row_shr:2 row_mask:0xf bank_mask:0xf
	v_cndmask_b32_e32 v80, 0, v80, vcc
	v_add_u32_e32 v78, v78, v80
	v_cmp_lt_u32_e32 vcc, 3, v79
	s_nop 0
	v_mov_b32_dpp v80, v78 row_shr:4 row_mask:0xf bank_mask:0xf
	v_cndmask_b32_e32 v79, 0, v80, vcc
	v_add_u32_e32 v78, v78, v79
	ds_write_b32 v30, v78
.LBB90_84:
	s_or_b64 exec, exec, s[4:5]
	v_cmp_lt_u32_e32 vcc, 63, v36
	v_mov_b32_e32 v30, 0
	s_waitcnt lgkmcnt(0)
	s_barrier
	s_and_saveexec_b64 s[4:5], vcc
	s_cbranch_execz .LBB90_86
; %bb.85:
	v_lshl_add_u32 v30, v77, 2, -4
	ds_read_b32 v30, v30
.LBB90_86:
	s_or_b64 exec, exec, s[4:5]
	v_add_u32_e32 v77, -1, v28
	v_and_b32_e32 v78, 64, v28
	v_cmp_lt_i32_e32 vcc, v77, v78
	v_cndmask_b32_e32 v77, v77, v28, vcc
	s_waitcnt lgkmcnt(0)
	v_add_u32_e32 v19, v30, v19
	v_lshlrev_b32_e32 v77, 2, v77
	ds_bpermute_b32 v19, v77, v19
	v_cmp_eq_u32_e32 vcc, 0, v28
	s_waitcnt lgkmcnt(0)
	v_cndmask_b32_e32 v19, v19, v30, vcc
	v_cmp_ne_u32_e32 vcc, 0, v36
	v_cndmask_b32_e32 v19, 0, v19, vcc
	v_add_u32_e32 v16, v19, v16
	v_add_u32_e32 v17, v16, v17
	;; [unrolled: 1-line block ×3, first 2 shown]
	ds_write2_b32 v61, v19, v16 offset0:8 offset1:9
	ds_write2_b32 v75, v17, v18 offset0:2 offset1:3
	s_waitcnt lgkmcnt(0)
	s_barrier
	ds_read_b32 v16, v29 offset:32
	ds_read_b32 v17, v33 offset:32
	;; [unrolled: 1-line block ×8, first 2 shown]
	s_waitcnt lgkmcnt(7)
	v_add_u32_e32 v31, v16, v31
	s_waitcnt lgkmcnt(6)
	v_add3_u32 v32, v38, v32, v17
	s_waitcnt lgkmcnt(5)
	v_add3_u32 v18, v43, v39, v18
	;; [unrolled: 2-line block ×7, first 2 shown]
	s_barrier
	ds_write_b8 v31, v20
	ds_write_b8 v32, v21
	;; [unrolled: 1-line block ×8, first 2 shown]
	v_lshlrev_b32_e32 v20, 3, v31
	s_waitcnt lgkmcnt(0)
	s_barrier
	ds_read_b64 v[16:17], v53
	s_waitcnt lgkmcnt(0)
	s_barrier
	ds_write_b64 v20, v[12:13]
	v_lshlrev_b32_e32 v12, 3, v32
	ds_write_b64 v12, v[14:15]
	v_lshlrev_b32_e32 v12, 3, v18
	;; [unrolled: 2-line block ×8, first 2 shown]
	s_waitcnt lgkmcnt(0)
	s_barrier
	ds_read2_b64 v[18:21], v0 offset1:1
	ds_read2_b64 v[22:25], v0 offset0:2 offset1:3
	ds_read2_b64 v[26:29], v0 offset0:4 offset1:5
	;; [unrolled: 1-line block ×3, first 2 shown]
	v_lshrrev_b32_e32 v36, 8, v16
	v_mov_b32_e32 v1, -1
	v_lshrrev_b32_e32 v38, 8, v17
	v_xor_b32_e32 v0, -1, v16
	v_xor_b32_sdwa v2, v36, v1 dst_sel:BYTE_1 dst_unused:UNUSED_PAD src0_sel:DWORD src1_sel:DWORD
	v_xor_b32_sdwa v3, v16, v1 dst_sel:DWORD dst_unused:UNUSED_PAD src0_sel:WORD_1 src1_sel:DWORD
	v_xor_b32_sdwa v4, v16, v1 dst_sel:BYTE_1 dst_unused:UNUSED_PAD src0_sel:BYTE_3 src1_sel:DWORD
	v_xor_b32_e32 v5, -1, v17
	v_xor_b32_sdwa v6, v38, v1 dst_sel:BYTE_1 dst_unused:UNUSED_PAD src0_sel:DWORD src1_sel:DWORD
	v_xor_b32_sdwa v7, v17, v1 dst_sel:DWORD dst_unused:UNUSED_PAD src0_sel:WORD_1 src1_sel:DWORD
	v_xor_b32_sdwa v1, v17, v1 dst_sel:BYTE_1 dst_unused:UNUSED_PAD src0_sel:BYTE_3 src1_sel:DWORD
	v_or_b32_sdwa v0, v0, v2 dst_sel:DWORD dst_unused:UNUSED_PAD src0_sel:BYTE_0 src1_sel:DWORD
	v_or_b32_sdwa v2, v3, v4 dst_sel:WORD_1 dst_unused:UNUSED_PAD src0_sel:BYTE_0 src1_sel:DWORD
	v_or_b32_sdwa v0, v0, v2 dst_sel:DWORD dst_unused:UNUSED_PAD src0_sel:WORD_0 src1_sel:DWORD
	v_or_b32_sdwa v2, v5, v6 dst_sel:DWORD dst_unused:UNUSED_PAD src0_sel:BYTE_0 src1_sel:DWORD
	v_or_b32_sdwa v1, v7, v1 dst_sel:WORD_1 dst_unused:UNUSED_PAD src0_sel:BYTE_0 src1_sel:DWORD
	v_or_b32_sdwa v1, v2, v1 dst_sel:DWORD dst_unused:UNUSED_PAD src0_sel:WORD_0 src1_sel:DWORD
.LBB90_87:
	s_waitcnt lgkmcnt(0)
	s_barrier
	ds_write_b64 v52, v[0:1]
	s_waitcnt lgkmcnt(0)
	s_barrier
	ds_read_u8 v8, v45 offset:512
	ds_read_u8 v7, v46 offset:1024
	ds_read_u8 v6, v47 offset:1536
	ds_read_u8 v5, v48 offset:2048
	ds_read_u8 v4, v49 offset:2560
	ds_read_u8 v3, v50 offset:3072
	ds_read_u8 v2, v51 offset:3584
	v_mov_b32_e32 v1, s25
	v_add_co_u32_e32 v0, vcc, s24, v37
	v_addc_co_u32_e32 v1, vcc, 0, v1, vcc
	s_and_saveexec_b64 s[4:5], s[0:1]
	s_cbranch_execnz .LBB90_106
; %bb.88:
	s_or_b64 exec, exec, s[4:5]
	s_and_saveexec_b64 s[4:5], s[2:3]
	s_cbranch_execnz .LBB90_107
.LBB90_89:
	s_or_b64 exec, exec, s[4:5]
	s_and_saveexec_b64 s[4:5], s[16:17]
	s_cbranch_execnz .LBB90_108
.LBB90_90:
	s_or_b64 exec, exec, s[4:5]
	s_and_saveexec_b64 s[4:5], s[6:7]
	s_cbranch_execnz .LBB90_109
.LBB90_91:
	s_or_b64 exec, exec, s[4:5]
	s_and_saveexec_b64 s[4:5], s[8:9]
	s_cbranch_execnz .LBB90_110
.LBB90_92:
	s_or_b64 exec, exec, s[4:5]
	s_and_saveexec_b64 s[4:5], s[10:11]
	s_cbranch_execnz .LBB90_111
.LBB90_93:
	s_or_b64 exec, exec, s[4:5]
	s_and_saveexec_b64 s[4:5], s[12:13]
	s_cbranch_execnz .LBB90_112
.LBB90_94:
	s_or_b64 exec, exec, s[4:5]
	s_and_saveexec_b64 s[4:5], s[14:15]
	s_cbranch_execz .LBB90_96
.LBB90_95:
	s_mul_i32 s21, s22, 0xe00
	v_add_co_u32_e32 v0, vcc, s21, v0
	v_addc_co_u32_e32 v1, vcc, 0, v1, vcc
	s_waitcnt lgkmcnt(0)
	global_store_byte v[0:1], v2, off
.LBB90_96:
	s_or_b64 exec, exec, s[4:5]
	s_waitcnt lgkmcnt(0)
	s_barrier
	ds_write2_b64 v60, v[18:19], v[20:21] offset1:1
	ds_write2_b64 v60, v[22:23], v[24:25] offset0:2 offset1:3
	ds_write2_b64 v60, v[26:27], v[28:29] offset0:4 offset1:5
	;; [unrolled: 1-line block ×3, first 2 shown]
	s_waitcnt lgkmcnt(0)
	s_barrier
	ds_read_b64 v[14:15], v35 offset:4096
	ds_read_b64 v[12:13], v54 offset:8192
	;; [unrolled: 1-line block ×7, first 2 shown]
	v_mov_b32_e32 v35, 0
	v_lshlrev_b64 v[2:3], 3, v[34:35]
	v_mov_b32_e32 v16, s20
	v_add_co_u32_e32 v2, vcc, s19, v2
	v_addc_co_u32_e32 v3, vcc, v16, v3, vcc
	s_and_saveexec_b64 s[4:5], s[0:1]
	s_cbranch_execnz .LBB90_113
; %bb.97:
	s_or_b64 exec, exec, s[4:5]
	s_and_saveexec_b64 s[0:1], s[2:3]
	s_cbranch_execnz .LBB90_114
.LBB90_98:
	s_or_b64 exec, exec, s[0:1]
	s_and_saveexec_b64 s[0:1], s[16:17]
	s_cbranch_execnz .LBB90_115
.LBB90_99:
	s_or_b64 exec, exec, s[0:1]
	s_and_saveexec_b64 s[0:1], s[6:7]
	s_cbranch_execnz .LBB90_116
.LBB90_100:
	s_or_b64 exec, exec, s[0:1]
	s_and_saveexec_b64 s[0:1], s[8:9]
	s_cbranch_execnz .LBB90_117
.LBB90_101:
	s_or_b64 exec, exec, s[0:1]
	s_and_saveexec_b64 s[0:1], s[10:11]
	s_cbranch_execnz .LBB90_118
.LBB90_102:
	s_or_b64 exec, exec, s[0:1]
	s_and_saveexec_b64 s[0:1], s[12:13]
	s_cbranch_execnz .LBB90_119
.LBB90_103:
	s_or_b64 exec, exec, s[0:1]
	s_and_saveexec_b64 s[0:1], s[14:15]
	s_cbranch_execz .LBB90_105
.LBB90_104:
	s_mul_i32 s0, s18, 0xe00
	s_mov_b32 s1, 0
	s_lshl_b64 s[0:1], s[0:1], 3
	s_waitcnt lgkmcnt(1)
	v_mov_b32_e32 v4, s1
	v_add_co_u32_e32 v2, vcc, s0, v2
	v_addc_co_u32_e32 v3, vcc, v3, v4, vcc
	s_waitcnt lgkmcnt(0)
	global_store_dwordx2 v[2:3], v[0:1], off
.LBB90_105:
	s_endpgm
.LBB90_106:
	ds_read_u8 v9, v44
	s_waitcnt lgkmcnt(0)
	global_store_byte v[0:1], v9, off
	s_or_b64 exec, exec, s[4:5]
	s_and_saveexec_b64 s[4:5], s[2:3]
	s_cbranch_execz .LBB90_89
.LBB90_107:
	s_lshl_b32 s21, s22, 9
	v_add_co_u32_e32 v10, vcc, s21, v0
	v_addc_co_u32_e32 v11, vcc, 0, v1, vcc
	s_waitcnt lgkmcnt(6)
	global_store_byte v[10:11], v8, off
	s_or_b64 exec, exec, s[4:5]
	s_and_saveexec_b64 s[4:5], s[16:17]
	s_cbranch_execz .LBB90_90
.LBB90_108:
	s_lshl_b32 s21, s22, 10
	s_waitcnt lgkmcnt(6)
	v_add_co_u32_e32 v8, vcc, s21, v0
	v_addc_co_u32_e32 v9, vcc, 0, v1, vcc
	s_waitcnt lgkmcnt(5)
	global_store_byte v[8:9], v7, off
	s_or_b64 exec, exec, s[4:5]
	s_and_saveexec_b64 s[4:5], s[6:7]
	s_cbranch_execz .LBB90_91
.LBB90_109:
	s_mul_i32 s21, s22, 0x600
	s_waitcnt lgkmcnt(6)
	v_add_co_u32_e32 v8, vcc, s21, v0
	v_addc_co_u32_e32 v9, vcc, 0, v1, vcc
	s_waitcnt lgkmcnt(4)
	global_store_byte v[8:9], v6, off
	s_or_b64 exec, exec, s[4:5]
	s_and_saveexec_b64 s[4:5], s[8:9]
	s_cbranch_execz .LBB90_92
.LBB90_110:
	s_lshl_b32 s21, s22, 11
	s_waitcnt lgkmcnt(4)
	v_add_co_u32_e32 v6, vcc, s21, v0
	v_addc_co_u32_e32 v7, vcc, 0, v1, vcc
	s_waitcnt lgkmcnt(3)
	global_store_byte v[6:7], v5, off
	s_or_b64 exec, exec, s[4:5]
	s_and_saveexec_b64 s[4:5], s[10:11]
	s_cbranch_execz .LBB90_93
.LBB90_111:
	s_mul_i32 s21, s22, 0xa00
	s_waitcnt lgkmcnt(4)
	v_add_co_u32_e32 v6, vcc, s21, v0
	v_addc_co_u32_e32 v7, vcc, 0, v1, vcc
	s_waitcnt lgkmcnt(2)
	global_store_byte v[6:7], v4, off
	s_or_b64 exec, exec, s[4:5]
	s_and_saveexec_b64 s[4:5], s[12:13]
	s_cbranch_execz .LBB90_94
.LBB90_112:
	s_mul_i32 s21, s22, 0xc00
	s_waitcnt lgkmcnt(2)
	v_add_co_u32_e32 v4, vcc, s21, v0
	v_addc_co_u32_e32 v5, vcc, 0, v1, vcc
	s_waitcnt lgkmcnt(1)
	global_store_byte v[4:5], v3, off
	s_or_b64 exec, exec, s[4:5]
	s_and_saveexec_b64 s[4:5], s[14:15]
	s_cbranch_execnz .LBB90_95
	s_branch .LBB90_96
.LBB90_113:
	ds_read_b64 v[16:17], v41
	s_waitcnt lgkmcnt(0)
	global_store_dwordx2 v[2:3], v[16:17], off
	s_or_b64 exec, exec, s[4:5]
	s_and_saveexec_b64 s[0:1], s[2:3]
	s_cbranch_execz .LBB90_98
.LBB90_114:
	s_lshl_b32 s2, s18, 9
	s_mov_b32 s3, 0
	s_lshl_b64 s[2:3], s[2:3], 3
	v_mov_b32_e32 v17, s3
	v_add_co_u32_e32 v16, vcc, s2, v2
	v_addc_co_u32_e32 v17, vcc, v3, v17, vcc
	s_waitcnt lgkmcnt(6)
	global_store_dwordx2 v[16:17], v[14:15], off
	s_or_b64 exec, exec, s[0:1]
	s_and_saveexec_b64 s[0:1], s[16:17]
	s_cbranch_execz .LBB90_99
.LBB90_115:
	s_lshl_b32 s2, s18, 10
	s_mov_b32 s3, 0
	s_lshl_b64 s[2:3], s[2:3], 3
	s_waitcnt lgkmcnt(6)
	v_mov_b32_e32 v15, s3
	v_add_co_u32_e32 v14, vcc, s2, v2
	v_addc_co_u32_e32 v15, vcc, v3, v15, vcc
	s_waitcnt lgkmcnt(5)
	global_store_dwordx2 v[14:15], v[12:13], off
	s_or_b64 exec, exec, s[0:1]
	s_and_saveexec_b64 s[0:1], s[6:7]
	s_cbranch_execz .LBB90_100
.LBB90_116:
	s_mul_i32 s2, s18, 0x600
	s_mov_b32 s3, 0
	s_lshl_b64 s[2:3], s[2:3], 3
	s_waitcnt lgkmcnt(5)
	v_mov_b32_e32 v13, s3
	v_add_co_u32_e32 v12, vcc, s2, v2
	v_addc_co_u32_e32 v13, vcc, v3, v13, vcc
	s_waitcnt lgkmcnt(4)
	global_store_dwordx2 v[12:13], v[10:11], off
	s_or_b64 exec, exec, s[0:1]
	s_and_saveexec_b64 s[0:1], s[8:9]
	s_cbranch_execz .LBB90_101
.LBB90_117:
	s_lshl_b32 s2, s18, 11
	s_mov_b32 s3, 0
	s_lshl_b64 s[2:3], s[2:3], 3
	s_waitcnt lgkmcnt(4)
	v_mov_b32_e32 v11, s3
	v_add_co_u32_e32 v10, vcc, s2, v2
	v_addc_co_u32_e32 v11, vcc, v3, v11, vcc
	s_waitcnt lgkmcnt(3)
	global_store_dwordx2 v[10:11], v[8:9], off
	s_or_b64 exec, exec, s[0:1]
	s_and_saveexec_b64 s[0:1], s[10:11]
	s_cbranch_execz .LBB90_102
.LBB90_118:
	s_mul_i32 s2, s18, 0xa00
	s_mov_b32 s3, 0
	s_lshl_b64 s[2:3], s[2:3], 3
	s_waitcnt lgkmcnt(3)
	v_mov_b32_e32 v9, s3
	v_add_co_u32_e32 v8, vcc, s2, v2
	v_addc_co_u32_e32 v9, vcc, v3, v9, vcc
	s_waitcnt lgkmcnt(2)
	global_store_dwordx2 v[8:9], v[6:7], off
	s_or_b64 exec, exec, s[0:1]
	s_and_saveexec_b64 s[0:1], s[12:13]
	s_cbranch_execz .LBB90_103
.LBB90_119:
	s_mul_i32 s2, s18, 0xc00
	s_mov_b32 s3, 0
	s_lshl_b64 s[2:3], s[2:3], 3
	s_waitcnt lgkmcnt(2)
	v_mov_b32_e32 v7, s3
	v_add_co_u32_e32 v6, vcc, s2, v2
	v_addc_co_u32_e32 v7, vcc, v3, v7, vcc
	s_waitcnt lgkmcnt(1)
	global_store_dwordx2 v[6:7], v[4:5], off
	s_or_b64 exec, exec, s[0:1]
	s_and_saveexec_b64 s[0:1], s[14:15]
	s_cbranch_execnz .LBB90_104
	s_branch .LBB90_105
	.section	.rodata,"a",@progbits
	.p2align	6, 0x0
	.amdhsa_kernel _ZN2at6native18radixSortKVInPlaceILin1ELin1ELi512ELi8EhljEEvNS_4cuda6detail10TensorInfoIT3_T5_EES6_S6_S6_NS4_IT4_S6_EES6_b
		.amdhsa_group_segment_fixed_size 33792
		.amdhsa_private_segment_fixed_size 0
		.amdhsa_kernarg_size 712
		.amdhsa_user_sgpr_count 6
		.amdhsa_user_sgpr_private_segment_buffer 1
		.amdhsa_user_sgpr_dispatch_ptr 0
		.amdhsa_user_sgpr_queue_ptr 0
		.amdhsa_user_sgpr_kernarg_segment_ptr 1
		.amdhsa_user_sgpr_dispatch_id 0
		.amdhsa_user_sgpr_flat_scratch_init 0
		.amdhsa_user_sgpr_kernarg_preload_length 0
		.amdhsa_user_sgpr_kernarg_preload_offset 0
		.amdhsa_user_sgpr_private_segment_size 0
		.amdhsa_uses_dynamic_stack 0
		.amdhsa_system_sgpr_private_segment_wavefront_offset 0
		.amdhsa_system_sgpr_workgroup_id_x 1
		.amdhsa_system_sgpr_workgroup_id_y 1
		.amdhsa_system_sgpr_workgroup_id_z 1
		.amdhsa_system_sgpr_workgroup_info 0
		.amdhsa_system_vgpr_workitem_id 2
		.amdhsa_next_free_vgpr 105
		.amdhsa_next_free_sgpr 52
		.amdhsa_accum_offset 108
		.amdhsa_reserve_vcc 1
		.amdhsa_reserve_flat_scratch 0
		.amdhsa_float_round_mode_32 0
		.amdhsa_float_round_mode_16_64 0
		.amdhsa_float_denorm_mode_32 3
		.amdhsa_float_denorm_mode_16_64 3
		.amdhsa_dx10_clamp 1
		.amdhsa_ieee_mode 1
		.amdhsa_fp16_overflow 0
		.amdhsa_tg_split 0
		.amdhsa_exception_fp_ieee_invalid_op 0
		.amdhsa_exception_fp_denorm_src 0
		.amdhsa_exception_fp_ieee_div_zero 0
		.amdhsa_exception_fp_ieee_overflow 0
		.amdhsa_exception_fp_ieee_underflow 0
		.amdhsa_exception_fp_ieee_inexact 0
		.amdhsa_exception_int_div_zero 0
	.end_amdhsa_kernel
	.section	.text._ZN2at6native18radixSortKVInPlaceILin1ELin1ELi512ELi8EhljEEvNS_4cuda6detail10TensorInfoIT3_T5_EES6_S6_S6_NS4_IT4_S6_EES6_b,"axG",@progbits,_ZN2at6native18radixSortKVInPlaceILin1ELin1ELi512ELi8EhljEEvNS_4cuda6detail10TensorInfoIT3_T5_EES6_S6_S6_NS4_IT4_S6_EES6_b,comdat
.Lfunc_end90:
	.size	_ZN2at6native18radixSortKVInPlaceILin1ELin1ELi512ELi8EhljEEvNS_4cuda6detail10TensorInfoIT3_T5_EES6_S6_S6_NS4_IT4_S6_EES6_b, .Lfunc_end90-_ZN2at6native18radixSortKVInPlaceILin1ELin1ELi512ELi8EhljEEvNS_4cuda6detail10TensorInfoIT3_T5_EES6_S6_S6_NS4_IT4_S6_EES6_b
                                        ; -- End function
	.section	.AMDGPU.csdata,"",@progbits
; Kernel info:
; codeLenInByte = 12024
; NumSgprs: 56
; NumVgprs: 105
; NumAgprs: 0
; TotalNumVgprs: 105
; ScratchSize: 0
; MemoryBound: 0
; FloatMode: 240
; IeeeMode: 1
; LDSByteSize: 33792 bytes/workgroup (compile time only)
; SGPRBlocks: 6
; VGPRBlocks: 13
; NumSGPRsForWavesPerEU: 56
; NumVGPRsForWavesPerEU: 105
; AccumOffset: 108
; Occupancy: 2
; WaveLimiterHint : 1
; COMPUTE_PGM_RSRC2:SCRATCH_EN: 0
; COMPUTE_PGM_RSRC2:USER_SGPR: 6
; COMPUTE_PGM_RSRC2:TRAP_HANDLER: 0
; COMPUTE_PGM_RSRC2:TGID_X_EN: 1
; COMPUTE_PGM_RSRC2:TGID_Y_EN: 1
; COMPUTE_PGM_RSRC2:TGID_Z_EN: 1
; COMPUTE_PGM_RSRC2:TIDIG_COMP_CNT: 2
; COMPUTE_PGM_RSRC3_GFX90A:ACCUM_OFFSET: 26
; COMPUTE_PGM_RSRC3_GFX90A:TG_SPLIT: 0
	.section	.text._ZN2at6native18radixSortKVInPlaceILin1ELin1ELi256ELi8EhljEEvNS_4cuda6detail10TensorInfoIT3_T5_EES6_S6_S6_NS4_IT4_S6_EES6_b,"axG",@progbits,_ZN2at6native18radixSortKVInPlaceILin1ELin1ELi256ELi8EhljEEvNS_4cuda6detail10TensorInfoIT3_T5_EES6_S6_S6_NS4_IT4_S6_EES6_b,comdat
	.protected	_ZN2at6native18radixSortKVInPlaceILin1ELin1ELi256ELi8EhljEEvNS_4cuda6detail10TensorInfoIT3_T5_EES6_S6_S6_NS4_IT4_S6_EES6_b ; -- Begin function _ZN2at6native18radixSortKVInPlaceILin1ELin1ELi256ELi8EhljEEvNS_4cuda6detail10TensorInfoIT3_T5_EES6_S6_S6_NS4_IT4_S6_EES6_b
	.globl	_ZN2at6native18radixSortKVInPlaceILin1ELin1ELi256ELi8EhljEEvNS_4cuda6detail10TensorInfoIT3_T5_EES6_S6_S6_NS4_IT4_S6_EES6_b
	.p2align	8
	.type	_ZN2at6native18radixSortKVInPlaceILin1ELin1ELi256ELi8EhljEEvNS_4cuda6detail10TensorInfoIT3_T5_EES6_S6_S6_NS4_IT4_S6_EES6_b,@function
_ZN2at6native18radixSortKVInPlaceILin1ELin1ELi256ELi8EhljEEvNS_4cuda6detail10TensorInfoIT3_T5_EES6_S6_S6_NS4_IT4_S6_EES6_b: ; @_ZN2at6native18radixSortKVInPlaceILin1ELin1ELi256ELi8EhljEEvNS_4cuda6detail10TensorInfoIT3_T5_EES6_S6_S6_NS4_IT4_S6_EES6_b
; %bb.0:
	s_load_dwordx2 s[0:1], s[4:5], 0x1c8
	s_load_dwordx4 s[20:23], s[4:5], 0xd8
	s_add_u32 s26, s4, 0x1c8
	s_addc_u32 s27, s5, 0
	s_waitcnt lgkmcnt(0)
	s_mul_i32 s1, s1, s8
	s_add_i32 s1, s1, s7
	s_mul_i32 s0, s1, s0
	s_add_i32 s23, s0, s6
	s_cmp_ge_u32 s23, s20
	s_cbranch_scc1 .LBB91_105
; %bb.1:
	s_load_dword s2, s[4:5], 0xd0
	s_mov_b32 s1, 0
	s_mov_b32 s0, s23
	s_waitcnt lgkmcnt(0)
	s_cmp_lt_i32 s2, 2
	s_cbranch_scc1 .LBB91_4
; %bb.2:
	s_add_i32 s0, s2, -1
	s_add_i32 s6, s2, 1
	s_lshl_b64 s[2:3], s[0:1], 2
	s_add_u32 s0, s2, s4
	s_addc_u32 s3, s3, s5
	s_add_u32 s2, s0, 8
	s_addc_u32 s3, s3, 0
	s_mov_b32 s0, s23
.LBB91_3:                               ; =>This Inner Loop Header: Depth=1
	s_load_dword s7, s[2:3], 0x0
	s_load_dword s9, s[2:3], 0x64
	s_mov_b32 s8, s0
	s_waitcnt lgkmcnt(0)
	v_cvt_f32_u32_e32 v1, s7
	s_sub_i32 s0, 0, s7
	v_rcp_iflag_f32_e32 v1, v1
	v_mul_f32_e32 v1, 0x4f7ffffe, v1
	v_cvt_u32_f32_e32 v1, v1
	v_readfirstlane_b32 s10, v1
	s_mul_i32 s0, s0, s10
	s_mul_hi_u32 s0, s10, s0
	s_add_i32 s10, s10, s0
	s_mul_hi_u32 s0, s8, s10
	s_mul_i32 s10, s0, s7
	s_sub_i32 s10, s8, s10
	s_add_i32 s11, s0, 1
	s_sub_i32 s12, s10, s7
	s_cmp_ge_u32 s10, s7
	s_cselect_b32 s0, s11, s0
	s_cselect_b32 s10, s12, s10
	s_add_i32 s11, s0, 1
	s_cmp_ge_u32 s10, s7
	s_cselect_b32 s0, s11, s0
	s_mul_i32 s7, s0, s7
	s_sub_i32 s7, s8, s7
	s_mul_i32 s7, s9, s7
	s_add_i32 s6, s6, -1
	s_add_i32 s1, s7, s1
	s_add_u32 s2, s2, -4
	s_addc_u32 s3, s3, -1
	s_cmp_gt_u32 s6, 2
	s_cbranch_scc1 .LBB91_3
.LBB91_4:
	s_load_dword s2, s[4:5], 0x1b8
	s_mov_b32 s31, 0
	s_waitcnt lgkmcnt(0)
	s_cmp_lt_i32 s2, 2
	s_cbranch_scc1 .LBB91_7
; %bb.5:
	s_add_i32 s30, s2, -1
	s_add_i32 s6, s2, 1
	s_lshl_b64 s[2:3], s[30:31], 2
	s_add_u32 s2, s2, s4
	s_addc_u32 s3, s3, s5
	s_add_u32 s2, s2, 0xf0
	s_addc_u32 s3, s3, 0
.LBB91_6:                               ; =>This Inner Loop Header: Depth=1
	s_load_dword s7, s[2:3], 0x0
	s_load_dword s9, s[2:3], 0x64
	s_mov_b32 s8, s23
	s_waitcnt lgkmcnt(0)
	v_cvt_f32_u32_e32 v1, s7
	s_sub_i32 s10, 0, s7
	v_rcp_iflag_f32_e32 v1, v1
	v_mul_f32_e32 v1, 0x4f7ffffe, v1
	v_cvt_u32_f32_e32 v1, v1
	v_readfirstlane_b32 s11, v1
	s_mul_i32 s10, s10, s11
	s_mul_hi_u32 s10, s11, s10
	s_add_i32 s11, s11, s10
	s_mul_hi_u32 s10, s23, s11
	s_mul_i32 s11, s10, s7
	s_sub_i32 s11, s23, s11
	s_add_i32 s12, s10, 1
	s_sub_i32 s13, s11, s7
	s_cmp_ge_u32 s11, s7
	s_cselect_b32 s10, s12, s10
	s_cselect_b32 s11, s13, s11
	s_add_i32 s12, s10, 1
	s_cmp_ge_u32 s11, s7
	s_cselect_b32 s23, s12, s10
	s_mul_i32 s7, s23, s7
	s_sub_i32 s7, s8, s7
	s_mul_i32 s7, s9, s7
	s_add_i32 s6, s6, -1
	s_add_i32 s31, s7, s31
	s_add_u32 s2, s2, -4
	s_addc_u32 s3, s3, -1
	s_cmp_gt_u32 s6, 2
	s_cbranch_scc1 .LBB91_6
.LBB91_7:
	s_load_dword s2, s[4:5], 0x6c
	s_load_dwordx2 s[18:19], s[4:5], 0x1c0
	s_load_dwordx2 s[6:7], s[4:5], 0x0
	v_and_b32_e32 v36, 0x3ff, v0
	v_mul_lo_u32 v37, v36, s22
	s_waitcnt lgkmcnt(0)
	s_mul_i32 s0, s2, s0
	s_add_i32 s2, s0, s1
	s_bitcmp1_b32 s19, 0
	s_cselect_b64 s[0:1], -1, 0
	s_add_u32 s24, s6, s2
	s_addc_u32 s25, s7, 0
	s_xor_b64 s[28:29], s[0:1], -1
	v_cndmask_b32_e64 v1, 0, -1, s[28:29]
	v_lshlrev_b16_e32 v2, 8, v1
	v_or_b32_sdwa v2, v1, v2 dst_sel:DWORD dst_unused:UNUSED_PAD src0_sel:BYTE_0 src1_sel:DWORD
	v_lshlrev_b32_e32 v3, 16, v2
	v_or_b32_sdwa v2, v2, v3 dst_sel:DWORD dst_unused:UNUSED_PAD src0_sel:WORD_0 src1_sel:DWORD
	v_mov_b32_e32 v3, v2
	v_cmp_gt_u32_e64 s[0:1], s21, v36
	s_and_saveexec_b64 s[2:3], s[0:1]
	s_cbranch_execz .LBB91_9
; %bb.8:
	global_load_ubyte v1, v37, s[24:25]
	s_mov_b32 s6, 0x3020104
	v_mov_b32_e32 v5, v2
	s_waitcnt vmcnt(0)
	v_perm_b32 v4, v1, v2, s6
	v_pk_mov_b32 v[2:3], v[4:5], v[4:5] op_sel:[0,1]
.LBB91_9:
	s_or_b64 exec, exec, s[2:3]
	v_add_u32_e32 v32, 0x100, v36
	v_cmp_gt_u32_e64 s[2:3], s21, v32
	s_and_saveexec_b64 s[6:7], s[2:3]
	s_cbranch_execz .LBB91_11
; %bb.10:
	v_mul_lo_u32 v4, v32, s22
	global_load_ubyte v4, v4, s[24:25]
	s_mov_b32 s8, 0x7060004
	s_waitcnt vmcnt(0)
	v_perm_b32 v2, v2, v4, s8
.LBB91_11:
	s_or_b64 exec, exec, s[6:7]
	v_add_u32_e32 v31, 0x200, v36
	v_cmp_gt_u32_e64 s[16:17], s21, v31
	s_and_saveexec_b64 s[6:7], s[16:17]
	s_cbranch_execz .LBB91_13
; %bb.12:
	v_mul_lo_u32 v4, v31, s22
	global_load_ubyte v4, v4, s[24:25]
	s_movk_i32 s8, 0xff00
	v_and_b32_sdwa v5, v2, s8 dst_sel:DWORD dst_unused:UNUSED_PAD src0_sel:WORD_1 src1_sel:DWORD
	s_mov_b32 s8, 0xffff
	s_waitcnt vmcnt(0)
	v_or_b32_sdwa v4, v4, v5 dst_sel:WORD_1 dst_unused:UNUSED_PAD src0_sel:DWORD src1_sel:DWORD
	v_and_or_b32 v2, v2, s8, v4
.LBB91_13:
	s_or_b64 exec, exec, s[6:7]
	v_add_u32_e32 v30, 0x300, v36
	v_cmp_gt_u32_e64 s[6:7], s21, v30
	s_and_saveexec_b64 s[8:9], s[6:7]
	s_cbranch_execz .LBB91_15
; %bb.14:
	v_mul_lo_u32 v4, v30, s22
	global_load_ubyte v4, v4, s[24:25]
	s_movk_i32 s10, 0xff
	v_and_b32_sdwa v5, v2, s10 dst_sel:DWORD dst_unused:UNUSED_PAD src0_sel:WORD_1 src1_sel:DWORD
	s_mov_b32 s10, 0xffff
	s_waitcnt vmcnt(0)
	v_lshlrev_b16_e32 v4, 8, v4
	v_or_b32_sdwa v4, v5, v4 dst_sel:WORD_1 dst_unused:UNUSED_PAD src0_sel:DWORD src1_sel:DWORD
	v_and_or_b32 v2, v2, s10, v4
.LBB91_15:
	s_or_b64 exec, exec, s[8:9]
	v_or_b32_e32 v29, 0x400, v36
	v_cmp_gt_u32_e64 s[8:9], s21, v29
	s_and_saveexec_b64 s[10:11], s[8:9]
	s_cbranch_execz .LBB91_17
; %bb.16:
	v_mul_lo_u32 v4, v29, s22
	global_load_ubyte v4, v4, s[24:25]
	s_mov_b32 s12, 0x3020104
	s_waitcnt vmcnt(0)
	v_perm_b32 v3, v4, v3, s12
.LBB91_17:
	s_or_b64 exec, exec, s[10:11]
	v_add_u32_e32 v28, 0x500, v36
	v_cmp_gt_u32_e64 s[10:11], s21, v28
	s_and_saveexec_b64 s[12:13], s[10:11]
	s_cbranch_execz .LBB91_19
; %bb.18:
	v_mul_lo_u32 v4, v28, s22
	global_load_ubyte v4, v4, s[24:25]
	s_mov_b32 s14, 0x7060004
	s_waitcnt vmcnt(0)
	v_perm_b32 v3, v3, v4, s14
.LBB91_19:
	s_or_b64 exec, exec, s[12:13]
	s_load_dwordx2 s[34:35], s[4:5], 0xe8
	v_add_u32_e32 v27, 0x600, v36
	v_cmp_gt_u32_e64 s[12:13], s21, v27
	s_and_saveexec_b64 s[14:15], s[12:13]
	s_cbranch_execz .LBB91_21
; %bb.20:
	v_mul_lo_u32 v4, v27, s22
	global_load_ubyte v4, v4, s[24:25]
	s_mov_b32 s19, 0x7000504
	s_waitcnt vmcnt(0)
	v_perm_b32 v3, v3, v4, s19
.LBB91_21:
	s_or_b64 exec, exec, s[14:15]
	s_load_dword s19, s[4:5], 0x154
	v_add_u32_e32 v22, 0x700, v36
	v_cmp_gt_u32_e64 s[14:15], s21, v22
	s_and_saveexec_b64 s[4:5], s[14:15]
	s_cbranch_execz .LBB91_23
; %bb.22:
	v_mul_lo_u32 v4, v22, s22
	global_load_ubyte v4, v4, s[24:25]
	s_mov_b32 s20, 0x60504
	s_waitcnt vmcnt(0)
	v_perm_b32 v3, v3, v4, s20
.LBB91_23:
	s_or_b64 exec, exec, s[4:5]
	v_lshrrev_b32_e32 v26, 5, v36
	v_and_b32_e32 v4, 28, v26
	v_add_u32_e32 v44, v4, v36
	v_lshrrev_b32_e32 v25, 5, v32
	ds_write_b8 v44, v1
	v_and_b32_e32 v1, 60, v25
	v_lshrrev_b32_e32 v24, 5, v31
	v_add_u32_e32 v45, v1, v36
	v_and_b32_e32 v1, 60, v24
	v_lshrrev_b32_e32 v23, 5, v30
	v_add_u32_e32 v46, v1, v36
	;; [unrolled: 3-line block ×3, first 2 shown]
	v_and_b32_e32 v1, 60, v21
	v_lshrrev_b32_e32 v19, 5, v28
	v_lshrrev_b32_e32 v4, 8, v2
	v_add_u32_e32 v48, v1, v36
	v_and_b32_e32 v1, 0x7c, v19
	v_lshrrev_b32_e32 v18, 5, v27
	ds_write_b8 v45, v4 offset:256
	ds_write_b8_d16_hi v46, v2 offset:512
	v_lshrrev_b32_e32 v2, 24, v2
	v_add_u32_e32 v49, v1, v36
	v_and_b32_e32 v1, 0x7c, v18
	ds_write_b8 v47, v2 offset:768
	v_lshrrev_b32_e32 v2, 8, v3
	v_add_u32_e32 v50, v1, v36
	v_lshrrev_b32_e32 v1, 5, v22
	ds_write_b8 v48, v3 offset:1024
	ds_write_b8 v49, v2 offset:1280
	v_and_b32_e32 v2, 0x7c, v1
	v_lshrrev_b32_e32 v20, 2, v36
	v_add_u32_e32 v51, v2, v36
	v_lshlrev_b32_e32 v53, 3, v36
	v_and_b32_e32 v2, 0xfc, v20
	ds_write_b8_d16_hi v50, v3 offset:1536
	v_lshrrev_b32_e32 v3, 24, v3
	v_add_u32_e32 v52, v2, v53
	s_waitcnt lgkmcnt(0)
	s_mul_i32 s4, s19, s23
	ds_write_b8 v51, v3 offset:1792
	s_waitcnt lgkmcnt(0)
	s_barrier
	ds_read_b64 v[38:39], v52
	s_add_i32 s36, s4, s31
	s_mov_b32 s37, 0
	s_lshl_b64 s[4:5], s[36:37], 3
	s_mov_b32 s36, s37
	s_add_u32 s19, s34, s4
	s_mov_b32 s38, s37
	s_mov_b32 s39, s37
	;; [unrolled: 1-line block ×14, first 2 shown]
	v_pk_mov_b32 v[2:3], s[36:37], s[36:37] op_sel:[0,1]
	s_addc_u32 s20, s35, s5
	v_pk_mov_b32 v[4:5], s[38:39], s[38:39] op_sel:[0,1]
	v_pk_mov_b32 v[6:7], s[40:41], s[40:41] op_sel:[0,1]
	;; [unrolled: 1-line block ×7, first 2 shown]
	v_pk_mov_b32 v[2:3], 0, 0
	v_mul_lo_u32 v34, v36, s18
	s_waitcnt lgkmcnt(0)
	s_barrier
	s_and_saveexec_b64 s[4:5], s[0:1]
	s_cbranch_execnz .LBB91_56
; %bb.24:
	s_or_b64 exec, exec, s[4:5]
	s_and_saveexec_b64 s[4:5], s[2:3]
	s_cbranch_execnz .LBB91_57
.LBB91_25:
	s_or_b64 exec, exec, s[4:5]
	s_and_saveexec_b64 s[4:5], s[16:17]
	s_cbranch_execnz .LBB91_58
.LBB91_26:
	s_or_b64 exec, exec, s[4:5]
	s_and_saveexec_b64 s[4:5], s[6:7]
	s_cbranch_execnz .LBB91_59
.LBB91_27:
	s_or_b64 exec, exec, s[4:5]
	s_and_saveexec_b64 s[4:5], s[8:9]
	s_cbranch_execnz .LBB91_60
.LBB91_28:
	s_or_b64 exec, exec, s[4:5]
	s_and_saveexec_b64 s[4:5], s[10:11]
	s_cbranch_execnz .LBB91_61
.LBB91_29:
	s_or_b64 exec, exec, s[4:5]
	s_and_saveexec_b64 s[4:5], s[12:13]
	s_cbranch_execnz .LBB91_62
.LBB91_30:
	s_or_b64 exec, exec, s[4:5]
	s_and_saveexec_b64 s[4:5], s[14:15]
	s_cbranch_execz .LBB91_32
.LBB91_31:
	v_mul_lo_u32 v16, v22, s18
	v_mov_b32_e32 v17, 0
	v_lshlrev_b64 v[16:17], 3, v[16:17]
	v_mov_b32_e32 v22, s20
	v_add_co_u32_e32 v16, vcc, s19, v16
	v_addc_co_u32_e32 v17, vcc, v22, v17, vcc
	global_load_dwordx2 v[16:17], v[16:17], off
.LBB91_32:
	s_or_b64 exec, exec, s[4:5]
	v_lshrrev_b64 v[40:41], 24, v[38:39]
	v_add_lshl_u32 v41, v26, v36, 3
	v_add_lshl_u32 v35, v25, v36, 3
	;; [unrolled: 1-line block ×9, first 2 shown]
	s_waitcnt vmcnt(0)
	ds_write_b64 v41, v[2:3]
	ds_write_b64 v35, v[4:5] offset:2048
	ds_write_b64 v54, v[6:7] offset:4096
	;; [unrolled: 1-line block ×7, first 2 shown]
	s_waitcnt lgkmcnt(0)
	s_barrier
	ds_read2_b64 v[14:17], v60 offset1:1
	ds_read2_b64 v[10:13], v60 offset0:2 offset1:3
	ds_read2_b64 v[6:9], v60 offset0:4 offset1:5
	;; [unrolled: 1-line block ×3, first 2 shown]
	v_lshrrev_b32_e32 v64, 8, v38
	v_lshrrev_b32_e32 v65, 8, v39
	s_and_b64 vcc, exec, s[28:29]
	v_bfe_u32 v62, v0, 10, 10
	v_bfe_u32 v63, v0, 20, 10
	v_mbcnt_lo_u32_b32 v66, -1, 0
	v_lshlrev_b32_e32 v61, 4, v36
	s_waitcnt lgkmcnt(0)
	s_barrier
	s_cbranch_vccz .LBB91_63
; %bb.33:
	s_movk_i32 s4, 0xff
	v_mov_b32_e32 v1, 8
	v_lshlrev_b16_e32 v0, 8, v65
	v_lshlrev_b16_sdwa v1, v1, v39 dst_sel:DWORD dst_unused:UNUSED_PAD src0_sel:DWORD src1_sel:BYTE_3
	v_and_b32_sdwa v20, v39, s4 dst_sel:DWORD dst_unused:UNUSED_PAD src0_sel:WORD_1 src1_sel:DWORD
	v_or_b32_sdwa v0, v39, v0 dst_sel:DWORD dst_unused:UNUSED_PAD src0_sel:BYTE_0 src1_sel:DWORD
	v_or_b32_sdwa v1, v20, v1 dst_sel:WORD_1 dst_unused:UNUSED_PAD src0_sel:DWORD src1_sel:DWORD
	v_mbcnt_hi_u32_b32 v75, -1, v66
	v_and_b32_e32 v76, 0x3c0, v36
	v_or_b32_sdwa v1, v0, v1 dst_sel:DWORD dst_unused:UNUSED_PAD src0_sel:WORD_0 src1_sel:DWORD
	v_lshlrev_b16_e32 v0, 8, v64
	v_lshlrev_b16_e32 v20, 8, v40
	v_and_b32_sdwa v21, v38, s4 dst_sel:DWORD dst_unused:UNUSED_PAD src0_sel:WORD_1 src1_sel:DWORD
	v_add_u32_e32 v18, v75, v76
	v_or_b32_sdwa v0, v38, v0 dst_sel:DWORD dst_unused:UNUSED_PAD src0_sel:BYTE_0 src1_sel:DWORD
	v_or_b32_sdwa v20, v21, v20 dst_sel:WORD_1 dst_unused:UNUSED_PAD src0_sel:DWORD src1_sel:DWORD
	v_lshlrev_b32_e32 v19, 3, v18
	v_or_b32_sdwa v0, v0, v20 dst_sel:DWORD dst_unused:UNUSED_PAD src0_sel:WORD_0 src1_sel:DWORD
	s_movk_i32 s4, 0x1e00
	ds_write_b64 v19, v[0:1]
	v_and_or_b32 v0, v53, s4, v75
	; wave barrier
	ds_read_u8 v67, v0
	ds_read_u8 v68, v0 offset:64
	ds_read_u8 v69, v0 offset:128
	;; [unrolled: 1-line block ×7, first 2 shown]
	v_lshlrev_b32_e32 v1, 6, v18
	v_lshlrev_b32_e32 v0, 3, v0
	s_getpc_b64 s[4:5]
	s_add_u32 s4, s4, _ZN7rocprim17ROCPRIM_400000_NS16block_radix_sortIhLj256ELj8ElLj1ELj1ELj0ELNS0_26block_radix_rank_algorithmE1ELNS0_18block_padding_hintE2ELNS0_4arch9wavefront6targetE1EE19radix_bits_per_passE@rel32@lo+4
	s_addc_u32 s5, s5, _ZN7rocprim17ROCPRIM_400000_NS16block_radix_sortIhLj256ELj8ElLj1ELj1ELj0ELNS0_26block_radix_rank_algorithmE1ELNS0_18block_padding_hintE2ELNS0_4arch9wavefront6targetE1EE19radix_bits_per_passE@rel32@hi+12
	s_waitcnt lgkmcnt(0)
	s_barrier
	ds_write2_b64 v1, v[14:15], v[16:17] offset1:1
	ds_write2_b64 v1, v[10:11], v[12:13] offset0:2 offset1:3
	ds_write2_b64 v1, v[6:7], v[8:9] offset0:4 offset1:5
	ds_write2_b64 v1, v[2:3], v[4:5] offset0:6 offset1:7
	; wave barrier
	ds_read2st64_b64 v[30:33], v0 offset1:1
	ds_read2st64_b64 v[26:29], v0 offset0:2 offset1:3
	ds_read2st64_b64 v[22:25], v0 offset0:4 offset1:5
	;; [unrolled: 1-line block ×3, first 2 shown]
	s_waitcnt lgkmcnt(0)
	s_barrier
	s_load_dword s21, s[4:5], 0x0
	s_load_dword s23, s[26:27], 0xc
	v_mov_b32_e32 v79, 2
	v_mov_b32_e32 v0, 0
	ds_write2_b32 v61, v0, v0 offset0:4 offset1:5
	ds_write2_b32 v61, v0, v0 offset0:6 offset1:7
	s_waitcnt lgkmcnt(0)
	s_min_u32 s21, s21, 8
	s_lshr_b32 s4, s23, 16
	s_and_b32 s5, s23, 0xffff
	v_mad_u32_u24 v1, v63, s4, v62
	v_mad_u64_u32 v[42:43], s[4:5], v1, s5, v[36:37]
	s_lshl_b32 s4, -1, s21
	s_not_b32 s21, s4
	v_lshrrev_b32_e32 v83, 6, v42
	v_and_b32_e32 v42, s21, v67
	v_lshlrev_b32_sdwa v1, v79, v42 dst_sel:DWORD dst_unused:UNUSED_PAD src0_sel:DWORD src1_sel:BYTE_0
	v_add_lshl_u32 v77, v83, v1, 2
	v_and_b32_e32 v1, 1, v42
	v_add_co_u32_e32 v43, vcc, -1, v1
	v_addc_co_u32_e64 v78, s[4:5], 0, -1, vcc
	v_cmp_ne_u32_e32 vcc, 0, v1
	v_xor_b32_e32 v1, vcc_hi, v78
	v_and_b32_e32 v78, exec_hi, v1
	v_lshlrev_b32_e32 v1, 30, v42
	v_xor_b32_e32 v43, vcc_lo, v43
	v_cmp_gt_i64_e32 vcc, 0, v[0:1]
	v_not_b32_e32 v1, v1
	v_ashrrev_i32_e32 v1, 31, v1
	v_and_b32_e32 v43, exec_lo, v43
	v_xor_b32_e32 v80, vcc_hi, v1
	v_xor_b32_e32 v1, vcc_lo, v1
	v_and_b32_e32 v43, v43, v1
	v_lshlrev_b32_e32 v1, 29, v42
	v_cmp_gt_i64_e32 vcc, 0, v[0:1]
	v_not_b32_e32 v1, v1
	v_ashrrev_i32_e32 v1, 31, v1
	v_and_b32_e32 v78, v78, v80
	v_xor_b32_e32 v80, vcc_hi, v1
	v_xor_b32_e32 v1, vcc_lo, v1
	v_and_b32_e32 v43, v43, v1
	v_lshlrev_b32_e32 v1, 28, v42
	v_cmp_gt_i64_e32 vcc, 0, v[0:1]
	v_not_b32_e32 v1, v1
	v_ashrrev_i32_e32 v1, 31, v1
	v_and_b32_e32 v78, v78, v80
	v_xor_b32_e32 v80, vcc_hi, v1
	v_xor_b32_e32 v1, vcc_lo, v1
	v_and_b32_e32 v43, v43, v1
	v_lshlrev_b32_e32 v1, 27, v42
	v_cmp_gt_i64_e32 vcc, 0, v[0:1]
	v_not_b32_e32 v1, v1
	v_ashrrev_i32_e32 v1, 31, v1
	v_and_b32_e32 v78, v78, v80
	v_xor_b32_e32 v80, vcc_hi, v1
	v_xor_b32_e32 v1, vcc_lo, v1
	v_and_b32_e32 v43, v43, v1
	v_lshlrev_b32_e32 v1, 26, v42
	v_cmp_gt_i64_e32 vcc, 0, v[0:1]
	v_not_b32_e32 v1, v1
	v_ashrrev_i32_e32 v1, 31, v1
	v_and_b32_e32 v78, v78, v80
	v_xor_b32_e32 v80, vcc_hi, v1
	v_xor_b32_e32 v1, vcc_lo, v1
	v_and_b32_e32 v43, v43, v1
	v_lshlrev_b32_e32 v1, 25, v42
	v_cmp_gt_i64_e32 vcc, 0, v[0:1]
	v_not_b32_e32 v1, v1
	v_ashrrev_i32_e32 v1, 31, v1
	v_and_b32_e32 v78, v78, v80
	v_xor_b32_e32 v80, vcc_hi, v1
	v_xor_b32_e32 v1, vcc_lo, v1
	v_and_b32_e32 v78, v78, v80
	v_and_b32_e32 v80, v43, v1
	v_lshlrev_b32_e32 v1, 24, v42
	v_cmp_gt_i64_e32 vcc, 0, v[0:1]
	v_not_b32_e32 v1, v1
	v_ashrrev_i32_e32 v1, 31, v1
	v_xor_b32_e32 v42, vcc_hi, v1
	v_xor_b32_e32 v1, vcc_lo, v1
	v_and_b32_e32 v43, v78, v42
	v_and_b32_e32 v42, v80, v1
	v_mbcnt_lo_u32_b32 v1, v42, 0
	v_mbcnt_hi_u32_b32 v78, v43, v1
	v_cmp_eq_u32_e32 vcc, 0, v78
	v_cmp_ne_u64_e64 s[4:5], 0, v[42:43]
	s_and_b64 s[28:29], s[4:5], vcc
	s_barrier
	s_waitcnt lgkmcnt(0)
	; wave barrier
	s_and_saveexec_b64 s[4:5], s[28:29]
	s_cbranch_execz .LBB91_35
; %bb.34:
	v_bcnt_u32_b32 v1, v42, 0
	v_bcnt_u32_b32 v1, v43, v1
	ds_write_b32 v77, v1 offset:16
.LBB91_35:
	s_or_b64 exec, exec, s[4:5]
	v_and_b32_e32 v42, s21, v68
	v_lshlrev_b32_sdwa v1, v79, v42 dst_sel:DWORD dst_unused:UNUSED_PAD src0_sel:DWORD src1_sel:BYTE_0
	v_add_lshl_u32 v80, v83, v1, 2
	v_and_b32_e32 v1, 1, v42
	v_add_co_u32_e32 v43, vcc, -1, v1
	v_addc_co_u32_e64 v81, s[4:5], 0, -1, vcc
	v_cmp_ne_u32_e32 vcc, 0, v1
	v_xor_b32_e32 v1, vcc_hi, v81
	v_and_b32_e32 v81, exec_hi, v1
	v_lshlrev_b32_e32 v1, 30, v42
	v_xor_b32_e32 v43, vcc_lo, v43
	v_cmp_gt_i64_e32 vcc, 0, v[0:1]
	v_not_b32_e32 v1, v1
	v_ashrrev_i32_e32 v1, 31, v1
	v_and_b32_e32 v43, exec_lo, v43
	v_xor_b32_e32 v82, vcc_hi, v1
	v_xor_b32_e32 v1, vcc_lo, v1
	v_and_b32_e32 v43, v43, v1
	v_lshlrev_b32_e32 v1, 29, v42
	v_cmp_gt_i64_e32 vcc, 0, v[0:1]
	v_not_b32_e32 v1, v1
	v_ashrrev_i32_e32 v1, 31, v1
	v_and_b32_e32 v81, v81, v82
	v_xor_b32_e32 v82, vcc_hi, v1
	v_xor_b32_e32 v1, vcc_lo, v1
	v_and_b32_e32 v43, v43, v1
	v_lshlrev_b32_e32 v1, 28, v42
	v_cmp_gt_i64_e32 vcc, 0, v[0:1]
	v_not_b32_e32 v1, v1
	v_ashrrev_i32_e32 v1, 31, v1
	v_and_b32_e32 v81, v81, v82
	;; [unrolled: 8-line block ×5, first 2 shown]
	v_xor_b32_e32 v82, vcc_hi, v1
	v_xor_b32_e32 v1, vcc_lo, v1
	v_and_b32_e32 v43, v43, v1
	v_lshlrev_b32_e32 v1, 24, v42
	v_cmp_gt_i64_e32 vcc, 0, v[0:1]
	v_not_b32_e32 v0, v1
	v_ashrrev_i32_e32 v0, 31, v0
	v_xor_b32_e32 v1, vcc_hi, v0
	v_xor_b32_e32 v0, vcc_lo, v0
	; wave barrier
	ds_read_b32 v79, v80 offset:16
	v_and_b32_e32 v81, v81, v82
	v_and_b32_e32 v0, v43, v0
	;; [unrolled: 1-line block ×3, first 2 shown]
	v_mbcnt_lo_u32_b32 v42, v0, 0
	v_mbcnt_hi_u32_b32 v81, v1, v42
	v_cmp_eq_u32_e32 vcc, 0, v81
	v_cmp_ne_u64_e64 s[4:5], 0, v[0:1]
	s_and_b64 s[28:29], s[4:5], vcc
	; wave barrier
	s_and_saveexec_b64 s[4:5], s[28:29]
	s_cbranch_execz .LBB91_37
; %bb.36:
	v_bcnt_u32_b32 v0, v0, 0
	v_bcnt_u32_b32 v0, v1, v0
	s_waitcnt lgkmcnt(0)
	v_add_u32_e32 v0, v79, v0
	ds_write_b32 v80, v0 offset:16
.LBB91_37:
	s_or_b64 exec, exec, s[4:5]
	v_and_b32_e32 v42, s21, v69
	v_and_b32_e32 v1, 1, v42
	v_add_co_u32_e32 v43, vcc, -1, v1
	v_mov_b32_e32 v86, 2
	v_addc_co_u32_e64 v85, s[4:5], 0, -1, vcc
	v_cmp_ne_u32_e32 vcc, 0, v1
	v_lshlrev_b32_sdwa v0, v86, v42 dst_sel:DWORD dst_unused:UNUSED_PAD src0_sel:DWORD src1_sel:BYTE_0
	v_xor_b32_e32 v1, vcc_hi, v85
	v_add_lshl_u32 v84, v83, v0, 2
	v_mov_b32_e32 v0, 0
	v_and_b32_e32 v85, exec_hi, v1
	v_lshlrev_b32_e32 v1, 30, v42
	v_xor_b32_e32 v43, vcc_lo, v43
	v_cmp_gt_i64_e32 vcc, 0, v[0:1]
	v_not_b32_e32 v1, v1
	v_ashrrev_i32_e32 v1, 31, v1
	v_and_b32_e32 v43, exec_lo, v43
	v_xor_b32_e32 v87, vcc_hi, v1
	v_xor_b32_e32 v1, vcc_lo, v1
	v_and_b32_e32 v43, v43, v1
	v_lshlrev_b32_e32 v1, 29, v42
	v_cmp_gt_i64_e32 vcc, 0, v[0:1]
	v_not_b32_e32 v1, v1
	v_ashrrev_i32_e32 v1, 31, v1
	v_and_b32_e32 v85, v85, v87
	v_xor_b32_e32 v87, vcc_hi, v1
	v_xor_b32_e32 v1, vcc_lo, v1
	v_and_b32_e32 v43, v43, v1
	v_lshlrev_b32_e32 v1, 28, v42
	v_cmp_gt_i64_e32 vcc, 0, v[0:1]
	v_not_b32_e32 v1, v1
	v_ashrrev_i32_e32 v1, 31, v1
	v_and_b32_e32 v85, v85, v87
	;; [unrolled: 8-line block ×5, first 2 shown]
	v_xor_b32_e32 v87, vcc_hi, v1
	v_xor_b32_e32 v1, vcc_lo, v1
	v_and_b32_e32 v85, v85, v87
	v_and_b32_e32 v87, v43, v1
	v_lshlrev_b32_e32 v1, 24, v42
	v_cmp_gt_i64_e32 vcc, 0, v[0:1]
	v_not_b32_e32 v1, v1
	v_ashrrev_i32_e32 v1, 31, v1
	v_xor_b32_e32 v42, vcc_hi, v1
	v_xor_b32_e32 v1, vcc_lo, v1
	; wave barrier
	ds_read_b32 v82, v84 offset:16
	v_and_b32_e32 v43, v85, v42
	v_and_b32_e32 v42, v87, v1
	v_mbcnt_lo_u32_b32 v1, v42, 0
	v_mbcnt_hi_u32_b32 v85, v43, v1
	v_cmp_eq_u32_e32 vcc, 0, v85
	v_cmp_ne_u64_e64 s[4:5], 0, v[42:43]
	s_and_b64 s[28:29], s[4:5], vcc
	; wave barrier
	s_and_saveexec_b64 s[4:5], s[28:29]
	s_cbranch_execz .LBB91_39
; %bb.38:
	v_bcnt_u32_b32 v1, v42, 0
	v_bcnt_u32_b32 v1, v43, v1
	s_waitcnt lgkmcnt(0)
	v_add_u32_e32 v1, v82, v1
	ds_write_b32 v84, v1 offset:16
.LBB91_39:
	s_or_b64 exec, exec, s[4:5]
	v_and_b32_e32 v42, s21, v70
	v_lshlrev_b32_sdwa v1, v86, v42 dst_sel:DWORD dst_unused:UNUSED_PAD src0_sel:DWORD src1_sel:BYTE_0
	v_add_lshl_u32 v87, v83, v1, 2
	v_and_b32_e32 v1, 1, v42
	v_add_co_u32_e32 v43, vcc, -1, v1
	v_addc_co_u32_e64 v88, s[4:5], 0, -1, vcc
	v_cmp_ne_u32_e32 vcc, 0, v1
	v_xor_b32_e32 v1, vcc_hi, v88
	v_and_b32_e32 v88, exec_hi, v1
	v_lshlrev_b32_e32 v1, 30, v42
	v_xor_b32_e32 v43, vcc_lo, v43
	v_cmp_gt_i64_e32 vcc, 0, v[0:1]
	v_not_b32_e32 v1, v1
	v_ashrrev_i32_e32 v1, 31, v1
	v_and_b32_e32 v43, exec_lo, v43
	v_xor_b32_e32 v89, vcc_hi, v1
	v_xor_b32_e32 v1, vcc_lo, v1
	v_and_b32_e32 v43, v43, v1
	v_lshlrev_b32_e32 v1, 29, v42
	v_cmp_gt_i64_e32 vcc, 0, v[0:1]
	v_not_b32_e32 v1, v1
	v_ashrrev_i32_e32 v1, 31, v1
	v_and_b32_e32 v88, v88, v89
	v_xor_b32_e32 v89, vcc_hi, v1
	v_xor_b32_e32 v1, vcc_lo, v1
	v_and_b32_e32 v43, v43, v1
	v_lshlrev_b32_e32 v1, 28, v42
	v_cmp_gt_i64_e32 vcc, 0, v[0:1]
	v_not_b32_e32 v1, v1
	v_ashrrev_i32_e32 v1, 31, v1
	v_and_b32_e32 v88, v88, v89
	;; [unrolled: 8-line block ×5, first 2 shown]
	v_xor_b32_e32 v89, vcc_hi, v1
	v_xor_b32_e32 v1, vcc_lo, v1
	v_and_b32_e32 v43, v43, v1
	v_lshlrev_b32_e32 v1, 24, v42
	v_cmp_gt_i64_e32 vcc, 0, v[0:1]
	v_not_b32_e32 v0, v1
	v_ashrrev_i32_e32 v0, 31, v0
	v_xor_b32_e32 v1, vcc_hi, v0
	v_xor_b32_e32 v0, vcc_lo, v0
	; wave barrier
	ds_read_b32 v86, v87 offset:16
	v_and_b32_e32 v88, v88, v89
	v_and_b32_e32 v0, v43, v0
	;; [unrolled: 1-line block ×3, first 2 shown]
	v_mbcnt_lo_u32_b32 v42, v0, 0
	v_mbcnt_hi_u32_b32 v88, v1, v42
	v_cmp_eq_u32_e32 vcc, 0, v88
	v_cmp_ne_u64_e64 s[4:5], 0, v[0:1]
	s_and_b64 s[28:29], s[4:5], vcc
	; wave barrier
	s_and_saveexec_b64 s[4:5], s[28:29]
	s_cbranch_execz .LBB91_41
; %bb.40:
	v_bcnt_u32_b32 v0, v0, 0
	v_bcnt_u32_b32 v0, v1, v0
	s_waitcnt lgkmcnt(0)
	v_add_u32_e32 v0, v86, v0
	ds_write_b32 v87, v0 offset:16
.LBB91_41:
	s_or_b64 exec, exec, s[4:5]
	v_and_b32_e32 v42, s21, v71
	v_and_b32_e32 v1, 1, v42
	v_add_co_u32_e32 v43, vcc, -1, v1
	v_mov_b32_e32 v92, 2
	v_addc_co_u32_e64 v91, s[4:5], 0, -1, vcc
	v_cmp_ne_u32_e32 vcc, 0, v1
	v_lshlrev_b32_sdwa v0, v92, v42 dst_sel:DWORD dst_unused:UNUSED_PAD src0_sel:DWORD src1_sel:BYTE_0
	v_xor_b32_e32 v1, vcc_hi, v91
	v_add_lshl_u32 v90, v83, v0, 2
	v_mov_b32_e32 v0, 0
	v_and_b32_e32 v91, exec_hi, v1
	v_lshlrev_b32_e32 v1, 30, v42
	v_xor_b32_e32 v43, vcc_lo, v43
	v_cmp_gt_i64_e32 vcc, 0, v[0:1]
	v_not_b32_e32 v1, v1
	v_ashrrev_i32_e32 v1, 31, v1
	v_and_b32_e32 v43, exec_lo, v43
	v_xor_b32_e32 v93, vcc_hi, v1
	v_xor_b32_e32 v1, vcc_lo, v1
	v_and_b32_e32 v43, v43, v1
	v_lshlrev_b32_e32 v1, 29, v42
	v_cmp_gt_i64_e32 vcc, 0, v[0:1]
	v_not_b32_e32 v1, v1
	v_ashrrev_i32_e32 v1, 31, v1
	v_and_b32_e32 v91, v91, v93
	v_xor_b32_e32 v93, vcc_hi, v1
	v_xor_b32_e32 v1, vcc_lo, v1
	v_and_b32_e32 v43, v43, v1
	v_lshlrev_b32_e32 v1, 28, v42
	v_cmp_gt_i64_e32 vcc, 0, v[0:1]
	v_not_b32_e32 v1, v1
	v_ashrrev_i32_e32 v1, 31, v1
	v_and_b32_e32 v91, v91, v93
	;; [unrolled: 8-line block ×5, first 2 shown]
	v_xor_b32_e32 v93, vcc_hi, v1
	v_xor_b32_e32 v1, vcc_lo, v1
	v_and_b32_e32 v91, v91, v93
	v_and_b32_e32 v93, v43, v1
	v_lshlrev_b32_e32 v1, 24, v42
	v_cmp_gt_i64_e32 vcc, 0, v[0:1]
	v_not_b32_e32 v1, v1
	v_ashrrev_i32_e32 v1, 31, v1
	v_xor_b32_e32 v42, vcc_hi, v1
	v_xor_b32_e32 v1, vcc_lo, v1
	; wave barrier
	ds_read_b32 v89, v90 offset:16
	v_and_b32_e32 v43, v91, v42
	v_and_b32_e32 v42, v93, v1
	v_mbcnt_lo_u32_b32 v1, v42, 0
	v_mbcnt_hi_u32_b32 v91, v43, v1
	v_cmp_eq_u32_e32 vcc, 0, v91
	v_cmp_ne_u64_e64 s[4:5], 0, v[42:43]
	s_and_b64 s[28:29], s[4:5], vcc
	; wave barrier
	s_and_saveexec_b64 s[4:5], s[28:29]
	s_cbranch_execz .LBB91_43
; %bb.42:
	v_bcnt_u32_b32 v1, v42, 0
	v_bcnt_u32_b32 v1, v43, v1
	s_waitcnt lgkmcnt(0)
	v_add_u32_e32 v1, v89, v1
	ds_write_b32 v90, v1 offset:16
.LBB91_43:
	s_or_b64 exec, exec, s[4:5]
	v_and_b32_e32 v42, s21, v72
	v_lshlrev_b32_sdwa v1, v92, v42 dst_sel:DWORD dst_unused:UNUSED_PAD src0_sel:DWORD src1_sel:BYTE_0
	v_add_lshl_u32 v93, v83, v1, 2
	v_and_b32_e32 v1, 1, v42
	v_add_co_u32_e32 v43, vcc, -1, v1
	v_addc_co_u32_e64 v94, s[4:5], 0, -1, vcc
	v_cmp_ne_u32_e32 vcc, 0, v1
	v_xor_b32_e32 v1, vcc_hi, v94
	v_and_b32_e32 v94, exec_hi, v1
	v_lshlrev_b32_e32 v1, 30, v42
	v_xor_b32_e32 v43, vcc_lo, v43
	v_cmp_gt_i64_e32 vcc, 0, v[0:1]
	v_not_b32_e32 v1, v1
	v_ashrrev_i32_e32 v1, 31, v1
	v_and_b32_e32 v43, exec_lo, v43
	v_xor_b32_e32 v95, vcc_hi, v1
	v_xor_b32_e32 v1, vcc_lo, v1
	v_and_b32_e32 v43, v43, v1
	v_lshlrev_b32_e32 v1, 29, v42
	v_cmp_gt_i64_e32 vcc, 0, v[0:1]
	v_not_b32_e32 v1, v1
	v_ashrrev_i32_e32 v1, 31, v1
	v_and_b32_e32 v94, v94, v95
	v_xor_b32_e32 v95, vcc_hi, v1
	v_xor_b32_e32 v1, vcc_lo, v1
	v_and_b32_e32 v43, v43, v1
	v_lshlrev_b32_e32 v1, 28, v42
	v_cmp_gt_i64_e32 vcc, 0, v[0:1]
	v_not_b32_e32 v1, v1
	v_ashrrev_i32_e32 v1, 31, v1
	v_and_b32_e32 v94, v94, v95
	;; [unrolled: 8-line block ×5, first 2 shown]
	v_xor_b32_e32 v95, vcc_hi, v1
	v_xor_b32_e32 v1, vcc_lo, v1
	v_and_b32_e32 v43, v43, v1
	v_lshlrev_b32_e32 v1, 24, v42
	v_cmp_gt_i64_e32 vcc, 0, v[0:1]
	v_not_b32_e32 v0, v1
	v_ashrrev_i32_e32 v0, 31, v0
	v_xor_b32_e32 v1, vcc_hi, v0
	v_xor_b32_e32 v0, vcc_lo, v0
	; wave barrier
	ds_read_b32 v92, v93 offset:16
	v_and_b32_e32 v94, v94, v95
	v_and_b32_e32 v0, v43, v0
	;; [unrolled: 1-line block ×3, first 2 shown]
	v_mbcnt_lo_u32_b32 v42, v0, 0
	v_mbcnt_hi_u32_b32 v94, v1, v42
	v_cmp_eq_u32_e32 vcc, 0, v94
	v_cmp_ne_u64_e64 s[4:5], 0, v[0:1]
	s_and_b64 s[28:29], s[4:5], vcc
	; wave barrier
	s_and_saveexec_b64 s[4:5], s[28:29]
	s_cbranch_execz .LBB91_45
; %bb.44:
	v_bcnt_u32_b32 v0, v0, 0
	v_bcnt_u32_b32 v0, v1, v0
	s_waitcnt lgkmcnt(0)
	v_add_u32_e32 v0, v92, v0
	ds_write_b32 v93, v0 offset:16
.LBB91_45:
	s_or_b64 exec, exec, s[4:5]
	v_and_b32_e32 v42, s21, v73
	v_and_b32_e32 v1, 1, v42
	v_add_co_u32_e32 v43, vcc, -1, v1
	v_mov_b32_e32 v98, 2
	v_addc_co_u32_e64 v97, s[4:5], 0, -1, vcc
	v_cmp_ne_u32_e32 vcc, 0, v1
	v_lshlrev_b32_sdwa v0, v98, v42 dst_sel:DWORD dst_unused:UNUSED_PAD src0_sel:DWORD src1_sel:BYTE_0
	v_xor_b32_e32 v1, vcc_hi, v97
	v_add_lshl_u32 v96, v83, v0, 2
	v_mov_b32_e32 v0, 0
	v_and_b32_e32 v97, exec_hi, v1
	v_lshlrev_b32_e32 v1, 30, v42
	v_xor_b32_e32 v43, vcc_lo, v43
	v_cmp_gt_i64_e32 vcc, 0, v[0:1]
	v_not_b32_e32 v1, v1
	v_ashrrev_i32_e32 v1, 31, v1
	v_and_b32_e32 v43, exec_lo, v43
	v_xor_b32_e32 v99, vcc_hi, v1
	v_xor_b32_e32 v1, vcc_lo, v1
	v_and_b32_e32 v43, v43, v1
	v_lshlrev_b32_e32 v1, 29, v42
	v_cmp_gt_i64_e32 vcc, 0, v[0:1]
	v_not_b32_e32 v1, v1
	v_ashrrev_i32_e32 v1, 31, v1
	v_and_b32_e32 v97, v97, v99
	v_xor_b32_e32 v99, vcc_hi, v1
	v_xor_b32_e32 v1, vcc_lo, v1
	v_and_b32_e32 v43, v43, v1
	v_lshlrev_b32_e32 v1, 28, v42
	v_cmp_gt_i64_e32 vcc, 0, v[0:1]
	v_not_b32_e32 v1, v1
	v_ashrrev_i32_e32 v1, 31, v1
	v_and_b32_e32 v97, v97, v99
	;; [unrolled: 8-line block ×5, first 2 shown]
	v_xor_b32_e32 v99, vcc_hi, v1
	v_xor_b32_e32 v1, vcc_lo, v1
	v_and_b32_e32 v97, v97, v99
	v_and_b32_e32 v99, v43, v1
	v_lshlrev_b32_e32 v1, 24, v42
	v_cmp_gt_i64_e32 vcc, 0, v[0:1]
	v_not_b32_e32 v1, v1
	v_ashrrev_i32_e32 v1, 31, v1
	v_xor_b32_e32 v42, vcc_hi, v1
	v_xor_b32_e32 v1, vcc_lo, v1
	; wave barrier
	ds_read_b32 v95, v96 offset:16
	v_and_b32_e32 v43, v97, v42
	v_and_b32_e32 v42, v99, v1
	v_mbcnt_lo_u32_b32 v1, v42, 0
	v_mbcnt_hi_u32_b32 v97, v43, v1
	v_cmp_eq_u32_e32 vcc, 0, v97
	v_cmp_ne_u64_e64 s[4:5], 0, v[42:43]
	s_and_b64 s[28:29], s[4:5], vcc
	; wave barrier
	s_and_saveexec_b64 s[4:5], s[28:29]
	s_cbranch_execz .LBB91_47
; %bb.46:
	v_bcnt_u32_b32 v1, v42, 0
	v_bcnt_u32_b32 v1, v43, v1
	s_waitcnt lgkmcnt(0)
	v_add_u32_e32 v1, v95, v1
	ds_write_b32 v96, v1 offset:16
.LBB91_47:
	s_or_b64 exec, exec, s[4:5]
	v_and_b32_e32 v42, s21, v74
	v_lshlrev_b32_sdwa v1, v98, v42 dst_sel:DWORD dst_unused:UNUSED_PAD src0_sel:DWORD src1_sel:BYTE_0
	v_add_lshl_u32 v98, v83, v1, 2
	v_and_b32_e32 v1, 1, v42
	v_add_co_u32_e32 v43, vcc, -1, v1
	v_addc_co_u32_e64 v100, s[4:5], 0, -1, vcc
	v_cmp_ne_u32_e32 vcc, 0, v1
	v_xor_b32_e32 v1, vcc_hi, v100
	v_and_b32_e32 v100, exec_hi, v1
	v_lshlrev_b32_e32 v1, 30, v42
	v_xor_b32_e32 v43, vcc_lo, v43
	v_cmp_gt_i64_e32 vcc, 0, v[0:1]
	v_not_b32_e32 v1, v1
	v_ashrrev_i32_e32 v1, 31, v1
	v_and_b32_e32 v43, exec_lo, v43
	v_xor_b32_e32 v101, vcc_hi, v1
	v_xor_b32_e32 v1, vcc_lo, v1
	v_and_b32_e32 v43, v43, v1
	v_lshlrev_b32_e32 v1, 29, v42
	v_cmp_gt_i64_e32 vcc, 0, v[0:1]
	v_not_b32_e32 v1, v1
	v_ashrrev_i32_e32 v1, 31, v1
	v_and_b32_e32 v100, v100, v101
	v_xor_b32_e32 v101, vcc_hi, v1
	v_xor_b32_e32 v1, vcc_lo, v1
	v_and_b32_e32 v43, v43, v1
	v_lshlrev_b32_e32 v1, 28, v42
	v_cmp_gt_i64_e32 vcc, 0, v[0:1]
	v_not_b32_e32 v1, v1
	v_ashrrev_i32_e32 v1, 31, v1
	v_and_b32_e32 v100, v100, v101
	;; [unrolled: 8-line block ×5, first 2 shown]
	v_xor_b32_e32 v101, vcc_hi, v1
	v_xor_b32_e32 v1, vcc_lo, v1
	v_and_b32_e32 v43, v43, v1
	v_lshlrev_b32_e32 v1, 24, v42
	v_cmp_gt_i64_e32 vcc, 0, v[0:1]
	v_not_b32_e32 v0, v1
	v_ashrrev_i32_e32 v0, 31, v0
	v_xor_b32_e32 v1, vcc_hi, v0
	v_xor_b32_e32 v0, vcc_lo, v0
	; wave barrier
	ds_read_b32 v83, v98 offset:16
	v_and_b32_e32 v100, v100, v101
	v_and_b32_e32 v0, v43, v0
	;; [unrolled: 1-line block ×3, first 2 shown]
	v_mbcnt_lo_u32_b32 v42, v0, 0
	v_mbcnt_hi_u32_b32 v100, v1, v42
	v_cmp_eq_u32_e32 vcc, 0, v100
	v_cmp_ne_u64_e64 s[4:5], 0, v[0:1]
	v_add_u32_e32 v99, 16, v61
	s_and_b64 s[28:29], s[4:5], vcc
	; wave barrier
	s_and_saveexec_b64 s[4:5], s[28:29]
	s_cbranch_execz .LBB91_49
; %bb.48:
	v_bcnt_u32_b32 v0, v0, 0
	v_bcnt_u32_b32 v0, v1, v0
	s_waitcnt lgkmcnt(0)
	v_add_u32_e32 v0, v83, v0
	ds_write_b32 v98, v0 offset:16
.LBB91_49:
	s_or_b64 exec, exec, s[4:5]
	; wave barrier
	s_waitcnt lgkmcnt(0)
	s_barrier
	ds_read2_b32 v[0:1], v61 offset0:4 offset1:5
	ds_read2_b32 v[42:43], v99 offset0:2 offset1:3
	v_min_u32_e32 v76, 0xc0, v76
	v_or_b32_e32 v76, 63, v76
	s_waitcnt lgkmcnt(1)
	v_add_u32_e32 v101, v1, v0
	s_waitcnt lgkmcnt(0)
	v_add3_u32 v43, v101, v42, v43
	v_and_b32_e32 v101, 15, v75
	v_cmp_ne_u32_e32 vcc, 0, v101
	v_mov_b32_dpp v102, v43 row_shr:1 row_mask:0xf bank_mask:0xf
	v_cndmask_b32_e32 v102, 0, v102, vcc
	v_add_u32_e32 v43, v102, v43
	v_cmp_lt_u32_e32 vcc, 1, v101
	s_nop 0
	v_mov_b32_dpp v102, v43 row_shr:2 row_mask:0xf bank_mask:0xf
	v_cndmask_b32_e32 v102, 0, v102, vcc
	v_add_u32_e32 v43, v43, v102
	v_cmp_lt_u32_e32 vcc, 3, v101
	s_nop 0
	;; [unrolled: 5-line block ×3, first 2 shown]
	v_mov_b32_dpp v102, v43 row_shr:8 row_mask:0xf bank_mask:0xf
	v_cndmask_b32_e32 v101, 0, v102, vcc
	v_add_u32_e32 v43, v43, v101
	v_bfe_i32 v102, v75, 4, 1
	v_cmp_lt_u32_e32 vcc, 31, v75
	v_mov_b32_dpp v101, v43 row_bcast:15 row_mask:0xf bank_mask:0xf
	v_and_b32_e32 v101, v102, v101
	v_add_u32_e32 v43, v43, v101
	s_nop 1
	v_mov_b32_dpp v101, v43 row_bcast:31 row_mask:0xf bank_mask:0xf
	v_cndmask_b32_e32 v101, 0, v101, vcc
	v_add_u32_e32 v43, v43, v101
	v_lshrrev_b32_e32 v101, 6, v36
	v_cmp_eq_u32_e32 vcc, v76, v36
	s_and_saveexec_b64 s[4:5], vcc
	s_cbranch_execz .LBB91_51
; %bb.50:
	v_lshlrev_b32_e32 v76, 2, v101
	ds_write_b32 v76, v43
.LBB91_51:
	s_or_b64 exec, exec, s[4:5]
	v_cmp_gt_u32_e32 vcc, 4, v36
	s_waitcnt lgkmcnt(0)
	s_barrier
	s_and_saveexec_b64 s[4:5], vcc
	s_cbranch_execz .LBB91_53
; %bb.52:
	v_lshlrev_b32_e32 v76, 2, v36
	ds_read_b32 v102, v76
	v_and_b32_e32 v103, 3, v75
	v_cmp_ne_u32_e32 vcc, 0, v103
	s_waitcnt lgkmcnt(0)
	v_mov_b32_dpp v104, v102 row_shr:1 row_mask:0xf bank_mask:0xf
	v_cndmask_b32_e32 v104, 0, v104, vcc
	v_add_u32_e32 v102, v104, v102
	v_cmp_lt_u32_e32 vcc, 1, v103
	s_nop 0
	v_mov_b32_dpp v104, v102 row_shr:2 row_mask:0xf bank_mask:0xf
	v_cndmask_b32_e32 v103, 0, v104, vcc
	v_add_u32_e32 v102, v102, v103
	ds_write_b32 v76, v102
.LBB91_53:
	s_or_b64 exec, exec, s[4:5]
	v_cmp_lt_u32_e32 vcc, 63, v36
	v_mov_b32_e32 v76, 0
	s_waitcnt lgkmcnt(0)
	s_barrier
	s_and_saveexec_b64 s[4:5], vcc
	s_cbranch_execz .LBB91_55
; %bb.54:
	v_lshl_add_u32 v76, v101, 2, -4
	ds_read_b32 v76, v76
.LBB91_55:
	s_or_b64 exec, exec, s[4:5]
	v_add_u32_e32 v101, -1, v75
	v_and_b32_e32 v102, 64, v75
	v_cmp_lt_i32_e32 vcc, v101, v102
	v_cndmask_b32_e32 v101, v101, v75, vcc
	s_waitcnt lgkmcnt(0)
	v_add_u32_e32 v43, v76, v43
	v_lshlrev_b32_e32 v101, 2, v101
	ds_bpermute_b32 v43, v101, v43
	v_cmp_eq_u32_e32 vcc, 0, v75
	s_waitcnt lgkmcnt(0)
	v_cndmask_b32_e32 v43, v43, v76, vcc
	v_cmp_ne_u32_e32 vcc, 0, v36
	v_cndmask_b32_e32 v43, 0, v43, vcc
	v_add_u32_e32 v0, v43, v0
	v_add_u32_e32 v1, v0, v1
	;; [unrolled: 1-line block ×3, first 2 shown]
	ds_write2_b32 v61, v43, v0 offset0:4 offset1:5
	ds_write2_b32 v99, v1, v42 offset0:2 offset1:3
	s_waitcnt lgkmcnt(0)
	s_barrier
	ds_read_b32 v0, v77 offset:16
	ds_read_b32 v1, v80 offset:16
	;; [unrolled: 1-line block ×8, first 2 shown]
	s_waitcnt lgkmcnt(7)
	v_add_u32_e32 v78, v0, v78
	s_waitcnt lgkmcnt(6)
	v_add3_u32 v79, v81, v79, v1
	s_waitcnt lgkmcnt(5)
	v_add3_u32 v42, v85, v82, v42
	;; [unrolled: 2-line block ×7, first 2 shown]
	s_barrier
	ds_write_b8 v78, v67
	ds_write_b8 v79, v68
	ds_write_b8 v42, v69
	ds_write_b8 v43, v70
	ds_write_b8 v75, v71
	ds_write_b8 v76, v72
	ds_write_b8 v77, v73
	ds_write_b8 v80, v74
	v_lshlrev_b32_e32 v67, 3, v78
	s_waitcnt lgkmcnt(0)
	s_barrier
	ds_read_b64 v[0:1], v53
	s_waitcnt lgkmcnt(0)
	s_barrier
	ds_write_b64 v67, v[30:31]
	v_lshlrev_b32_e32 v30, 3, v79
	ds_write_b64 v30, v[32:33]
	v_lshlrev_b32_e32 v30, 3, v42
	;; [unrolled: 2-line block ×7, first 2 shown]
	v_lshlrev_b32_e32 v30, 3, v53
	ds_write_b64 v18, v[20:21]
	s_waitcnt lgkmcnt(0)
	s_barrier
	ds_read2_b64 v[18:21], v30 offset1:1
	ds_read2_b64 v[22:25], v30 offset0:2 offset1:3
	ds_read2_b64 v[26:29], v30 offset0:4 offset1:5
	;; [unrolled: 1-line block ×3, first 2 shown]
	s_branch .LBB91_87
.LBB91_56:
	v_mov_b32_e32 v35, 0
	v_lshlrev_b64 v[2:3], 3, v[34:35]
	v_mov_b32_e32 v4, s20
	v_add_co_u32_e32 v2, vcc, s19, v2
	v_addc_co_u32_e32 v3, vcc, v4, v3, vcc
	global_load_dwordx2 v[2:3], v[2:3], off
	v_mov_b32_e32 v4, v35
	v_mov_b32_e32 v5, v35
	;; [unrolled: 1-line block ×14, first 2 shown]
	s_or_b64 exec, exec, s[4:5]
	s_and_saveexec_b64 s[4:5], s[2:3]
	s_cbranch_execz .LBB91_25
.LBB91_57:
	v_mul_lo_u32 v4, v32, s18
	v_mov_b32_e32 v5, 0
	v_lshlrev_b64 v[4:5], 3, v[4:5]
	v_mov_b32_e32 v32, s20
	v_add_co_u32_e32 v4, vcc, s19, v4
	v_addc_co_u32_e32 v5, vcc, v32, v5, vcc
	global_load_dwordx2 v[4:5], v[4:5], off
	s_or_b64 exec, exec, s[4:5]
	s_and_saveexec_b64 s[4:5], s[16:17]
	s_cbranch_execz .LBB91_26
.LBB91_58:
	v_mul_lo_u32 v6, v31, s18
	v_mov_b32_e32 v7, 0
	v_lshlrev_b64 v[6:7], 3, v[6:7]
	v_mov_b32_e32 v31, s20
	v_add_co_u32_e32 v6, vcc, s19, v6
	v_addc_co_u32_e32 v7, vcc, v31, v7, vcc
	global_load_dwordx2 v[6:7], v[6:7], off
	s_or_b64 exec, exec, s[4:5]
	s_and_saveexec_b64 s[4:5], s[6:7]
	s_cbranch_execz .LBB91_27
.LBB91_59:
	v_mul_lo_u32 v8, v30, s18
	v_mov_b32_e32 v9, 0
	v_lshlrev_b64 v[8:9], 3, v[8:9]
	v_mov_b32_e32 v30, s20
	v_add_co_u32_e32 v8, vcc, s19, v8
	v_addc_co_u32_e32 v9, vcc, v30, v9, vcc
	global_load_dwordx2 v[8:9], v[8:9], off
	s_or_b64 exec, exec, s[4:5]
	s_and_saveexec_b64 s[4:5], s[8:9]
	s_cbranch_execz .LBB91_28
.LBB91_60:
	v_mul_lo_u32 v10, v29, s18
	v_mov_b32_e32 v11, 0
	v_lshlrev_b64 v[10:11], 3, v[10:11]
	v_mov_b32_e32 v29, s20
	v_add_co_u32_e32 v10, vcc, s19, v10
	v_addc_co_u32_e32 v11, vcc, v29, v11, vcc
	global_load_dwordx2 v[10:11], v[10:11], off
	s_or_b64 exec, exec, s[4:5]
	s_and_saveexec_b64 s[4:5], s[10:11]
	s_cbranch_execz .LBB91_29
.LBB91_61:
	v_mul_lo_u32 v12, v28, s18
	v_mov_b32_e32 v13, 0
	v_lshlrev_b64 v[12:13], 3, v[12:13]
	v_mov_b32_e32 v28, s20
	v_add_co_u32_e32 v12, vcc, s19, v12
	v_addc_co_u32_e32 v13, vcc, v28, v13, vcc
	global_load_dwordx2 v[12:13], v[12:13], off
	s_or_b64 exec, exec, s[4:5]
	s_and_saveexec_b64 s[4:5], s[12:13]
	s_cbranch_execz .LBB91_30
.LBB91_62:
	v_mul_lo_u32 v14, v27, s18
	v_mov_b32_e32 v15, 0
	v_lshlrev_b64 v[14:15], 3, v[14:15]
	v_mov_b32_e32 v27, s20
	v_add_co_u32_e32 v14, vcc, s19, v14
	v_addc_co_u32_e32 v15, vcc, v27, v15, vcc
	global_load_dwordx2 v[14:15], v[14:15], off
	s_or_b64 exec, exec, s[4:5]
	s_and_saveexec_b64 s[4:5], s[14:15]
	s_cbranch_execnz .LBB91_31
	s_branch .LBB91_32
.LBB91_63:
                                        ; implicit-def: $vgpr1
                                        ; implicit-def: $vgpr32_vgpr33
                                        ; implicit-def: $vgpr28_vgpr29
                                        ; implicit-def: $vgpr24_vgpr25
                                        ; implicit-def: $vgpr20_vgpr21
	s_cbranch_execz .LBB91_87
; %bb.64:
	v_mov_b32_e32 v0, -1
	v_xor_b32_sdwa v1, v65, v0 dst_sel:BYTE_1 dst_unused:UNUSED_PAD src0_sel:DWORD src1_sel:DWORD
	s_waitcnt lgkmcnt(3)
	v_xor_b32_e32 v18, -1, v39
	v_or_b32_sdwa v1, v18, v1 dst_sel:DWORD dst_unused:UNUSED_PAD src0_sel:BYTE_0 src1_sel:DWORD
	v_xor_b32_sdwa v18, v39, v0 dst_sel:DWORD dst_unused:UNUSED_PAD src0_sel:BYTE_3 src1_sel:DWORD
	v_lshlrev_b16_e32 v18, 8, v18
	v_xor_b32_sdwa v19, v39, v0 dst_sel:DWORD dst_unused:UNUSED_PAD src0_sel:WORD_1 src1_sel:DWORD
	v_or_b32_sdwa v18, v19, v18 dst_sel:WORD_1 dst_unused:UNUSED_PAD src0_sel:BYTE_0 src1_sel:DWORD
	v_or_b32_sdwa v1, v1, v18 dst_sel:DWORD dst_unused:UNUSED_PAD src0_sel:WORD_0 src1_sel:DWORD
	v_xor_b32_sdwa v18, v64, v0 dst_sel:BYTE_1 dst_unused:UNUSED_PAD src0_sel:DWORD src1_sel:DWORD
	v_xor_b32_e32 v19, -1, v38
	v_or_b32_sdwa v18, v19, v18 dst_sel:DWORD dst_unused:UNUSED_PAD src0_sel:BYTE_0 src1_sel:DWORD
	v_xor_b32_sdwa v19, v40, v0 dst_sel:BYTE_1 dst_unused:UNUSED_PAD src0_sel:DWORD src1_sel:DWORD
	v_xor_b32_sdwa v0, v38, v0 dst_sel:DWORD dst_unused:UNUSED_PAD src0_sel:WORD_1 src1_sel:DWORD
	v_or_b32_sdwa v0, v0, v19 dst_sel:WORD_1 dst_unused:UNUSED_PAD src0_sel:BYTE_0 src1_sel:DWORD
	s_waitcnt lgkmcnt(1)
	v_mbcnt_hi_u32_b32 v28, -1, v66
	v_and_b32_e32 v29, 0x3c0, v36
	v_or_b32_sdwa v0, v18, v0 dst_sel:DWORD dst_unused:UNUSED_PAD src0_sel:WORD_0 src1_sel:DWORD
	v_add_u32_e32 v18, v28, v29
	v_lshlrev_b32_e32 v19, 3, v18
	s_movk_i32 s4, 0x1e00
	ds_write_b64 v19, v[0:1]
	v_and_or_b32 v0, v53, s4, v28
	; wave barrier
	ds_read_u8 v20, v0
	ds_read_u8 v21, v0 offset:64
	ds_read_u8 v22, v0 offset:128
	;; [unrolled: 1-line block ×7, first 2 shown]
	v_lshlrev_b32_e32 v1, 6, v18
	v_lshlrev_b32_e32 v0, 3, v0
	s_getpc_b64 s[4:5]
	s_add_u32 s4, s4, _ZN7rocprim17ROCPRIM_400000_NS16block_radix_sortIhLj256ELj8ElLj1ELj1ELj0ELNS0_26block_radix_rank_algorithmE1ELNS0_18block_padding_hintE2ELNS0_4arch9wavefront6targetE1EE19radix_bits_per_passE@rel32@lo+4
	s_addc_u32 s5, s5, _ZN7rocprim17ROCPRIM_400000_NS16block_radix_sortIhLj256ELj8ElLj1ELj1ELj0ELNS0_26block_radix_rank_algorithmE1ELNS0_18block_padding_hintE2ELNS0_4arch9wavefront6targetE1EE19radix_bits_per_passE@rel32@hi+12
	s_waitcnt lgkmcnt(0)
	s_barrier
	ds_write2_b64 v1, v[14:15], v[16:17] offset1:1
	ds_write2_b64 v1, v[10:11], v[12:13] offset0:2 offset1:3
	ds_write2_b64 v1, v[6:7], v[8:9] offset0:4 offset1:5
	;; [unrolled: 1-line block ×3, first 2 shown]
	; wave barrier
	ds_read2st64_b64 v[12:15], v0 offset1:1
	ds_read2st64_b64 v[8:11], v0 offset0:2 offset1:3
	ds_read2st64_b64 v[4:7], v0 offset0:4 offset1:5
	ds_read2st64_b64 v[0:3], v0 offset0:6 offset1:7
	s_waitcnt lgkmcnt(0)
	s_barrier
	s_load_dword s21, s[4:5], 0x0
	s_load_dword s23, s[26:27], 0xc
	v_mov_b32_e32 v32, 2
	v_mov_b32_e32 v16, 0
	ds_write2_b32 v61, v16, v16 offset0:4 offset1:5
	ds_write2_b32 v61, v16, v16 offset0:6 offset1:7
	s_waitcnt lgkmcnt(0)
	s_min_u32 s21, s21, 8
	s_lshr_b32 s4, s23, 16
	s_and_b32 s5, s23, 0xffff
	v_mad_u32_u24 v17, v63, s4, v62
	v_mad_u64_u32 v[18:19], s[4:5], v17, s5, v[36:37]
	s_lshl_b32 s4, -1, s21
	s_not_b32 s21, s4
	v_lshrrev_b32_e32 v40, 6, v18
	v_and_b32_e32 v18, s21, v20
	v_lshlrev_b32_sdwa v17, v32, v18 dst_sel:DWORD dst_unused:UNUSED_PAD src0_sel:DWORD src1_sel:BYTE_0
	v_add_lshl_u32 v30, v40, v17, 2
	v_and_b32_e32 v17, 1, v18
	v_add_co_u32_e32 v19, vcc, -1, v17
	v_addc_co_u32_e64 v31, s[4:5], 0, -1, vcc
	v_cmp_ne_u32_e32 vcc, 0, v17
	v_xor_b32_e32 v17, vcc_hi, v31
	v_and_b32_e32 v31, exec_hi, v17
	v_lshlrev_b32_e32 v17, 30, v18
	v_xor_b32_e32 v19, vcc_lo, v19
	v_cmp_gt_i64_e32 vcc, 0, v[16:17]
	v_not_b32_e32 v17, v17
	v_ashrrev_i32_e32 v17, 31, v17
	v_and_b32_e32 v19, exec_lo, v19
	v_xor_b32_e32 v33, vcc_hi, v17
	v_xor_b32_e32 v17, vcc_lo, v17
	v_and_b32_e32 v19, v19, v17
	v_lshlrev_b32_e32 v17, 29, v18
	v_cmp_gt_i64_e32 vcc, 0, v[16:17]
	v_not_b32_e32 v17, v17
	v_ashrrev_i32_e32 v17, 31, v17
	v_and_b32_e32 v31, v31, v33
	v_xor_b32_e32 v33, vcc_hi, v17
	v_xor_b32_e32 v17, vcc_lo, v17
	v_and_b32_e32 v19, v19, v17
	v_lshlrev_b32_e32 v17, 28, v18
	v_cmp_gt_i64_e32 vcc, 0, v[16:17]
	v_not_b32_e32 v17, v17
	v_ashrrev_i32_e32 v17, 31, v17
	v_and_b32_e32 v31, v31, v33
	;; [unrolled: 8-line block ×5, first 2 shown]
	v_xor_b32_e32 v33, vcc_hi, v17
	v_xor_b32_e32 v17, vcc_lo, v17
	v_and_b32_e32 v31, v31, v33
	v_and_b32_e32 v33, v19, v17
	v_lshlrev_b32_e32 v17, 24, v18
	v_cmp_gt_i64_e32 vcc, 0, v[16:17]
	v_not_b32_e32 v17, v17
	v_ashrrev_i32_e32 v17, 31, v17
	v_xor_b32_e32 v18, vcc_hi, v17
	v_xor_b32_e32 v17, vcc_lo, v17
	v_and_b32_e32 v19, v31, v18
	v_and_b32_e32 v18, v33, v17
	v_mbcnt_lo_u32_b32 v17, v18, 0
	v_mbcnt_hi_u32_b32 v31, v19, v17
	v_cmp_eq_u32_e32 vcc, 0, v31
	v_cmp_ne_u64_e64 s[4:5], 0, v[18:19]
	s_and_b64 s[26:27], s[4:5], vcc
	s_barrier
	s_waitcnt lgkmcnt(0)
	; wave barrier
	s_and_saveexec_b64 s[4:5], s[26:27]
	s_cbranch_execz .LBB91_66
; %bb.65:
	v_bcnt_u32_b32 v17, v18, 0
	v_bcnt_u32_b32 v17, v19, v17
	ds_write_b32 v30, v17 offset:16
.LBB91_66:
	s_or_b64 exec, exec, s[4:5]
	v_and_b32_e32 v18, s21, v21
	v_lshlrev_b32_sdwa v17, v32, v18 dst_sel:DWORD dst_unused:UNUSED_PAD src0_sel:DWORD src1_sel:BYTE_0
	v_add_lshl_u32 v33, v40, v17, 2
	v_and_b32_e32 v17, 1, v18
	v_add_co_u32_e32 v19, vcc, -1, v17
	v_addc_co_u32_e64 v38, s[4:5], 0, -1, vcc
	v_cmp_ne_u32_e32 vcc, 0, v17
	v_xor_b32_e32 v17, vcc_hi, v38
	v_and_b32_e32 v38, exec_hi, v17
	v_lshlrev_b32_e32 v17, 30, v18
	v_xor_b32_e32 v19, vcc_lo, v19
	v_cmp_gt_i64_e32 vcc, 0, v[16:17]
	v_not_b32_e32 v17, v17
	v_ashrrev_i32_e32 v17, 31, v17
	v_and_b32_e32 v19, exec_lo, v19
	v_xor_b32_e32 v39, vcc_hi, v17
	v_xor_b32_e32 v17, vcc_lo, v17
	v_and_b32_e32 v19, v19, v17
	v_lshlrev_b32_e32 v17, 29, v18
	v_cmp_gt_i64_e32 vcc, 0, v[16:17]
	v_not_b32_e32 v17, v17
	v_ashrrev_i32_e32 v17, 31, v17
	v_and_b32_e32 v38, v38, v39
	v_xor_b32_e32 v39, vcc_hi, v17
	v_xor_b32_e32 v17, vcc_lo, v17
	v_and_b32_e32 v19, v19, v17
	v_lshlrev_b32_e32 v17, 28, v18
	v_cmp_gt_i64_e32 vcc, 0, v[16:17]
	v_not_b32_e32 v17, v17
	v_ashrrev_i32_e32 v17, 31, v17
	v_and_b32_e32 v38, v38, v39
	;; [unrolled: 8-line block ×5, first 2 shown]
	v_xor_b32_e32 v39, vcc_hi, v17
	v_xor_b32_e32 v17, vcc_lo, v17
	v_and_b32_e32 v19, v19, v17
	v_lshlrev_b32_e32 v17, 24, v18
	v_cmp_gt_i64_e32 vcc, 0, v[16:17]
	v_not_b32_e32 v16, v17
	v_ashrrev_i32_e32 v16, 31, v16
	v_xor_b32_e32 v17, vcc_hi, v16
	v_xor_b32_e32 v16, vcc_lo, v16
	; wave barrier
	ds_read_b32 v32, v33 offset:16
	v_and_b32_e32 v38, v38, v39
	v_and_b32_e32 v16, v19, v16
	v_and_b32_e32 v17, v38, v17
	v_mbcnt_lo_u32_b32 v18, v16, 0
	v_mbcnt_hi_u32_b32 v38, v17, v18
	v_cmp_eq_u32_e32 vcc, 0, v38
	v_cmp_ne_u64_e64 s[4:5], 0, v[16:17]
	s_and_b64 s[26:27], s[4:5], vcc
	; wave barrier
	s_and_saveexec_b64 s[4:5], s[26:27]
	s_cbranch_execz .LBB91_68
; %bb.67:
	v_bcnt_u32_b32 v16, v16, 0
	v_bcnt_u32_b32 v16, v17, v16
	s_waitcnt lgkmcnt(0)
	v_add_u32_e32 v16, v32, v16
	ds_write_b32 v33, v16 offset:16
.LBB91_68:
	s_or_b64 exec, exec, s[4:5]
	v_and_b32_e32 v18, s21, v22
	v_and_b32_e32 v17, 1, v18
	v_add_co_u32_e32 v19, vcc, -1, v17
	v_mov_b32_e32 v62, 2
	v_addc_co_u32_e64 v43, s[4:5], 0, -1, vcc
	v_cmp_ne_u32_e32 vcc, 0, v17
	v_lshlrev_b32_sdwa v16, v62, v18 dst_sel:DWORD dst_unused:UNUSED_PAD src0_sel:DWORD src1_sel:BYTE_0
	v_xor_b32_e32 v17, vcc_hi, v43
	v_add_lshl_u32 v42, v40, v16, 2
	v_mov_b32_e32 v16, 0
	v_and_b32_e32 v43, exec_hi, v17
	v_lshlrev_b32_e32 v17, 30, v18
	v_xor_b32_e32 v19, vcc_lo, v19
	v_cmp_gt_i64_e32 vcc, 0, v[16:17]
	v_not_b32_e32 v17, v17
	v_ashrrev_i32_e32 v17, 31, v17
	v_and_b32_e32 v19, exec_lo, v19
	v_xor_b32_e32 v63, vcc_hi, v17
	v_xor_b32_e32 v17, vcc_lo, v17
	v_and_b32_e32 v19, v19, v17
	v_lshlrev_b32_e32 v17, 29, v18
	v_cmp_gt_i64_e32 vcc, 0, v[16:17]
	v_not_b32_e32 v17, v17
	v_ashrrev_i32_e32 v17, 31, v17
	v_and_b32_e32 v43, v43, v63
	v_xor_b32_e32 v63, vcc_hi, v17
	v_xor_b32_e32 v17, vcc_lo, v17
	v_and_b32_e32 v19, v19, v17
	v_lshlrev_b32_e32 v17, 28, v18
	v_cmp_gt_i64_e32 vcc, 0, v[16:17]
	v_not_b32_e32 v17, v17
	v_ashrrev_i32_e32 v17, 31, v17
	v_and_b32_e32 v43, v43, v63
	;; [unrolled: 8-line block ×5, first 2 shown]
	v_xor_b32_e32 v63, vcc_hi, v17
	v_xor_b32_e32 v17, vcc_lo, v17
	v_and_b32_e32 v43, v43, v63
	v_and_b32_e32 v63, v19, v17
	v_lshlrev_b32_e32 v17, 24, v18
	v_cmp_gt_i64_e32 vcc, 0, v[16:17]
	v_not_b32_e32 v17, v17
	v_ashrrev_i32_e32 v17, 31, v17
	v_xor_b32_e32 v18, vcc_hi, v17
	v_xor_b32_e32 v17, vcc_lo, v17
	; wave barrier
	ds_read_b32 v39, v42 offset:16
	v_and_b32_e32 v19, v43, v18
	v_and_b32_e32 v18, v63, v17
	v_mbcnt_lo_u32_b32 v17, v18, 0
	v_mbcnt_hi_u32_b32 v43, v19, v17
	v_cmp_eq_u32_e32 vcc, 0, v43
	v_cmp_ne_u64_e64 s[4:5], 0, v[18:19]
	s_and_b64 s[26:27], s[4:5], vcc
	; wave barrier
	s_and_saveexec_b64 s[4:5], s[26:27]
	s_cbranch_execz .LBB91_70
; %bb.69:
	v_bcnt_u32_b32 v17, v18, 0
	v_bcnt_u32_b32 v17, v19, v17
	s_waitcnt lgkmcnt(0)
	v_add_u32_e32 v17, v39, v17
	ds_write_b32 v42, v17 offset:16
.LBB91_70:
	s_or_b64 exec, exec, s[4:5]
	v_and_b32_e32 v18, s21, v23
	v_lshlrev_b32_sdwa v17, v62, v18 dst_sel:DWORD dst_unused:UNUSED_PAD src0_sel:DWORD src1_sel:BYTE_0
	v_add_lshl_u32 v63, v40, v17, 2
	v_and_b32_e32 v17, 1, v18
	v_add_co_u32_e32 v19, vcc, -1, v17
	v_addc_co_u32_e64 v64, s[4:5], 0, -1, vcc
	v_cmp_ne_u32_e32 vcc, 0, v17
	v_xor_b32_e32 v17, vcc_hi, v64
	v_and_b32_e32 v64, exec_hi, v17
	v_lshlrev_b32_e32 v17, 30, v18
	v_xor_b32_e32 v19, vcc_lo, v19
	v_cmp_gt_i64_e32 vcc, 0, v[16:17]
	v_not_b32_e32 v17, v17
	v_ashrrev_i32_e32 v17, 31, v17
	v_and_b32_e32 v19, exec_lo, v19
	v_xor_b32_e32 v65, vcc_hi, v17
	v_xor_b32_e32 v17, vcc_lo, v17
	v_and_b32_e32 v19, v19, v17
	v_lshlrev_b32_e32 v17, 29, v18
	v_cmp_gt_i64_e32 vcc, 0, v[16:17]
	v_not_b32_e32 v17, v17
	v_ashrrev_i32_e32 v17, 31, v17
	v_and_b32_e32 v64, v64, v65
	v_xor_b32_e32 v65, vcc_hi, v17
	v_xor_b32_e32 v17, vcc_lo, v17
	v_and_b32_e32 v19, v19, v17
	v_lshlrev_b32_e32 v17, 28, v18
	v_cmp_gt_i64_e32 vcc, 0, v[16:17]
	v_not_b32_e32 v17, v17
	v_ashrrev_i32_e32 v17, 31, v17
	v_and_b32_e32 v64, v64, v65
	;; [unrolled: 8-line block ×5, first 2 shown]
	v_xor_b32_e32 v65, vcc_hi, v17
	v_xor_b32_e32 v17, vcc_lo, v17
	v_and_b32_e32 v19, v19, v17
	v_lshlrev_b32_e32 v17, 24, v18
	v_cmp_gt_i64_e32 vcc, 0, v[16:17]
	v_not_b32_e32 v16, v17
	v_ashrrev_i32_e32 v16, 31, v16
	v_xor_b32_e32 v17, vcc_hi, v16
	v_xor_b32_e32 v16, vcc_lo, v16
	; wave barrier
	ds_read_b32 v62, v63 offset:16
	v_and_b32_e32 v64, v64, v65
	v_and_b32_e32 v16, v19, v16
	;; [unrolled: 1-line block ×3, first 2 shown]
	v_mbcnt_lo_u32_b32 v18, v16, 0
	v_mbcnt_hi_u32_b32 v64, v17, v18
	v_cmp_eq_u32_e32 vcc, 0, v64
	v_cmp_ne_u64_e64 s[4:5], 0, v[16:17]
	s_and_b64 s[26:27], s[4:5], vcc
	; wave barrier
	s_and_saveexec_b64 s[4:5], s[26:27]
	s_cbranch_execz .LBB91_72
; %bb.71:
	v_bcnt_u32_b32 v16, v16, 0
	v_bcnt_u32_b32 v16, v17, v16
	s_waitcnt lgkmcnt(0)
	v_add_u32_e32 v16, v62, v16
	ds_write_b32 v63, v16 offset:16
.LBB91_72:
	s_or_b64 exec, exec, s[4:5]
	v_and_b32_e32 v18, s21, v24
	v_and_b32_e32 v17, 1, v18
	v_add_co_u32_e32 v19, vcc, -1, v17
	v_mov_b32_e32 v68, 2
	v_addc_co_u32_e64 v67, s[4:5], 0, -1, vcc
	v_cmp_ne_u32_e32 vcc, 0, v17
	v_lshlrev_b32_sdwa v16, v68, v18 dst_sel:DWORD dst_unused:UNUSED_PAD src0_sel:DWORD src1_sel:BYTE_0
	v_xor_b32_e32 v17, vcc_hi, v67
	v_add_lshl_u32 v66, v40, v16, 2
	v_mov_b32_e32 v16, 0
	v_and_b32_e32 v67, exec_hi, v17
	v_lshlrev_b32_e32 v17, 30, v18
	v_xor_b32_e32 v19, vcc_lo, v19
	v_cmp_gt_i64_e32 vcc, 0, v[16:17]
	v_not_b32_e32 v17, v17
	v_ashrrev_i32_e32 v17, 31, v17
	v_and_b32_e32 v19, exec_lo, v19
	v_xor_b32_e32 v69, vcc_hi, v17
	v_xor_b32_e32 v17, vcc_lo, v17
	v_and_b32_e32 v19, v19, v17
	v_lshlrev_b32_e32 v17, 29, v18
	v_cmp_gt_i64_e32 vcc, 0, v[16:17]
	v_not_b32_e32 v17, v17
	v_ashrrev_i32_e32 v17, 31, v17
	v_and_b32_e32 v67, v67, v69
	v_xor_b32_e32 v69, vcc_hi, v17
	v_xor_b32_e32 v17, vcc_lo, v17
	v_and_b32_e32 v19, v19, v17
	v_lshlrev_b32_e32 v17, 28, v18
	v_cmp_gt_i64_e32 vcc, 0, v[16:17]
	v_not_b32_e32 v17, v17
	v_ashrrev_i32_e32 v17, 31, v17
	v_and_b32_e32 v67, v67, v69
	;; [unrolled: 8-line block ×5, first 2 shown]
	v_xor_b32_e32 v69, vcc_hi, v17
	v_xor_b32_e32 v17, vcc_lo, v17
	v_and_b32_e32 v67, v67, v69
	v_and_b32_e32 v69, v19, v17
	v_lshlrev_b32_e32 v17, 24, v18
	v_cmp_gt_i64_e32 vcc, 0, v[16:17]
	v_not_b32_e32 v17, v17
	v_ashrrev_i32_e32 v17, 31, v17
	v_xor_b32_e32 v18, vcc_hi, v17
	v_xor_b32_e32 v17, vcc_lo, v17
	; wave barrier
	ds_read_b32 v65, v66 offset:16
	v_and_b32_e32 v19, v67, v18
	v_and_b32_e32 v18, v69, v17
	v_mbcnt_lo_u32_b32 v17, v18, 0
	v_mbcnt_hi_u32_b32 v67, v19, v17
	v_cmp_eq_u32_e32 vcc, 0, v67
	v_cmp_ne_u64_e64 s[4:5], 0, v[18:19]
	s_and_b64 s[26:27], s[4:5], vcc
	; wave barrier
	s_and_saveexec_b64 s[4:5], s[26:27]
	s_cbranch_execz .LBB91_74
; %bb.73:
	v_bcnt_u32_b32 v17, v18, 0
	v_bcnt_u32_b32 v17, v19, v17
	s_waitcnt lgkmcnt(0)
	v_add_u32_e32 v17, v65, v17
	ds_write_b32 v66, v17 offset:16
.LBB91_74:
	s_or_b64 exec, exec, s[4:5]
	v_and_b32_e32 v18, s21, v25
	v_lshlrev_b32_sdwa v17, v68, v18 dst_sel:DWORD dst_unused:UNUSED_PAD src0_sel:DWORD src1_sel:BYTE_0
	v_add_lshl_u32 v69, v40, v17, 2
	v_and_b32_e32 v17, 1, v18
	v_add_co_u32_e32 v19, vcc, -1, v17
	v_addc_co_u32_e64 v70, s[4:5], 0, -1, vcc
	v_cmp_ne_u32_e32 vcc, 0, v17
	v_xor_b32_e32 v17, vcc_hi, v70
	v_and_b32_e32 v70, exec_hi, v17
	v_lshlrev_b32_e32 v17, 30, v18
	v_xor_b32_e32 v19, vcc_lo, v19
	v_cmp_gt_i64_e32 vcc, 0, v[16:17]
	v_not_b32_e32 v17, v17
	v_ashrrev_i32_e32 v17, 31, v17
	v_and_b32_e32 v19, exec_lo, v19
	v_xor_b32_e32 v71, vcc_hi, v17
	v_xor_b32_e32 v17, vcc_lo, v17
	v_and_b32_e32 v19, v19, v17
	v_lshlrev_b32_e32 v17, 29, v18
	v_cmp_gt_i64_e32 vcc, 0, v[16:17]
	v_not_b32_e32 v17, v17
	v_ashrrev_i32_e32 v17, 31, v17
	v_and_b32_e32 v70, v70, v71
	v_xor_b32_e32 v71, vcc_hi, v17
	v_xor_b32_e32 v17, vcc_lo, v17
	v_and_b32_e32 v19, v19, v17
	v_lshlrev_b32_e32 v17, 28, v18
	v_cmp_gt_i64_e32 vcc, 0, v[16:17]
	v_not_b32_e32 v17, v17
	v_ashrrev_i32_e32 v17, 31, v17
	v_and_b32_e32 v70, v70, v71
	;; [unrolled: 8-line block ×5, first 2 shown]
	v_xor_b32_e32 v71, vcc_hi, v17
	v_xor_b32_e32 v17, vcc_lo, v17
	v_and_b32_e32 v19, v19, v17
	v_lshlrev_b32_e32 v17, 24, v18
	v_cmp_gt_i64_e32 vcc, 0, v[16:17]
	v_not_b32_e32 v16, v17
	v_ashrrev_i32_e32 v16, 31, v16
	v_xor_b32_e32 v17, vcc_hi, v16
	v_xor_b32_e32 v16, vcc_lo, v16
	; wave barrier
	ds_read_b32 v68, v69 offset:16
	v_and_b32_e32 v70, v70, v71
	v_and_b32_e32 v16, v19, v16
	;; [unrolled: 1-line block ×3, first 2 shown]
	v_mbcnt_lo_u32_b32 v18, v16, 0
	v_mbcnt_hi_u32_b32 v70, v17, v18
	v_cmp_eq_u32_e32 vcc, 0, v70
	v_cmp_ne_u64_e64 s[4:5], 0, v[16:17]
	s_and_b64 s[26:27], s[4:5], vcc
	; wave barrier
	s_and_saveexec_b64 s[4:5], s[26:27]
	s_cbranch_execz .LBB91_76
; %bb.75:
	v_bcnt_u32_b32 v16, v16, 0
	v_bcnt_u32_b32 v16, v17, v16
	s_waitcnt lgkmcnt(0)
	v_add_u32_e32 v16, v68, v16
	ds_write_b32 v69, v16 offset:16
.LBB91_76:
	s_or_b64 exec, exec, s[4:5]
	v_and_b32_e32 v18, s21, v26
	v_and_b32_e32 v17, 1, v18
	v_add_co_u32_e32 v19, vcc, -1, v17
	v_mov_b32_e32 v74, 2
	v_addc_co_u32_e64 v73, s[4:5], 0, -1, vcc
	v_cmp_ne_u32_e32 vcc, 0, v17
	v_lshlrev_b32_sdwa v16, v74, v18 dst_sel:DWORD dst_unused:UNUSED_PAD src0_sel:DWORD src1_sel:BYTE_0
	v_xor_b32_e32 v17, vcc_hi, v73
	v_add_lshl_u32 v72, v40, v16, 2
	v_mov_b32_e32 v16, 0
	v_and_b32_e32 v73, exec_hi, v17
	v_lshlrev_b32_e32 v17, 30, v18
	v_xor_b32_e32 v19, vcc_lo, v19
	v_cmp_gt_i64_e32 vcc, 0, v[16:17]
	v_not_b32_e32 v17, v17
	v_ashrrev_i32_e32 v17, 31, v17
	v_and_b32_e32 v19, exec_lo, v19
	v_xor_b32_e32 v75, vcc_hi, v17
	v_xor_b32_e32 v17, vcc_lo, v17
	v_and_b32_e32 v19, v19, v17
	v_lshlrev_b32_e32 v17, 29, v18
	v_cmp_gt_i64_e32 vcc, 0, v[16:17]
	v_not_b32_e32 v17, v17
	v_ashrrev_i32_e32 v17, 31, v17
	v_and_b32_e32 v73, v73, v75
	v_xor_b32_e32 v75, vcc_hi, v17
	v_xor_b32_e32 v17, vcc_lo, v17
	v_and_b32_e32 v19, v19, v17
	v_lshlrev_b32_e32 v17, 28, v18
	v_cmp_gt_i64_e32 vcc, 0, v[16:17]
	v_not_b32_e32 v17, v17
	v_ashrrev_i32_e32 v17, 31, v17
	v_and_b32_e32 v73, v73, v75
	;; [unrolled: 8-line block ×5, first 2 shown]
	v_xor_b32_e32 v75, vcc_hi, v17
	v_xor_b32_e32 v17, vcc_lo, v17
	v_and_b32_e32 v73, v73, v75
	v_and_b32_e32 v75, v19, v17
	v_lshlrev_b32_e32 v17, 24, v18
	v_cmp_gt_i64_e32 vcc, 0, v[16:17]
	v_not_b32_e32 v17, v17
	v_ashrrev_i32_e32 v17, 31, v17
	v_xor_b32_e32 v18, vcc_hi, v17
	v_xor_b32_e32 v17, vcc_lo, v17
	; wave barrier
	ds_read_b32 v71, v72 offset:16
	v_and_b32_e32 v19, v73, v18
	v_and_b32_e32 v18, v75, v17
	v_mbcnt_lo_u32_b32 v17, v18, 0
	v_mbcnt_hi_u32_b32 v73, v19, v17
	v_cmp_eq_u32_e32 vcc, 0, v73
	v_cmp_ne_u64_e64 s[4:5], 0, v[18:19]
	s_and_b64 s[26:27], s[4:5], vcc
	; wave barrier
	s_and_saveexec_b64 s[4:5], s[26:27]
	s_cbranch_execz .LBB91_78
; %bb.77:
	v_bcnt_u32_b32 v17, v18, 0
	v_bcnt_u32_b32 v17, v19, v17
	s_waitcnt lgkmcnt(0)
	v_add_u32_e32 v17, v71, v17
	ds_write_b32 v72, v17 offset:16
.LBB91_78:
	s_or_b64 exec, exec, s[4:5]
	v_and_b32_e32 v18, s21, v27
	v_lshlrev_b32_sdwa v17, v74, v18 dst_sel:DWORD dst_unused:UNUSED_PAD src0_sel:DWORD src1_sel:BYTE_0
	v_add_lshl_u32 v74, v40, v17, 2
	v_and_b32_e32 v17, 1, v18
	v_add_co_u32_e32 v19, vcc, -1, v17
	v_addc_co_u32_e64 v76, s[4:5], 0, -1, vcc
	v_cmp_ne_u32_e32 vcc, 0, v17
	v_xor_b32_e32 v17, vcc_hi, v76
	v_and_b32_e32 v76, exec_hi, v17
	v_lshlrev_b32_e32 v17, 30, v18
	v_xor_b32_e32 v19, vcc_lo, v19
	v_cmp_gt_i64_e32 vcc, 0, v[16:17]
	v_not_b32_e32 v17, v17
	v_ashrrev_i32_e32 v17, 31, v17
	v_and_b32_e32 v19, exec_lo, v19
	v_xor_b32_e32 v77, vcc_hi, v17
	v_xor_b32_e32 v17, vcc_lo, v17
	v_and_b32_e32 v19, v19, v17
	v_lshlrev_b32_e32 v17, 29, v18
	v_cmp_gt_i64_e32 vcc, 0, v[16:17]
	v_not_b32_e32 v17, v17
	v_ashrrev_i32_e32 v17, 31, v17
	v_and_b32_e32 v76, v76, v77
	v_xor_b32_e32 v77, vcc_hi, v17
	v_xor_b32_e32 v17, vcc_lo, v17
	v_and_b32_e32 v19, v19, v17
	v_lshlrev_b32_e32 v17, 28, v18
	v_cmp_gt_i64_e32 vcc, 0, v[16:17]
	v_not_b32_e32 v17, v17
	v_ashrrev_i32_e32 v17, 31, v17
	v_and_b32_e32 v76, v76, v77
	;; [unrolled: 8-line block ×5, first 2 shown]
	v_xor_b32_e32 v77, vcc_hi, v17
	v_xor_b32_e32 v17, vcc_lo, v17
	v_and_b32_e32 v19, v19, v17
	v_lshlrev_b32_e32 v17, 24, v18
	v_cmp_gt_i64_e32 vcc, 0, v[16:17]
	v_not_b32_e32 v16, v17
	v_ashrrev_i32_e32 v16, 31, v16
	v_xor_b32_e32 v17, vcc_hi, v16
	v_xor_b32_e32 v16, vcc_lo, v16
	; wave barrier
	ds_read_b32 v40, v74 offset:16
	v_and_b32_e32 v76, v76, v77
	v_and_b32_e32 v16, v19, v16
	;; [unrolled: 1-line block ×3, first 2 shown]
	v_mbcnt_lo_u32_b32 v18, v16, 0
	v_mbcnt_hi_u32_b32 v76, v17, v18
	v_cmp_eq_u32_e32 vcc, 0, v76
	v_cmp_ne_u64_e64 s[4:5], 0, v[16:17]
	v_add_u32_e32 v75, 16, v61
	s_and_b64 s[26:27], s[4:5], vcc
	; wave barrier
	s_and_saveexec_b64 s[4:5], s[26:27]
	s_cbranch_execz .LBB91_80
; %bb.79:
	v_bcnt_u32_b32 v16, v16, 0
	v_bcnt_u32_b32 v16, v17, v16
	s_waitcnt lgkmcnt(0)
	v_add_u32_e32 v16, v40, v16
	ds_write_b32 v74, v16 offset:16
.LBB91_80:
	s_or_b64 exec, exec, s[4:5]
	; wave barrier
	s_waitcnt lgkmcnt(0)
	s_barrier
	ds_read2_b32 v[16:17], v61 offset0:4 offset1:5
	ds_read2_b32 v[18:19], v75 offset0:2 offset1:3
	v_min_u32_e32 v29, 0xc0, v29
	v_or_b32_e32 v29, 63, v29
	s_waitcnt lgkmcnt(1)
	v_add_u32_e32 v77, v17, v16
	s_waitcnt lgkmcnt(0)
	v_add3_u32 v19, v77, v18, v19
	v_and_b32_e32 v77, 15, v28
	v_cmp_ne_u32_e32 vcc, 0, v77
	v_mov_b32_dpp v78, v19 row_shr:1 row_mask:0xf bank_mask:0xf
	v_cndmask_b32_e32 v78, 0, v78, vcc
	v_add_u32_e32 v19, v78, v19
	v_cmp_lt_u32_e32 vcc, 1, v77
	s_nop 0
	v_mov_b32_dpp v78, v19 row_shr:2 row_mask:0xf bank_mask:0xf
	v_cndmask_b32_e32 v78, 0, v78, vcc
	v_add_u32_e32 v19, v19, v78
	v_cmp_lt_u32_e32 vcc, 3, v77
	s_nop 0
	v_mov_b32_dpp v78, v19 row_shr:4 row_mask:0xf bank_mask:0xf
	v_cndmask_b32_e32 v78, 0, v78, vcc
	v_add_u32_e32 v19, v19, v78
	v_cmp_lt_u32_e32 vcc, 7, v77
	s_nop 0
	v_mov_b32_dpp v78, v19 row_shr:8 row_mask:0xf bank_mask:0xf
	v_cndmask_b32_e32 v77, 0, v78, vcc
	v_add_u32_e32 v19, v19, v77
	v_bfe_i32 v78, v28, 4, 1
	v_cmp_lt_u32_e32 vcc, 31, v28
	v_mov_b32_dpp v77, v19 row_bcast:15 row_mask:0xf bank_mask:0xf
	v_and_b32_e32 v77, v78, v77
	v_add_u32_e32 v19, v19, v77
	s_nop 1
	v_mov_b32_dpp v77, v19 row_bcast:31 row_mask:0xf bank_mask:0xf
	v_cndmask_b32_e32 v77, 0, v77, vcc
	v_add_u32_e32 v19, v19, v77
	v_lshrrev_b32_e32 v77, 6, v36
	v_cmp_eq_u32_e32 vcc, v29, v36
	s_and_saveexec_b64 s[4:5], vcc
	s_cbranch_execz .LBB91_82
; %bb.81:
	v_lshlrev_b32_e32 v29, 2, v77
	ds_write_b32 v29, v19
.LBB91_82:
	s_or_b64 exec, exec, s[4:5]
	v_cmp_gt_u32_e32 vcc, 4, v36
	s_waitcnt lgkmcnt(0)
	s_barrier
	s_and_saveexec_b64 s[4:5], vcc
	s_cbranch_execz .LBB91_84
; %bb.83:
	v_lshlrev_b32_e32 v29, 2, v36
	ds_read_b32 v78, v29
	v_and_b32_e32 v79, 3, v28
	v_cmp_ne_u32_e32 vcc, 0, v79
	s_waitcnt lgkmcnt(0)
	v_mov_b32_dpp v80, v78 row_shr:1 row_mask:0xf bank_mask:0xf
	v_cndmask_b32_e32 v80, 0, v80, vcc
	v_add_u32_e32 v78, v80, v78
	v_cmp_lt_u32_e32 vcc, 1, v79
	s_nop 0
	v_mov_b32_dpp v80, v78 row_shr:2 row_mask:0xf bank_mask:0xf
	v_cndmask_b32_e32 v79, 0, v80, vcc
	v_add_u32_e32 v78, v78, v79
	ds_write_b32 v29, v78
.LBB91_84:
	s_or_b64 exec, exec, s[4:5]
	v_cmp_lt_u32_e32 vcc, 63, v36
	v_mov_b32_e32 v29, 0
	s_waitcnt lgkmcnt(0)
	s_barrier
	s_and_saveexec_b64 s[4:5], vcc
	s_cbranch_execz .LBB91_86
; %bb.85:
	v_lshl_add_u32 v29, v77, 2, -4
	ds_read_b32 v29, v29
.LBB91_86:
	s_or_b64 exec, exec, s[4:5]
	v_add_u32_e32 v77, -1, v28
	v_and_b32_e32 v78, 64, v28
	v_cmp_lt_i32_e32 vcc, v77, v78
	v_cndmask_b32_e32 v77, v77, v28, vcc
	s_waitcnt lgkmcnt(0)
	v_add_u32_e32 v19, v29, v19
	v_lshlrev_b32_e32 v77, 2, v77
	ds_bpermute_b32 v19, v77, v19
	v_cmp_eq_u32_e32 vcc, 0, v28
	s_waitcnt lgkmcnt(0)
	v_cndmask_b32_e32 v19, v19, v29, vcc
	v_cmp_ne_u32_e32 vcc, 0, v36
	v_cndmask_b32_e32 v19, 0, v19, vcc
	v_add_u32_e32 v16, v19, v16
	v_add_u32_e32 v17, v16, v17
	;; [unrolled: 1-line block ×3, first 2 shown]
	ds_write2_b32 v61, v19, v16 offset0:4 offset1:5
	ds_write2_b32 v75, v17, v18 offset0:2 offset1:3
	s_waitcnt lgkmcnt(0)
	s_barrier
	ds_read_b32 v16, v30 offset:16
	ds_read_b32 v17, v33 offset:16
	;; [unrolled: 1-line block ×8, first 2 shown]
	s_waitcnt lgkmcnt(7)
	v_add_u32_e32 v31, v16, v31
	s_waitcnt lgkmcnt(6)
	v_add3_u32 v32, v38, v32, v17
	s_waitcnt lgkmcnt(5)
	v_add3_u32 v18, v43, v39, v18
	;; [unrolled: 2-line block ×7, first 2 shown]
	s_barrier
	ds_write_b8 v31, v20
	ds_write_b8 v32, v21
	;; [unrolled: 1-line block ×8, first 2 shown]
	v_lshlrev_b32_e32 v20, 3, v31
	s_waitcnt lgkmcnt(0)
	s_barrier
	ds_read_b64 v[16:17], v53
	s_waitcnt lgkmcnt(0)
	s_barrier
	ds_write_b64 v20, v[12:13]
	v_lshlrev_b32_e32 v12, 3, v32
	ds_write_b64 v12, v[14:15]
	v_lshlrev_b32_e32 v12, 3, v18
	;; [unrolled: 2-line block ×8, first 2 shown]
	s_waitcnt lgkmcnt(0)
	s_barrier
	ds_read2_b64 v[18:21], v0 offset1:1
	ds_read2_b64 v[22:25], v0 offset0:2 offset1:3
	ds_read2_b64 v[26:29], v0 offset0:4 offset1:5
	;; [unrolled: 1-line block ×3, first 2 shown]
	v_lshrrev_b32_e32 v36, 8, v16
	v_mov_b32_e32 v1, -1
	v_lshrrev_b32_e32 v38, 8, v17
	v_xor_b32_e32 v0, -1, v16
	v_xor_b32_sdwa v2, v36, v1 dst_sel:BYTE_1 dst_unused:UNUSED_PAD src0_sel:DWORD src1_sel:DWORD
	v_xor_b32_sdwa v3, v16, v1 dst_sel:DWORD dst_unused:UNUSED_PAD src0_sel:WORD_1 src1_sel:DWORD
	v_xor_b32_sdwa v4, v16, v1 dst_sel:BYTE_1 dst_unused:UNUSED_PAD src0_sel:BYTE_3 src1_sel:DWORD
	v_xor_b32_e32 v5, -1, v17
	v_xor_b32_sdwa v6, v38, v1 dst_sel:BYTE_1 dst_unused:UNUSED_PAD src0_sel:DWORD src1_sel:DWORD
	v_xor_b32_sdwa v7, v17, v1 dst_sel:DWORD dst_unused:UNUSED_PAD src0_sel:WORD_1 src1_sel:DWORD
	v_xor_b32_sdwa v1, v17, v1 dst_sel:BYTE_1 dst_unused:UNUSED_PAD src0_sel:BYTE_3 src1_sel:DWORD
	v_or_b32_sdwa v0, v0, v2 dst_sel:DWORD dst_unused:UNUSED_PAD src0_sel:BYTE_0 src1_sel:DWORD
	v_or_b32_sdwa v2, v3, v4 dst_sel:WORD_1 dst_unused:UNUSED_PAD src0_sel:BYTE_0 src1_sel:DWORD
	v_or_b32_sdwa v0, v0, v2 dst_sel:DWORD dst_unused:UNUSED_PAD src0_sel:WORD_0 src1_sel:DWORD
	v_or_b32_sdwa v2, v5, v6 dst_sel:DWORD dst_unused:UNUSED_PAD src0_sel:BYTE_0 src1_sel:DWORD
	v_or_b32_sdwa v1, v7, v1 dst_sel:WORD_1 dst_unused:UNUSED_PAD src0_sel:BYTE_0 src1_sel:DWORD
	v_or_b32_sdwa v1, v2, v1 dst_sel:DWORD dst_unused:UNUSED_PAD src0_sel:WORD_0 src1_sel:DWORD
.LBB91_87:
	s_waitcnt lgkmcnt(0)
	s_barrier
	ds_write_b64 v52, v[0:1]
	s_waitcnt lgkmcnt(0)
	s_barrier
	ds_read_u8 v8, v45 offset:256
	ds_read_u8 v7, v46 offset:512
	;; [unrolled: 1-line block ×7, first 2 shown]
	v_mov_b32_e32 v1, s25
	v_add_co_u32_e32 v0, vcc, s24, v37
	v_addc_co_u32_e32 v1, vcc, 0, v1, vcc
	s_and_saveexec_b64 s[4:5], s[0:1]
	s_cbranch_execnz .LBB91_106
; %bb.88:
	s_or_b64 exec, exec, s[4:5]
	s_and_saveexec_b64 s[4:5], s[2:3]
	s_cbranch_execnz .LBB91_107
.LBB91_89:
	s_or_b64 exec, exec, s[4:5]
	s_and_saveexec_b64 s[4:5], s[16:17]
	s_cbranch_execnz .LBB91_108
.LBB91_90:
	s_or_b64 exec, exec, s[4:5]
	s_and_saveexec_b64 s[4:5], s[6:7]
	s_cbranch_execnz .LBB91_109
.LBB91_91:
	s_or_b64 exec, exec, s[4:5]
	s_and_saveexec_b64 s[4:5], s[8:9]
	s_cbranch_execnz .LBB91_110
.LBB91_92:
	s_or_b64 exec, exec, s[4:5]
	s_and_saveexec_b64 s[4:5], s[10:11]
	s_cbranch_execnz .LBB91_111
.LBB91_93:
	s_or_b64 exec, exec, s[4:5]
	s_and_saveexec_b64 s[4:5], s[12:13]
	s_cbranch_execnz .LBB91_112
.LBB91_94:
	s_or_b64 exec, exec, s[4:5]
	s_and_saveexec_b64 s[4:5], s[14:15]
	s_cbranch_execz .LBB91_96
.LBB91_95:
	s_mul_i32 s21, s22, 0x700
	v_add_co_u32_e32 v0, vcc, s21, v0
	v_addc_co_u32_e32 v1, vcc, 0, v1, vcc
	s_waitcnt lgkmcnt(0)
	global_store_byte v[0:1], v2, off
.LBB91_96:
	s_or_b64 exec, exec, s[4:5]
	s_waitcnt lgkmcnt(0)
	s_barrier
	ds_write2_b64 v60, v[18:19], v[20:21] offset1:1
	ds_write2_b64 v60, v[22:23], v[24:25] offset0:2 offset1:3
	ds_write2_b64 v60, v[26:27], v[28:29] offset0:4 offset1:5
	;; [unrolled: 1-line block ×3, first 2 shown]
	s_waitcnt lgkmcnt(0)
	s_barrier
	ds_read_b64 v[14:15], v35 offset:2048
	ds_read_b64 v[12:13], v54 offset:4096
	;; [unrolled: 1-line block ×7, first 2 shown]
	v_mov_b32_e32 v35, 0
	v_lshlrev_b64 v[2:3], 3, v[34:35]
	v_mov_b32_e32 v16, s20
	v_add_co_u32_e32 v2, vcc, s19, v2
	v_addc_co_u32_e32 v3, vcc, v16, v3, vcc
	s_and_saveexec_b64 s[4:5], s[0:1]
	s_cbranch_execnz .LBB91_113
; %bb.97:
	s_or_b64 exec, exec, s[4:5]
	s_and_saveexec_b64 s[0:1], s[2:3]
	s_cbranch_execnz .LBB91_114
.LBB91_98:
	s_or_b64 exec, exec, s[0:1]
	s_and_saveexec_b64 s[0:1], s[16:17]
	s_cbranch_execnz .LBB91_115
.LBB91_99:
	s_or_b64 exec, exec, s[0:1]
	s_and_saveexec_b64 s[0:1], s[6:7]
	s_cbranch_execnz .LBB91_116
.LBB91_100:
	s_or_b64 exec, exec, s[0:1]
	s_and_saveexec_b64 s[0:1], s[8:9]
	s_cbranch_execnz .LBB91_117
.LBB91_101:
	s_or_b64 exec, exec, s[0:1]
	s_and_saveexec_b64 s[0:1], s[10:11]
	s_cbranch_execnz .LBB91_118
.LBB91_102:
	s_or_b64 exec, exec, s[0:1]
	s_and_saveexec_b64 s[0:1], s[12:13]
	s_cbranch_execnz .LBB91_119
.LBB91_103:
	s_or_b64 exec, exec, s[0:1]
	s_and_saveexec_b64 s[0:1], s[14:15]
	s_cbranch_execz .LBB91_105
.LBB91_104:
	s_mul_i32 s0, s18, 0x700
	s_mov_b32 s1, 0
	s_lshl_b64 s[0:1], s[0:1], 3
	s_waitcnt lgkmcnt(1)
	v_mov_b32_e32 v4, s1
	v_add_co_u32_e32 v2, vcc, s0, v2
	v_addc_co_u32_e32 v3, vcc, v3, v4, vcc
	s_waitcnt lgkmcnt(0)
	global_store_dwordx2 v[2:3], v[0:1], off
.LBB91_105:
	s_endpgm
.LBB91_106:
	ds_read_u8 v9, v44
	s_waitcnt lgkmcnt(0)
	global_store_byte v[0:1], v9, off
	s_or_b64 exec, exec, s[4:5]
	s_and_saveexec_b64 s[4:5], s[2:3]
	s_cbranch_execz .LBB91_89
.LBB91_107:
	s_lshl_b32 s21, s22, 8
	v_add_co_u32_e32 v10, vcc, s21, v0
	v_addc_co_u32_e32 v11, vcc, 0, v1, vcc
	s_waitcnt lgkmcnt(6)
	global_store_byte v[10:11], v8, off
	s_or_b64 exec, exec, s[4:5]
	s_and_saveexec_b64 s[4:5], s[16:17]
	s_cbranch_execz .LBB91_90
.LBB91_108:
	s_lshl_b32 s21, s22, 9
	s_waitcnt lgkmcnt(6)
	v_add_co_u32_e32 v8, vcc, s21, v0
	v_addc_co_u32_e32 v9, vcc, 0, v1, vcc
	s_waitcnt lgkmcnt(5)
	global_store_byte v[8:9], v7, off
	s_or_b64 exec, exec, s[4:5]
	s_and_saveexec_b64 s[4:5], s[6:7]
	s_cbranch_execz .LBB91_91
.LBB91_109:
	s_mul_i32 s21, s22, 0x300
	s_waitcnt lgkmcnt(6)
	v_add_co_u32_e32 v8, vcc, s21, v0
	v_addc_co_u32_e32 v9, vcc, 0, v1, vcc
	s_waitcnt lgkmcnt(4)
	global_store_byte v[8:9], v6, off
	s_or_b64 exec, exec, s[4:5]
	s_and_saveexec_b64 s[4:5], s[8:9]
	s_cbranch_execz .LBB91_92
.LBB91_110:
	s_lshl_b32 s21, s22, 10
	s_waitcnt lgkmcnt(4)
	v_add_co_u32_e32 v6, vcc, s21, v0
	v_addc_co_u32_e32 v7, vcc, 0, v1, vcc
	s_waitcnt lgkmcnt(3)
	global_store_byte v[6:7], v5, off
	s_or_b64 exec, exec, s[4:5]
	s_and_saveexec_b64 s[4:5], s[10:11]
	s_cbranch_execz .LBB91_93
.LBB91_111:
	s_mul_i32 s21, s22, 0x500
	s_waitcnt lgkmcnt(4)
	v_add_co_u32_e32 v6, vcc, s21, v0
	v_addc_co_u32_e32 v7, vcc, 0, v1, vcc
	s_waitcnt lgkmcnt(2)
	global_store_byte v[6:7], v4, off
	s_or_b64 exec, exec, s[4:5]
	s_and_saveexec_b64 s[4:5], s[12:13]
	s_cbranch_execz .LBB91_94
.LBB91_112:
	s_mul_i32 s21, s22, 0x600
	s_waitcnt lgkmcnt(2)
	v_add_co_u32_e32 v4, vcc, s21, v0
	v_addc_co_u32_e32 v5, vcc, 0, v1, vcc
	s_waitcnt lgkmcnt(1)
	global_store_byte v[4:5], v3, off
	s_or_b64 exec, exec, s[4:5]
	s_and_saveexec_b64 s[4:5], s[14:15]
	s_cbranch_execnz .LBB91_95
	s_branch .LBB91_96
.LBB91_113:
	ds_read_b64 v[16:17], v41
	s_waitcnt lgkmcnt(0)
	global_store_dwordx2 v[2:3], v[16:17], off
	s_or_b64 exec, exec, s[4:5]
	s_and_saveexec_b64 s[0:1], s[2:3]
	s_cbranch_execz .LBB91_98
.LBB91_114:
	s_lshl_b32 s2, s18, 8
	s_mov_b32 s3, 0
	s_lshl_b64 s[2:3], s[2:3], 3
	v_mov_b32_e32 v17, s3
	v_add_co_u32_e32 v16, vcc, s2, v2
	v_addc_co_u32_e32 v17, vcc, v3, v17, vcc
	s_waitcnt lgkmcnt(6)
	global_store_dwordx2 v[16:17], v[14:15], off
	s_or_b64 exec, exec, s[0:1]
	s_and_saveexec_b64 s[0:1], s[16:17]
	s_cbranch_execz .LBB91_99
.LBB91_115:
	s_lshl_b32 s2, s18, 9
	s_mov_b32 s3, 0
	s_lshl_b64 s[2:3], s[2:3], 3
	s_waitcnt lgkmcnt(6)
	v_mov_b32_e32 v15, s3
	v_add_co_u32_e32 v14, vcc, s2, v2
	v_addc_co_u32_e32 v15, vcc, v3, v15, vcc
	s_waitcnt lgkmcnt(5)
	global_store_dwordx2 v[14:15], v[12:13], off
	s_or_b64 exec, exec, s[0:1]
	s_and_saveexec_b64 s[0:1], s[6:7]
	s_cbranch_execz .LBB91_100
.LBB91_116:
	s_mul_i32 s2, s18, 0x300
	s_mov_b32 s3, 0
	s_lshl_b64 s[2:3], s[2:3], 3
	s_waitcnt lgkmcnt(5)
	v_mov_b32_e32 v13, s3
	v_add_co_u32_e32 v12, vcc, s2, v2
	v_addc_co_u32_e32 v13, vcc, v3, v13, vcc
	s_waitcnt lgkmcnt(4)
	global_store_dwordx2 v[12:13], v[10:11], off
	s_or_b64 exec, exec, s[0:1]
	s_and_saveexec_b64 s[0:1], s[8:9]
	s_cbranch_execz .LBB91_101
.LBB91_117:
	s_lshl_b32 s2, s18, 10
	s_mov_b32 s3, 0
	s_lshl_b64 s[2:3], s[2:3], 3
	s_waitcnt lgkmcnt(4)
	v_mov_b32_e32 v11, s3
	v_add_co_u32_e32 v10, vcc, s2, v2
	v_addc_co_u32_e32 v11, vcc, v3, v11, vcc
	s_waitcnt lgkmcnt(3)
	global_store_dwordx2 v[10:11], v[8:9], off
	s_or_b64 exec, exec, s[0:1]
	s_and_saveexec_b64 s[0:1], s[10:11]
	s_cbranch_execz .LBB91_102
.LBB91_118:
	s_mul_i32 s2, s18, 0x500
	s_mov_b32 s3, 0
	s_lshl_b64 s[2:3], s[2:3], 3
	s_waitcnt lgkmcnt(3)
	v_mov_b32_e32 v9, s3
	v_add_co_u32_e32 v8, vcc, s2, v2
	v_addc_co_u32_e32 v9, vcc, v3, v9, vcc
	s_waitcnt lgkmcnt(2)
	global_store_dwordx2 v[8:9], v[6:7], off
	s_or_b64 exec, exec, s[0:1]
	s_and_saveexec_b64 s[0:1], s[12:13]
	s_cbranch_execz .LBB91_103
.LBB91_119:
	s_mul_i32 s2, s18, 0x600
	s_mov_b32 s3, 0
	s_lshl_b64 s[2:3], s[2:3], 3
	s_waitcnt lgkmcnt(2)
	v_mov_b32_e32 v7, s3
	v_add_co_u32_e32 v6, vcc, s2, v2
	v_addc_co_u32_e32 v7, vcc, v3, v7, vcc
	s_waitcnt lgkmcnt(1)
	global_store_dwordx2 v[6:7], v[4:5], off
	s_or_b64 exec, exec, s[0:1]
	s_and_saveexec_b64 s[0:1], s[14:15]
	s_cbranch_execnz .LBB91_104
	s_branch .LBB91_105
	.section	.rodata,"a",@progbits
	.p2align	6, 0x0
	.amdhsa_kernel _ZN2at6native18radixSortKVInPlaceILin1ELin1ELi256ELi8EhljEEvNS_4cuda6detail10TensorInfoIT3_T5_EES6_S6_S6_NS4_IT4_S6_EES6_b
		.amdhsa_group_segment_fixed_size 16896
		.amdhsa_private_segment_fixed_size 0
		.amdhsa_kernarg_size 712
		.amdhsa_user_sgpr_count 6
		.amdhsa_user_sgpr_private_segment_buffer 1
		.amdhsa_user_sgpr_dispatch_ptr 0
		.amdhsa_user_sgpr_queue_ptr 0
		.amdhsa_user_sgpr_kernarg_segment_ptr 1
		.amdhsa_user_sgpr_dispatch_id 0
		.amdhsa_user_sgpr_flat_scratch_init 0
		.amdhsa_user_sgpr_kernarg_preload_length 0
		.amdhsa_user_sgpr_kernarg_preload_offset 0
		.amdhsa_user_sgpr_private_segment_size 0
		.amdhsa_uses_dynamic_stack 0
		.amdhsa_system_sgpr_private_segment_wavefront_offset 0
		.amdhsa_system_sgpr_workgroup_id_x 1
		.amdhsa_system_sgpr_workgroup_id_y 1
		.amdhsa_system_sgpr_workgroup_id_z 1
		.amdhsa_system_sgpr_workgroup_info 0
		.amdhsa_system_vgpr_workitem_id 2
		.amdhsa_next_free_vgpr 105
		.amdhsa_next_free_sgpr 52
		.amdhsa_accum_offset 108
		.amdhsa_reserve_vcc 1
		.amdhsa_reserve_flat_scratch 0
		.amdhsa_float_round_mode_32 0
		.amdhsa_float_round_mode_16_64 0
		.amdhsa_float_denorm_mode_32 3
		.amdhsa_float_denorm_mode_16_64 3
		.amdhsa_dx10_clamp 1
		.amdhsa_ieee_mode 1
		.amdhsa_fp16_overflow 0
		.amdhsa_tg_split 0
		.amdhsa_exception_fp_ieee_invalid_op 0
		.amdhsa_exception_fp_denorm_src 0
		.amdhsa_exception_fp_ieee_div_zero 0
		.amdhsa_exception_fp_ieee_overflow 0
		.amdhsa_exception_fp_ieee_underflow 0
		.amdhsa_exception_fp_ieee_inexact 0
		.amdhsa_exception_int_div_zero 0
	.end_amdhsa_kernel
	.section	.text._ZN2at6native18radixSortKVInPlaceILin1ELin1ELi256ELi8EhljEEvNS_4cuda6detail10TensorInfoIT3_T5_EES6_S6_S6_NS4_IT4_S6_EES6_b,"axG",@progbits,_ZN2at6native18radixSortKVInPlaceILin1ELin1ELi256ELi8EhljEEvNS_4cuda6detail10TensorInfoIT3_T5_EES6_S6_S6_NS4_IT4_S6_EES6_b,comdat
.Lfunc_end91:
	.size	_ZN2at6native18radixSortKVInPlaceILin1ELin1ELi256ELi8EhljEEvNS_4cuda6detail10TensorInfoIT3_T5_EES6_S6_S6_NS4_IT4_S6_EES6_b, .Lfunc_end91-_ZN2at6native18radixSortKVInPlaceILin1ELin1ELi256ELi8EhljEEvNS_4cuda6detail10TensorInfoIT3_T5_EES6_S6_S6_NS4_IT4_S6_EES6_b
                                        ; -- End function
	.section	.AMDGPU.csdata,"",@progbits
; Kernel info:
; codeLenInByte = 11964
; NumSgprs: 56
; NumVgprs: 105
; NumAgprs: 0
; TotalNumVgprs: 105
; ScratchSize: 0
; MemoryBound: 0
; FloatMode: 240
; IeeeMode: 1
; LDSByteSize: 16896 bytes/workgroup (compile time only)
; SGPRBlocks: 6
; VGPRBlocks: 13
; NumSGPRsForWavesPerEU: 56
; NumVGPRsForWavesPerEU: 105
; AccumOffset: 108
; Occupancy: 3
; WaveLimiterHint : 1
; COMPUTE_PGM_RSRC2:SCRATCH_EN: 0
; COMPUTE_PGM_RSRC2:USER_SGPR: 6
; COMPUTE_PGM_RSRC2:TRAP_HANDLER: 0
; COMPUTE_PGM_RSRC2:TGID_X_EN: 1
; COMPUTE_PGM_RSRC2:TGID_Y_EN: 1
; COMPUTE_PGM_RSRC2:TGID_Z_EN: 1
; COMPUTE_PGM_RSRC2:TIDIG_COMP_CNT: 2
; COMPUTE_PGM_RSRC3_GFX90A:ACCUM_OFFSET: 26
; COMPUTE_PGM_RSRC3_GFX90A:TG_SPLIT: 0
	.section	.text._ZN2at6native18radixSortKVInPlaceILin1ELin1ELi128ELi8EhljEEvNS_4cuda6detail10TensorInfoIT3_T5_EES6_S6_S6_NS4_IT4_S6_EES6_b,"axG",@progbits,_ZN2at6native18radixSortKVInPlaceILin1ELin1ELi128ELi8EhljEEvNS_4cuda6detail10TensorInfoIT3_T5_EES6_S6_S6_NS4_IT4_S6_EES6_b,comdat
	.protected	_ZN2at6native18radixSortKVInPlaceILin1ELin1ELi128ELi8EhljEEvNS_4cuda6detail10TensorInfoIT3_T5_EES6_S6_S6_NS4_IT4_S6_EES6_b ; -- Begin function _ZN2at6native18radixSortKVInPlaceILin1ELin1ELi128ELi8EhljEEvNS_4cuda6detail10TensorInfoIT3_T5_EES6_S6_S6_NS4_IT4_S6_EES6_b
	.globl	_ZN2at6native18radixSortKVInPlaceILin1ELin1ELi128ELi8EhljEEvNS_4cuda6detail10TensorInfoIT3_T5_EES6_S6_S6_NS4_IT4_S6_EES6_b
	.p2align	8
	.type	_ZN2at6native18radixSortKVInPlaceILin1ELin1ELi128ELi8EhljEEvNS_4cuda6detail10TensorInfoIT3_T5_EES6_S6_S6_NS4_IT4_S6_EES6_b,@function
_ZN2at6native18radixSortKVInPlaceILin1ELin1ELi128ELi8EhljEEvNS_4cuda6detail10TensorInfoIT3_T5_EES6_S6_S6_NS4_IT4_S6_EES6_b: ; @_ZN2at6native18radixSortKVInPlaceILin1ELin1ELi128ELi8EhljEEvNS_4cuda6detail10TensorInfoIT3_T5_EES6_S6_S6_NS4_IT4_S6_EES6_b
; %bb.0:
	s_load_dwordx2 s[0:1], s[4:5], 0x1c8
	s_load_dwordx4 s[20:23], s[4:5], 0xd8
	s_add_u32 s26, s4, 0x1c8
	s_addc_u32 s27, s5, 0
	s_waitcnt lgkmcnt(0)
	s_mul_i32 s1, s1, s8
	s_add_i32 s1, s1, s7
	s_mul_i32 s0, s1, s0
	s_add_i32 s23, s0, s6
	s_cmp_ge_u32 s23, s20
	s_cbranch_scc1 .LBB92_105
; %bb.1:
	s_load_dword s2, s[4:5], 0xd0
	s_mov_b32 s1, 0
	s_mov_b32 s0, s23
	s_waitcnt lgkmcnt(0)
	s_cmp_lt_i32 s2, 2
	s_cbranch_scc1 .LBB92_4
; %bb.2:
	s_add_i32 s0, s2, -1
	s_add_i32 s6, s2, 1
	s_lshl_b64 s[2:3], s[0:1], 2
	s_add_u32 s0, s2, s4
	s_addc_u32 s3, s3, s5
	s_add_u32 s2, s0, 8
	s_addc_u32 s3, s3, 0
	s_mov_b32 s0, s23
.LBB92_3:                               ; =>This Inner Loop Header: Depth=1
	s_load_dword s7, s[2:3], 0x0
	s_load_dword s9, s[2:3], 0x64
	s_mov_b32 s8, s0
	s_waitcnt lgkmcnt(0)
	v_cvt_f32_u32_e32 v1, s7
	s_sub_i32 s0, 0, s7
	v_rcp_iflag_f32_e32 v1, v1
	v_mul_f32_e32 v1, 0x4f7ffffe, v1
	v_cvt_u32_f32_e32 v1, v1
	v_readfirstlane_b32 s10, v1
	s_mul_i32 s0, s0, s10
	s_mul_hi_u32 s0, s10, s0
	s_add_i32 s10, s10, s0
	s_mul_hi_u32 s0, s8, s10
	s_mul_i32 s10, s0, s7
	s_sub_i32 s10, s8, s10
	s_add_i32 s11, s0, 1
	s_sub_i32 s12, s10, s7
	s_cmp_ge_u32 s10, s7
	s_cselect_b32 s0, s11, s0
	s_cselect_b32 s10, s12, s10
	s_add_i32 s11, s0, 1
	s_cmp_ge_u32 s10, s7
	s_cselect_b32 s0, s11, s0
	s_mul_i32 s7, s0, s7
	s_sub_i32 s7, s8, s7
	s_mul_i32 s7, s9, s7
	s_add_i32 s6, s6, -1
	s_add_i32 s1, s7, s1
	s_add_u32 s2, s2, -4
	s_addc_u32 s3, s3, -1
	s_cmp_gt_u32 s6, 2
	s_cbranch_scc1 .LBB92_3
.LBB92_4:
	s_load_dword s2, s[4:5], 0x1b8
	s_mov_b32 s31, 0
	s_waitcnt lgkmcnt(0)
	s_cmp_lt_i32 s2, 2
	s_cbranch_scc1 .LBB92_7
; %bb.5:
	s_add_i32 s30, s2, -1
	s_add_i32 s6, s2, 1
	s_lshl_b64 s[2:3], s[30:31], 2
	s_add_u32 s2, s2, s4
	s_addc_u32 s3, s3, s5
	s_add_u32 s2, s2, 0xf0
	s_addc_u32 s3, s3, 0
.LBB92_6:                               ; =>This Inner Loop Header: Depth=1
	s_load_dword s7, s[2:3], 0x0
	s_load_dword s9, s[2:3], 0x64
	s_mov_b32 s8, s23
	s_waitcnt lgkmcnt(0)
	v_cvt_f32_u32_e32 v1, s7
	s_sub_i32 s10, 0, s7
	v_rcp_iflag_f32_e32 v1, v1
	v_mul_f32_e32 v1, 0x4f7ffffe, v1
	v_cvt_u32_f32_e32 v1, v1
	v_readfirstlane_b32 s11, v1
	s_mul_i32 s10, s10, s11
	s_mul_hi_u32 s10, s11, s10
	s_add_i32 s11, s11, s10
	s_mul_hi_u32 s10, s23, s11
	s_mul_i32 s11, s10, s7
	s_sub_i32 s11, s23, s11
	s_add_i32 s12, s10, 1
	s_sub_i32 s13, s11, s7
	s_cmp_ge_u32 s11, s7
	s_cselect_b32 s10, s12, s10
	s_cselect_b32 s11, s13, s11
	s_add_i32 s12, s10, 1
	s_cmp_ge_u32 s11, s7
	s_cselect_b32 s23, s12, s10
	s_mul_i32 s7, s23, s7
	s_sub_i32 s7, s8, s7
	s_mul_i32 s7, s9, s7
	s_add_i32 s6, s6, -1
	s_add_i32 s31, s7, s31
	s_add_u32 s2, s2, -4
	s_addc_u32 s3, s3, -1
	s_cmp_gt_u32 s6, 2
	s_cbranch_scc1 .LBB92_6
.LBB92_7:
	s_load_dword s2, s[4:5], 0x6c
	s_load_dwordx2 s[18:19], s[4:5], 0x1c0
	s_load_dwordx2 s[6:7], s[4:5], 0x0
	v_and_b32_e32 v36, 0x3ff, v0
	v_mul_lo_u32 v37, v36, s22
	s_waitcnt lgkmcnt(0)
	s_mul_i32 s0, s2, s0
	s_add_i32 s2, s0, s1
	s_bitcmp1_b32 s19, 0
	s_cselect_b64 s[0:1], -1, 0
	s_add_u32 s24, s6, s2
	s_addc_u32 s25, s7, 0
	s_xor_b64 s[28:29], s[0:1], -1
	v_cndmask_b32_e64 v1, 0, -1, s[28:29]
	v_lshlrev_b16_e32 v2, 8, v1
	v_or_b32_sdwa v2, v1, v2 dst_sel:DWORD dst_unused:UNUSED_PAD src0_sel:BYTE_0 src1_sel:DWORD
	v_lshlrev_b32_e32 v3, 16, v2
	v_or_b32_sdwa v2, v2, v3 dst_sel:DWORD dst_unused:UNUSED_PAD src0_sel:WORD_0 src1_sel:DWORD
	v_mov_b32_e32 v3, v2
	v_cmp_gt_u32_e64 s[0:1], s21, v36
	s_and_saveexec_b64 s[2:3], s[0:1]
	s_cbranch_execz .LBB92_9
; %bb.8:
	global_load_ubyte v1, v37, s[24:25]
	s_mov_b32 s6, 0x3020104
	v_mov_b32_e32 v5, v2
	s_waitcnt vmcnt(0)
	v_perm_b32 v4, v1, v2, s6
	v_pk_mov_b32 v[2:3], v[4:5], v[4:5] op_sel:[0,1]
.LBB92_9:
	s_or_b64 exec, exec, s[2:3]
	v_add_u32_e32 v32, 0x80, v36
	v_cmp_gt_u32_e64 s[2:3], s21, v32
	s_and_saveexec_b64 s[6:7], s[2:3]
	s_cbranch_execz .LBB92_11
; %bb.10:
	v_mul_lo_u32 v4, v32, s22
	global_load_ubyte v4, v4, s[24:25]
	s_mov_b32 s8, 0x7060004
	s_waitcnt vmcnt(0)
	v_perm_b32 v2, v2, v4, s8
.LBB92_11:
	s_or_b64 exec, exec, s[6:7]
	v_add_u32_e32 v31, 0x100, v36
	v_cmp_gt_u32_e64 s[16:17], s21, v31
	s_and_saveexec_b64 s[6:7], s[16:17]
	s_cbranch_execz .LBB92_13
; %bb.12:
	v_mul_lo_u32 v4, v31, s22
	global_load_ubyte v4, v4, s[24:25]
	s_movk_i32 s8, 0xff00
	v_and_b32_sdwa v5, v2, s8 dst_sel:DWORD dst_unused:UNUSED_PAD src0_sel:WORD_1 src1_sel:DWORD
	s_mov_b32 s8, 0xffff
	s_waitcnt vmcnt(0)
	v_or_b32_sdwa v4, v4, v5 dst_sel:WORD_1 dst_unused:UNUSED_PAD src0_sel:DWORD src1_sel:DWORD
	v_and_or_b32 v2, v2, s8, v4
.LBB92_13:
	s_or_b64 exec, exec, s[6:7]
	v_add_u32_e32 v30, 0x180, v36
	v_cmp_gt_u32_e64 s[6:7], s21, v30
	s_and_saveexec_b64 s[8:9], s[6:7]
	s_cbranch_execz .LBB92_15
; %bb.14:
	v_mul_lo_u32 v4, v30, s22
	global_load_ubyte v4, v4, s[24:25]
	s_movk_i32 s10, 0xff
	v_and_b32_sdwa v5, v2, s10 dst_sel:DWORD dst_unused:UNUSED_PAD src0_sel:WORD_1 src1_sel:DWORD
	s_mov_b32 s10, 0xffff
	s_waitcnt vmcnt(0)
	v_lshlrev_b16_e32 v4, 8, v4
	v_or_b32_sdwa v4, v5, v4 dst_sel:WORD_1 dst_unused:UNUSED_PAD src0_sel:DWORD src1_sel:DWORD
	v_and_or_b32 v2, v2, s10, v4
.LBB92_15:
	s_or_b64 exec, exec, s[8:9]
	v_add_u32_e32 v29, 0x200, v36
	v_cmp_gt_u32_e64 s[8:9], s21, v29
	s_and_saveexec_b64 s[10:11], s[8:9]
	s_cbranch_execz .LBB92_17
; %bb.16:
	v_mul_lo_u32 v4, v29, s22
	global_load_ubyte v4, v4, s[24:25]
	s_mov_b32 s12, 0x3020104
	s_waitcnt vmcnt(0)
	v_perm_b32 v3, v4, v3, s12
.LBB92_17:
	s_or_b64 exec, exec, s[10:11]
	v_add_u32_e32 v28, 0x280, v36
	v_cmp_gt_u32_e64 s[10:11], s21, v28
	s_and_saveexec_b64 s[12:13], s[10:11]
	s_cbranch_execz .LBB92_19
; %bb.18:
	v_mul_lo_u32 v4, v28, s22
	global_load_ubyte v4, v4, s[24:25]
	s_mov_b32 s14, 0x7060004
	s_waitcnt vmcnt(0)
	v_perm_b32 v3, v3, v4, s14
.LBB92_19:
	s_or_b64 exec, exec, s[12:13]
	s_load_dwordx2 s[34:35], s[4:5], 0xe8
	v_add_u32_e32 v27, 0x300, v36
	v_cmp_gt_u32_e64 s[12:13], s21, v27
	s_and_saveexec_b64 s[14:15], s[12:13]
	s_cbranch_execz .LBB92_21
; %bb.20:
	v_mul_lo_u32 v4, v27, s22
	global_load_ubyte v4, v4, s[24:25]
	s_mov_b32 s19, 0x7000504
	s_waitcnt vmcnt(0)
	v_perm_b32 v3, v3, v4, s19
.LBB92_21:
	s_or_b64 exec, exec, s[14:15]
	s_load_dword s19, s[4:5], 0x154
	v_add_u32_e32 v22, 0x380, v36
	v_cmp_gt_u32_e64 s[14:15], s21, v22
	s_and_saveexec_b64 s[4:5], s[14:15]
	s_cbranch_execz .LBB92_23
; %bb.22:
	v_mul_lo_u32 v4, v22, s22
	global_load_ubyte v4, v4, s[24:25]
	s_mov_b32 s20, 0x60504
	s_waitcnt vmcnt(0)
	v_perm_b32 v3, v3, v4, s20
.LBB92_23:
	s_or_b64 exec, exec, s[4:5]
	v_lshrrev_b32_e32 v26, 5, v36
	v_and_b32_e32 v4, 28, v26
	v_add_u32_e32 v44, v4, v36
	v_lshrrev_b32_e32 v25, 5, v32
	ds_write_b8 v44, v1
	v_and_b32_e32 v1, 60, v25
	v_lshrrev_b32_e32 v24, 5, v31
	v_add_u32_e32 v45, v1, v36
	v_and_b32_e32 v1, 60, v24
	v_lshrrev_b32_e32 v23, 5, v30
	v_add_u32_e32 v46, v1, v36
	;; [unrolled: 3-line block ×3, first 2 shown]
	v_and_b32_e32 v1, 60, v21
	v_lshrrev_b32_e32 v19, 5, v28
	v_lshrrev_b32_e32 v4, 8, v2
	v_add_u32_e32 v48, v1, v36
	v_and_b32_e32 v1, 60, v19
	v_lshrrev_b32_e32 v18, 5, v27
	ds_write_b8 v45, v4 offset:128
	ds_write_b8_d16_hi v46, v2 offset:256
	v_lshrrev_b32_e32 v2, 24, v2
	v_add_u32_e32 v49, v1, v36
	v_and_b32_e32 v1, 60, v18
	ds_write_b8 v47, v2 offset:384
	v_lshrrev_b32_e32 v2, 8, v3
	v_add_u32_e32 v50, v1, v36
	v_lshrrev_b32_e32 v1, 5, v22
	ds_write_b8 v48, v3 offset:512
	ds_write_b8 v49, v2 offset:640
	v_and_b32_e32 v2, 60, v1
	v_lshrrev_b32_e32 v20, 2, v36
	v_add_u32_e32 v51, v2, v36
	v_lshlrev_b32_e32 v53, 3, v36
	v_and_b32_e32 v2, 0xfc, v20
	ds_write_b8_d16_hi v50, v3 offset:768
	v_lshrrev_b32_e32 v3, 24, v3
	v_add_u32_e32 v52, v2, v53
	s_waitcnt lgkmcnt(0)
	s_mul_i32 s4, s19, s23
	ds_write_b8 v51, v3 offset:896
	s_waitcnt lgkmcnt(0)
	s_barrier
	ds_read_b64 v[38:39], v52
	s_add_i32 s36, s4, s31
	s_mov_b32 s37, 0
	s_lshl_b64 s[4:5], s[36:37], 3
	s_mov_b32 s36, s37
	s_add_u32 s19, s34, s4
	s_mov_b32 s38, s37
	s_mov_b32 s39, s37
	;; [unrolled: 1-line block ×14, first 2 shown]
	v_pk_mov_b32 v[2:3], s[36:37], s[36:37] op_sel:[0,1]
	s_addc_u32 s20, s35, s5
	v_pk_mov_b32 v[4:5], s[38:39], s[38:39] op_sel:[0,1]
	v_pk_mov_b32 v[6:7], s[40:41], s[40:41] op_sel:[0,1]
	;; [unrolled: 1-line block ×7, first 2 shown]
	v_pk_mov_b32 v[2:3], 0, 0
	v_mul_lo_u32 v34, v36, s18
	s_waitcnt lgkmcnt(0)
	s_barrier
	s_and_saveexec_b64 s[4:5], s[0:1]
	s_cbranch_execnz .LBB92_56
; %bb.24:
	s_or_b64 exec, exec, s[4:5]
	s_and_saveexec_b64 s[4:5], s[2:3]
	s_cbranch_execnz .LBB92_57
.LBB92_25:
	s_or_b64 exec, exec, s[4:5]
	s_and_saveexec_b64 s[4:5], s[16:17]
	s_cbranch_execnz .LBB92_58
.LBB92_26:
	s_or_b64 exec, exec, s[4:5]
	s_and_saveexec_b64 s[4:5], s[6:7]
	s_cbranch_execnz .LBB92_59
.LBB92_27:
	s_or_b64 exec, exec, s[4:5]
	s_and_saveexec_b64 s[4:5], s[8:9]
	s_cbranch_execnz .LBB92_60
.LBB92_28:
	s_or_b64 exec, exec, s[4:5]
	s_and_saveexec_b64 s[4:5], s[10:11]
	s_cbranch_execnz .LBB92_61
.LBB92_29:
	s_or_b64 exec, exec, s[4:5]
	s_and_saveexec_b64 s[4:5], s[12:13]
	s_cbranch_execnz .LBB92_62
.LBB92_30:
	s_or_b64 exec, exec, s[4:5]
	s_and_saveexec_b64 s[4:5], s[14:15]
	s_cbranch_execz .LBB92_32
.LBB92_31:
	v_mul_lo_u32 v16, v22, s18
	v_mov_b32_e32 v17, 0
	v_lshlrev_b64 v[16:17], 3, v[16:17]
	v_mov_b32_e32 v22, s20
	v_add_co_u32_e32 v16, vcc, s19, v16
	v_addc_co_u32_e32 v17, vcc, v22, v17, vcc
	global_load_dwordx2 v[16:17], v[16:17], off
.LBB92_32:
	s_or_b64 exec, exec, s[4:5]
	v_lshrrev_b64 v[40:41], 24, v[38:39]
	v_add_lshl_u32 v41, v26, v36, 3
	v_add_lshl_u32 v35, v25, v36, 3
	v_add_lshl_u32 v54, v24, v36, 3
	v_add_lshl_u32 v55, v23, v36, 3
	v_add_lshl_u32 v56, v21, v36, 3
	v_add_lshl_u32 v57, v19, v36, 3
	v_add_lshl_u32 v58, v18, v36, 3
	v_add_lshl_u32 v59, v1, v36, 3
	v_add_lshl_u32 v60, v20, v53, 3
	s_waitcnt vmcnt(0)
	ds_write_b64 v41, v[2:3]
	ds_write_b64 v35, v[4:5] offset:1024
	ds_write_b64 v54, v[6:7] offset:2048
	;; [unrolled: 1-line block ×7, first 2 shown]
	s_waitcnt lgkmcnt(0)
	s_barrier
	ds_read2_b64 v[14:17], v60 offset1:1
	ds_read2_b64 v[10:13], v60 offset0:2 offset1:3
	ds_read2_b64 v[6:9], v60 offset0:4 offset1:5
	;; [unrolled: 1-line block ×3, first 2 shown]
	v_lshrrev_b32_e32 v64, 8, v38
	v_lshrrev_b32_e32 v65, 8, v39
	s_and_b64 vcc, exec, s[28:29]
	v_bfe_u32 v62, v0, 10, 10
	v_bfe_u32 v63, v0, 20, 10
	v_mbcnt_lo_u32_b32 v66, -1, 0
	v_lshlrev_b32_e32 v61, 4, v36
	s_waitcnt lgkmcnt(0)
	s_barrier
	s_cbranch_vccz .LBB92_63
; %bb.33:
	s_movk_i32 s4, 0xff
	v_mov_b32_e32 v1, 8
	v_lshlrev_b16_e32 v0, 8, v65
	v_lshlrev_b16_sdwa v1, v1, v39 dst_sel:DWORD dst_unused:UNUSED_PAD src0_sel:DWORD src1_sel:BYTE_3
	v_and_b32_sdwa v20, v39, s4 dst_sel:DWORD dst_unused:UNUSED_PAD src0_sel:WORD_1 src1_sel:DWORD
	v_or_b32_sdwa v0, v39, v0 dst_sel:DWORD dst_unused:UNUSED_PAD src0_sel:BYTE_0 src1_sel:DWORD
	v_or_b32_sdwa v1, v20, v1 dst_sel:WORD_1 dst_unused:UNUSED_PAD src0_sel:DWORD src1_sel:DWORD
	v_mbcnt_hi_u32_b32 v75, -1, v66
	v_and_b32_e32 v76, 0x3c0, v36
	v_or_b32_sdwa v1, v0, v1 dst_sel:DWORD dst_unused:UNUSED_PAD src0_sel:WORD_0 src1_sel:DWORD
	v_lshlrev_b16_e32 v0, 8, v64
	v_lshlrev_b16_e32 v20, 8, v40
	v_and_b32_sdwa v21, v38, s4 dst_sel:DWORD dst_unused:UNUSED_PAD src0_sel:WORD_1 src1_sel:DWORD
	v_add_u32_e32 v18, v75, v76
	v_or_b32_sdwa v0, v38, v0 dst_sel:DWORD dst_unused:UNUSED_PAD src0_sel:BYTE_0 src1_sel:DWORD
	v_or_b32_sdwa v20, v21, v20 dst_sel:WORD_1 dst_unused:UNUSED_PAD src0_sel:DWORD src1_sel:DWORD
	v_lshlrev_b32_e32 v19, 3, v18
	v_or_b32_sdwa v0, v0, v20 dst_sel:DWORD dst_unused:UNUSED_PAD src0_sel:WORD_0 src1_sel:DWORD
	s_movk_i32 s4, 0x1e00
	ds_write_b64 v19, v[0:1]
	v_and_or_b32 v0, v53, s4, v75
	; wave barrier
	ds_read_u8 v67, v0
	ds_read_u8 v68, v0 offset:64
	ds_read_u8 v69, v0 offset:128
	;; [unrolled: 1-line block ×7, first 2 shown]
	v_lshlrev_b32_e32 v1, 6, v18
	v_lshlrev_b32_e32 v0, 3, v0
	s_getpc_b64 s[4:5]
	s_add_u32 s4, s4, _ZN7rocprim17ROCPRIM_400000_NS16block_radix_sortIhLj128ELj8ElLj1ELj1ELj0ELNS0_26block_radix_rank_algorithmE1ELNS0_18block_padding_hintE2ELNS0_4arch9wavefront6targetE1EE19radix_bits_per_passE@rel32@lo+4
	s_addc_u32 s5, s5, _ZN7rocprim17ROCPRIM_400000_NS16block_radix_sortIhLj128ELj8ElLj1ELj1ELj0ELNS0_26block_radix_rank_algorithmE1ELNS0_18block_padding_hintE2ELNS0_4arch9wavefront6targetE1EE19radix_bits_per_passE@rel32@hi+12
	s_waitcnt lgkmcnt(0)
	s_barrier
	ds_write2_b64 v1, v[14:15], v[16:17] offset1:1
	ds_write2_b64 v1, v[10:11], v[12:13] offset0:2 offset1:3
	ds_write2_b64 v1, v[6:7], v[8:9] offset0:4 offset1:5
	;; [unrolled: 1-line block ×3, first 2 shown]
	; wave barrier
	ds_read2st64_b64 v[30:33], v0 offset1:1
	ds_read2st64_b64 v[26:29], v0 offset0:2 offset1:3
	ds_read2st64_b64 v[22:25], v0 offset0:4 offset1:5
	;; [unrolled: 1-line block ×3, first 2 shown]
	s_waitcnt lgkmcnt(0)
	s_barrier
	s_load_dword s21, s[4:5], 0x0
	s_load_dword s23, s[26:27], 0xc
	v_mov_b32_e32 v79, 1
	v_mov_b32_e32 v0, 0
	ds_write2_b32 v61, v0, v0 offset0:2 offset1:3
	ds_write2_b32 v61, v0, v0 offset0:4 offset1:5
	s_waitcnt lgkmcnt(0)
	s_min_u32 s21, s21, 8
	s_lshr_b32 s4, s23, 16
	s_and_b32 s5, s23, 0xffff
	v_mad_u32_u24 v1, v63, s4, v62
	v_mad_u64_u32 v[42:43], s[4:5], v1, s5, v[36:37]
	s_lshl_b32 s4, -1, s21
	s_not_b32 s21, s4
	v_lshrrev_b32_e32 v82, 6, v42
	v_and_b32_e32 v42, s21, v67
	v_lshlrev_b32_sdwa v1, v79, v42 dst_sel:DWORD dst_unused:UNUSED_PAD src0_sel:DWORD src1_sel:BYTE_0
	v_add_lshl_u32 v77, v82, v1, 2
	v_and_b32_e32 v1, 1, v42
	v_add_co_u32_e32 v43, vcc, -1, v1
	v_addc_co_u32_e64 v78, s[4:5], 0, -1, vcc
	v_cmp_ne_u32_e32 vcc, 0, v1
	v_xor_b32_e32 v1, vcc_hi, v78
	v_and_b32_e32 v78, exec_hi, v1
	v_lshlrev_b32_e32 v1, 30, v42
	v_xor_b32_e32 v43, vcc_lo, v43
	v_cmp_gt_i64_e32 vcc, 0, v[0:1]
	v_not_b32_e32 v1, v1
	v_ashrrev_i32_e32 v1, 31, v1
	v_and_b32_e32 v43, exec_lo, v43
	v_xor_b32_e32 v80, vcc_hi, v1
	v_xor_b32_e32 v1, vcc_lo, v1
	v_and_b32_e32 v43, v43, v1
	v_lshlrev_b32_e32 v1, 29, v42
	v_cmp_gt_i64_e32 vcc, 0, v[0:1]
	v_not_b32_e32 v1, v1
	v_ashrrev_i32_e32 v1, 31, v1
	v_and_b32_e32 v78, v78, v80
	v_xor_b32_e32 v80, vcc_hi, v1
	v_xor_b32_e32 v1, vcc_lo, v1
	v_and_b32_e32 v43, v43, v1
	v_lshlrev_b32_e32 v1, 28, v42
	v_cmp_gt_i64_e32 vcc, 0, v[0:1]
	v_not_b32_e32 v1, v1
	v_ashrrev_i32_e32 v1, 31, v1
	v_and_b32_e32 v78, v78, v80
	;; [unrolled: 8-line block ×5, first 2 shown]
	v_xor_b32_e32 v80, vcc_hi, v1
	v_xor_b32_e32 v1, vcc_lo, v1
	v_and_b32_e32 v78, v78, v80
	v_and_b32_e32 v80, v43, v1
	v_lshlrev_b32_e32 v1, 24, v42
	v_cmp_gt_i64_e32 vcc, 0, v[0:1]
	v_not_b32_e32 v1, v1
	v_ashrrev_i32_e32 v1, 31, v1
	v_xor_b32_e32 v42, vcc_hi, v1
	v_xor_b32_e32 v1, vcc_lo, v1
	v_and_b32_e32 v43, v78, v42
	v_and_b32_e32 v42, v80, v1
	v_mbcnt_lo_u32_b32 v1, v42, 0
	v_mbcnt_hi_u32_b32 v78, v43, v1
	v_cmp_eq_u32_e32 vcc, 0, v78
	v_cmp_ne_u64_e64 s[4:5], 0, v[42:43]
	s_and_b64 s[28:29], s[4:5], vcc
	s_barrier
	s_waitcnt lgkmcnt(0)
	; wave barrier
	s_and_saveexec_b64 s[4:5], s[28:29]
	s_cbranch_execz .LBB92_35
; %bb.34:
	v_bcnt_u32_b32 v1, v42, 0
	v_bcnt_u32_b32 v1, v43, v1
	ds_write_b32 v77, v1 offset:8
.LBB92_35:
	s_or_b64 exec, exec, s[4:5]
	v_and_b32_e32 v42, s21, v68
	v_lshlrev_b32_sdwa v1, v79, v42 dst_sel:DWORD dst_unused:UNUSED_PAD src0_sel:DWORD src1_sel:BYTE_0
	v_add_lshl_u32 v80, v82, v1, 2
	v_and_b32_e32 v1, 1, v42
	v_add_co_u32_e32 v43, vcc, -1, v1
	v_addc_co_u32_e64 v81, s[4:5], 0, -1, vcc
	v_cmp_ne_u32_e32 vcc, 0, v1
	v_xor_b32_e32 v1, vcc_hi, v81
	v_and_b32_e32 v81, exec_hi, v1
	v_lshlrev_b32_e32 v1, 30, v42
	v_xor_b32_e32 v43, vcc_lo, v43
	v_cmp_gt_i64_e32 vcc, 0, v[0:1]
	v_not_b32_e32 v1, v1
	v_ashrrev_i32_e32 v1, 31, v1
	v_and_b32_e32 v43, exec_lo, v43
	v_xor_b32_e32 v83, vcc_hi, v1
	v_xor_b32_e32 v1, vcc_lo, v1
	v_and_b32_e32 v43, v43, v1
	v_lshlrev_b32_e32 v1, 29, v42
	v_cmp_gt_i64_e32 vcc, 0, v[0:1]
	v_not_b32_e32 v1, v1
	v_ashrrev_i32_e32 v1, 31, v1
	v_and_b32_e32 v81, v81, v83
	v_xor_b32_e32 v83, vcc_hi, v1
	v_xor_b32_e32 v1, vcc_lo, v1
	v_and_b32_e32 v43, v43, v1
	v_lshlrev_b32_e32 v1, 28, v42
	v_cmp_gt_i64_e32 vcc, 0, v[0:1]
	v_not_b32_e32 v1, v1
	v_ashrrev_i32_e32 v1, 31, v1
	v_and_b32_e32 v81, v81, v83
	;; [unrolled: 8-line block ×5, first 2 shown]
	v_xor_b32_e32 v83, vcc_hi, v1
	v_xor_b32_e32 v1, vcc_lo, v1
	v_and_b32_e32 v43, v43, v1
	v_lshlrev_b32_e32 v1, 24, v42
	v_cmp_gt_i64_e32 vcc, 0, v[0:1]
	v_not_b32_e32 v0, v1
	v_ashrrev_i32_e32 v0, 31, v0
	v_xor_b32_e32 v1, vcc_hi, v0
	v_xor_b32_e32 v0, vcc_lo, v0
	; wave barrier
	ds_read_b32 v79, v80 offset:8
	v_and_b32_e32 v81, v81, v83
	v_and_b32_e32 v0, v43, v0
	;; [unrolled: 1-line block ×3, first 2 shown]
	v_mbcnt_lo_u32_b32 v42, v0, 0
	v_mbcnt_hi_u32_b32 v81, v1, v42
	v_cmp_eq_u32_e32 vcc, 0, v81
	v_cmp_ne_u64_e64 s[4:5], 0, v[0:1]
	s_and_b64 s[28:29], s[4:5], vcc
	; wave barrier
	s_and_saveexec_b64 s[4:5], s[28:29]
	s_cbranch_execz .LBB92_37
; %bb.36:
	v_bcnt_u32_b32 v0, v0, 0
	v_bcnt_u32_b32 v0, v1, v0
	s_waitcnt lgkmcnt(0)
	v_add_u32_e32 v0, v79, v0
	ds_write_b32 v80, v0 offset:8
.LBB92_37:
	s_or_b64 exec, exec, s[4:5]
	v_and_b32_e32 v42, s21, v69
	v_and_b32_e32 v1, 1, v42
	v_add_co_u32_e32 v43, vcc, -1, v1
	v_mov_b32_e32 v86, 1
	v_addc_co_u32_e64 v85, s[4:5], 0, -1, vcc
	v_cmp_ne_u32_e32 vcc, 0, v1
	v_lshlrev_b32_sdwa v0, v86, v42 dst_sel:DWORD dst_unused:UNUSED_PAD src0_sel:DWORD src1_sel:BYTE_0
	v_xor_b32_e32 v1, vcc_hi, v85
	v_add_lshl_u32 v84, v82, v0, 2
	v_mov_b32_e32 v0, 0
	v_and_b32_e32 v85, exec_hi, v1
	v_lshlrev_b32_e32 v1, 30, v42
	v_xor_b32_e32 v43, vcc_lo, v43
	v_cmp_gt_i64_e32 vcc, 0, v[0:1]
	v_not_b32_e32 v1, v1
	v_ashrrev_i32_e32 v1, 31, v1
	v_and_b32_e32 v43, exec_lo, v43
	v_xor_b32_e32 v87, vcc_hi, v1
	v_xor_b32_e32 v1, vcc_lo, v1
	v_and_b32_e32 v43, v43, v1
	v_lshlrev_b32_e32 v1, 29, v42
	v_cmp_gt_i64_e32 vcc, 0, v[0:1]
	v_not_b32_e32 v1, v1
	v_ashrrev_i32_e32 v1, 31, v1
	v_and_b32_e32 v85, v85, v87
	v_xor_b32_e32 v87, vcc_hi, v1
	v_xor_b32_e32 v1, vcc_lo, v1
	v_and_b32_e32 v43, v43, v1
	v_lshlrev_b32_e32 v1, 28, v42
	v_cmp_gt_i64_e32 vcc, 0, v[0:1]
	v_not_b32_e32 v1, v1
	v_ashrrev_i32_e32 v1, 31, v1
	v_and_b32_e32 v85, v85, v87
	;; [unrolled: 8-line block ×5, first 2 shown]
	v_xor_b32_e32 v87, vcc_hi, v1
	v_xor_b32_e32 v1, vcc_lo, v1
	v_and_b32_e32 v85, v85, v87
	v_and_b32_e32 v87, v43, v1
	v_lshlrev_b32_e32 v1, 24, v42
	v_cmp_gt_i64_e32 vcc, 0, v[0:1]
	v_not_b32_e32 v1, v1
	v_ashrrev_i32_e32 v1, 31, v1
	v_xor_b32_e32 v42, vcc_hi, v1
	v_xor_b32_e32 v1, vcc_lo, v1
	; wave barrier
	ds_read_b32 v83, v84 offset:8
	v_and_b32_e32 v43, v85, v42
	v_and_b32_e32 v42, v87, v1
	v_mbcnt_lo_u32_b32 v1, v42, 0
	v_mbcnt_hi_u32_b32 v85, v43, v1
	v_cmp_eq_u32_e32 vcc, 0, v85
	v_cmp_ne_u64_e64 s[4:5], 0, v[42:43]
	s_and_b64 s[28:29], s[4:5], vcc
	; wave barrier
	s_and_saveexec_b64 s[4:5], s[28:29]
	s_cbranch_execz .LBB92_39
; %bb.38:
	v_bcnt_u32_b32 v1, v42, 0
	v_bcnt_u32_b32 v1, v43, v1
	s_waitcnt lgkmcnt(0)
	v_add_u32_e32 v1, v83, v1
	ds_write_b32 v84, v1 offset:8
.LBB92_39:
	s_or_b64 exec, exec, s[4:5]
	v_and_b32_e32 v42, s21, v70
	v_lshlrev_b32_sdwa v1, v86, v42 dst_sel:DWORD dst_unused:UNUSED_PAD src0_sel:DWORD src1_sel:BYTE_0
	v_add_lshl_u32 v87, v82, v1, 2
	v_and_b32_e32 v1, 1, v42
	v_add_co_u32_e32 v43, vcc, -1, v1
	v_addc_co_u32_e64 v88, s[4:5], 0, -1, vcc
	v_cmp_ne_u32_e32 vcc, 0, v1
	v_xor_b32_e32 v1, vcc_hi, v88
	v_and_b32_e32 v88, exec_hi, v1
	v_lshlrev_b32_e32 v1, 30, v42
	v_xor_b32_e32 v43, vcc_lo, v43
	v_cmp_gt_i64_e32 vcc, 0, v[0:1]
	v_not_b32_e32 v1, v1
	v_ashrrev_i32_e32 v1, 31, v1
	v_and_b32_e32 v43, exec_lo, v43
	v_xor_b32_e32 v89, vcc_hi, v1
	v_xor_b32_e32 v1, vcc_lo, v1
	v_and_b32_e32 v43, v43, v1
	v_lshlrev_b32_e32 v1, 29, v42
	v_cmp_gt_i64_e32 vcc, 0, v[0:1]
	v_not_b32_e32 v1, v1
	v_ashrrev_i32_e32 v1, 31, v1
	v_and_b32_e32 v88, v88, v89
	v_xor_b32_e32 v89, vcc_hi, v1
	v_xor_b32_e32 v1, vcc_lo, v1
	v_and_b32_e32 v43, v43, v1
	v_lshlrev_b32_e32 v1, 28, v42
	v_cmp_gt_i64_e32 vcc, 0, v[0:1]
	v_not_b32_e32 v1, v1
	v_ashrrev_i32_e32 v1, 31, v1
	v_and_b32_e32 v88, v88, v89
	;; [unrolled: 8-line block ×5, first 2 shown]
	v_xor_b32_e32 v89, vcc_hi, v1
	v_xor_b32_e32 v1, vcc_lo, v1
	v_and_b32_e32 v43, v43, v1
	v_lshlrev_b32_e32 v1, 24, v42
	v_cmp_gt_i64_e32 vcc, 0, v[0:1]
	v_not_b32_e32 v0, v1
	v_ashrrev_i32_e32 v0, 31, v0
	v_xor_b32_e32 v1, vcc_hi, v0
	v_xor_b32_e32 v0, vcc_lo, v0
	; wave barrier
	ds_read_b32 v86, v87 offset:8
	v_and_b32_e32 v88, v88, v89
	v_and_b32_e32 v0, v43, v0
	;; [unrolled: 1-line block ×3, first 2 shown]
	v_mbcnt_lo_u32_b32 v42, v0, 0
	v_mbcnt_hi_u32_b32 v88, v1, v42
	v_cmp_eq_u32_e32 vcc, 0, v88
	v_cmp_ne_u64_e64 s[4:5], 0, v[0:1]
	s_and_b64 s[28:29], s[4:5], vcc
	; wave barrier
	s_and_saveexec_b64 s[4:5], s[28:29]
	s_cbranch_execz .LBB92_41
; %bb.40:
	v_bcnt_u32_b32 v0, v0, 0
	v_bcnt_u32_b32 v0, v1, v0
	s_waitcnt lgkmcnt(0)
	v_add_u32_e32 v0, v86, v0
	ds_write_b32 v87, v0 offset:8
.LBB92_41:
	s_or_b64 exec, exec, s[4:5]
	v_and_b32_e32 v42, s21, v71
	v_and_b32_e32 v1, 1, v42
	v_add_co_u32_e32 v43, vcc, -1, v1
	v_mov_b32_e32 v92, 1
	v_addc_co_u32_e64 v91, s[4:5], 0, -1, vcc
	v_cmp_ne_u32_e32 vcc, 0, v1
	v_lshlrev_b32_sdwa v0, v92, v42 dst_sel:DWORD dst_unused:UNUSED_PAD src0_sel:DWORD src1_sel:BYTE_0
	v_xor_b32_e32 v1, vcc_hi, v91
	v_add_lshl_u32 v90, v82, v0, 2
	v_mov_b32_e32 v0, 0
	v_and_b32_e32 v91, exec_hi, v1
	v_lshlrev_b32_e32 v1, 30, v42
	v_xor_b32_e32 v43, vcc_lo, v43
	v_cmp_gt_i64_e32 vcc, 0, v[0:1]
	v_not_b32_e32 v1, v1
	v_ashrrev_i32_e32 v1, 31, v1
	v_and_b32_e32 v43, exec_lo, v43
	v_xor_b32_e32 v93, vcc_hi, v1
	v_xor_b32_e32 v1, vcc_lo, v1
	v_and_b32_e32 v43, v43, v1
	v_lshlrev_b32_e32 v1, 29, v42
	v_cmp_gt_i64_e32 vcc, 0, v[0:1]
	v_not_b32_e32 v1, v1
	v_ashrrev_i32_e32 v1, 31, v1
	v_and_b32_e32 v91, v91, v93
	v_xor_b32_e32 v93, vcc_hi, v1
	v_xor_b32_e32 v1, vcc_lo, v1
	v_and_b32_e32 v43, v43, v1
	v_lshlrev_b32_e32 v1, 28, v42
	v_cmp_gt_i64_e32 vcc, 0, v[0:1]
	v_not_b32_e32 v1, v1
	v_ashrrev_i32_e32 v1, 31, v1
	v_and_b32_e32 v91, v91, v93
	v_xor_b32_e32 v93, vcc_hi, v1
	v_xor_b32_e32 v1, vcc_lo, v1
	v_and_b32_e32 v43, v43, v1
	v_lshlrev_b32_e32 v1, 27, v42
	v_cmp_gt_i64_e32 vcc, 0, v[0:1]
	v_not_b32_e32 v1, v1
	v_ashrrev_i32_e32 v1, 31, v1
	v_and_b32_e32 v91, v91, v93
	v_xor_b32_e32 v93, vcc_hi, v1
	v_xor_b32_e32 v1, vcc_lo, v1
	v_and_b32_e32 v43, v43, v1
	v_lshlrev_b32_e32 v1, 26, v42
	v_cmp_gt_i64_e32 vcc, 0, v[0:1]
	v_not_b32_e32 v1, v1
	v_ashrrev_i32_e32 v1, 31, v1
	v_and_b32_e32 v91, v91, v93
	v_xor_b32_e32 v93, vcc_hi, v1
	v_xor_b32_e32 v1, vcc_lo, v1
	v_and_b32_e32 v43, v43, v1
	v_lshlrev_b32_e32 v1, 25, v42
	v_cmp_gt_i64_e32 vcc, 0, v[0:1]
	v_not_b32_e32 v1, v1
	v_ashrrev_i32_e32 v1, 31, v1
	v_and_b32_e32 v91, v91, v93
	v_xor_b32_e32 v93, vcc_hi, v1
	v_xor_b32_e32 v1, vcc_lo, v1
	v_and_b32_e32 v91, v91, v93
	v_and_b32_e32 v93, v43, v1
	v_lshlrev_b32_e32 v1, 24, v42
	v_cmp_gt_i64_e32 vcc, 0, v[0:1]
	v_not_b32_e32 v1, v1
	v_ashrrev_i32_e32 v1, 31, v1
	v_xor_b32_e32 v42, vcc_hi, v1
	v_xor_b32_e32 v1, vcc_lo, v1
	; wave barrier
	ds_read_b32 v89, v90 offset:8
	v_and_b32_e32 v43, v91, v42
	v_and_b32_e32 v42, v93, v1
	v_mbcnt_lo_u32_b32 v1, v42, 0
	v_mbcnt_hi_u32_b32 v91, v43, v1
	v_cmp_eq_u32_e32 vcc, 0, v91
	v_cmp_ne_u64_e64 s[4:5], 0, v[42:43]
	s_and_b64 s[28:29], s[4:5], vcc
	; wave barrier
	s_and_saveexec_b64 s[4:5], s[28:29]
	s_cbranch_execz .LBB92_43
; %bb.42:
	v_bcnt_u32_b32 v1, v42, 0
	v_bcnt_u32_b32 v1, v43, v1
	s_waitcnt lgkmcnt(0)
	v_add_u32_e32 v1, v89, v1
	ds_write_b32 v90, v1 offset:8
.LBB92_43:
	s_or_b64 exec, exec, s[4:5]
	v_and_b32_e32 v42, s21, v72
	v_lshlrev_b32_sdwa v1, v92, v42 dst_sel:DWORD dst_unused:UNUSED_PAD src0_sel:DWORD src1_sel:BYTE_0
	v_add_lshl_u32 v93, v82, v1, 2
	v_and_b32_e32 v1, 1, v42
	v_add_co_u32_e32 v43, vcc, -1, v1
	v_addc_co_u32_e64 v94, s[4:5], 0, -1, vcc
	v_cmp_ne_u32_e32 vcc, 0, v1
	v_xor_b32_e32 v1, vcc_hi, v94
	v_and_b32_e32 v94, exec_hi, v1
	v_lshlrev_b32_e32 v1, 30, v42
	v_xor_b32_e32 v43, vcc_lo, v43
	v_cmp_gt_i64_e32 vcc, 0, v[0:1]
	v_not_b32_e32 v1, v1
	v_ashrrev_i32_e32 v1, 31, v1
	v_and_b32_e32 v43, exec_lo, v43
	v_xor_b32_e32 v95, vcc_hi, v1
	v_xor_b32_e32 v1, vcc_lo, v1
	v_and_b32_e32 v43, v43, v1
	v_lshlrev_b32_e32 v1, 29, v42
	v_cmp_gt_i64_e32 vcc, 0, v[0:1]
	v_not_b32_e32 v1, v1
	v_ashrrev_i32_e32 v1, 31, v1
	v_and_b32_e32 v94, v94, v95
	v_xor_b32_e32 v95, vcc_hi, v1
	v_xor_b32_e32 v1, vcc_lo, v1
	v_and_b32_e32 v43, v43, v1
	v_lshlrev_b32_e32 v1, 28, v42
	v_cmp_gt_i64_e32 vcc, 0, v[0:1]
	v_not_b32_e32 v1, v1
	v_ashrrev_i32_e32 v1, 31, v1
	v_and_b32_e32 v94, v94, v95
	;; [unrolled: 8-line block ×5, first 2 shown]
	v_xor_b32_e32 v95, vcc_hi, v1
	v_xor_b32_e32 v1, vcc_lo, v1
	v_and_b32_e32 v43, v43, v1
	v_lshlrev_b32_e32 v1, 24, v42
	v_cmp_gt_i64_e32 vcc, 0, v[0:1]
	v_not_b32_e32 v0, v1
	v_ashrrev_i32_e32 v0, 31, v0
	v_xor_b32_e32 v1, vcc_hi, v0
	v_xor_b32_e32 v0, vcc_lo, v0
	; wave barrier
	ds_read_b32 v92, v93 offset:8
	v_and_b32_e32 v94, v94, v95
	v_and_b32_e32 v0, v43, v0
	;; [unrolled: 1-line block ×3, first 2 shown]
	v_mbcnt_lo_u32_b32 v42, v0, 0
	v_mbcnt_hi_u32_b32 v94, v1, v42
	v_cmp_eq_u32_e32 vcc, 0, v94
	v_cmp_ne_u64_e64 s[4:5], 0, v[0:1]
	s_and_b64 s[28:29], s[4:5], vcc
	; wave barrier
	s_and_saveexec_b64 s[4:5], s[28:29]
	s_cbranch_execz .LBB92_45
; %bb.44:
	v_bcnt_u32_b32 v0, v0, 0
	v_bcnt_u32_b32 v0, v1, v0
	s_waitcnt lgkmcnt(0)
	v_add_u32_e32 v0, v92, v0
	ds_write_b32 v93, v0 offset:8
.LBB92_45:
	s_or_b64 exec, exec, s[4:5]
	v_and_b32_e32 v42, s21, v73
	v_and_b32_e32 v1, 1, v42
	v_add_co_u32_e32 v43, vcc, -1, v1
	v_mov_b32_e32 v98, 1
	v_addc_co_u32_e64 v97, s[4:5], 0, -1, vcc
	v_cmp_ne_u32_e32 vcc, 0, v1
	v_lshlrev_b32_sdwa v0, v98, v42 dst_sel:DWORD dst_unused:UNUSED_PAD src0_sel:DWORD src1_sel:BYTE_0
	v_xor_b32_e32 v1, vcc_hi, v97
	v_add_lshl_u32 v96, v82, v0, 2
	v_mov_b32_e32 v0, 0
	v_and_b32_e32 v97, exec_hi, v1
	v_lshlrev_b32_e32 v1, 30, v42
	v_xor_b32_e32 v43, vcc_lo, v43
	v_cmp_gt_i64_e32 vcc, 0, v[0:1]
	v_not_b32_e32 v1, v1
	v_ashrrev_i32_e32 v1, 31, v1
	v_and_b32_e32 v43, exec_lo, v43
	v_xor_b32_e32 v99, vcc_hi, v1
	v_xor_b32_e32 v1, vcc_lo, v1
	v_and_b32_e32 v43, v43, v1
	v_lshlrev_b32_e32 v1, 29, v42
	v_cmp_gt_i64_e32 vcc, 0, v[0:1]
	v_not_b32_e32 v1, v1
	v_ashrrev_i32_e32 v1, 31, v1
	v_and_b32_e32 v97, v97, v99
	v_xor_b32_e32 v99, vcc_hi, v1
	v_xor_b32_e32 v1, vcc_lo, v1
	v_and_b32_e32 v43, v43, v1
	v_lshlrev_b32_e32 v1, 28, v42
	v_cmp_gt_i64_e32 vcc, 0, v[0:1]
	v_not_b32_e32 v1, v1
	v_ashrrev_i32_e32 v1, 31, v1
	v_and_b32_e32 v97, v97, v99
	;; [unrolled: 8-line block ×5, first 2 shown]
	v_xor_b32_e32 v99, vcc_hi, v1
	v_xor_b32_e32 v1, vcc_lo, v1
	v_and_b32_e32 v97, v97, v99
	v_and_b32_e32 v99, v43, v1
	v_lshlrev_b32_e32 v1, 24, v42
	v_cmp_gt_i64_e32 vcc, 0, v[0:1]
	v_not_b32_e32 v1, v1
	v_ashrrev_i32_e32 v1, 31, v1
	v_xor_b32_e32 v42, vcc_hi, v1
	v_xor_b32_e32 v1, vcc_lo, v1
	; wave barrier
	ds_read_b32 v95, v96 offset:8
	v_and_b32_e32 v43, v97, v42
	v_and_b32_e32 v42, v99, v1
	v_mbcnt_lo_u32_b32 v1, v42, 0
	v_mbcnt_hi_u32_b32 v97, v43, v1
	v_cmp_eq_u32_e32 vcc, 0, v97
	v_cmp_ne_u64_e64 s[4:5], 0, v[42:43]
	s_and_b64 s[28:29], s[4:5], vcc
	; wave barrier
	s_and_saveexec_b64 s[4:5], s[28:29]
	s_cbranch_execz .LBB92_47
; %bb.46:
	v_bcnt_u32_b32 v1, v42, 0
	v_bcnt_u32_b32 v1, v43, v1
	s_waitcnt lgkmcnt(0)
	v_add_u32_e32 v1, v95, v1
	ds_write_b32 v96, v1 offset:8
.LBB92_47:
	s_or_b64 exec, exec, s[4:5]
	v_and_b32_e32 v42, s21, v74
	v_lshlrev_b32_sdwa v1, v98, v42 dst_sel:DWORD dst_unused:UNUSED_PAD src0_sel:DWORD src1_sel:BYTE_0
	v_add_lshl_u32 v98, v82, v1, 2
	v_and_b32_e32 v1, 1, v42
	v_add_co_u32_e32 v43, vcc, -1, v1
	v_addc_co_u32_e64 v100, s[4:5], 0, -1, vcc
	v_cmp_ne_u32_e32 vcc, 0, v1
	v_xor_b32_e32 v1, vcc_hi, v100
	v_and_b32_e32 v100, exec_hi, v1
	v_lshlrev_b32_e32 v1, 30, v42
	v_xor_b32_e32 v43, vcc_lo, v43
	v_cmp_gt_i64_e32 vcc, 0, v[0:1]
	v_not_b32_e32 v1, v1
	v_ashrrev_i32_e32 v1, 31, v1
	v_and_b32_e32 v43, exec_lo, v43
	v_xor_b32_e32 v101, vcc_hi, v1
	v_xor_b32_e32 v1, vcc_lo, v1
	v_and_b32_e32 v43, v43, v1
	v_lshlrev_b32_e32 v1, 29, v42
	v_cmp_gt_i64_e32 vcc, 0, v[0:1]
	v_not_b32_e32 v1, v1
	v_ashrrev_i32_e32 v1, 31, v1
	v_and_b32_e32 v100, v100, v101
	v_xor_b32_e32 v101, vcc_hi, v1
	v_xor_b32_e32 v1, vcc_lo, v1
	v_and_b32_e32 v43, v43, v1
	v_lshlrev_b32_e32 v1, 28, v42
	v_cmp_gt_i64_e32 vcc, 0, v[0:1]
	v_not_b32_e32 v1, v1
	v_ashrrev_i32_e32 v1, 31, v1
	v_and_b32_e32 v100, v100, v101
	;; [unrolled: 8-line block ×5, first 2 shown]
	v_xor_b32_e32 v101, vcc_hi, v1
	v_xor_b32_e32 v1, vcc_lo, v1
	v_and_b32_e32 v43, v43, v1
	v_lshlrev_b32_e32 v1, 24, v42
	v_cmp_gt_i64_e32 vcc, 0, v[0:1]
	v_not_b32_e32 v0, v1
	v_ashrrev_i32_e32 v0, 31, v0
	v_xor_b32_e32 v1, vcc_hi, v0
	v_xor_b32_e32 v0, vcc_lo, v0
	; wave barrier
	ds_read_b32 v82, v98 offset:8
	v_and_b32_e32 v100, v100, v101
	v_and_b32_e32 v0, v43, v0
	;; [unrolled: 1-line block ×3, first 2 shown]
	v_mbcnt_lo_u32_b32 v42, v0, 0
	v_mbcnt_hi_u32_b32 v100, v1, v42
	v_cmp_eq_u32_e32 vcc, 0, v100
	v_cmp_ne_u64_e64 s[4:5], 0, v[0:1]
	v_or_b32_e32 v99, 8, v61
	s_and_b64 s[28:29], s[4:5], vcc
	; wave barrier
	s_and_saveexec_b64 s[4:5], s[28:29]
	s_cbranch_execz .LBB92_49
; %bb.48:
	v_bcnt_u32_b32 v0, v0, 0
	v_bcnt_u32_b32 v0, v1, v0
	s_waitcnt lgkmcnt(0)
	v_add_u32_e32 v0, v82, v0
	ds_write_b32 v98, v0 offset:8
.LBB92_49:
	s_or_b64 exec, exec, s[4:5]
	; wave barrier
	s_waitcnt lgkmcnt(0)
	s_barrier
	ds_read2_b32 v[0:1], v61 offset0:2 offset1:3
	ds_read2_b32 v[42:43], v99 offset0:2 offset1:3
	v_min_u32_e32 v76, 64, v76
	v_or_b32_e32 v76, 63, v76
	s_waitcnt lgkmcnt(1)
	v_add_u32_e32 v101, v1, v0
	s_waitcnt lgkmcnt(0)
	v_add3_u32 v43, v101, v42, v43
	v_and_b32_e32 v101, 15, v75
	v_cmp_ne_u32_e32 vcc, 0, v101
	v_mov_b32_dpp v102, v43 row_shr:1 row_mask:0xf bank_mask:0xf
	v_cndmask_b32_e32 v102, 0, v102, vcc
	v_add_u32_e32 v43, v102, v43
	v_cmp_lt_u32_e32 vcc, 1, v101
	s_nop 0
	v_mov_b32_dpp v102, v43 row_shr:2 row_mask:0xf bank_mask:0xf
	v_cndmask_b32_e32 v102, 0, v102, vcc
	v_add_u32_e32 v43, v43, v102
	v_cmp_lt_u32_e32 vcc, 3, v101
	s_nop 0
	;; [unrolled: 5-line block ×3, first 2 shown]
	v_mov_b32_dpp v102, v43 row_shr:8 row_mask:0xf bank_mask:0xf
	v_cndmask_b32_e32 v101, 0, v102, vcc
	v_add_u32_e32 v43, v43, v101
	v_bfe_i32 v102, v75, 4, 1
	v_cmp_lt_u32_e32 vcc, 31, v75
	v_mov_b32_dpp v101, v43 row_bcast:15 row_mask:0xf bank_mask:0xf
	v_and_b32_e32 v101, v102, v101
	v_add_u32_e32 v43, v43, v101
	s_nop 1
	v_mov_b32_dpp v101, v43 row_bcast:31 row_mask:0xf bank_mask:0xf
	v_cndmask_b32_e32 v101, 0, v101, vcc
	v_add_u32_e32 v43, v43, v101
	v_lshrrev_b32_e32 v101, 6, v36
	v_cmp_eq_u32_e32 vcc, v76, v36
	s_and_saveexec_b64 s[4:5], vcc
	s_cbranch_execz .LBB92_51
; %bb.50:
	v_lshlrev_b32_e32 v76, 2, v101
	ds_write_b32 v76, v43
.LBB92_51:
	s_or_b64 exec, exec, s[4:5]
	v_cmp_gt_u32_e32 vcc, 2, v36
	s_waitcnt lgkmcnt(0)
	s_barrier
	s_and_saveexec_b64 s[4:5], vcc
	s_cbranch_execz .LBB92_53
; %bb.52:
	v_lshlrev_b32_e32 v76, 2, v36
	ds_read_b32 v102, v76
	v_bfe_i32 v103, v75, 0, 1
	s_waitcnt lgkmcnt(0)
	v_mov_b32_dpp v104, v102 row_shr:1 row_mask:0xf bank_mask:0xf
	v_and_b32_e32 v103, v103, v104
	v_add_u32_e32 v102, v103, v102
	ds_write_b32 v76, v102
.LBB92_53:
	s_or_b64 exec, exec, s[4:5]
	v_cmp_lt_u32_e32 vcc, 63, v36
	v_mov_b32_e32 v76, 0
	s_waitcnt lgkmcnt(0)
	s_barrier
	s_and_saveexec_b64 s[4:5], vcc
	s_cbranch_execz .LBB92_55
; %bb.54:
	v_lshl_add_u32 v76, v101, 2, -4
	ds_read_b32 v76, v76
.LBB92_55:
	s_or_b64 exec, exec, s[4:5]
	v_add_u32_e32 v101, -1, v75
	v_and_b32_e32 v102, 64, v75
	v_cmp_lt_i32_e32 vcc, v101, v102
	v_cndmask_b32_e32 v101, v101, v75, vcc
	s_waitcnt lgkmcnt(0)
	v_add_u32_e32 v43, v76, v43
	v_lshlrev_b32_e32 v101, 2, v101
	ds_bpermute_b32 v43, v101, v43
	v_cmp_eq_u32_e32 vcc, 0, v75
	s_waitcnt lgkmcnt(0)
	v_cndmask_b32_e32 v43, v43, v76, vcc
	v_cmp_ne_u32_e32 vcc, 0, v36
	v_cndmask_b32_e32 v43, 0, v43, vcc
	v_add_u32_e32 v0, v43, v0
	v_add_u32_e32 v1, v0, v1
	;; [unrolled: 1-line block ×3, first 2 shown]
	ds_write2_b32 v61, v43, v0 offset0:2 offset1:3
	ds_write2_b32 v99, v1, v42 offset0:2 offset1:3
	s_waitcnt lgkmcnt(0)
	s_barrier
	ds_read_b32 v0, v77 offset:8
	ds_read_b32 v1, v80 offset:8
	;; [unrolled: 1-line block ×8, first 2 shown]
	s_waitcnt lgkmcnt(7)
	v_add_u32_e32 v78, v0, v78
	s_waitcnt lgkmcnt(6)
	v_add3_u32 v79, v81, v79, v1
	s_waitcnt lgkmcnt(5)
	v_add3_u32 v42, v85, v83, v42
	;; [unrolled: 2-line block ×7, first 2 shown]
	s_barrier
	ds_write_b8 v78, v67
	ds_write_b8 v79, v68
	;; [unrolled: 1-line block ×8, first 2 shown]
	v_lshlrev_b32_e32 v67, 3, v78
	s_waitcnt lgkmcnt(0)
	s_barrier
	ds_read_b64 v[0:1], v53
	s_waitcnt lgkmcnt(0)
	s_barrier
	ds_write_b64 v67, v[30:31]
	v_lshlrev_b32_e32 v30, 3, v79
	ds_write_b64 v30, v[32:33]
	v_lshlrev_b32_e32 v30, 3, v42
	;; [unrolled: 2-line block ×7, first 2 shown]
	v_lshlrev_b32_e32 v30, 3, v53
	ds_write_b64 v18, v[20:21]
	s_waitcnt lgkmcnt(0)
	s_barrier
	ds_read2_b64 v[18:21], v30 offset1:1
	ds_read2_b64 v[22:25], v30 offset0:2 offset1:3
	ds_read2_b64 v[26:29], v30 offset0:4 offset1:5
	;; [unrolled: 1-line block ×3, first 2 shown]
	s_branch .LBB92_87
.LBB92_56:
	v_mov_b32_e32 v35, 0
	v_lshlrev_b64 v[2:3], 3, v[34:35]
	v_mov_b32_e32 v4, s20
	v_add_co_u32_e32 v2, vcc, s19, v2
	v_addc_co_u32_e32 v3, vcc, v4, v3, vcc
	global_load_dwordx2 v[2:3], v[2:3], off
	v_mov_b32_e32 v4, v35
	v_mov_b32_e32 v5, v35
	;; [unrolled: 1-line block ×14, first 2 shown]
	s_or_b64 exec, exec, s[4:5]
	s_and_saveexec_b64 s[4:5], s[2:3]
	s_cbranch_execz .LBB92_25
.LBB92_57:
	v_mul_lo_u32 v4, v32, s18
	v_mov_b32_e32 v5, 0
	v_lshlrev_b64 v[4:5], 3, v[4:5]
	v_mov_b32_e32 v32, s20
	v_add_co_u32_e32 v4, vcc, s19, v4
	v_addc_co_u32_e32 v5, vcc, v32, v5, vcc
	global_load_dwordx2 v[4:5], v[4:5], off
	s_or_b64 exec, exec, s[4:5]
	s_and_saveexec_b64 s[4:5], s[16:17]
	s_cbranch_execz .LBB92_26
.LBB92_58:
	v_mul_lo_u32 v6, v31, s18
	v_mov_b32_e32 v7, 0
	v_lshlrev_b64 v[6:7], 3, v[6:7]
	v_mov_b32_e32 v31, s20
	v_add_co_u32_e32 v6, vcc, s19, v6
	v_addc_co_u32_e32 v7, vcc, v31, v7, vcc
	global_load_dwordx2 v[6:7], v[6:7], off
	s_or_b64 exec, exec, s[4:5]
	s_and_saveexec_b64 s[4:5], s[6:7]
	s_cbranch_execz .LBB92_27
.LBB92_59:
	v_mul_lo_u32 v8, v30, s18
	v_mov_b32_e32 v9, 0
	v_lshlrev_b64 v[8:9], 3, v[8:9]
	v_mov_b32_e32 v30, s20
	v_add_co_u32_e32 v8, vcc, s19, v8
	v_addc_co_u32_e32 v9, vcc, v30, v9, vcc
	global_load_dwordx2 v[8:9], v[8:9], off
	s_or_b64 exec, exec, s[4:5]
	s_and_saveexec_b64 s[4:5], s[8:9]
	s_cbranch_execz .LBB92_28
.LBB92_60:
	v_mul_lo_u32 v10, v29, s18
	v_mov_b32_e32 v11, 0
	v_lshlrev_b64 v[10:11], 3, v[10:11]
	v_mov_b32_e32 v29, s20
	v_add_co_u32_e32 v10, vcc, s19, v10
	v_addc_co_u32_e32 v11, vcc, v29, v11, vcc
	global_load_dwordx2 v[10:11], v[10:11], off
	s_or_b64 exec, exec, s[4:5]
	s_and_saveexec_b64 s[4:5], s[10:11]
	s_cbranch_execz .LBB92_29
.LBB92_61:
	v_mul_lo_u32 v12, v28, s18
	v_mov_b32_e32 v13, 0
	v_lshlrev_b64 v[12:13], 3, v[12:13]
	v_mov_b32_e32 v28, s20
	v_add_co_u32_e32 v12, vcc, s19, v12
	v_addc_co_u32_e32 v13, vcc, v28, v13, vcc
	global_load_dwordx2 v[12:13], v[12:13], off
	s_or_b64 exec, exec, s[4:5]
	s_and_saveexec_b64 s[4:5], s[12:13]
	s_cbranch_execz .LBB92_30
.LBB92_62:
	v_mul_lo_u32 v14, v27, s18
	v_mov_b32_e32 v15, 0
	v_lshlrev_b64 v[14:15], 3, v[14:15]
	v_mov_b32_e32 v27, s20
	v_add_co_u32_e32 v14, vcc, s19, v14
	v_addc_co_u32_e32 v15, vcc, v27, v15, vcc
	global_load_dwordx2 v[14:15], v[14:15], off
	s_or_b64 exec, exec, s[4:5]
	s_and_saveexec_b64 s[4:5], s[14:15]
	s_cbranch_execnz .LBB92_31
	s_branch .LBB92_32
.LBB92_63:
                                        ; implicit-def: $vgpr1
                                        ; implicit-def: $vgpr32_vgpr33
                                        ; implicit-def: $vgpr28_vgpr29
                                        ; implicit-def: $vgpr24_vgpr25
                                        ; implicit-def: $vgpr20_vgpr21
	s_cbranch_execz .LBB92_87
; %bb.64:
	v_mov_b32_e32 v0, -1
	v_xor_b32_sdwa v1, v65, v0 dst_sel:BYTE_1 dst_unused:UNUSED_PAD src0_sel:DWORD src1_sel:DWORD
	s_waitcnt lgkmcnt(3)
	v_xor_b32_e32 v18, -1, v39
	v_or_b32_sdwa v1, v18, v1 dst_sel:DWORD dst_unused:UNUSED_PAD src0_sel:BYTE_0 src1_sel:DWORD
	v_xor_b32_sdwa v18, v39, v0 dst_sel:DWORD dst_unused:UNUSED_PAD src0_sel:BYTE_3 src1_sel:DWORD
	v_lshlrev_b16_e32 v18, 8, v18
	v_xor_b32_sdwa v19, v39, v0 dst_sel:DWORD dst_unused:UNUSED_PAD src0_sel:WORD_1 src1_sel:DWORD
	v_or_b32_sdwa v18, v19, v18 dst_sel:WORD_1 dst_unused:UNUSED_PAD src0_sel:BYTE_0 src1_sel:DWORD
	v_or_b32_sdwa v1, v1, v18 dst_sel:DWORD dst_unused:UNUSED_PAD src0_sel:WORD_0 src1_sel:DWORD
	v_xor_b32_sdwa v18, v64, v0 dst_sel:BYTE_1 dst_unused:UNUSED_PAD src0_sel:DWORD src1_sel:DWORD
	v_xor_b32_e32 v19, -1, v38
	v_or_b32_sdwa v18, v19, v18 dst_sel:DWORD dst_unused:UNUSED_PAD src0_sel:BYTE_0 src1_sel:DWORD
	v_xor_b32_sdwa v19, v40, v0 dst_sel:BYTE_1 dst_unused:UNUSED_PAD src0_sel:DWORD src1_sel:DWORD
	v_xor_b32_sdwa v0, v38, v0 dst_sel:DWORD dst_unused:UNUSED_PAD src0_sel:WORD_1 src1_sel:DWORD
	v_or_b32_sdwa v0, v0, v19 dst_sel:WORD_1 dst_unused:UNUSED_PAD src0_sel:BYTE_0 src1_sel:DWORD
	s_waitcnt lgkmcnt(1)
	v_mbcnt_hi_u32_b32 v28, -1, v66
	v_and_b32_e32 v29, 0x3c0, v36
	v_or_b32_sdwa v0, v18, v0 dst_sel:DWORD dst_unused:UNUSED_PAD src0_sel:WORD_0 src1_sel:DWORD
	v_add_u32_e32 v18, v28, v29
	v_lshlrev_b32_e32 v19, 3, v18
	s_movk_i32 s4, 0x1e00
	ds_write_b64 v19, v[0:1]
	v_and_or_b32 v0, v53, s4, v28
	; wave barrier
	ds_read_u8 v20, v0
	ds_read_u8 v21, v0 offset:64
	ds_read_u8 v22, v0 offset:128
	ds_read_u8 v23, v0 offset:192
	ds_read_u8 v24, v0 offset:256
	ds_read_u8 v25, v0 offset:320
	ds_read_u8 v26, v0 offset:384
	ds_read_u8 v27, v0 offset:448
	v_lshlrev_b32_e32 v1, 6, v18
	v_lshlrev_b32_e32 v0, 3, v0
	s_getpc_b64 s[4:5]
	s_add_u32 s4, s4, _ZN7rocprim17ROCPRIM_400000_NS16block_radix_sortIhLj128ELj8ElLj1ELj1ELj0ELNS0_26block_radix_rank_algorithmE1ELNS0_18block_padding_hintE2ELNS0_4arch9wavefront6targetE1EE19radix_bits_per_passE@rel32@lo+4
	s_addc_u32 s5, s5, _ZN7rocprim17ROCPRIM_400000_NS16block_radix_sortIhLj128ELj8ElLj1ELj1ELj0ELNS0_26block_radix_rank_algorithmE1ELNS0_18block_padding_hintE2ELNS0_4arch9wavefront6targetE1EE19radix_bits_per_passE@rel32@hi+12
	s_waitcnt lgkmcnt(0)
	s_barrier
	ds_write2_b64 v1, v[14:15], v[16:17] offset1:1
	ds_write2_b64 v1, v[10:11], v[12:13] offset0:2 offset1:3
	ds_write2_b64 v1, v[6:7], v[8:9] offset0:4 offset1:5
	;; [unrolled: 1-line block ×3, first 2 shown]
	; wave barrier
	ds_read2st64_b64 v[12:15], v0 offset1:1
	ds_read2st64_b64 v[8:11], v0 offset0:2 offset1:3
	ds_read2st64_b64 v[4:7], v0 offset0:4 offset1:5
	;; [unrolled: 1-line block ×3, first 2 shown]
	s_waitcnt lgkmcnt(0)
	s_barrier
	s_load_dword s21, s[4:5], 0x0
	s_load_dword s23, s[26:27], 0xc
	v_mov_b32_e32 v32, 1
	v_mov_b32_e32 v16, 0
	ds_write2_b32 v61, v16, v16 offset0:2 offset1:3
	ds_write2_b32 v61, v16, v16 offset0:4 offset1:5
	s_waitcnt lgkmcnt(0)
	s_min_u32 s21, s21, 8
	s_lshr_b32 s4, s23, 16
	s_and_b32 s5, s23, 0xffff
	v_mad_u32_u24 v17, v63, s4, v62
	v_mad_u64_u32 v[18:19], s[4:5], v17, s5, v[36:37]
	s_lshl_b32 s4, -1, s21
	s_not_b32 s21, s4
	v_lshrrev_b32_e32 v39, 6, v18
	v_and_b32_e32 v18, s21, v20
	v_lshlrev_b32_sdwa v17, v32, v18 dst_sel:DWORD dst_unused:UNUSED_PAD src0_sel:DWORD src1_sel:BYTE_0
	v_add_lshl_u32 v30, v39, v17, 2
	v_and_b32_e32 v17, 1, v18
	v_add_co_u32_e32 v19, vcc, -1, v17
	v_addc_co_u32_e64 v31, s[4:5], 0, -1, vcc
	v_cmp_ne_u32_e32 vcc, 0, v17
	v_xor_b32_e32 v17, vcc_hi, v31
	v_and_b32_e32 v31, exec_hi, v17
	v_lshlrev_b32_e32 v17, 30, v18
	v_xor_b32_e32 v19, vcc_lo, v19
	v_cmp_gt_i64_e32 vcc, 0, v[16:17]
	v_not_b32_e32 v17, v17
	v_ashrrev_i32_e32 v17, 31, v17
	v_and_b32_e32 v19, exec_lo, v19
	v_xor_b32_e32 v33, vcc_hi, v17
	v_xor_b32_e32 v17, vcc_lo, v17
	v_and_b32_e32 v19, v19, v17
	v_lshlrev_b32_e32 v17, 29, v18
	v_cmp_gt_i64_e32 vcc, 0, v[16:17]
	v_not_b32_e32 v17, v17
	v_ashrrev_i32_e32 v17, 31, v17
	v_and_b32_e32 v31, v31, v33
	v_xor_b32_e32 v33, vcc_hi, v17
	v_xor_b32_e32 v17, vcc_lo, v17
	v_and_b32_e32 v19, v19, v17
	v_lshlrev_b32_e32 v17, 28, v18
	v_cmp_gt_i64_e32 vcc, 0, v[16:17]
	v_not_b32_e32 v17, v17
	v_ashrrev_i32_e32 v17, 31, v17
	v_and_b32_e32 v31, v31, v33
	v_xor_b32_e32 v33, vcc_hi, v17
	v_xor_b32_e32 v17, vcc_lo, v17
	v_and_b32_e32 v19, v19, v17
	v_lshlrev_b32_e32 v17, 27, v18
	v_cmp_gt_i64_e32 vcc, 0, v[16:17]
	v_not_b32_e32 v17, v17
	v_ashrrev_i32_e32 v17, 31, v17
	v_and_b32_e32 v31, v31, v33
	v_xor_b32_e32 v33, vcc_hi, v17
	v_xor_b32_e32 v17, vcc_lo, v17
	v_and_b32_e32 v19, v19, v17
	v_lshlrev_b32_e32 v17, 26, v18
	v_cmp_gt_i64_e32 vcc, 0, v[16:17]
	v_not_b32_e32 v17, v17
	v_ashrrev_i32_e32 v17, 31, v17
	v_and_b32_e32 v31, v31, v33
	v_xor_b32_e32 v33, vcc_hi, v17
	v_xor_b32_e32 v17, vcc_lo, v17
	v_and_b32_e32 v19, v19, v17
	v_lshlrev_b32_e32 v17, 25, v18
	v_cmp_gt_i64_e32 vcc, 0, v[16:17]
	v_not_b32_e32 v17, v17
	v_ashrrev_i32_e32 v17, 31, v17
	v_and_b32_e32 v31, v31, v33
	v_xor_b32_e32 v33, vcc_hi, v17
	v_xor_b32_e32 v17, vcc_lo, v17
	v_and_b32_e32 v31, v31, v33
	v_and_b32_e32 v33, v19, v17
	v_lshlrev_b32_e32 v17, 24, v18
	v_cmp_gt_i64_e32 vcc, 0, v[16:17]
	v_not_b32_e32 v17, v17
	v_ashrrev_i32_e32 v17, 31, v17
	v_xor_b32_e32 v18, vcc_hi, v17
	v_xor_b32_e32 v17, vcc_lo, v17
	v_and_b32_e32 v19, v31, v18
	v_and_b32_e32 v18, v33, v17
	v_mbcnt_lo_u32_b32 v17, v18, 0
	v_mbcnt_hi_u32_b32 v31, v19, v17
	v_cmp_eq_u32_e32 vcc, 0, v31
	v_cmp_ne_u64_e64 s[4:5], 0, v[18:19]
	s_and_b64 s[26:27], s[4:5], vcc
	s_barrier
	s_waitcnt lgkmcnt(0)
	; wave barrier
	s_and_saveexec_b64 s[4:5], s[26:27]
	s_cbranch_execz .LBB92_66
; %bb.65:
	v_bcnt_u32_b32 v17, v18, 0
	v_bcnt_u32_b32 v17, v19, v17
	ds_write_b32 v30, v17 offset:8
.LBB92_66:
	s_or_b64 exec, exec, s[4:5]
	v_and_b32_e32 v18, s21, v21
	v_lshlrev_b32_sdwa v17, v32, v18 dst_sel:DWORD dst_unused:UNUSED_PAD src0_sel:DWORD src1_sel:BYTE_0
	v_add_lshl_u32 v33, v39, v17, 2
	v_and_b32_e32 v17, 1, v18
	v_add_co_u32_e32 v19, vcc, -1, v17
	v_addc_co_u32_e64 v38, s[4:5], 0, -1, vcc
	v_cmp_ne_u32_e32 vcc, 0, v17
	v_xor_b32_e32 v17, vcc_hi, v38
	v_and_b32_e32 v38, exec_hi, v17
	v_lshlrev_b32_e32 v17, 30, v18
	v_xor_b32_e32 v19, vcc_lo, v19
	v_cmp_gt_i64_e32 vcc, 0, v[16:17]
	v_not_b32_e32 v17, v17
	v_ashrrev_i32_e32 v17, 31, v17
	v_and_b32_e32 v19, exec_lo, v19
	v_xor_b32_e32 v40, vcc_hi, v17
	v_xor_b32_e32 v17, vcc_lo, v17
	v_and_b32_e32 v19, v19, v17
	v_lshlrev_b32_e32 v17, 29, v18
	v_cmp_gt_i64_e32 vcc, 0, v[16:17]
	v_not_b32_e32 v17, v17
	v_ashrrev_i32_e32 v17, 31, v17
	v_and_b32_e32 v38, v38, v40
	v_xor_b32_e32 v40, vcc_hi, v17
	v_xor_b32_e32 v17, vcc_lo, v17
	v_and_b32_e32 v19, v19, v17
	v_lshlrev_b32_e32 v17, 28, v18
	v_cmp_gt_i64_e32 vcc, 0, v[16:17]
	v_not_b32_e32 v17, v17
	v_ashrrev_i32_e32 v17, 31, v17
	v_and_b32_e32 v38, v38, v40
	;; [unrolled: 8-line block ×5, first 2 shown]
	v_xor_b32_e32 v40, vcc_hi, v17
	v_xor_b32_e32 v17, vcc_lo, v17
	v_and_b32_e32 v19, v19, v17
	v_lshlrev_b32_e32 v17, 24, v18
	v_cmp_gt_i64_e32 vcc, 0, v[16:17]
	v_not_b32_e32 v16, v17
	v_ashrrev_i32_e32 v16, 31, v16
	v_xor_b32_e32 v17, vcc_hi, v16
	v_xor_b32_e32 v16, vcc_lo, v16
	; wave barrier
	ds_read_b32 v32, v33 offset:8
	v_and_b32_e32 v38, v38, v40
	v_and_b32_e32 v16, v19, v16
	;; [unrolled: 1-line block ×3, first 2 shown]
	v_mbcnt_lo_u32_b32 v18, v16, 0
	v_mbcnt_hi_u32_b32 v38, v17, v18
	v_cmp_eq_u32_e32 vcc, 0, v38
	v_cmp_ne_u64_e64 s[4:5], 0, v[16:17]
	s_and_b64 s[26:27], s[4:5], vcc
	; wave barrier
	s_and_saveexec_b64 s[4:5], s[26:27]
	s_cbranch_execz .LBB92_68
; %bb.67:
	v_bcnt_u32_b32 v16, v16, 0
	v_bcnt_u32_b32 v16, v17, v16
	s_waitcnt lgkmcnt(0)
	v_add_u32_e32 v16, v32, v16
	ds_write_b32 v33, v16 offset:8
.LBB92_68:
	s_or_b64 exec, exec, s[4:5]
	v_and_b32_e32 v18, s21, v22
	v_and_b32_e32 v17, 1, v18
	v_add_co_u32_e32 v19, vcc, -1, v17
	v_mov_b32_e32 v62, 1
	v_addc_co_u32_e64 v43, s[4:5], 0, -1, vcc
	v_cmp_ne_u32_e32 vcc, 0, v17
	v_lshlrev_b32_sdwa v16, v62, v18 dst_sel:DWORD dst_unused:UNUSED_PAD src0_sel:DWORD src1_sel:BYTE_0
	v_xor_b32_e32 v17, vcc_hi, v43
	v_add_lshl_u32 v42, v39, v16, 2
	v_mov_b32_e32 v16, 0
	v_and_b32_e32 v43, exec_hi, v17
	v_lshlrev_b32_e32 v17, 30, v18
	v_xor_b32_e32 v19, vcc_lo, v19
	v_cmp_gt_i64_e32 vcc, 0, v[16:17]
	v_not_b32_e32 v17, v17
	v_ashrrev_i32_e32 v17, 31, v17
	v_and_b32_e32 v19, exec_lo, v19
	v_xor_b32_e32 v63, vcc_hi, v17
	v_xor_b32_e32 v17, vcc_lo, v17
	v_and_b32_e32 v19, v19, v17
	v_lshlrev_b32_e32 v17, 29, v18
	v_cmp_gt_i64_e32 vcc, 0, v[16:17]
	v_not_b32_e32 v17, v17
	v_ashrrev_i32_e32 v17, 31, v17
	v_and_b32_e32 v43, v43, v63
	v_xor_b32_e32 v63, vcc_hi, v17
	v_xor_b32_e32 v17, vcc_lo, v17
	v_and_b32_e32 v19, v19, v17
	v_lshlrev_b32_e32 v17, 28, v18
	v_cmp_gt_i64_e32 vcc, 0, v[16:17]
	v_not_b32_e32 v17, v17
	v_ashrrev_i32_e32 v17, 31, v17
	v_and_b32_e32 v43, v43, v63
	;; [unrolled: 8-line block ×5, first 2 shown]
	v_xor_b32_e32 v63, vcc_hi, v17
	v_xor_b32_e32 v17, vcc_lo, v17
	v_and_b32_e32 v43, v43, v63
	v_and_b32_e32 v63, v19, v17
	v_lshlrev_b32_e32 v17, 24, v18
	v_cmp_gt_i64_e32 vcc, 0, v[16:17]
	v_not_b32_e32 v17, v17
	v_ashrrev_i32_e32 v17, 31, v17
	v_xor_b32_e32 v18, vcc_hi, v17
	v_xor_b32_e32 v17, vcc_lo, v17
	; wave barrier
	ds_read_b32 v40, v42 offset:8
	v_and_b32_e32 v19, v43, v18
	v_and_b32_e32 v18, v63, v17
	v_mbcnt_lo_u32_b32 v17, v18, 0
	v_mbcnt_hi_u32_b32 v43, v19, v17
	v_cmp_eq_u32_e32 vcc, 0, v43
	v_cmp_ne_u64_e64 s[4:5], 0, v[18:19]
	s_and_b64 s[26:27], s[4:5], vcc
	; wave barrier
	s_and_saveexec_b64 s[4:5], s[26:27]
	s_cbranch_execz .LBB92_70
; %bb.69:
	v_bcnt_u32_b32 v17, v18, 0
	v_bcnt_u32_b32 v17, v19, v17
	s_waitcnt lgkmcnt(0)
	v_add_u32_e32 v17, v40, v17
	ds_write_b32 v42, v17 offset:8
.LBB92_70:
	s_or_b64 exec, exec, s[4:5]
	v_and_b32_e32 v18, s21, v23
	v_lshlrev_b32_sdwa v17, v62, v18 dst_sel:DWORD dst_unused:UNUSED_PAD src0_sel:DWORD src1_sel:BYTE_0
	v_add_lshl_u32 v63, v39, v17, 2
	v_and_b32_e32 v17, 1, v18
	v_add_co_u32_e32 v19, vcc, -1, v17
	v_addc_co_u32_e64 v64, s[4:5], 0, -1, vcc
	v_cmp_ne_u32_e32 vcc, 0, v17
	v_xor_b32_e32 v17, vcc_hi, v64
	v_and_b32_e32 v64, exec_hi, v17
	v_lshlrev_b32_e32 v17, 30, v18
	v_xor_b32_e32 v19, vcc_lo, v19
	v_cmp_gt_i64_e32 vcc, 0, v[16:17]
	v_not_b32_e32 v17, v17
	v_ashrrev_i32_e32 v17, 31, v17
	v_and_b32_e32 v19, exec_lo, v19
	v_xor_b32_e32 v65, vcc_hi, v17
	v_xor_b32_e32 v17, vcc_lo, v17
	v_and_b32_e32 v19, v19, v17
	v_lshlrev_b32_e32 v17, 29, v18
	v_cmp_gt_i64_e32 vcc, 0, v[16:17]
	v_not_b32_e32 v17, v17
	v_ashrrev_i32_e32 v17, 31, v17
	v_and_b32_e32 v64, v64, v65
	v_xor_b32_e32 v65, vcc_hi, v17
	v_xor_b32_e32 v17, vcc_lo, v17
	v_and_b32_e32 v19, v19, v17
	v_lshlrev_b32_e32 v17, 28, v18
	v_cmp_gt_i64_e32 vcc, 0, v[16:17]
	v_not_b32_e32 v17, v17
	v_ashrrev_i32_e32 v17, 31, v17
	v_and_b32_e32 v64, v64, v65
	;; [unrolled: 8-line block ×5, first 2 shown]
	v_xor_b32_e32 v65, vcc_hi, v17
	v_xor_b32_e32 v17, vcc_lo, v17
	v_and_b32_e32 v19, v19, v17
	v_lshlrev_b32_e32 v17, 24, v18
	v_cmp_gt_i64_e32 vcc, 0, v[16:17]
	v_not_b32_e32 v16, v17
	v_ashrrev_i32_e32 v16, 31, v16
	v_xor_b32_e32 v17, vcc_hi, v16
	v_xor_b32_e32 v16, vcc_lo, v16
	; wave barrier
	ds_read_b32 v62, v63 offset:8
	v_and_b32_e32 v64, v64, v65
	v_and_b32_e32 v16, v19, v16
	;; [unrolled: 1-line block ×3, first 2 shown]
	v_mbcnt_lo_u32_b32 v18, v16, 0
	v_mbcnt_hi_u32_b32 v64, v17, v18
	v_cmp_eq_u32_e32 vcc, 0, v64
	v_cmp_ne_u64_e64 s[4:5], 0, v[16:17]
	s_and_b64 s[26:27], s[4:5], vcc
	; wave barrier
	s_and_saveexec_b64 s[4:5], s[26:27]
	s_cbranch_execz .LBB92_72
; %bb.71:
	v_bcnt_u32_b32 v16, v16, 0
	v_bcnt_u32_b32 v16, v17, v16
	s_waitcnt lgkmcnt(0)
	v_add_u32_e32 v16, v62, v16
	ds_write_b32 v63, v16 offset:8
.LBB92_72:
	s_or_b64 exec, exec, s[4:5]
	v_and_b32_e32 v18, s21, v24
	v_and_b32_e32 v17, 1, v18
	v_add_co_u32_e32 v19, vcc, -1, v17
	v_mov_b32_e32 v68, 1
	v_addc_co_u32_e64 v67, s[4:5], 0, -1, vcc
	v_cmp_ne_u32_e32 vcc, 0, v17
	v_lshlrev_b32_sdwa v16, v68, v18 dst_sel:DWORD dst_unused:UNUSED_PAD src0_sel:DWORD src1_sel:BYTE_0
	v_xor_b32_e32 v17, vcc_hi, v67
	v_add_lshl_u32 v66, v39, v16, 2
	v_mov_b32_e32 v16, 0
	v_and_b32_e32 v67, exec_hi, v17
	v_lshlrev_b32_e32 v17, 30, v18
	v_xor_b32_e32 v19, vcc_lo, v19
	v_cmp_gt_i64_e32 vcc, 0, v[16:17]
	v_not_b32_e32 v17, v17
	v_ashrrev_i32_e32 v17, 31, v17
	v_and_b32_e32 v19, exec_lo, v19
	v_xor_b32_e32 v69, vcc_hi, v17
	v_xor_b32_e32 v17, vcc_lo, v17
	v_and_b32_e32 v19, v19, v17
	v_lshlrev_b32_e32 v17, 29, v18
	v_cmp_gt_i64_e32 vcc, 0, v[16:17]
	v_not_b32_e32 v17, v17
	v_ashrrev_i32_e32 v17, 31, v17
	v_and_b32_e32 v67, v67, v69
	v_xor_b32_e32 v69, vcc_hi, v17
	v_xor_b32_e32 v17, vcc_lo, v17
	v_and_b32_e32 v19, v19, v17
	v_lshlrev_b32_e32 v17, 28, v18
	v_cmp_gt_i64_e32 vcc, 0, v[16:17]
	v_not_b32_e32 v17, v17
	v_ashrrev_i32_e32 v17, 31, v17
	v_and_b32_e32 v67, v67, v69
	;; [unrolled: 8-line block ×5, first 2 shown]
	v_xor_b32_e32 v69, vcc_hi, v17
	v_xor_b32_e32 v17, vcc_lo, v17
	v_and_b32_e32 v67, v67, v69
	v_and_b32_e32 v69, v19, v17
	v_lshlrev_b32_e32 v17, 24, v18
	v_cmp_gt_i64_e32 vcc, 0, v[16:17]
	v_not_b32_e32 v17, v17
	v_ashrrev_i32_e32 v17, 31, v17
	v_xor_b32_e32 v18, vcc_hi, v17
	v_xor_b32_e32 v17, vcc_lo, v17
	; wave barrier
	ds_read_b32 v65, v66 offset:8
	v_and_b32_e32 v19, v67, v18
	v_and_b32_e32 v18, v69, v17
	v_mbcnt_lo_u32_b32 v17, v18, 0
	v_mbcnt_hi_u32_b32 v67, v19, v17
	v_cmp_eq_u32_e32 vcc, 0, v67
	v_cmp_ne_u64_e64 s[4:5], 0, v[18:19]
	s_and_b64 s[26:27], s[4:5], vcc
	; wave barrier
	s_and_saveexec_b64 s[4:5], s[26:27]
	s_cbranch_execz .LBB92_74
; %bb.73:
	v_bcnt_u32_b32 v17, v18, 0
	v_bcnt_u32_b32 v17, v19, v17
	s_waitcnt lgkmcnt(0)
	v_add_u32_e32 v17, v65, v17
	ds_write_b32 v66, v17 offset:8
.LBB92_74:
	s_or_b64 exec, exec, s[4:5]
	v_and_b32_e32 v18, s21, v25
	v_lshlrev_b32_sdwa v17, v68, v18 dst_sel:DWORD dst_unused:UNUSED_PAD src0_sel:DWORD src1_sel:BYTE_0
	v_add_lshl_u32 v69, v39, v17, 2
	v_and_b32_e32 v17, 1, v18
	v_add_co_u32_e32 v19, vcc, -1, v17
	v_addc_co_u32_e64 v70, s[4:5], 0, -1, vcc
	v_cmp_ne_u32_e32 vcc, 0, v17
	v_xor_b32_e32 v17, vcc_hi, v70
	v_and_b32_e32 v70, exec_hi, v17
	v_lshlrev_b32_e32 v17, 30, v18
	v_xor_b32_e32 v19, vcc_lo, v19
	v_cmp_gt_i64_e32 vcc, 0, v[16:17]
	v_not_b32_e32 v17, v17
	v_ashrrev_i32_e32 v17, 31, v17
	v_and_b32_e32 v19, exec_lo, v19
	v_xor_b32_e32 v71, vcc_hi, v17
	v_xor_b32_e32 v17, vcc_lo, v17
	v_and_b32_e32 v19, v19, v17
	v_lshlrev_b32_e32 v17, 29, v18
	v_cmp_gt_i64_e32 vcc, 0, v[16:17]
	v_not_b32_e32 v17, v17
	v_ashrrev_i32_e32 v17, 31, v17
	v_and_b32_e32 v70, v70, v71
	v_xor_b32_e32 v71, vcc_hi, v17
	v_xor_b32_e32 v17, vcc_lo, v17
	v_and_b32_e32 v19, v19, v17
	v_lshlrev_b32_e32 v17, 28, v18
	v_cmp_gt_i64_e32 vcc, 0, v[16:17]
	v_not_b32_e32 v17, v17
	v_ashrrev_i32_e32 v17, 31, v17
	v_and_b32_e32 v70, v70, v71
	;; [unrolled: 8-line block ×5, first 2 shown]
	v_xor_b32_e32 v71, vcc_hi, v17
	v_xor_b32_e32 v17, vcc_lo, v17
	v_and_b32_e32 v19, v19, v17
	v_lshlrev_b32_e32 v17, 24, v18
	v_cmp_gt_i64_e32 vcc, 0, v[16:17]
	v_not_b32_e32 v16, v17
	v_ashrrev_i32_e32 v16, 31, v16
	v_xor_b32_e32 v17, vcc_hi, v16
	v_xor_b32_e32 v16, vcc_lo, v16
	; wave barrier
	ds_read_b32 v68, v69 offset:8
	v_and_b32_e32 v70, v70, v71
	v_and_b32_e32 v16, v19, v16
	;; [unrolled: 1-line block ×3, first 2 shown]
	v_mbcnt_lo_u32_b32 v18, v16, 0
	v_mbcnt_hi_u32_b32 v70, v17, v18
	v_cmp_eq_u32_e32 vcc, 0, v70
	v_cmp_ne_u64_e64 s[4:5], 0, v[16:17]
	s_and_b64 s[26:27], s[4:5], vcc
	; wave barrier
	s_and_saveexec_b64 s[4:5], s[26:27]
	s_cbranch_execz .LBB92_76
; %bb.75:
	v_bcnt_u32_b32 v16, v16, 0
	v_bcnt_u32_b32 v16, v17, v16
	s_waitcnt lgkmcnt(0)
	v_add_u32_e32 v16, v68, v16
	ds_write_b32 v69, v16 offset:8
.LBB92_76:
	s_or_b64 exec, exec, s[4:5]
	v_and_b32_e32 v18, s21, v26
	v_and_b32_e32 v17, 1, v18
	v_add_co_u32_e32 v19, vcc, -1, v17
	v_mov_b32_e32 v74, 1
	v_addc_co_u32_e64 v73, s[4:5], 0, -1, vcc
	v_cmp_ne_u32_e32 vcc, 0, v17
	v_lshlrev_b32_sdwa v16, v74, v18 dst_sel:DWORD dst_unused:UNUSED_PAD src0_sel:DWORD src1_sel:BYTE_0
	v_xor_b32_e32 v17, vcc_hi, v73
	v_add_lshl_u32 v72, v39, v16, 2
	v_mov_b32_e32 v16, 0
	v_and_b32_e32 v73, exec_hi, v17
	v_lshlrev_b32_e32 v17, 30, v18
	v_xor_b32_e32 v19, vcc_lo, v19
	v_cmp_gt_i64_e32 vcc, 0, v[16:17]
	v_not_b32_e32 v17, v17
	v_ashrrev_i32_e32 v17, 31, v17
	v_and_b32_e32 v19, exec_lo, v19
	v_xor_b32_e32 v75, vcc_hi, v17
	v_xor_b32_e32 v17, vcc_lo, v17
	v_and_b32_e32 v19, v19, v17
	v_lshlrev_b32_e32 v17, 29, v18
	v_cmp_gt_i64_e32 vcc, 0, v[16:17]
	v_not_b32_e32 v17, v17
	v_ashrrev_i32_e32 v17, 31, v17
	v_and_b32_e32 v73, v73, v75
	v_xor_b32_e32 v75, vcc_hi, v17
	v_xor_b32_e32 v17, vcc_lo, v17
	v_and_b32_e32 v19, v19, v17
	v_lshlrev_b32_e32 v17, 28, v18
	v_cmp_gt_i64_e32 vcc, 0, v[16:17]
	v_not_b32_e32 v17, v17
	v_ashrrev_i32_e32 v17, 31, v17
	v_and_b32_e32 v73, v73, v75
	;; [unrolled: 8-line block ×5, first 2 shown]
	v_xor_b32_e32 v75, vcc_hi, v17
	v_xor_b32_e32 v17, vcc_lo, v17
	v_and_b32_e32 v73, v73, v75
	v_and_b32_e32 v75, v19, v17
	v_lshlrev_b32_e32 v17, 24, v18
	v_cmp_gt_i64_e32 vcc, 0, v[16:17]
	v_not_b32_e32 v17, v17
	v_ashrrev_i32_e32 v17, 31, v17
	v_xor_b32_e32 v18, vcc_hi, v17
	v_xor_b32_e32 v17, vcc_lo, v17
	; wave barrier
	ds_read_b32 v71, v72 offset:8
	v_and_b32_e32 v19, v73, v18
	v_and_b32_e32 v18, v75, v17
	v_mbcnt_lo_u32_b32 v17, v18, 0
	v_mbcnt_hi_u32_b32 v73, v19, v17
	v_cmp_eq_u32_e32 vcc, 0, v73
	v_cmp_ne_u64_e64 s[4:5], 0, v[18:19]
	s_and_b64 s[26:27], s[4:5], vcc
	; wave barrier
	s_and_saveexec_b64 s[4:5], s[26:27]
	s_cbranch_execz .LBB92_78
; %bb.77:
	v_bcnt_u32_b32 v17, v18, 0
	v_bcnt_u32_b32 v17, v19, v17
	s_waitcnt lgkmcnt(0)
	v_add_u32_e32 v17, v71, v17
	ds_write_b32 v72, v17 offset:8
.LBB92_78:
	s_or_b64 exec, exec, s[4:5]
	v_and_b32_e32 v18, s21, v27
	v_lshlrev_b32_sdwa v17, v74, v18 dst_sel:DWORD dst_unused:UNUSED_PAD src0_sel:DWORD src1_sel:BYTE_0
	v_add_lshl_u32 v74, v39, v17, 2
	v_and_b32_e32 v17, 1, v18
	v_add_co_u32_e32 v19, vcc, -1, v17
	v_addc_co_u32_e64 v76, s[4:5], 0, -1, vcc
	v_cmp_ne_u32_e32 vcc, 0, v17
	v_xor_b32_e32 v17, vcc_hi, v76
	v_and_b32_e32 v76, exec_hi, v17
	v_lshlrev_b32_e32 v17, 30, v18
	v_xor_b32_e32 v19, vcc_lo, v19
	v_cmp_gt_i64_e32 vcc, 0, v[16:17]
	v_not_b32_e32 v17, v17
	v_ashrrev_i32_e32 v17, 31, v17
	v_and_b32_e32 v19, exec_lo, v19
	v_xor_b32_e32 v77, vcc_hi, v17
	v_xor_b32_e32 v17, vcc_lo, v17
	v_and_b32_e32 v19, v19, v17
	v_lshlrev_b32_e32 v17, 29, v18
	v_cmp_gt_i64_e32 vcc, 0, v[16:17]
	v_not_b32_e32 v17, v17
	v_ashrrev_i32_e32 v17, 31, v17
	v_and_b32_e32 v76, v76, v77
	v_xor_b32_e32 v77, vcc_hi, v17
	v_xor_b32_e32 v17, vcc_lo, v17
	v_and_b32_e32 v19, v19, v17
	v_lshlrev_b32_e32 v17, 28, v18
	v_cmp_gt_i64_e32 vcc, 0, v[16:17]
	v_not_b32_e32 v17, v17
	v_ashrrev_i32_e32 v17, 31, v17
	v_and_b32_e32 v76, v76, v77
	;; [unrolled: 8-line block ×5, first 2 shown]
	v_xor_b32_e32 v77, vcc_hi, v17
	v_xor_b32_e32 v17, vcc_lo, v17
	v_and_b32_e32 v19, v19, v17
	v_lshlrev_b32_e32 v17, 24, v18
	v_cmp_gt_i64_e32 vcc, 0, v[16:17]
	v_not_b32_e32 v16, v17
	v_ashrrev_i32_e32 v16, 31, v16
	v_xor_b32_e32 v17, vcc_hi, v16
	v_xor_b32_e32 v16, vcc_lo, v16
	; wave barrier
	ds_read_b32 v39, v74 offset:8
	v_and_b32_e32 v76, v76, v77
	v_and_b32_e32 v16, v19, v16
	;; [unrolled: 1-line block ×3, first 2 shown]
	v_mbcnt_lo_u32_b32 v18, v16, 0
	v_mbcnt_hi_u32_b32 v76, v17, v18
	v_cmp_eq_u32_e32 vcc, 0, v76
	v_cmp_ne_u64_e64 s[4:5], 0, v[16:17]
	v_or_b32_e32 v75, 8, v61
	s_and_b64 s[26:27], s[4:5], vcc
	; wave barrier
	s_and_saveexec_b64 s[4:5], s[26:27]
	s_cbranch_execz .LBB92_80
; %bb.79:
	v_bcnt_u32_b32 v16, v16, 0
	v_bcnt_u32_b32 v16, v17, v16
	s_waitcnt lgkmcnt(0)
	v_add_u32_e32 v16, v39, v16
	ds_write_b32 v74, v16 offset:8
.LBB92_80:
	s_or_b64 exec, exec, s[4:5]
	; wave barrier
	s_waitcnt lgkmcnt(0)
	s_barrier
	ds_read2_b32 v[16:17], v61 offset0:2 offset1:3
	ds_read2_b32 v[18:19], v75 offset0:2 offset1:3
	v_min_u32_e32 v29, 64, v29
	v_or_b32_e32 v29, 63, v29
	s_waitcnt lgkmcnt(1)
	v_add_u32_e32 v77, v17, v16
	s_waitcnt lgkmcnt(0)
	v_add3_u32 v19, v77, v18, v19
	v_and_b32_e32 v77, 15, v28
	v_cmp_ne_u32_e32 vcc, 0, v77
	v_mov_b32_dpp v78, v19 row_shr:1 row_mask:0xf bank_mask:0xf
	v_cndmask_b32_e32 v78, 0, v78, vcc
	v_add_u32_e32 v19, v78, v19
	v_cmp_lt_u32_e32 vcc, 1, v77
	s_nop 0
	v_mov_b32_dpp v78, v19 row_shr:2 row_mask:0xf bank_mask:0xf
	v_cndmask_b32_e32 v78, 0, v78, vcc
	v_add_u32_e32 v19, v19, v78
	v_cmp_lt_u32_e32 vcc, 3, v77
	s_nop 0
	;; [unrolled: 5-line block ×3, first 2 shown]
	v_mov_b32_dpp v78, v19 row_shr:8 row_mask:0xf bank_mask:0xf
	v_cndmask_b32_e32 v77, 0, v78, vcc
	v_add_u32_e32 v19, v19, v77
	v_bfe_i32 v78, v28, 4, 1
	v_cmp_lt_u32_e32 vcc, 31, v28
	v_mov_b32_dpp v77, v19 row_bcast:15 row_mask:0xf bank_mask:0xf
	v_and_b32_e32 v77, v78, v77
	v_add_u32_e32 v19, v19, v77
	s_nop 1
	v_mov_b32_dpp v77, v19 row_bcast:31 row_mask:0xf bank_mask:0xf
	v_cndmask_b32_e32 v77, 0, v77, vcc
	v_add_u32_e32 v19, v19, v77
	v_lshrrev_b32_e32 v77, 6, v36
	v_cmp_eq_u32_e32 vcc, v29, v36
	s_and_saveexec_b64 s[4:5], vcc
	s_cbranch_execz .LBB92_82
; %bb.81:
	v_lshlrev_b32_e32 v29, 2, v77
	ds_write_b32 v29, v19
.LBB92_82:
	s_or_b64 exec, exec, s[4:5]
	v_cmp_gt_u32_e32 vcc, 2, v36
	s_waitcnt lgkmcnt(0)
	s_barrier
	s_and_saveexec_b64 s[4:5], vcc
	s_cbranch_execz .LBB92_84
; %bb.83:
	v_lshlrev_b32_e32 v29, 2, v36
	ds_read_b32 v78, v29
	v_bfe_i32 v79, v28, 0, 1
	s_waitcnt lgkmcnt(0)
	v_mov_b32_dpp v80, v78 row_shr:1 row_mask:0xf bank_mask:0xf
	v_and_b32_e32 v79, v79, v80
	v_add_u32_e32 v78, v79, v78
	ds_write_b32 v29, v78
.LBB92_84:
	s_or_b64 exec, exec, s[4:5]
	v_cmp_lt_u32_e32 vcc, 63, v36
	v_mov_b32_e32 v29, 0
	s_waitcnt lgkmcnt(0)
	s_barrier
	s_and_saveexec_b64 s[4:5], vcc
	s_cbranch_execz .LBB92_86
; %bb.85:
	v_lshl_add_u32 v29, v77, 2, -4
	ds_read_b32 v29, v29
.LBB92_86:
	s_or_b64 exec, exec, s[4:5]
	v_add_u32_e32 v77, -1, v28
	v_and_b32_e32 v78, 64, v28
	v_cmp_lt_i32_e32 vcc, v77, v78
	v_cndmask_b32_e32 v77, v77, v28, vcc
	s_waitcnt lgkmcnt(0)
	v_add_u32_e32 v19, v29, v19
	v_lshlrev_b32_e32 v77, 2, v77
	ds_bpermute_b32 v19, v77, v19
	v_cmp_eq_u32_e32 vcc, 0, v28
	s_waitcnt lgkmcnt(0)
	v_cndmask_b32_e32 v19, v19, v29, vcc
	v_cmp_ne_u32_e32 vcc, 0, v36
	v_cndmask_b32_e32 v19, 0, v19, vcc
	v_add_u32_e32 v16, v19, v16
	v_add_u32_e32 v17, v16, v17
	;; [unrolled: 1-line block ×3, first 2 shown]
	ds_write2_b32 v61, v19, v16 offset0:2 offset1:3
	ds_write2_b32 v75, v17, v18 offset0:2 offset1:3
	s_waitcnt lgkmcnt(0)
	s_barrier
	ds_read_b32 v16, v30 offset:8
	ds_read_b32 v17, v33 offset:8
	ds_read_b32 v18, v42 offset:8
	ds_read_b32 v19, v63 offset:8
	ds_read_b32 v28, v66 offset:8
	ds_read_b32 v29, v69 offset:8
	ds_read_b32 v30, v72 offset:8
	ds_read_b32 v33, v74 offset:8
	s_waitcnt lgkmcnt(7)
	v_add_u32_e32 v31, v16, v31
	s_waitcnt lgkmcnt(6)
	v_add3_u32 v32, v38, v32, v17
	s_waitcnt lgkmcnt(5)
	v_add3_u32 v18, v43, v40, v18
	;; [unrolled: 2-line block ×7, first 2 shown]
	s_barrier
	ds_write_b8 v31, v20
	ds_write_b8 v32, v21
	;; [unrolled: 1-line block ×8, first 2 shown]
	v_lshlrev_b32_e32 v20, 3, v31
	s_waitcnt lgkmcnt(0)
	s_barrier
	ds_read_b64 v[16:17], v53
	s_waitcnt lgkmcnt(0)
	s_barrier
	ds_write_b64 v20, v[12:13]
	v_lshlrev_b32_e32 v12, 3, v32
	ds_write_b64 v12, v[14:15]
	v_lshlrev_b32_e32 v12, 3, v18
	;; [unrolled: 2-line block ×8, first 2 shown]
	s_waitcnt lgkmcnt(0)
	s_barrier
	ds_read2_b64 v[18:21], v0 offset1:1
	ds_read2_b64 v[22:25], v0 offset0:2 offset1:3
	ds_read2_b64 v[26:29], v0 offset0:4 offset1:5
	;; [unrolled: 1-line block ×3, first 2 shown]
	v_lshrrev_b32_e32 v36, 8, v16
	v_mov_b32_e32 v1, -1
	v_lshrrev_b32_e32 v38, 8, v17
	v_xor_b32_e32 v0, -1, v16
	v_xor_b32_sdwa v2, v36, v1 dst_sel:BYTE_1 dst_unused:UNUSED_PAD src0_sel:DWORD src1_sel:DWORD
	v_xor_b32_sdwa v3, v16, v1 dst_sel:DWORD dst_unused:UNUSED_PAD src0_sel:WORD_1 src1_sel:DWORD
	v_xor_b32_sdwa v4, v16, v1 dst_sel:BYTE_1 dst_unused:UNUSED_PAD src0_sel:BYTE_3 src1_sel:DWORD
	v_xor_b32_e32 v5, -1, v17
	v_xor_b32_sdwa v6, v38, v1 dst_sel:BYTE_1 dst_unused:UNUSED_PAD src0_sel:DWORD src1_sel:DWORD
	v_xor_b32_sdwa v7, v17, v1 dst_sel:DWORD dst_unused:UNUSED_PAD src0_sel:WORD_1 src1_sel:DWORD
	v_xor_b32_sdwa v1, v17, v1 dst_sel:BYTE_1 dst_unused:UNUSED_PAD src0_sel:BYTE_3 src1_sel:DWORD
	v_or_b32_sdwa v0, v0, v2 dst_sel:DWORD dst_unused:UNUSED_PAD src0_sel:BYTE_0 src1_sel:DWORD
	v_or_b32_sdwa v2, v3, v4 dst_sel:WORD_1 dst_unused:UNUSED_PAD src0_sel:BYTE_0 src1_sel:DWORD
	v_or_b32_sdwa v0, v0, v2 dst_sel:DWORD dst_unused:UNUSED_PAD src0_sel:WORD_0 src1_sel:DWORD
	v_or_b32_sdwa v2, v5, v6 dst_sel:DWORD dst_unused:UNUSED_PAD src0_sel:BYTE_0 src1_sel:DWORD
	v_or_b32_sdwa v1, v7, v1 dst_sel:WORD_1 dst_unused:UNUSED_PAD src0_sel:BYTE_0 src1_sel:DWORD
	v_or_b32_sdwa v1, v2, v1 dst_sel:DWORD dst_unused:UNUSED_PAD src0_sel:WORD_0 src1_sel:DWORD
.LBB92_87:
	s_waitcnt lgkmcnt(0)
	s_barrier
	ds_write_b64 v52, v[0:1]
	s_waitcnt lgkmcnt(0)
	s_barrier
	ds_read_u8 v8, v45 offset:128
	ds_read_u8 v7, v46 offset:256
	;; [unrolled: 1-line block ×7, first 2 shown]
	v_mov_b32_e32 v1, s25
	v_add_co_u32_e32 v0, vcc, s24, v37
	v_addc_co_u32_e32 v1, vcc, 0, v1, vcc
	s_and_saveexec_b64 s[4:5], s[0:1]
	s_cbranch_execnz .LBB92_106
; %bb.88:
	s_or_b64 exec, exec, s[4:5]
	s_and_saveexec_b64 s[4:5], s[2:3]
	s_cbranch_execnz .LBB92_107
.LBB92_89:
	s_or_b64 exec, exec, s[4:5]
	s_and_saveexec_b64 s[4:5], s[16:17]
	s_cbranch_execnz .LBB92_108
.LBB92_90:
	s_or_b64 exec, exec, s[4:5]
	s_and_saveexec_b64 s[4:5], s[6:7]
	s_cbranch_execnz .LBB92_109
.LBB92_91:
	s_or_b64 exec, exec, s[4:5]
	s_and_saveexec_b64 s[4:5], s[8:9]
	s_cbranch_execnz .LBB92_110
.LBB92_92:
	s_or_b64 exec, exec, s[4:5]
	s_and_saveexec_b64 s[4:5], s[10:11]
	s_cbranch_execnz .LBB92_111
.LBB92_93:
	s_or_b64 exec, exec, s[4:5]
	s_and_saveexec_b64 s[4:5], s[12:13]
	s_cbranch_execnz .LBB92_112
.LBB92_94:
	s_or_b64 exec, exec, s[4:5]
	s_and_saveexec_b64 s[4:5], s[14:15]
	s_cbranch_execz .LBB92_96
.LBB92_95:
	s_mul_i32 s21, s22, 0x380
	v_add_co_u32_e32 v0, vcc, s21, v0
	v_addc_co_u32_e32 v1, vcc, 0, v1, vcc
	s_waitcnt lgkmcnt(0)
	global_store_byte v[0:1], v2, off
.LBB92_96:
	s_or_b64 exec, exec, s[4:5]
	s_waitcnt lgkmcnt(0)
	s_barrier
	ds_write2_b64 v60, v[18:19], v[20:21] offset1:1
	ds_write2_b64 v60, v[22:23], v[24:25] offset0:2 offset1:3
	ds_write2_b64 v60, v[26:27], v[28:29] offset0:4 offset1:5
	ds_write2_b64 v60, v[30:31], v[32:33] offset0:6 offset1:7
	s_waitcnt lgkmcnt(0)
	s_barrier
	ds_read_b64 v[14:15], v35 offset:1024
	ds_read_b64 v[12:13], v54 offset:2048
	;; [unrolled: 1-line block ×7, first 2 shown]
	v_mov_b32_e32 v35, 0
	v_lshlrev_b64 v[2:3], 3, v[34:35]
	v_mov_b32_e32 v16, s20
	v_add_co_u32_e32 v2, vcc, s19, v2
	v_addc_co_u32_e32 v3, vcc, v16, v3, vcc
	s_and_saveexec_b64 s[4:5], s[0:1]
	s_cbranch_execnz .LBB92_113
; %bb.97:
	s_or_b64 exec, exec, s[4:5]
	s_and_saveexec_b64 s[0:1], s[2:3]
	s_cbranch_execnz .LBB92_114
.LBB92_98:
	s_or_b64 exec, exec, s[0:1]
	s_and_saveexec_b64 s[0:1], s[16:17]
	s_cbranch_execnz .LBB92_115
.LBB92_99:
	s_or_b64 exec, exec, s[0:1]
	s_and_saveexec_b64 s[0:1], s[6:7]
	s_cbranch_execnz .LBB92_116
.LBB92_100:
	s_or_b64 exec, exec, s[0:1]
	s_and_saveexec_b64 s[0:1], s[8:9]
	s_cbranch_execnz .LBB92_117
.LBB92_101:
	s_or_b64 exec, exec, s[0:1]
	s_and_saveexec_b64 s[0:1], s[10:11]
	s_cbranch_execnz .LBB92_118
.LBB92_102:
	s_or_b64 exec, exec, s[0:1]
	s_and_saveexec_b64 s[0:1], s[12:13]
	s_cbranch_execnz .LBB92_119
.LBB92_103:
	s_or_b64 exec, exec, s[0:1]
	s_and_saveexec_b64 s[0:1], s[14:15]
	s_cbranch_execz .LBB92_105
.LBB92_104:
	s_mul_i32 s0, s18, 0x380
	s_mov_b32 s1, 0
	s_lshl_b64 s[0:1], s[0:1], 3
	s_waitcnt lgkmcnt(1)
	v_mov_b32_e32 v4, s1
	v_add_co_u32_e32 v2, vcc, s0, v2
	v_addc_co_u32_e32 v3, vcc, v3, v4, vcc
	s_waitcnt lgkmcnt(0)
	global_store_dwordx2 v[2:3], v[0:1], off
.LBB92_105:
	s_endpgm
.LBB92_106:
	ds_read_u8 v9, v44
	s_waitcnt lgkmcnt(0)
	global_store_byte v[0:1], v9, off
	s_or_b64 exec, exec, s[4:5]
	s_and_saveexec_b64 s[4:5], s[2:3]
	s_cbranch_execz .LBB92_89
.LBB92_107:
	s_lshl_b32 s21, s22, 7
	v_add_co_u32_e32 v10, vcc, s21, v0
	v_addc_co_u32_e32 v11, vcc, 0, v1, vcc
	s_waitcnt lgkmcnt(6)
	global_store_byte v[10:11], v8, off
	s_or_b64 exec, exec, s[4:5]
	s_and_saveexec_b64 s[4:5], s[16:17]
	s_cbranch_execz .LBB92_90
.LBB92_108:
	s_lshl_b32 s21, s22, 8
	s_waitcnt lgkmcnt(6)
	v_add_co_u32_e32 v8, vcc, s21, v0
	v_addc_co_u32_e32 v9, vcc, 0, v1, vcc
	s_waitcnt lgkmcnt(5)
	global_store_byte v[8:9], v7, off
	s_or_b64 exec, exec, s[4:5]
	s_and_saveexec_b64 s[4:5], s[6:7]
	s_cbranch_execz .LBB92_91
.LBB92_109:
	s_mul_i32 s21, s22, 0x180
	s_waitcnt lgkmcnt(6)
	v_add_co_u32_e32 v8, vcc, s21, v0
	v_addc_co_u32_e32 v9, vcc, 0, v1, vcc
	s_waitcnt lgkmcnt(4)
	global_store_byte v[8:9], v6, off
	s_or_b64 exec, exec, s[4:5]
	s_and_saveexec_b64 s[4:5], s[8:9]
	s_cbranch_execz .LBB92_92
.LBB92_110:
	s_lshl_b32 s21, s22, 9
	s_waitcnt lgkmcnt(4)
	v_add_co_u32_e32 v6, vcc, s21, v0
	v_addc_co_u32_e32 v7, vcc, 0, v1, vcc
	s_waitcnt lgkmcnt(3)
	global_store_byte v[6:7], v5, off
	s_or_b64 exec, exec, s[4:5]
	s_and_saveexec_b64 s[4:5], s[10:11]
	s_cbranch_execz .LBB92_93
.LBB92_111:
	s_mul_i32 s21, s22, 0x280
	s_waitcnt lgkmcnt(4)
	v_add_co_u32_e32 v6, vcc, s21, v0
	v_addc_co_u32_e32 v7, vcc, 0, v1, vcc
	s_waitcnt lgkmcnt(2)
	global_store_byte v[6:7], v4, off
	s_or_b64 exec, exec, s[4:5]
	s_and_saveexec_b64 s[4:5], s[12:13]
	s_cbranch_execz .LBB92_94
.LBB92_112:
	s_mul_i32 s21, s22, 0x300
	s_waitcnt lgkmcnt(2)
	v_add_co_u32_e32 v4, vcc, s21, v0
	v_addc_co_u32_e32 v5, vcc, 0, v1, vcc
	s_waitcnt lgkmcnt(1)
	global_store_byte v[4:5], v3, off
	s_or_b64 exec, exec, s[4:5]
	s_and_saveexec_b64 s[4:5], s[14:15]
	s_cbranch_execnz .LBB92_95
	s_branch .LBB92_96
.LBB92_113:
	ds_read_b64 v[16:17], v41
	s_waitcnt lgkmcnt(0)
	global_store_dwordx2 v[2:3], v[16:17], off
	s_or_b64 exec, exec, s[4:5]
	s_and_saveexec_b64 s[0:1], s[2:3]
	s_cbranch_execz .LBB92_98
.LBB92_114:
	s_lshl_b32 s2, s18, 7
	s_mov_b32 s3, 0
	s_lshl_b64 s[2:3], s[2:3], 3
	v_mov_b32_e32 v17, s3
	v_add_co_u32_e32 v16, vcc, s2, v2
	v_addc_co_u32_e32 v17, vcc, v3, v17, vcc
	s_waitcnt lgkmcnt(6)
	global_store_dwordx2 v[16:17], v[14:15], off
	s_or_b64 exec, exec, s[0:1]
	s_and_saveexec_b64 s[0:1], s[16:17]
	s_cbranch_execz .LBB92_99
.LBB92_115:
	s_lshl_b32 s2, s18, 8
	s_mov_b32 s3, 0
	s_lshl_b64 s[2:3], s[2:3], 3
	s_waitcnt lgkmcnt(6)
	v_mov_b32_e32 v15, s3
	v_add_co_u32_e32 v14, vcc, s2, v2
	v_addc_co_u32_e32 v15, vcc, v3, v15, vcc
	s_waitcnt lgkmcnt(5)
	global_store_dwordx2 v[14:15], v[12:13], off
	s_or_b64 exec, exec, s[0:1]
	s_and_saveexec_b64 s[0:1], s[6:7]
	s_cbranch_execz .LBB92_100
.LBB92_116:
	s_mul_i32 s2, s18, 0x180
	s_mov_b32 s3, 0
	s_lshl_b64 s[2:3], s[2:3], 3
	s_waitcnt lgkmcnt(5)
	v_mov_b32_e32 v13, s3
	v_add_co_u32_e32 v12, vcc, s2, v2
	v_addc_co_u32_e32 v13, vcc, v3, v13, vcc
	s_waitcnt lgkmcnt(4)
	global_store_dwordx2 v[12:13], v[10:11], off
	s_or_b64 exec, exec, s[0:1]
	s_and_saveexec_b64 s[0:1], s[8:9]
	s_cbranch_execz .LBB92_101
.LBB92_117:
	s_lshl_b32 s2, s18, 9
	s_mov_b32 s3, 0
	s_lshl_b64 s[2:3], s[2:3], 3
	s_waitcnt lgkmcnt(4)
	v_mov_b32_e32 v11, s3
	v_add_co_u32_e32 v10, vcc, s2, v2
	v_addc_co_u32_e32 v11, vcc, v3, v11, vcc
	s_waitcnt lgkmcnt(3)
	global_store_dwordx2 v[10:11], v[8:9], off
	s_or_b64 exec, exec, s[0:1]
	s_and_saveexec_b64 s[0:1], s[10:11]
	s_cbranch_execz .LBB92_102
.LBB92_118:
	s_mul_i32 s2, s18, 0x280
	s_mov_b32 s3, 0
	s_lshl_b64 s[2:3], s[2:3], 3
	s_waitcnt lgkmcnt(3)
	v_mov_b32_e32 v9, s3
	v_add_co_u32_e32 v8, vcc, s2, v2
	v_addc_co_u32_e32 v9, vcc, v3, v9, vcc
	s_waitcnt lgkmcnt(2)
	global_store_dwordx2 v[8:9], v[6:7], off
	s_or_b64 exec, exec, s[0:1]
	s_and_saveexec_b64 s[0:1], s[12:13]
	s_cbranch_execz .LBB92_103
.LBB92_119:
	s_mul_i32 s2, s18, 0x300
	s_mov_b32 s3, 0
	s_lshl_b64 s[2:3], s[2:3], 3
	s_waitcnt lgkmcnt(2)
	v_mov_b32_e32 v7, s3
	v_add_co_u32_e32 v6, vcc, s2, v2
	v_addc_co_u32_e32 v7, vcc, v3, v7, vcc
	s_waitcnt lgkmcnt(1)
	global_store_dwordx2 v[6:7], v[4:5], off
	s_or_b64 exec, exec, s[0:1]
	s_and_saveexec_b64 s[0:1], s[14:15]
	s_cbranch_execnz .LBB92_104
	s_branch .LBB92_105
	.section	.rodata,"a",@progbits
	.p2align	6, 0x0
	.amdhsa_kernel _ZN2at6native18radixSortKVInPlaceILin1ELin1ELi128ELi8EhljEEvNS_4cuda6detail10TensorInfoIT3_T5_EES6_S6_S6_NS4_IT4_S6_EES6_b
		.amdhsa_group_segment_fixed_size 8448
		.amdhsa_private_segment_fixed_size 0
		.amdhsa_kernarg_size 712
		.amdhsa_user_sgpr_count 6
		.amdhsa_user_sgpr_private_segment_buffer 1
		.amdhsa_user_sgpr_dispatch_ptr 0
		.amdhsa_user_sgpr_queue_ptr 0
		.amdhsa_user_sgpr_kernarg_segment_ptr 1
		.amdhsa_user_sgpr_dispatch_id 0
		.amdhsa_user_sgpr_flat_scratch_init 0
		.amdhsa_user_sgpr_kernarg_preload_length 0
		.amdhsa_user_sgpr_kernarg_preload_offset 0
		.amdhsa_user_sgpr_private_segment_size 0
		.amdhsa_uses_dynamic_stack 0
		.amdhsa_system_sgpr_private_segment_wavefront_offset 0
		.amdhsa_system_sgpr_workgroup_id_x 1
		.amdhsa_system_sgpr_workgroup_id_y 1
		.amdhsa_system_sgpr_workgroup_id_z 1
		.amdhsa_system_sgpr_workgroup_info 0
		.amdhsa_system_vgpr_workitem_id 2
		.amdhsa_next_free_vgpr 105
		.amdhsa_next_free_sgpr 52
		.amdhsa_accum_offset 108
		.amdhsa_reserve_vcc 1
		.amdhsa_reserve_flat_scratch 0
		.amdhsa_float_round_mode_32 0
		.amdhsa_float_round_mode_16_64 0
		.amdhsa_float_denorm_mode_32 3
		.amdhsa_float_denorm_mode_16_64 3
		.amdhsa_dx10_clamp 1
		.amdhsa_ieee_mode 1
		.amdhsa_fp16_overflow 0
		.amdhsa_tg_split 0
		.amdhsa_exception_fp_ieee_invalid_op 0
		.amdhsa_exception_fp_denorm_src 0
		.amdhsa_exception_fp_ieee_div_zero 0
		.amdhsa_exception_fp_ieee_overflow 0
		.amdhsa_exception_fp_ieee_underflow 0
		.amdhsa_exception_fp_ieee_inexact 0
		.amdhsa_exception_int_div_zero 0
	.end_amdhsa_kernel
	.section	.text._ZN2at6native18radixSortKVInPlaceILin1ELin1ELi128ELi8EhljEEvNS_4cuda6detail10TensorInfoIT3_T5_EES6_S6_S6_NS4_IT4_S6_EES6_b,"axG",@progbits,_ZN2at6native18radixSortKVInPlaceILin1ELin1ELi128ELi8EhljEEvNS_4cuda6detail10TensorInfoIT3_T5_EES6_S6_S6_NS4_IT4_S6_EES6_b,comdat
.Lfunc_end92:
	.size	_ZN2at6native18radixSortKVInPlaceILin1ELin1ELi128ELi8EhljEEvNS_4cuda6detail10TensorInfoIT3_T5_EES6_S6_S6_NS4_IT4_S6_EES6_b, .Lfunc_end92-_ZN2at6native18radixSortKVInPlaceILin1ELin1ELi128ELi8EhljEEvNS_4cuda6detail10TensorInfoIT3_T5_EES6_S6_S6_NS4_IT4_S6_EES6_b
                                        ; -- End function
	.section	.AMDGPU.csdata,"",@progbits
; Kernel info:
; codeLenInByte = 11896
; NumSgprs: 56
; NumVgprs: 105
; NumAgprs: 0
; TotalNumVgprs: 105
; ScratchSize: 0
; MemoryBound: 0
; FloatMode: 240
; IeeeMode: 1
; LDSByteSize: 8448 bytes/workgroup (compile time only)
; SGPRBlocks: 6
; VGPRBlocks: 13
; NumSGPRsForWavesPerEU: 56
; NumVGPRsForWavesPerEU: 105
; AccumOffset: 108
; Occupancy: 4
; WaveLimiterHint : 1
; COMPUTE_PGM_RSRC2:SCRATCH_EN: 0
; COMPUTE_PGM_RSRC2:USER_SGPR: 6
; COMPUTE_PGM_RSRC2:TRAP_HANDLER: 0
; COMPUTE_PGM_RSRC2:TGID_X_EN: 1
; COMPUTE_PGM_RSRC2:TGID_Y_EN: 1
; COMPUTE_PGM_RSRC2:TGID_Z_EN: 1
; COMPUTE_PGM_RSRC2:TIDIG_COMP_CNT: 2
; COMPUTE_PGM_RSRC3_GFX90A:ACCUM_OFFSET: 26
; COMPUTE_PGM_RSRC3_GFX90A:TG_SPLIT: 0
	.section	.text._ZN2at6native18radixSortKVInPlaceILin1ELin1ELi32ELi4EhljEEvNS_4cuda6detail10TensorInfoIT3_T5_EES6_S6_S6_NS4_IT4_S6_EES6_b,"axG",@progbits,_ZN2at6native18radixSortKVInPlaceILin1ELin1ELi32ELi4EhljEEvNS_4cuda6detail10TensorInfoIT3_T5_EES6_S6_S6_NS4_IT4_S6_EES6_b,comdat
	.protected	_ZN2at6native18radixSortKVInPlaceILin1ELin1ELi32ELi4EhljEEvNS_4cuda6detail10TensorInfoIT3_T5_EES6_S6_S6_NS4_IT4_S6_EES6_b ; -- Begin function _ZN2at6native18radixSortKVInPlaceILin1ELin1ELi32ELi4EhljEEvNS_4cuda6detail10TensorInfoIT3_T5_EES6_S6_S6_NS4_IT4_S6_EES6_b
	.globl	_ZN2at6native18radixSortKVInPlaceILin1ELin1ELi32ELi4EhljEEvNS_4cuda6detail10TensorInfoIT3_T5_EES6_S6_S6_NS4_IT4_S6_EES6_b
	.p2align	8
	.type	_ZN2at6native18radixSortKVInPlaceILin1ELin1ELi32ELi4EhljEEvNS_4cuda6detail10TensorInfoIT3_T5_EES6_S6_S6_NS4_IT4_S6_EES6_b,@function
_ZN2at6native18radixSortKVInPlaceILin1ELin1ELi32ELi4EhljEEvNS_4cuda6detail10TensorInfoIT3_T5_EES6_S6_S6_NS4_IT4_S6_EES6_b: ; @_ZN2at6native18radixSortKVInPlaceILin1ELin1ELi32ELi4EhljEEvNS_4cuda6detail10TensorInfoIT3_T5_EES6_S6_S6_NS4_IT4_S6_EES6_b
; %bb.0:
	s_load_dwordx2 s[0:1], s[4:5], 0x1c8
	s_load_dwordx4 s[20:23], s[4:5], 0xd8
	s_waitcnt lgkmcnt(0)
	s_mul_i32 s1, s1, s8
	s_add_i32 s1, s1, s7
	s_mul_i32 s0, s1, s0
	s_add_i32 s16, s0, s6
	s_cmp_ge_u32 s16, s20
	s_cbranch_scc1 .LBB93_73
; %bb.1:
	s_load_dword s2, s[4:5], 0xd0
	s_mov_b32 s1, 0
	s_mov_b32 s0, s16
	s_waitcnt lgkmcnt(0)
	s_cmp_lt_i32 s2, 2
	s_cbranch_scc1 .LBB93_4
; %bb.2:
	s_add_i32 s0, s2, -1
	s_add_i32 s6, s2, 1
	s_lshl_b64 s[2:3], s[0:1], 2
	s_add_u32 s0, s2, s4
	s_addc_u32 s3, s3, s5
	s_add_u32 s2, s0, 8
	s_addc_u32 s3, s3, 0
	s_mov_b32 s0, s16
.LBB93_3:                               ; =>This Inner Loop Header: Depth=1
	s_load_dword s7, s[2:3], 0x0
	s_load_dword s9, s[2:3], 0x64
	s_mov_b32 s8, s0
	s_waitcnt lgkmcnt(0)
	v_cvt_f32_u32_e32 v1, s7
	s_sub_i32 s0, 0, s7
	v_rcp_iflag_f32_e32 v1, v1
	v_mul_f32_e32 v1, 0x4f7ffffe, v1
	v_cvt_u32_f32_e32 v1, v1
	v_readfirstlane_b32 s10, v1
	s_mul_i32 s0, s0, s10
	s_mul_hi_u32 s0, s10, s0
	s_add_i32 s10, s10, s0
	s_mul_hi_u32 s0, s8, s10
	s_mul_i32 s10, s0, s7
	s_sub_i32 s10, s8, s10
	s_add_i32 s11, s0, 1
	s_sub_i32 s12, s10, s7
	s_cmp_ge_u32 s10, s7
	s_cselect_b32 s0, s11, s0
	s_cselect_b32 s10, s12, s10
	s_add_i32 s11, s0, 1
	s_cmp_ge_u32 s10, s7
	s_cselect_b32 s0, s11, s0
	s_mul_i32 s7, s0, s7
	s_sub_i32 s7, s8, s7
	s_mul_i32 s7, s9, s7
	s_add_i32 s6, s6, -1
	s_add_i32 s1, s7, s1
	s_add_u32 s2, s2, -4
	s_addc_u32 s3, s3, -1
	s_cmp_gt_u32 s6, 2
	s_cbranch_scc1 .LBB93_3
.LBB93_4:
	s_load_dword s2, s[4:5], 0x1b8
	s_mov_b32 s13, 0
	s_waitcnt lgkmcnt(0)
	s_cmp_lt_i32 s2, 2
	s_cbranch_scc1 .LBB93_7
; %bb.5:
	s_add_i32 s12, s2, -1
	s_add_i32 s6, s2, 1
	s_lshl_b64 s[2:3], s[12:13], 2
	s_add_u32 s2, s2, s4
	s_addc_u32 s3, s3, s5
	s_add_u32 s2, s2, 0xf0
	s_addc_u32 s3, s3, 0
.LBB93_6:                               ; =>This Inner Loop Header: Depth=1
	s_load_dword s7, s[2:3], 0x0
	s_load_dword s9, s[2:3], 0x64
	s_mov_b32 s8, s16
	s_waitcnt lgkmcnt(0)
	v_cvt_f32_u32_e32 v1, s7
	s_sub_i32 s10, 0, s7
	v_rcp_iflag_f32_e32 v1, v1
	v_mul_f32_e32 v1, 0x4f7ffffe, v1
	v_cvt_u32_f32_e32 v1, v1
	v_readfirstlane_b32 s11, v1
	s_mul_i32 s10, s10, s11
	s_mul_hi_u32 s10, s11, s10
	s_add_i32 s11, s11, s10
	s_mul_hi_u32 s10, s16, s11
	s_mul_i32 s11, s10, s7
	s_sub_i32 s11, s16, s11
	s_add_i32 s12, s10, 1
	s_sub_i32 s14, s11, s7
	s_cmp_ge_u32 s11, s7
	s_cselect_b32 s10, s12, s10
	s_cselect_b32 s11, s14, s11
	s_add_i32 s12, s10, 1
	s_cmp_ge_u32 s11, s7
	s_cselect_b32 s16, s12, s10
	s_mul_i32 s7, s16, s7
	s_sub_i32 s7, s8, s7
	s_mul_i32 s7, s9, s7
	s_add_i32 s6, s6, -1
	s_add_i32 s13, s7, s13
	s_add_u32 s2, s2, -4
	s_addc_u32 s3, s3, -1
	s_cmp_gt_u32 s6, 2
	s_cbranch_scc1 .LBB93_6
.LBB93_7:
	s_load_dword s2, s[4:5], 0x6c
	s_load_dwordx2 s[24:25], s[4:5], 0x1c0
	s_load_dwordx2 s[6:7], s[4:5], 0x0
	v_mul_lo_u32 v28, v0, s22
	s_waitcnt lgkmcnt(0)
	s_mul_i32 s0, s2, s0
	s_add_i32 s2, s0, s1
	s_bitcmp1_b32 s25, 0
	s_cselect_b64 s[0:1], -1, 0
	s_add_u32 s26, s6, s2
	s_addc_u32 s27, s7, 0
	s_xor_b64 s[10:11], s[0:1], -1
	v_cndmask_b32_e64 v3, 0, -1, s[10:11]
	v_lshlrev_b16_e32 v1, 8, v3
	v_or_b32_sdwa v1, v3, v1 dst_sel:DWORD dst_unused:UNUSED_PAD src0_sel:BYTE_0 src1_sel:DWORD
	v_lshlrev_b32_e32 v2, 16, v1
	v_or_b32_sdwa v2, v1, v2 dst_sel:DWORD dst_unused:UNUSED_PAD src0_sel:WORD_0 src1_sel:DWORD
	v_cmp_gt_u32_e64 s[0:1], s21, v0
	s_and_saveexec_b64 s[2:3], s[0:1]
	s_cbranch_execz .LBB93_9
; %bb.8:
	global_load_ubyte v3, v28, s[26:27]
	s_mov_b32 s6, 0x3020104
	s_waitcnt vmcnt(0)
	v_perm_b32 v2, v3, v2, s6
.LBB93_9:
	s_or_b64 exec, exec, s[2:3]
	v_or_b32_e32 v1, 32, v0
	v_cmp_gt_u32_e64 s[6:7], s21, v1
	s_and_saveexec_b64 s[2:3], s[6:7]
	s_cbranch_execz .LBB93_11
; %bb.10:
	v_mul_lo_u32 v4, v1, s22
	global_load_ubyte v4, v4, s[26:27]
	s_mov_b32 s8, 0x7060004
	s_waitcnt vmcnt(0)
	v_perm_b32 v2, v2, v4, s8
.LBB93_11:
	s_or_b64 exec, exec, s[2:3]
	s_load_dwordx2 s[14:15], s[4:5], 0xe8
	v_or_b32_e32 v10, 64, v0
	v_cmp_gt_u32_e64 s[8:9], s21, v10
	s_and_saveexec_b64 s[2:3], s[8:9]
	s_cbranch_execz .LBB93_13
; %bb.12:
	v_mul_lo_u32 v4, v10, s22
	global_load_ubyte v4, v4, s[26:27]
	s_mov_b32 s12, 0x7000504
	s_waitcnt vmcnt(0)
	v_perm_b32 v2, v2, v4, s12
.LBB93_13:
	s_or_b64 exec, exec, s[2:3]
	s_load_dword s12, s[4:5], 0x154
	v_or_b32_e32 v11, 0x60, v0
	v_cmp_gt_u32_e64 s[2:3], s21, v11
	s_and_saveexec_b64 s[4:5], s[2:3]
	s_cbranch_execz .LBB93_15
; %bb.14:
	v_mul_lo_u32 v4, v11, s22
	global_load_ubyte v4, v4, s[26:27]
	s_mov_b32 s17, 0x60504
	s_waitcnt vmcnt(0)
	v_perm_b32 v2, v2, v4, s17
.LBB93_15:
	s_or_b64 exec, exec, s[4:5]
	ds_write_b8 v0, v3
	v_lshrrev_b32_e32 v3, 8, v2
	ds_write_b8 v0, v3 offset:32
	ds_write_b8_d16_hi v0, v2 offset:64
	v_lshrrev_b32_e32 v2, 24, v2
	v_lshlrev_b32_e32 v29, 2, v0
	ds_write_b8 v0, v2 offset:96
	s_waitcnt lgkmcnt(0)
	; wave barrier
	s_waitcnt lgkmcnt(0)
	ds_read_u8 v37, v29
	ds_read_u8 v36, v29 offset:1
	ds_read_u8 v35, v29 offset:2
	;; [unrolled: 1-line block ×3, first 2 shown]
	s_mul_i32 s4, s12, s16
	s_add_i32 s12, s4, s13
	s_mov_b32 s13, 0
	s_lshl_b64 s[4:5], s[12:13], 3
	s_add_u32 s23, s14, s4
	s_mov_b32 s12, s13
	s_addc_u32 s25, s15, s5
	s_mov_b32 s14, s13
	s_mov_b32 s15, s13
	;; [unrolled: 1-line block ×6, first 2 shown]
	v_pk_mov_b32 v[2:3], s[12:13], s[12:13] op_sel:[0,1]
	v_pk_mov_b32 v[4:5], s[14:15], s[14:15] op_sel:[0,1]
	;; [unrolled: 1-line block ×4, first 2 shown]
	v_pk_mov_b32 v[2:3], 0, 0
	v_mul_lo_u32 v18, v0, s24
	s_waitcnt lgkmcnt(0)
	; wave barrier
	s_waitcnt lgkmcnt(0)
	s_and_saveexec_b64 s[4:5], s[0:1]
	s_cbranch_execnz .LBB93_29
; %bb.16:
	s_or_b64 exec, exec, s[4:5]
	s_and_saveexec_b64 s[4:5], s[6:7]
	s_cbranch_execnz .LBB93_30
.LBB93_17:
	s_or_b64 exec, exec, s[4:5]
	s_and_saveexec_b64 s[4:5], s[8:9]
	s_cbranch_execz .LBB93_19
.LBB93_18:
	v_mul_lo_u32 v6, v10, s24
	v_mov_b32_e32 v7, 0
	v_lshlrev_b64 v[6:7], 3, v[6:7]
	v_mov_b32_e32 v12, s25
	v_add_co_u32_e32 v6, vcc, s23, v6
	v_addc_co_u32_e32 v7, vcc, v12, v7, vcc
	global_load_dwordx2 v[6:7], v[6:7], off
.LBB93_19:
	s_or_b64 exec, exec, s[4:5]
	v_lshrrev_b32_e32 v14, 5, v1
	v_lshrrev_b32_e32 v13, 5, v10
	;; [unrolled: 1-line block ×4, first 2 shown]
	s_and_saveexec_b64 s[4:5], s[2:3]
	s_cbranch_execz .LBB93_21
; %bb.20:
	v_mul_lo_u32 v8, v11, s24
	v_mov_b32_e32 v9, 0
	v_lshlrev_b64 v[8:9], 3, v[8:9]
	v_mov_b32_e32 v11, s25
	v_add_co_u32_e32 v8, vcc, s23, v8
	v_addc_co_u32_e32 v9, vcc, v11, v9, vcc
	global_load_dwordx2 v[8:9], v[8:9], off
.LBB93_21:
	s_or_b64 exec, exec, s[4:5]
	v_lshlrev_b32_e32 v30, 3, v0
	v_add_lshl_u32 v19, v14, v0, 3
	v_add_lshl_u32 v31, v13, v0, 3
	;; [unrolled: 1-line block ×4, first 2 shown]
	s_waitcnt vmcnt(0)
	ds_write_b64 v30, v[2:3]
	ds_write_b64 v19, v[4:5] offset:256
	ds_write_b64 v31, v[6:7] offset:512
	ds_write_b64 v32, v[8:9] offset:768
	s_waitcnt lgkmcnt(0)
	; wave barrier
	s_waitcnt lgkmcnt(0)
	ds_read2_b64 v[2:5], v33 offset1:1
	ds_read2_b64 v[6:9], v33 offset0:2 offset1:3
	s_and_b64 vcc, exec, s[10:11]
	s_waitcnt lgkmcnt(0)
	; wave barrier
	s_waitcnt lgkmcnt(0)
	s_cbranch_vccz .LBB93_31
; %bb.22:
	s_movk_i32 s4, 0x100
	v_cmp_gt_u32_e64 s[4:5], s4, v0
	s_getpc_b64 s[10:11]
	s_add_u32 s10, s10, _ZN7rocprim17ROCPRIM_400000_NS16block_radix_sortIhLj32ELj4ElLj1ELj1ELj0ELNS0_26block_radix_rank_algorithmE1ELNS0_18block_padding_hintE2ELNS0_4arch9wavefront6targetE1EE19radix_bits_per_passE@rel32@lo+4
	s_addc_u32 s11, s11, _ZN7rocprim17ROCPRIM_400000_NS16block_radix_sortIhLj32ELj4ElLj1ELj1ELj0ELNS0_26block_radix_rank_algorithmE1ELNS0_18block_padding_hintE2ELNS0_4arch9wavefront6targetE1EE19radix_bits_per_passE@rel32@hi+12
	s_and_saveexec_b64 s[12:13], s[4:5]
	s_cbranch_execz .LBB93_32
; %bb.23:
	s_mov_b32 s20, 0
	s_mov_b64 s[14:15], 0
	v_mov_b32_e32 v12, 0
	v_pk_mov_b32 v[10:11], v[0:1], v[0:1] op_sel:[0,1]
	s_branch .LBB93_25
.LBB93_24:                              ;   in Loop: Header=BB93_25 Depth=1
	s_or_b64 exec, exec, s[18:19]
	s_add_i32 s20, s20, 2
	v_cmp_eq_u32_e64 s[16:17], 8, s20
	v_add_u32_e32 v11, 64, v11
	s_or_b64 s[14:15], s[16:17], s[14:15]
	v_add_u32_e32 v10, 64, v10
	s_andn2_b64 exec, exec, s[14:15]
	s_cbranch_execz .LBB93_32
.LBB93_25:                              ; =>This Inner Loop Header: Depth=1
	s_or_b32 s16, s20, 1
	v_cmp_le_u32_e64 s[16:17], s16, 7
	v_cmp_le_u32_e64 s[28:29], s20, 7
	s_and_saveexec_b64 s[18:19], s[28:29]
	s_cbranch_execz .LBB93_27
; %bb.26:                               ;   in Loop: Header=BB93_25 Depth=1
	v_lshlrev_b32_e32 v13, 2, v10
	ds_write_b32 v13, v12
.LBB93_27:                              ;   in Loop: Header=BB93_25 Depth=1
	s_or_b64 exec, exec, s[18:19]
	s_and_saveexec_b64 s[18:19], s[16:17]
	s_cbranch_execz .LBB93_24
; %bb.28:                               ;   in Loop: Header=BB93_25 Depth=1
	v_lshlrev_b32_e32 v13, 2, v11
	ds_write_b32 v13, v12
	s_branch .LBB93_24
.LBB93_29:
	v_mov_b32_e32 v19, 0
	v_lshlrev_b64 v[2:3], 3, v[18:19]
	v_mov_b32_e32 v4, s25
	v_add_co_u32_e32 v2, vcc, s23, v2
	v_addc_co_u32_e32 v3, vcc, v4, v3, vcc
	global_load_dwordx2 v[2:3], v[2:3], off
	v_mov_b32_e32 v4, v19
	v_mov_b32_e32 v5, v19
	v_mov_b32_e32 v6, v19
	v_mov_b32_e32 v7, v19
	v_mov_b32_e32 v8, v19
	v_mov_b32_e32 v9, v19
	s_or_b64 exec, exec, s[4:5]
	s_and_saveexec_b64 s[4:5], s[6:7]
	s_cbranch_execz .LBB93_17
.LBB93_30:
	v_mul_lo_u32 v4, v1, s24
	v_mov_b32_e32 v5, 0
	v_lshlrev_b64 v[4:5], 3, v[4:5]
	v_mov_b32_e32 v12, s25
	v_add_co_u32_e32 v4, vcc, s23, v4
	v_addc_co_u32_e32 v5, vcc, v12, v5, vcc
	global_load_dwordx2 v[4:5], v[4:5], off
	s_or_b64 exec, exec, s[4:5]
	s_and_saveexec_b64 s[4:5], s[8:9]
	s_cbranch_execnz .LBB93_18
	s_branch .LBB93_19
.LBB93_31:
                                        ; implicit-def: $vgpr16_vgpr17
                                        ; implicit-def: $vgpr12_vgpr13
                                        ; implicit-def: $vgpr20
	s_cbranch_execnz .LBB93_44
	s_branch .LBB93_63
.LBB93_32:
	s_or_b64 exec, exec, s[12:13]
	s_load_dword s33, s[10:11], 0x0
	s_movk_i32 s11, 0xe0
	v_lshlrev_b32_e32 v38, 5, v0
	s_waitcnt lgkmcnt(0)
	s_min_u32 s10, s33, 8
	s_lshl_b32 s10, -1, s10
	s_not_b32 s10, s10
	v_and_b32_e32 v10, s10, v37
	v_bfe_u32 v11, v10, 3, 5
	v_lshlrev_b32_e32 v10, 5, v10
	v_and_or_b32 v10, v10, s11, v0
	v_lshlrev_b32_e32 v10, 1, v10
	v_add_lshl_u32 v21, v10, v11, 1
	ds_read_u16 v20, v21
	v_and_b32_e32 v10, s10, v36
	v_bfe_u32 v11, v10, 3, 5
	v_lshlrev_b32_e32 v10, 5, v10
	v_and_or_b32 v10, v10, s11, v0
	s_waitcnt lgkmcnt(0)
	v_add_u16_e32 v12, 1, v20
	v_lshlrev_b32_e32 v10, 1, v10
	ds_write_b16 v21, v12
	v_add_lshl_u32 v24, v10, v11, 1
	ds_read_u16 v23, v24
	v_and_b32_e32 v10, s10, v35
	s_waitcnt lgkmcnt(0)
	v_add_u16_e32 v11, 1, v23
	ds_write_b16 v24, v11
	v_bfe_u32 v11, v10, 3, 5
	v_lshlrev_b32_e32 v10, 5, v10
	v_and_or_b32 v10, v10, s11, v0
	v_lshlrev_b32_e32 v10, 1, v10
	v_add_lshl_u32 v26, v10, v11, 1
	ds_read_u16 v25, v26
	v_mbcnt_lo_u32_b32 v10, -1, 0
	v_mbcnt_hi_u32_b32 v41, -1, v10
	v_and_b32_e32 v10, s10, v34
	v_and_b32_e32 v22, 15, v41
	s_waitcnt lgkmcnt(0)
	v_add_u16_e32 v11, 1, v25
	ds_write_b16 v26, v11
	v_bfe_u32 v11, v10, 3, 5
	v_lshlrev_b32_e32 v10, 5, v10
	v_and_or_b32 v10, v10, s11, v0
	v_lshlrev_b32_e32 v10, 1, v10
	v_add_lshl_u32 v39, v10, v11, 1
	ds_read_u16 v27, v39
	v_and_b32_e32 v10, 16, v41
	v_cmp_eq_u32_e32 vcc, 0, v10
	v_cmp_eq_u32_e64 s[14:15], 0, v22
	v_cmp_lt_u32_e64 s[16:17], 1, v22
	s_waitcnt lgkmcnt(0)
	v_add_u16_e32 v10, 1, v27
	ds_write_b16 v39, v10
	s_waitcnt lgkmcnt(0)
	; wave barrier
	s_waitcnt lgkmcnt(0)
	ds_read2_b32 v[16:17], v38 offset1:1
	ds_read2_b32 v[14:15], v38 offset0:2 offset1:3
	ds_read2_b32 v[10:11], v38 offset0:4 offset1:5
	;; [unrolled: 1-line block ×3, first 2 shown]
	v_cmp_lt_u32_e64 s[18:19], 3, v22
	s_waitcnt lgkmcnt(3)
	v_add_u32_e32 v42, v17, v16
	s_waitcnt lgkmcnt(2)
	v_add3_u32 v42, v42, v14, v15
	s_waitcnt lgkmcnt(1)
	v_add3_u32 v42, v42, v10, v11
	;; [unrolled: 2-line block ×3, first 2 shown]
	v_cmp_lt_u32_e64 s[20:21], 7, v22
	v_bfe_i32 v40, v41, 4, 1
	v_mov_b32_dpp v42, v13 row_shr:1 row_mask:0xf bank_mask:0xf
	v_cndmask_b32_e64 v42, v42, 0, s[14:15]
	v_add_u32_e32 v13, v42, v13
	v_cmp_eq_u32_e64 s[10:11], 31, v0
	s_nop 0
	v_mov_b32_dpp v42, v13 row_shr:2 row_mask:0xf bank_mask:0xf
	v_cndmask_b32_e64 v42, 0, v42, s[16:17]
	v_add_u32_e32 v13, v13, v42
	s_nop 1
	v_mov_b32_dpp v42, v13 row_shr:4 row_mask:0xf bank_mask:0xf
	v_cndmask_b32_e64 v42, 0, v42, s[18:19]
	v_add_u32_e32 v13, v13, v42
	;; [unrolled: 4-line block ×3, first 2 shown]
	s_nop 1
	v_mov_b32_dpp v22, v13 row_bcast:15 row_mask:0xf bank_mask:0xf
	v_and_b32_e32 v22, v40, v22
	v_add_u32_e32 v13, v13, v22
	s_and_saveexec_b64 s[12:13], s[10:11]
	s_cbranch_execz .LBB93_34
; %bb.33:
	v_mov_b32_e32 v22, 0
	ds_write_b32 v22, v13 offset:1024
.LBB93_34:
	s_or_b64 exec, exec, s[12:13]
	v_add_u32_e32 v22, -1, v41
	v_and_b32_e32 v40, 0x60, v41
	v_cmp_lt_i32_e64 s[12:13], v22, v40
	v_cndmask_b32_e64 v22, v22, v41, s[12:13]
	v_lshlrev_b32_e32 v40, 2, v22
	ds_bpermute_b32 v13, v40, v13
	v_mov_b32_e32 v22, 0
	s_waitcnt lgkmcnt(0)
	; wave barrier
	s_waitcnt lgkmcnt(0)
	ds_read_b32 v42, v22 offset:1024
	v_cmp_eq_u32_e64 s[12:13], 0, v41
	v_cndmask_b32_e64 v13, v13, 0, s[12:13]
	s_waitcnt lgkmcnt(0)
	v_lshl_add_u32 v13, v42, 16, v13
	v_add_u32_e32 v16, v13, v16
	v_add_u32_e32 v17, v16, v17
	;; [unrolled: 1-line block ×7, first 2 shown]
	ds_write2_b32 v38, v13, v16 offset1:1
	ds_write2_b32 v38, v17, v14 offset0:2 offset1:3
	ds_write2_b32 v38, v15, v10 offset0:4 offset1:5
	;; [unrolled: 1-line block ×3, first 2 shown]
	s_waitcnt lgkmcnt(0)
	; wave barrier
	s_waitcnt lgkmcnt(0)
	ds_read_u16 v10, v21
	ds_read_u16 v11, v24
	;; [unrolled: 1-line block ×4, first 2 shown]
	s_waitcnt lgkmcnt(0)
	v_add_u32_sdwa v10, v10, v20 dst_sel:DWORD dst_unused:UNUSED_PAD src0_sel:DWORD src1_sel:WORD_0
	v_add_u32_sdwa v11, v11, v23 dst_sel:DWORD dst_unused:UNUSED_PAD src0_sel:DWORD src1_sel:WORD_0
	;; [unrolled: 1-line block ×4, first 2 shown]
	; wave barrier
	ds_write_b8 v10, v37
	ds_write_b8 v11, v36
	;; [unrolled: 1-line block ×4, first 2 shown]
	v_lshlrev_b32_e32 v10, 3, v10
	s_waitcnt lgkmcnt(0)
	; wave barrier
	s_waitcnt lgkmcnt(0)
	ds_read_u8 v41, v29
	ds_read_u8 v42, v29 offset:1
	ds_read_u8 v43, v29 offset:2
	ds_read_u8 v44, v29 offset:3
	s_waitcnt lgkmcnt(0)
	; wave barrier
	s_waitcnt lgkmcnt(0)
	ds_write_b64 v10, v[2:3]
	v_lshlrev_b32_e32 v10, 3, v11
	ds_write_b64 v10, v[4:5]
	v_lshlrev_b32_e32 v10, 3, v12
	v_lshlrev_b32_e32 v39, 3, v29
	ds_write_b64 v10, v[6:7]
	v_lshlrev_b32_e32 v10, 3, v13
	ds_write_b64 v10, v[8:9]
	s_waitcnt lgkmcnt(0)
	; wave barrier
	s_waitcnt lgkmcnt(0)
	ds_read2_b64 v[14:17], v39 offset1:1
	ds_read2_b64 v[10:13], v39 offset0:2 offset1:3
	s_waitcnt lgkmcnt(0)
	; wave barrier
	s_waitcnt lgkmcnt(0)
	s_and_saveexec_b64 s[28:29], s[4:5]
	s_cbranch_execz .LBB93_41
; %bb.35:
	s_mov_b32 s36, 0
	s_mov_b64 s[4:5], 0
	v_pk_mov_b32 v[20:21], v[0:1], v[0:1] op_sel:[0,1]
	s_branch .LBB93_37
.LBB93_36:                              ;   in Loop: Header=BB93_37 Depth=1
	s_or_b64 exec, exec, s[34:35]
	s_add_i32 s36, s36, 2
	v_cmp_eq_u32_e64 s[30:31], 8, s36
	v_add_u32_e32 v21, 64, v21
	s_or_b64 s[4:5], s[30:31], s[4:5]
	v_add_u32_e32 v20, 64, v20
	s_andn2_b64 exec, exec, s[4:5]
	s_cbranch_execz .LBB93_41
.LBB93_37:                              ; =>This Inner Loop Header: Depth=1
	s_or_b32 s30, s36, 1
	v_cmp_le_u32_e64 s[30:31], s30, 7
	v_cmp_le_u32_e64 s[38:39], s36, 7
	s_and_saveexec_b64 s[34:35], s[38:39]
	s_cbranch_execz .LBB93_39
; %bb.38:                               ;   in Loop: Header=BB93_37 Depth=1
	v_lshlrev_b32_e32 v23, 2, v20
	ds_write_b32 v23, v22
.LBB93_39:                              ;   in Loop: Header=BB93_37 Depth=1
	s_or_b64 exec, exec, s[34:35]
	s_and_saveexec_b64 s[34:35], s[30:31]
	s_cbranch_execz .LBB93_36
; %bb.40:                               ;   in Loop: Header=BB93_37 Depth=1
	v_lshlrev_b32_e32 v23, 2, v21
	ds_write_b32 v23, v22
	s_branch .LBB93_36
.LBB93_41:
	s_or_b64 exec, exec, s[28:29]
	s_min_u32 s4, s33, 4
	s_lshl_b32 s4, -1, s4
	v_lshrrev_b16_e32 v20, 4, v41
	s_not_b32 s4, s4
	v_and_b32_e32 v20, 15, v20
	v_and_b32_sdwa v20, v20, s4 dst_sel:DWORD dst_unused:UNUSED_PAD src0_sel:WORD_0 src1_sel:DWORD
	v_lshlrev_b32_e32 v21, 5, v20
	s_movk_i32 s5, 0xe0
	v_lshrrev_b32_e32 v20, 2, v20
	v_and_or_b32 v21, v21, s5, v0
	v_and_b32_e32 v20, 2, v20
	v_lshl_or_b32 v46, v21, 2, v20
	ds_read_u16 v45, v46
	s_waitcnt lgkmcnt(0)
	v_add_u16_e32 v20, 1, v45
	ds_write_b16 v46, v20
	v_lshrrev_b16_e32 v20, 4, v42
	v_and_b32_e32 v20, 15, v20
	v_and_b32_sdwa v20, v20, s4 dst_sel:DWORD dst_unused:UNUSED_PAD src0_sel:WORD_0 src1_sel:DWORD
	v_lshlrev_b32_e32 v21, 5, v20
	v_lshrrev_b32_e32 v20, 2, v20
	v_and_or_b32 v21, v21, s5, v0
	v_and_b32_e32 v20, 2, v20
	v_lshl_or_b32 v48, v21, 2, v20
	ds_read_u16 v47, v48
	s_waitcnt lgkmcnt(0)
	v_add_u16_e32 v20, 1, v47
	ds_write_b16 v48, v20
	v_lshrrev_b16_e32 v20, 4, v43
	v_and_b32_e32 v20, 15, v20
	v_and_b32_sdwa v20, v20, s4 dst_sel:DWORD dst_unused:UNUSED_PAD src0_sel:WORD_0 src1_sel:DWORD
	v_lshlrev_b32_e32 v21, 5, v20
	v_lshrrev_b32_e32 v20, 2, v20
	v_and_or_b32 v21, v21, s5, v0
	v_and_b32_e32 v20, 2, v20
	v_lshl_or_b32 v50, v21, 2, v20
	ds_read_u16 v49, v50
	s_waitcnt lgkmcnt(0)
	v_add_u16_e32 v20, 1, v49
	ds_write_b16 v50, v20
	v_lshrrev_b16_e32 v20, 4, v44
	v_and_b32_e32 v20, 15, v20
	v_and_b32_sdwa v20, v20, s4 dst_sel:DWORD dst_unused:UNUSED_PAD src0_sel:WORD_0 src1_sel:DWORD
	v_lshlrev_b32_e32 v21, 5, v20
	v_lshrrev_b32_e32 v20, 2, v20
	v_and_or_b32 v21, v21, s5, v0
	v_and_b32_e32 v20, 2, v20
	v_lshl_or_b32 v52, v21, 2, v20
	ds_read_u16 v51, v52
	s_waitcnt lgkmcnt(0)
	v_add_u16_e32 v20, 1, v51
	ds_write_b16 v52, v20
	s_waitcnt lgkmcnt(0)
	; wave barrier
	s_waitcnt lgkmcnt(0)
	ds_read2_b32 v[26:27], v38 offset1:1
	ds_read2_b32 v[24:25], v38 offset0:2 offset1:3
	ds_read2_b32 v[20:21], v38 offset0:4 offset1:5
	;; [unrolled: 1-line block ×3, first 2 shown]
	s_waitcnt lgkmcnt(3)
	v_add_u32_e32 v53, v27, v26
	s_waitcnt lgkmcnt(2)
	v_add3_u32 v53, v53, v24, v25
	s_waitcnt lgkmcnt(1)
	v_add3_u32 v53, v53, v20, v21
	;; [unrolled: 2-line block ×3, first 2 shown]
	s_nop 1
	v_mov_b32_dpp v53, v23 row_shr:1 row_mask:0xf bank_mask:0xf
	v_cndmask_b32_e64 v53, v53, 0, s[14:15]
	v_add_u32_e32 v23, v53, v23
	s_nop 1
	v_mov_b32_dpp v53, v23 row_shr:2 row_mask:0xf bank_mask:0xf
	v_cndmask_b32_e64 v53, 0, v53, s[16:17]
	v_add_u32_e32 v23, v23, v53
	;; [unrolled: 4-line block ×4, first 2 shown]
	s_nop 1
	v_mov_b32_dpp v53, v23 row_bcast:15 row_mask:0xf bank_mask:0xf
	v_cndmask_b32_e64 v53, v53, 0, vcc
	v_add_u32_e32 v23, v23, v53
	s_and_saveexec_b64 s[4:5], s[10:11]
	s_cbranch_execz .LBB93_43
; %bb.42:
	v_mov_b32_e32 v53, 0
	ds_write_b32 v53, v23 offset:1024
.LBB93_43:
	s_or_b64 exec, exec, s[4:5]
	ds_bpermute_b32 v23, v40, v23
	v_mov_b32_e32 v40, 0
	s_waitcnt lgkmcnt(0)
	; wave barrier
	s_waitcnt lgkmcnt(0)
	ds_read_b32 v40, v40 offset:1024
	v_cndmask_b32_e64 v23, v23, 0, s[12:13]
	s_waitcnt lgkmcnt(0)
	v_lshl_add_u32 v23, v40, 16, v23
	v_add_u32_e32 v26, v23, v26
	v_add_u32_e32 v27, v26, v27
	;; [unrolled: 1-line block ×7, first 2 shown]
	ds_write2_b32 v38, v23, v26 offset1:1
	ds_write2_b32 v38, v27, v24 offset0:2 offset1:3
	ds_write2_b32 v38, v25, v20 offset0:4 offset1:5
	;; [unrolled: 1-line block ×3, first 2 shown]
	s_waitcnt lgkmcnt(0)
	; wave barrier
	s_waitcnt lgkmcnt(0)
	ds_read_u16 v20, v52
	ds_read_u16 v21, v50
	;; [unrolled: 1-line block ×4, first 2 shown]
	s_waitcnt lgkmcnt(0)
	v_add_u32_sdwa v20, v20, v51 dst_sel:DWORD dst_unused:UNUSED_PAD src0_sel:DWORD src1_sel:WORD_0
	v_add_u32_sdwa v21, v21, v49 dst_sel:DWORD dst_unused:UNUSED_PAD src0_sel:DWORD src1_sel:WORD_0
	;; [unrolled: 1-line block ×4, first 2 shown]
	; wave barrier
	ds_write_b8 v23, v41
	ds_write_b8 v22, v42
	;; [unrolled: 1-line block ×4, first 2 shown]
	v_lshlrev_b32_e32 v23, 3, v23
	s_waitcnt lgkmcnt(0)
	; wave barrier
	s_waitcnt lgkmcnt(0)
	ds_read_u8 v24, v29 offset:1
	ds_read_u8 v25, v29
	ds_read_u8 v26, v29 offset:2
	ds_read_u8 v27, v29 offset:3
	s_waitcnt lgkmcnt(0)
	; wave barrier
	s_waitcnt lgkmcnt(0)
	ds_write_b64 v23, v[14:15]
	v_lshlrev_b32_e32 v14, 3, v22
	ds_write_b64 v14, v[16:17]
	v_lshlrev_b32_e32 v14, 3, v21
	;; [unrolled: 2-line block ×3, first 2 shown]
	ds_write_b64 v10, v[12:13]
	s_waitcnt lgkmcnt(0)
	; wave barrier
	s_waitcnt lgkmcnt(0)
	ds_read2_b64 v[10:13], v39 offset1:1
	ds_read2_b64 v[14:17], v39 offset0:2 offset1:3
	v_lshlrev_b16_e32 v24, 8, v24
	v_lshlrev_b16_e32 v20, 8, v27
	v_or_b32_e32 v24, v25, v24
	v_or_b32_sdwa v20, v26, v20 dst_sel:WORD_1 dst_unused:UNUSED_PAD src0_sel:DWORD src1_sel:DWORD
	v_or_b32_sdwa v20, v24, v20 dst_sel:DWORD dst_unused:UNUSED_PAD src0_sel:WORD_0 src1_sel:DWORD
	s_branch .LBB93_63
.LBB93_44:
	s_movk_i32 s4, 0x100
	v_cmp_gt_u32_e64 s[4:5], s4, v0
	s_getpc_b64 s[10:11]
	s_add_u32 s10, s10, _ZN7rocprim17ROCPRIM_400000_NS16block_radix_sortIhLj32ELj4ElLj1ELj1ELj0ELNS0_26block_radix_rank_algorithmE1ELNS0_18block_padding_hintE2ELNS0_4arch9wavefront6targetE1EE19radix_bits_per_passE@rel32@lo+4
	s_addc_u32 s11, s11, _ZN7rocprim17ROCPRIM_400000_NS16block_radix_sortIhLj32ELj4ElLj1ELj1ELj0ELNS0_26block_radix_rank_algorithmE1ELNS0_18block_padding_hintE2ELNS0_4arch9wavefront6targetE1EE19radix_bits_per_passE@rel32@hi+12
	s_and_saveexec_b64 s[12:13], s[4:5]
	s_cbranch_execz .LBB93_51
; %bb.45:
	s_mov_b32 s20, 0
	s_mov_b64 s[14:15], 0
	s_waitcnt lgkmcnt(1)
	v_mov_b32_e32 v12, 0
	v_pk_mov_b32 v[10:11], v[0:1], v[0:1] op_sel:[0,1]
	s_branch .LBB93_47
.LBB93_46:                              ;   in Loop: Header=BB93_47 Depth=1
	s_or_b64 exec, exec, s[18:19]
	s_add_i32 s20, s20, 2
	v_cmp_eq_u32_e64 s[16:17], 8, s20
	v_add_u32_e32 v11, 64, v11
	s_or_b64 s[14:15], s[16:17], s[14:15]
	v_add_u32_e32 v10, 64, v10
	s_andn2_b64 exec, exec, s[14:15]
	s_cbranch_execz .LBB93_51
.LBB93_47:                              ; =>This Inner Loop Header: Depth=1
	s_or_b32 s16, s20, 1
	v_cmp_le_u32_e64 s[16:17], s16, 7
	v_cmp_le_u32_e64 s[28:29], s20, 7
	s_and_saveexec_b64 s[18:19], s[28:29]
	s_cbranch_execz .LBB93_49
; %bb.48:                               ;   in Loop: Header=BB93_47 Depth=1
	v_lshlrev_b32_e32 v13, 2, v10
	ds_write_b32 v13, v12
.LBB93_49:                              ;   in Loop: Header=BB93_47 Depth=1
	s_or_b64 exec, exec, s[18:19]
	s_and_saveexec_b64 s[18:19], s[16:17]
	s_cbranch_execz .LBB93_46
; %bb.50:                               ;   in Loop: Header=BB93_47 Depth=1
	v_lshlrev_b32_e32 v13, 2, v11
	ds_write_b32 v13, v12
	s_branch .LBB93_46
.LBB93_51:
	s_or_b64 exec, exec, s[12:13]
	s_load_dword s33, s[10:11], 0x0
	v_xor_b32_e32 v23, -1, v37
	s_movk_i32 s11, 0xe0
	v_xor_b32_e32 v24, -1, v36
	v_xor_b32_e32 v26, -1, v35
	s_waitcnt lgkmcnt(0)
	s_min_u32 s10, s33, 8
	s_lshl_b32 s10, -1, s10
	s_not_b32 s10, s10
	v_and_b32_e32 v10, s10, v23
	v_bfe_u32 v11, v10, 3, 5
	v_lshlrev_b32_e32 v10, 5, v10
	v_and_or_b32 v10, v10, s11, v0
	v_lshlrev_b32_e32 v10, 1, v10
	v_add_lshl_u32 v21, v10, v11, 1
	ds_read_u16 v25, v21
	v_xor_b32_e32 v34, -1, v34
	v_lshlrev_b32_e32 v20, 5, v0
	s_waitcnt lgkmcnt(0)
	v_add_u16_e32 v10, 1, v25
	ds_write_b16 v21, v10
	v_and_b32_e32 v10, s10, v24
	v_bfe_u32 v11, v10, 3, 5
	v_lshlrev_b32_e32 v10, 5, v10
	v_and_or_b32 v10, v10, s11, v0
	v_lshlrev_b32_e32 v10, 1, v10
	v_add_lshl_u32 v36, v10, v11, 1
	ds_read_u16 v27, v36
	s_waitcnt lgkmcnt(0)
	v_add_u16_e32 v10, 1, v27
	ds_write_b16 v36, v10
	v_and_b32_e32 v10, s10, v26
	v_bfe_u32 v11, v10, 3, 5
	v_lshlrev_b32_e32 v10, 5, v10
	v_and_or_b32 v10, v10, s11, v0
	v_lshlrev_b32_e32 v10, 1, v10
	v_add_lshl_u32 v37, v10, v11, 1
	ds_read_u16 v35, v37
	v_mbcnt_lo_u32_b32 v10, -1, 0
	v_mbcnt_hi_u32_b32 v40, -1, v10
	v_and_b32_e32 v22, 15, v40
	v_cmp_eq_u32_e64 s[14:15], 0, v22
	s_waitcnt lgkmcnt(0)
	v_add_u16_e32 v10, 1, v35
	ds_write_b16 v37, v10
	v_and_b32_e32 v10, s10, v34
	v_bfe_u32 v11, v10, 3, 5
	v_lshlrev_b32_e32 v10, 5, v10
	v_and_or_b32 v10, v10, s11, v0
	v_lshlrev_b32_e32 v10, 1, v10
	v_add_lshl_u32 v39, v10, v11, 1
	ds_read_u16 v38, v39
	v_and_b32_e32 v10, 16, v40
	v_cmp_eq_u32_e32 vcc, 0, v10
	v_cmp_lt_u32_e64 s[16:17], 1, v22
	v_cmp_lt_u32_e64 s[18:19], 3, v22
	s_waitcnt lgkmcnt(0)
	v_add_u16_e32 v10, 1, v38
	ds_write_b16 v39, v10
	s_waitcnt lgkmcnt(0)
	; wave barrier
	s_waitcnt lgkmcnt(0)
	ds_read2_b32 v[16:17], v20 offset1:1
	ds_read2_b32 v[14:15], v20 offset0:2 offset1:3
	ds_read2_b32 v[10:11], v20 offset0:4 offset1:5
	;; [unrolled: 1-line block ×3, first 2 shown]
	v_cmp_lt_u32_e64 s[20:21], 7, v22
	s_waitcnt lgkmcnt(3)
	v_add_u32_e32 v42, v17, v16
	s_waitcnt lgkmcnt(2)
	v_add3_u32 v42, v42, v14, v15
	s_waitcnt lgkmcnt(1)
	v_add3_u32 v42, v42, v10, v11
	;; [unrolled: 2-line block ×3, first 2 shown]
	v_bfe_i32 v41, v40, 4, 1
	v_cmp_eq_u32_e64 s[10:11], 31, v0
	v_mov_b32_dpp v42, v13 row_shr:1 row_mask:0xf bank_mask:0xf
	v_cndmask_b32_e64 v42, v42, 0, s[14:15]
	v_add_u32_e32 v13, v42, v13
	s_nop 1
	v_mov_b32_dpp v42, v13 row_shr:2 row_mask:0xf bank_mask:0xf
	v_cndmask_b32_e64 v42, 0, v42, s[16:17]
	v_add_u32_e32 v13, v13, v42
	s_nop 1
	;; [unrolled: 4-line block ×4, first 2 shown]
	v_mov_b32_dpp v22, v13 row_bcast:15 row_mask:0xf bank_mask:0xf
	v_and_b32_e32 v22, v41, v22
	v_add_u32_e32 v13, v13, v22
	s_and_saveexec_b64 s[12:13], s[10:11]
	s_cbranch_execz .LBB93_53
; %bb.52:
	v_mov_b32_e32 v22, 0
	ds_write_b32 v22, v13 offset:1024
.LBB93_53:
	s_or_b64 exec, exec, s[12:13]
	v_add_u32_e32 v22, -1, v40
	v_and_b32_e32 v41, 0x60, v40
	v_cmp_lt_i32_e64 s[12:13], v22, v41
	v_cndmask_b32_e64 v22, v22, v40, s[12:13]
	v_lshlrev_b32_e32 v22, 2, v22
	ds_bpermute_b32 v41, v22, v13
	v_mov_b32_e32 v13, 0
	s_waitcnt lgkmcnt(0)
	; wave barrier
	s_waitcnt lgkmcnt(0)
	ds_read_b32 v42, v13 offset:1024
	v_cmp_eq_u32_e64 s[12:13], 0, v40
	v_cndmask_b32_e64 v40, v41, 0, s[12:13]
	s_waitcnt lgkmcnt(0)
	v_lshl_add_u32 v40, v42, 16, v40
	v_add_u32_e32 v16, v40, v16
	v_add_u32_e32 v17, v16, v17
	;; [unrolled: 1-line block ×7, first 2 shown]
	ds_write2_b32 v20, v40, v16 offset1:1
	ds_write2_b32 v20, v17, v14 offset0:2 offset1:3
	ds_write2_b32 v20, v15, v10 offset0:4 offset1:5
	;; [unrolled: 1-line block ×3, first 2 shown]
	s_waitcnt lgkmcnt(0)
	; wave barrier
	s_waitcnt lgkmcnt(0)
	ds_read_u16 v10, v21
	ds_read_u16 v11, v36
	;; [unrolled: 1-line block ×4, first 2 shown]
	s_waitcnt lgkmcnt(0)
	v_add_u32_sdwa v10, v10, v25 dst_sel:DWORD dst_unused:UNUSED_PAD src0_sel:DWORD src1_sel:WORD_0
	v_add_u32_sdwa v11, v11, v27 dst_sel:DWORD dst_unused:UNUSED_PAD src0_sel:DWORD src1_sel:WORD_0
	;; [unrolled: 1-line block ×4, first 2 shown]
	; wave barrier
	ds_write_b8 v10, v23
	ds_write_b8 v11, v24
	;; [unrolled: 1-line block ×4, first 2 shown]
	v_lshlrev_b32_e32 v10, 3, v10
	s_waitcnt lgkmcnt(0)
	; wave barrier
	s_waitcnt lgkmcnt(0)
	ds_read_u8 v23, v29
	ds_read_u8 v24, v29 offset:1
	ds_read_u8 v25, v29 offset:2
	;; [unrolled: 1-line block ×3, first 2 shown]
	s_waitcnt lgkmcnt(0)
	; wave barrier
	s_waitcnt lgkmcnt(0)
	ds_write_b64 v10, v[2:3]
	v_lshlrev_b32_e32 v2, 3, v11
	ds_write_b64 v2, v[4:5]
	v_lshlrev_b32_e32 v2, 3, v12
	v_lshlrev_b32_e32 v21, 3, v29
	ds_write_b64 v2, v[6:7]
	v_lshlrev_b32_e32 v2, 3, v14
	ds_write_b64 v2, v[8:9]
	s_waitcnt lgkmcnt(0)
	; wave barrier
	s_waitcnt lgkmcnt(0)
	ds_read2_b64 v[6:9], v21 offset1:1
	ds_read2_b64 v[2:5], v21 offset0:2 offset1:3
	s_waitcnt lgkmcnt(0)
	; wave barrier
	s_waitcnt lgkmcnt(0)
	s_and_saveexec_b64 s[28:29], s[4:5]
	s_cbranch_execz .LBB93_60
; %bb.54:
	s_mov_b32 s36, 0
	s_mov_b64 s[4:5], 0
	v_pk_mov_b32 v[10:11], v[0:1], v[0:1] op_sel:[0,1]
	s_branch .LBB93_56
.LBB93_55:                              ;   in Loop: Header=BB93_56 Depth=1
	s_or_b64 exec, exec, s[34:35]
	s_add_i32 s36, s36, 2
	v_cmp_eq_u32_e64 s[30:31], 8, s36
	v_add_u32_e32 v11, 64, v11
	s_or_b64 s[4:5], s[30:31], s[4:5]
	v_add_u32_e32 v10, 64, v10
	s_andn2_b64 exec, exec, s[4:5]
	s_cbranch_execz .LBB93_60
.LBB93_56:                              ; =>This Inner Loop Header: Depth=1
	s_or_b32 s30, s36, 1
	v_cmp_le_u32_e64 s[30:31], s30, 7
	v_cmp_le_u32_e64 s[38:39], s36, 7
	s_and_saveexec_b64 s[34:35], s[38:39]
	s_cbranch_execz .LBB93_58
; %bb.57:                               ;   in Loop: Header=BB93_56 Depth=1
	v_lshlrev_b32_e32 v1, 2, v10
	ds_write_b32 v1, v13
.LBB93_58:                              ;   in Loop: Header=BB93_56 Depth=1
	s_or_b64 exec, exec, s[34:35]
	s_and_saveexec_b64 s[34:35], s[30:31]
	s_cbranch_execz .LBB93_55
; %bb.59:                               ;   in Loop: Header=BB93_56 Depth=1
	v_lshlrev_b32_e32 v1, 2, v11
	ds_write_b32 v1, v13
	s_branch .LBB93_55
.LBB93_60:
	s_or_b64 exec, exec, s[28:29]
	s_min_u32 s4, s33, 4
	s_lshl_b32 s4, -1, s4
	v_lshrrev_b16_e32 v1, 4, v23
	s_not_b32 s4, s4
	v_and_b32_e32 v1, 15, v1
	v_and_b32_sdwa v1, v1, s4 dst_sel:DWORD dst_unused:UNUSED_PAD src0_sel:WORD_0 src1_sel:DWORD
	v_lshlrev_b32_e32 v10, 5, v1
	s_movk_i32 s5, 0xe0
	v_lshrrev_b32_e32 v1, 2, v1
	v_and_or_b32 v10, v10, s5, v0
	v_and_b32_e32 v1, 2, v1
	v_lshl_or_b32 v27, v10, 2, v1
	ds_read_u16 v1, v27
	s_waitcnt lgkmcnt(0)
	v_add_u16_e32 v10, 1, v1
	ds_write_b16 v27, v10
	v_lshrrev_b16_e32 v10, 4, v24
	v_and_b32_e32 v10, 15, v10
	v_and_b32_sdwa v10, v10, s4 dst_sel:DWORD dst_unused:UNUSED_PAD src0_sel:WORD_0 src1_sel:DWORD
	v_lshlrev_b32_e32 v11, 5, v10
	v_lshrrev_b32_e32 v10, 2, v10
	v_and_or_b32 v11, v11, s5, v0
	v_and_b32_e32 v10, 2, v10
	v_lshl_or_b32 v35, v11, 2, v10
	ds_read_u16 v34, v35
	s_waitcnt lgkmcnt(0)
	v_add_u16_e32 v10, 1, v34
	ds_write_b16 v35, v10
	v_lshrrev_b16_e32 v10, 4, v25
	v_and_b32_e32 v10, 15, v10
	v_and_b32_sdwa v10, v10, s4 dst_sel:DWORD dst_unused:UNUSED_PAD src0_sel:WORD_0 src1_sel:DWORD
	v_lshlrev_b32_e32 v11, 5, v10
	;; [unrolled: 12-line block ×3, first 2 shown]
	v_lshrrev_b32_e32 v10, 2, v10
	v_and_or_b32 v11, v11, s5, v0
	v_and_b32_e32 v10, 2, v10
	v_lshl_or_b32 v39, v11, 2, v10
	ds_read_u16 v38, v39
	s_waitcnt lgkmcnt(0)
	v_add_u16_e32 v10, 1, v38
	ds_write_b16 v39, v10
	s_waitcnt lgkmcnt(0)
	; wave barrier
	s_waitcnt lgkmcnt(0)
	ds_read2_b32 v[16:17], v20 offset1:1
	ds_read2_b32 v[14:15], v20 offset0:2 offset1:3
	ds_read2_b32 v[10:11], v20 offset0:4 offset1:5
	;; [unrolled: 1-line block ×3, first 2 shown]
	s_waitcnt lgkmcnt(3)
	v_add_u32_e32 v40, v17, v16
	s_waitcnt lgkmcnt(2)
	v_add3_u32 v40, v40, v14, v15
	s_waitcnt lgkmcnt(1)
	v_add3_u32 v40, v40, v10, v11
	;; [unrolled: 2-line block ×3, first 2 shown]
	s_nop 1
	v_mov_b32_dpp v40, v13 row_shr:1 row_mask:0xf bank_mask:0xf
	v_cndmask_b32_e64 v40, v40, 0, s[14:15]
	v_add_u32_e32 v13, v40, v13
	s_nop 1
	v_mov_b32_dpp v40, v13 row_shr:2 row_mask:0xf bank_mask:0xf
	v_cndmask_b32_e64 v40, 0, v40, s[16:17]
	v_add_u32_e32 v13, v13, v40
	s_nop 1
	v_mov_b32_dpp v40, v13 row_shr:4 row_mask:0xf bank_mask:0xf
	v_cndmask_b32_e64 v40, 0, v40, s[18:19]
	v_add_u32_e32 v13, v13, v40
	s_nop 1
	v_mov_b32_dpp v40, v13 row_shr:8 row_mask:0xf bank_mask:0xf
	v_cndmask_b32_e64 v40, 0, v40, s[20:21]
	v_add_u32_e32 v13, v13, v40
	s_nop 1
	v_mov_b32_dpp v40, v13 row_bcast:15 row_mask:0xf bank_mask:0xf
	v_cndmask_b32_e64 v40, v40, 0, vcc
	v_add_u32_e32 v13, v13, v40
	s_and_saveexec_b64 s[4:5], s[10:11]
	s_cbranch_execz .LBB93_62
; %bb.61:
	v_mov_b32_e32 v40, 0
	ds_write_b32 v40, v13 offset:1024
.LBB93_62:
	s_or_b64 exec, exec, s[4:5]
	ds_bpermute_b32 v13, v22, v13
	v_mov_b32_e32 v22, 0
	s_waitcnt lgkmcnt(0)
	; wave barrier
	s_waitcnt lgkmcnt(0)
	ds_read_b32 v22, v22 offset:1024
	v_cndmask_b32_e64 v13, v13, 0, s[12:13]
	s_waitcnt lgkmcnt(0)
	v_lshl_add_u32 v13, v22, 16, v13
	v_add_u32_e32 v16, v13, v16
	v_add_u32_e32 v17, v16, v17
	;; [unrolled: 1-line block ×7, first 2 shown]
	ds_write2_b32 v20, v13, v16 offset1:1
	ds_write2_b32 v20, v17, v14 offset0:2 offset1:3
	ds_write2_b32 v20, v15, v10 offset0:4 offset1:5
	;; [unrolled: 1-line block ×3, first 2 shown]
	s_waitcnt lgkmcnt(0)
	; wave barrier
	s_waitcnt lgkmcnt(0)
	ds_read_u16 v10, v39
	ds_read_u16 v11, v37
	;; [unrolled: 1-line block ×4, first 2 shown]
	s_waitcnt lgkmcnt(0)
	v_add_u32_sdwa v10, v10, v38 dst_sel:DWORD dst_unused:UNUSED_PAD src0_sel:DWORD src1_sel:WORD_0
	v_add_u32_sdwa v11, v11, v36 dst_sel:DWORD dst_unused:UNUSED_PAD src0_sel:DWORD src1_sel:WORD_0
	;; [unrolled: 1-line block ×4, first 2 shown]
	; wave barrier
	ds_write_b8 v1, v23
	ds_write_b8 v12, v24
	;; [unrolled: 1-line block ×4, first 2 shown]
	v_lshlrev_b32_e32 v1, 3, v1
	s_waitcnt lgkmcnt(0)
	; wave barrier
	s_waitcnt lgkmcnt(0)
	ds_read_u8 v20, v29
	ds_read_u8 v22, v29 offset:1
	ds_read_u8 v23, v29 offset:2
	;; [unrolled: 1-line block ×3, first 2 shown]
	s_waitcnt lgkmcnt(0)
	; wave barrier
	s_waitcnt lgkmcnt(0)
	ds_write_b64 v1, v[6:7]
	v_lshlrev_b32_e32 v1, 3, v12
	ds_write_b64 v1, v[8:9]
	v_lshlrev_b32_e32 v1, 3, v11
	;; [unrolled: 2-line block ×3, first 2 shown]
	ds_write_b64 v1, v[4:5]
	s_waitcnt lgkmcnt(0)
	; wave barrier
	s_waitcnt lgkmcnt(0)
	ds_read2_b64 v[10:13], v21 offset1:1
	ds_read2_b64 v[14:17], v21 offset0:2 offset1:3
	v_mov_b32_e32 v2, -1
	v_xor_b32_e32 v1, 0xff, v20
	v_xor_b32_sdwa v3, v22, v2 dst_sel:BYTE_1 dst_unused:UNUSED_PAD src0_sel:DWORD src1_sel:DWORD
	v_xor_b32_e32 v4, 0xff, v23
	v_xor_b32_sdwa v2, v24, v2 dst_sel:BYTE_1 dst_unused:UNUSED_PAD src0_sel:DWORD src1_sel:DWORD
	v_or_b32_e32 v1, v1, v3
	v_or_b32_sdwa v2, v4, v2 dst_sel:WORD_1 dst_unused:UNUSED_PAD src0_sel:DWORD src1_sel:DWORD
	v_or_b32_sdwa v20, v1, v2 dst_sel:DWORD dst_unused:UNUSED_PAD src0_sel:WORD_0 src1_sel:DWORD
.LBB93_63:
	s_waitcnt lgkmcnt(0)
	; wave barrier
	s_waitcnt lgkmcnt(0)
	ds_write_b32 v29, v20
	s_waitcnt lgkmcnt(0)
	; wave barrier
	s_waitcnt lgkmcnt(0)
	ds_read_u8 v5, v0 offset:32
	ds_read_u8 v4, v0 offset:64
	;; [unrolled: 1-line block ×3, first 2 shown]
	v_mov_b32_e32 v3, s27
	v_add_co_u32_e32 v2, vcc, s26, v28
	v_addc_co_u32_e32 v3, vcc, 0, v3, vcc
	s_and_saveexec_b64 s[4:5], s[0:1]
	s_cbranch_execnz .LBB93_74
; %bb.64:
	s_or_b64 exec, exec, s[4:5]
	s_and_saveexec_b64 s[4:5], s[6:7]
	s_cbranch_execnz .LBB93_75
.LBB93_65:
	s_or_b64 exec, exec, s[4:5]
	s_and_saveexec_b64 s[4:5], s[8:9]
	s_cbranch_execnz .LBB93_76
.LBB93_66:
	s_or_b64 exec, exec, s[4:5]
	s_and_saveexec_b64 s[4:5], s[2:3]
	s_cbranch_execz .LBB93_68
.LBB93_67:
	s_mul_i32 s10, s22, 0x60
	v_add_co_u32_e32 v2, vcc, s10, v2
	v_addc_co_u32_e32 v3, vcc, 0, v3, vcc
	s_waitcnt lgkmcnt(0)
	global_store_byte v[2:3], v1, off
.LBB93_68:
	s_or_b64 exec, exec, s[4:5]
	s_waitcnt lgkmcnt(0)
	; wave barrier
	s_waitcnt lgkmcnt(0)
	ds_write2_b64 v33, v[10:11], v[12:13] offset1:1
	ds_write2_b64 v33, v[14:15], v[16:17] offset0:2 offset1:3
	s_waitcnt lgkmcnt(0)
	; wave barrier
	s_waitcnt lgkmcnt(0)
	ds_read_b64 v[6:7], v19 offset:256
	ds_read_b64 v[4:5], v31 offset:512
	;; [unrolled: 1-line block ×3, first 2 shown]
	v_mov_b32_e32 v19, 0
	v_lshlrev_b64 v[2:3], 3, v[18:19]
	v_mov_b32_e32 v8, s25
	v_add_co_u32_e32 v2, vcc, s23, v2
	v_addc_co_u32_e32 v3, vcc, v8, v3, vcc
	s_and_saveexec_b64 s[4:5], s[0:1]
	s_cbranch_execnz .LBB93_77
; %bb.69:
	s_or_b64 exec, exec, s[4:5]
	s_and_saveexec_b64 s[0:1], s[6:7]
	s_cbranch_execnz .LBB93_78
.LBB93_70:
	s_or_b64 exec, exec, s[0:1]
	s_and_saveexec_b64 s[0:1], s[8:9]
	s_cbranch_execnz .LBB93_79
.LBB93_71:
	s_or_b64 exec, exec, s[0:1]
	s_and_saveexec_b64 s[0:1], s[2:3]
	s_cbranch_execz .LBB93_73
.LBB93_72:
	s_mul_i32 s0, s24, 0x60
	s_mov_b32 s1, 0
	s_lshl_b64 s[0:1], s[0:1], 3
	s_waitcnt lgkmcnt(1)
	v_mov_b32_e32 v4, s1
	v_add_co_u32_e32 v2, vcc, s0, v2
	v_addc_co_u32_e32 v3, vcc, v3, v4, vcc
	s_waitcnt lgkmcnt(0)
	global_store_dwordx2 v[2:3], v[0:1], off
.LBB93_73:
	s_endpgm
.LBB93_74:
	ds_read_u8 v0, v0
	s_waitcnt lgkmcnt(0)
	global_store_byte v[2:3], v0, off
	s_or_b64 exec, exec, s[4:5]
	s_and_saveexec_b64 s[4:5], s[6:7]
	s_cbranch_execz .LBB93_65
.LBB93_75:
	s_lshl_b32 s10, s22, 5
	v_add_co_u32_e32 v6, vcc, s10, v2
	v_addc_co_u32_e32 v7, vcc, 0, v3, vcc
	s_waitcnt lgkmcnt(2)
	global_store_byte v[6:7], v5, off
	s_or_b64 exec, exec, s[4:5]
	s_and_saveexec_b64 s[4:5], s[8:9]
	s_cbranch_execz .LBB93_66
.LBB93_76:
	s_lshl_b32 s10, s22, 6
	v_add_co_u32_e32 v6, vcc, s10, v2
	v_addc_co_u32_e32 v7, vcc, 0, v3, vcc
	s_waitcnt lgkmcnt(1)
	global_store_byte v[6:7], v4, off
	s_or_b64 exec, exec, s[4:5]
	s_and_saveexec_b64 s[4:5], s[2:3]
	s_cbranch_execnz .LBB93_67
	s_branch .LBB93_68
.LBB93_77:
	ds_read_b64 v[8:9], v30
	s_waitcnt lgkmcnt(0)
	global_store_dwordx2 v[2:3], v[8:9], off
	s_or_b64 exec, exec, s[4:5]
	s_and_saveexec_b64 s[0:1], s[6:7]
	s_cbranch_execz .LBB93_70
.LBB93_78:
	s_lshl_b32 s4, s24, 5
	s_mov_b32 s5, 0
	s_lshl_b64 s[4:5], s[4:5], 3
	v_mov_b32_e32 v9, s5
	v_add_co_u32_e32 v8, vcc, s4, v2
	v_addc_co_u32_e32 v9, vcc, v3, v9, vcc
	s_waitcnt lgkmcnt(2)
	global_store_dwordx2 v[8:9], v[6:7], off
	s_or_b64 exec, exec, s[0:1]
	s_and_saveexec_b64 s[0:1], s[8:9]
	s_cbranch_execz .LBB93_71
.LBB93_79:
	s_lshl_b32 s4, s24, 6
	s_mov_b32 s5, 0
	s_lshl_b64 s[4:5], s[4:5], 3
	s_waitcnt lgkmcnt(2)
	v_mov_b32_e32 v7, s5
	v_add_co_u32_e32 v6, vcc, s4, v2
	v_addc_co_u32_e32 v7, vcc, v3, v7, vcc
	s_waitcnt lgkmcnt(1)
	global_store_dwordx2 v[6:7], v[4:5], off
	s_or_b64 exec, exec, s[0:1]
	s_and_saveexec_b64 s[0:1], s[2:3]
	s_cbranch_execnz .LBB93_72
	s_branch .LBB93_73
	.section	.rodata,"a",@progbits
	.p2align	6, 0x0
	.amdhsa_kernel _ZN2at6native18radixSortKVInPlaceILin1ELin1ELi32ELi4EhljEEvNS_4cuda6detail10TensorInfoIT3_T5_EES6_S6_S6_NS4_IT4_S6_EES6_b
		.amdhsa_group_segment_fixed_size 1056
		.amdhsa_private_segment_fixed_size 0
		.amdhsa_kernarg_size 712
		.amdhsa_user_sgpr_count 6
		.amdhsa_user_sgpr_private_segment_buffer 1
		.amdhsa_user_sgpr_dispatch_ptr 0
		.amdhsa_user_sgpr_queue_ptr 0
		.amdhsa_user_sgpr_kernarg_segment_ptr 1
		.amdhsa_user_sgpr_dispatch_id 0
		.amdhsa_user_sgpr_flat_scratch_init 0
		.amdhsa_user_sgpr_kernarg_preload_length 0
		.amdhsa_user_sgpr_kernarg_preload_offset 0
		.amdhsa_user_sgpr_private_segment_size 0
		.amdhsa_uses_dynamic_stack 0
		.amdhsa_system_sgpr_private_segment_wavefront_offset 0
		.amdhsa_system_sgpr_workgroup_id_x 1
		.amdhsa_system_sgpr_workgroup_id_y 1
		.amdhsa_system_sgpr_workgroup_id_z 1
		.amdhsa_system_sgpr_workgroup_info 0
		.amdhsa_system_vgpr_workitem_id 0
		.amdhsa_next_free_vgpr 54
		.amdhsa_next_free_sgpr 40
		.amdhsa_accum_offset 56
		.amdhsa_reserve_vcc 1
		.amdhsa_reserve_flat_scratch 0
		.amdhsa_float_round_mode_32 0
		.amdhsa_float_round_mode_16_64 0
		.amdhsa_float_denorm_mode_32 3
		.amdhsa_float_denorm_mode_16_64 3
		.amdhsa_dx10_clamp 1
		.amdhsa_ieee_mode 1
		.amdhsa_fp16_overflow 0
		.amdhsa_tg_split 0
		.amdhsa_exception_fp_ieee_invalid_op 0
		.amdhsa_exception_fp_denorm_src 0
		.amdhsa_exception_fp_ieee_div_zero 0
		.amdhsa_exception_fp_ieee_overflow 0
		.amdhsa_exception_fp_ieee_underflow 0
		.amdhsa_exception_fp_ieee_inexact 0
		.amdhsa_exception_int_div_zero 0
	.end_amdhsa_kernel
	.section	.text._ZN2at6native18radixSortKVInPlaceILin1ELin1ELi32ELi4EhljEEvNS_4cuda6detail10TensorInfoIT3_T5_EES6_S6_S6_NS4_IT4_S6_EES6_b,"axG",@progbits,_ZN2at6native18radixSortKVInPlaceILin1ELin1ELi32ELi4EhljEEvNS_4cuda6detail10TensorInfoIT3_T5_EES6_S6_S6_NS4_IT4_S6_EES6_b,comdat
.Lfunc_end93:
	.size	_ZN2at6native18radixSortKVInPlaceILin1ELin1ELi32ELi4EhljEEvNS_4cuda6detail10TensorInfoIT3_T5_EES6_S6_S6_NS4_IT4_S6_EES6_b, .Lfunc_end93-_ZN2at6native18radixSortKVInPlaceILin1ELin1ELi32ELi4EhljEEvNS_4cuda6detail10TensorInfoIT3_T5_EES6_S6_S6_NS4_IT4_S6_EES6_b
                                        ; -- End function
	.section	.AMDGPU.csdata,"",@progbits
; Kernel info:
; codeLenInByte = 6264
; NumSgprs: 44
; NumVgprs: 54
; NumAgprs: 0
; TotalNumVgprs: 54
; ScratchSize: 0
; MemoryBound: 0
; FloatMode: 240
; IeeeMode: 1
; LDSByteSize: 1056 bytes/workgroup (compile time only)
; SGPRBlocks: 5
; VGPRBlocks: 6
; NumSGPRsForWavesPerEU: 44
; NumVGPRsForWavesPerEU: 54
; AccumOffset: 56
; Occupancy: 8
; WaveLimiterHint : 1
; COMPUTE_PGM_RSRC2:SCRATCH_EN: 0
; COMPUTE_PGM_RSRC2:USER_SGPR: 6
; COMPUTE_PGM_RSRC2:TRAP_HANDLER: 0
; COMPUTE_PGM_RSRC2:TGID_X_EN: 1
; COMPUTE_PGM_RSRC2:TGID_Y_EN: 1
; COMPUTE_PGM_RSRC2:TGID_Z_EN: 1
; COMPUTE_PGM_RSRC2:TIDIG_COMP_CNT: 0
; COMPUTE_PGM_RSRC3_GFX90A:ACCUM_OFFSET: 13
; COMPUTE_PGM_RSRC3_GFX90A:TG_SPLIT: 0
	.section	.text._ZN2at6native18radixSortKVInPlaceILin1ELin1ELi16ELi2EhljEEvNS_4cuda6detail10TensorInfoIT3_T5_EES6_S6_S6_NS4_IT4_S6_EES6_b,"axG",@progbits,_ZN2at6native18radixSortKVInPlaceILin1ELin1ELi16ELi2EhljEEvNS_4cuda6detail10TensorInfoIT3_T5_EES6_S6_S6_NS4_IT4_S6_EES6_b,comdat
	.protected	_ZN2at6native18radixSortKVInPlaceILin1ELin1ELi16ELi2EhljEEvNS_4cuda6detail10TensorInfoIT3_T5_EES6_S6_S6_NS4_IT4_S6_EES6_b ; -- Begin function _ZN2at6native18radixSortKVInPlaceILin1ELin1ELi16ELi2EhljEEvNS_4cuda6detail10TensorInfoIT3_T5_EES6_S6_S6_NS4_IT4_S6_EES6_b
	.globl	_ZN2at6native18radixSortKVInPlaceILin1ELin1ELi16ELi2EhljEEvNS_4cuda6detail10TensorInfoIT3_T5_EES6_S6_S6_NS4_IT4_S6_EES6_b
	.p2align	8
	.type	_ZN2at6native18radixSortKVInPlaceILin1ELin1ELi16ELi2EhljEEvNS_4cuda6detail10TensorInfoIT3_T5_EES6_S6_S6_NS4_IT4_S6_EES6_b,@function
_ZN2at6native18radixSortKVInPlaceILin1ELin1ELi16ELi2EhljEEvNS_4cuda6detail10TensorInfoIT3_T5_EES6_S6_S6_NS4_IT4_S6_EES6_b: ; @_ZN2at6native18radixSortKVInPlaceILin1ELin1ELi16ELi2EhljEEvNS_4cuda6detail10TensorInfoIT3_T5_EES6_S6_S6_NS4_IT4_S6_EES6_b
; %bb.0:
	s_load_dwordx2 s[0:1], s[4:5], 0x1c8
	s_load_dwordx4 s[16:19], s[4:5], 0xd8
	s_waitcnt lgkmcnt(0)
	s_mul_i32 s1, s1, s8
	s_add_i32 s1, s1, s7
	s_mul_i32 s0, s1, s0
	s_add_i32 s12, s0, s6
	s_cmp_ge_u32 s12, s16
	s_cbranch_scc1 .LBB94_63
; %bb.1:
	s_load_dword s2, s[4:5], 0xd0
	s_mov_b32 s1, 0
	s_mov_b32 s0, s12
	s_waitcnt lgkmcnt(0)
	s_cmp_lt_i32 s2, 2
	s_cbranch_scc1 .LBB94_4
; %bb.2:
	s_add_i32 s0, s2, -1
	s_add_i32 s6, s2, 1
	s_lshl_b64 s[2:3], s[0:1], 2
	s_add_u32 s0, s2, s4
	s_addc_u32 s3, s3, s5
	s_add_u32 s2, s0, 8
	s_addc_u32 s3, s3, 0
	s_mov_b32 s0, s12
.LBB94_3:                               ; =>This Inner Loop Header: Depth=1
	s_load_dword s7, s[2:3], 0x0
	s_load_dword s9, s[2:3], 0x64
	s_mov_b32 s8, s0
	s_waitcnt lgkmcnt(0)
	v_cvt_f32_u32_e32 v1, s7
	s_sub_i32 s0, 0, s7
	v_rcp_iflag_f32_e32 v1, v1
	v_mul_f32_e32 v1, 0x4f7ffffe, v1
	v_cvt_u32_f32_e32 v1, v1
	v_readfirstlane_b32 s10, v1
	s_mul_i32 s0, s0, s10
	s_mul_hi_u32 s0, s10, s0
	s_add_i32 s10, s10, s0
	s_mul_hi_u32 s0, s8, s10
	s_mul_i32 s10, s0, s7
	s_sub_i32 s10, s8, s10
	s_add_i32 s11, s0, 1
	s_sub_i32 s13, s10, s7
	s_cmp_ge_u32 s10, s7
	s_cselect_b32 s0, s11, s0
	s_cselect_b32 s10, s13, s10
	s_add_i32 s11, s0, 1
	s_cmp_ge_u32 s10, s7
	s_cselect_b32 s0, s11, s0
	s_mul_i32 s7, s0, s7
	s_sub_i32 s7, s8, s7
	s_mul_i32 s7, s9, s7
	s_add_i32 s6, s6, -1
	s_add_i32 s1, s7, s1
	s_add_u32 s2, s2, -4
	s_addc_u32 s3, s3, -1
	s_cmp_gt_u32 s6, 2
	s_cbranch_scc1 .LBB94_3
.LBB94_4:
	s_load_dword s2, s[4:5], 0x1b8
	s_mov_b32 s7, 0
	s_waitcnt lgkmcnt(0)
	s_cmp_lt_i32 s2, 2
	s_cbranch_scc1 .LBB94_7
; %bb.5:
	s_add_i32 s6, s2, -1
	s_add_i32 s8, s2, 1
	s_lshl_b64 s[2:3], s[6:7], 2
	s_add_u32 s2, s2, s4
	s_addc_u32 s3, s3, s5
	s_add_u32 s2, s2, 0xf0
	s_addc_u32 s3, s3, 0
.LBB94_6:                               ; =>This Inner Loop Header: Depth=1
	s_load_dword s6, s[2:3], 0x0
	s_load_dword s10, s[2:3], 0x64
	s_mov_b32 s9, s12
	s_waitcnt lgkmcnt(0)
	v_cvt_f32_u32_e32 v1, s6
	s_sub_i32 s11, 0, s6
	v_rcp_iflag_f32_e32 v1, v1
	v_mul_f32_e32 v1, 0x4f7ffffe, v1
	v_cvt_u32_f32_e32 v1, v1
	v_readfirstlane_b32 s12, v1
	s_mul_i32 s11, s11, s12
	s_mul_hi_u32 s11, s12, s11
	s_add_i32 s12, s12, s11
	s_mul_hi_u32 s11, s9, s12
	s_mul_i32 s12, s11, s6
	s_sub_i32 s12, s9, s12
	s_add_i32 s13, s11, 1
	s_sub_i32 s14, s12, s6
	s_cmp_ge_u32 s12, s6
	s_cselect_b32 s11, s13, s11
	s_cselect_b32 s12, s14, s12
	s_add_i32 s13, s11, 1
	s_cmp_ge_u32 s12, s6
	s_cselect_b32 s12, s13, s11
	s_mul_i32 s6, s12, s6
	s_sub_i32 s6, s9, s6
	s_mul_i32 s6, s10, s6
	s_add_i32 s8, s8, -1
	s_add_i32 s7, s6, s7
	s_add_u32 s2, s2, -4
	s_addc_u32 s3, s3, -1
	s_cmp_gt_u32 s8, 2
	s_cbranch_scc1 .LBB94_6
.LBB94_7:
	s_load_dword s2, s[4:5], 0x6c
	s_load_dwordx2 s[20:21], s[4:5], 0x1c0
	v_mul_lo_u32 v20, v0, s18
	s_waitcnt lgkmcnt(0)
	s_mul_i32 s0, s2, s0
	s_load_dwordx2 s[2:3], s[4:5], 0x0
	s_load_dwordx2 s[10:11], s[4:5], 0xe8
	s_add_i32 s6, s0, s1
	s_bitcmp1_b32 s21, 0
	s_cselect_b64 s[0:1], -1, 0
	s_waitcnt lgkmcnt(0)
	s_add_u32 s22, s2, s6
	s_addc_u32 s23, s3, 0
	s_xor_b64 s[8:9], s[0:1], -1
	v_cndmask_b32_e64 v2, 0, -1, s[8:9]
	v_lshlrev_b16_e32 v1, 8, v2
	v_or_b32_sdwa v1, v2, v1 dst_sel:DWORD dst_unused:UNUSED_PAD src0_sel:BYTE_0 src1_sel:DWORD
	v_and_b32_e32 v3, 0xffff, v1
	v_cmp_gt_u32_e64 s[0:1], s17, v0
	s_and_saveexec_b64 s[2:3], s[0:1]
	s_cbranch_execz .LBB94_9
; %bb.8:
	global_load_ubyte v2, v20, s[22:23]
	v_and_b32_e32 v1, 0xffffff00, v3
	s_waitcnt vmcnt(0)
	v_or_b32_e32 v1, v2, v1
	v_and_b32_e32 v3, 0xffff, v1
.LBB94_9:
	s_or_b64 exec, exec, s[2:3]
	s_load_dword s6, s[4:5], 0x154
	v_or_b32_e32 v1, 16, v0
	v_cmp_gt_u32_e64 s[2:3], s17, v1
	s_and_saveexec_b64 s[4:5], s[2:3]
	s_cbranch_execz .LBB94_11
; %bb.10:
	v_mul_lo_u32 v4, v1, s18
	global_load_ubyte v4, v4, s[22:23]
	s_waitcnt vmcnt(0)
	v_lshlrev_b16_e32 v4, 8, v4
	v_or_b32_sdwa v3, v3, v4 dst_sel:DWORD dst_unused:UNUSED_PAD src0_sel:BYTE_0 src1_sel:DWORD
	v_and_b32_e32 v3, 0xffff, v3
.LBB94_11:
	s_or_b64 exec, exec, s[4:5]
	s_waitcnt lgkmcnt(0)
	s_mul_i32 s4, s6, s12
	ds_write_b8 v0, v2
	v_lshrrev_b16_e32 v2, 8, v3
	v_lshlrev_b32_e32 v21, 1, v0
	s_add_i32 s4, s4, s7
	s_mov_b32 s5, 0
	ds_write_b8 v0, v2 offset:16
	s_waitcnt lgkmcnt(0)
	; wave barrier
	s_waitcnt lgkmcnt(0)
	ds_read_u8 v24, v21
	ds_read_u8 v23, v21 offset:1
	s_lshl_b64 s[6:7], s[4:5], 3
	s_add_u32 s19, s10, s6
	s_mov_b32 s4, s5
	s_addc_u32 s21, s11, s7
	s_mov_b32 s6, s5
	s_mov_b32 s7, s5
	v_pk_mov_b32 v[2:3], s[4:5], s[4:5] op_sel:[0,1]
	v_pk_mov_b32 v[4:5], s[6:7], s[6:7] op_sel:[0,1]
	v_pk_mov_b32 v[2:3], 0, 0
	v_mul_lo_u32 v10, v0, s20
	s_waitcnt lgkmcnt(0)
	; wave barrier
	s_waitcnt lgkmcnt(0)
	s_and_saveexec_b64 s[4:5], s[0:1]
	s_cbranch_execz .LBB94_13
; %bb.12:
	v_mov_b32_e32 v11, 0
	v_lshlrev_b64 v[2:3], 3, v[10:11]
	v_mov_b32_e32 v4, s21
	v_add_co_u32_e32 v2, vcc, s19, v2
	v_addc_co_u32_e32 v3, vcc, v4, v3, vcc
	global_load_dwordx2 v[2:3], v[2:3], off
	v_mov_b32_e32 v4, v11
	v_mov_b32_e32 v5, v11
.LBB94_13:
	s_or_b64 exec, exec, s[4:5]
	s_and_saveexec_b64 s[4:5], s[2:3]
	s_cbranch_execz .LBB94_15
; %bb.14:
	v_mul_lo_u32 v4, v1, s20
	v_mov_b32_e32 v5, 0
	v_lshlrev_b64 v[4:5], 3, v[4:5]
	v_mov_b32_e32 v6, s21
	v_add_co_u32_e32 v4, vcc, s19, v4
	v_addc_co_u32_e32 v5, vcc, v6, v5, vcc
	global_load_dwordx2 v[4:5], v[4:5], off
.LBB94_15:
	s_or_b64 exec, exec, s[4:5]
	v_lshlrev_b32_e32 v22, 3, v0
	v_lshlrev_b32_e32 v11, 3, v21
	s_waitcnt vmcnt(0)
	ds_write2_b64 v22, v[2:3], v[4:5] offset1:16
	s_waitcnt lgkmcnt(0)
	; wave barrier
	s_waitcnt lgkmcnt(0)
	ds_read2_b64 v[2:5], v11 offset1:1
	s_and_b64 vcc, exec, s[8:9]
	s_waitcnt lgkmcnt(0)
	; wave barrier
	s_waitcnt lgkmcnt(0)
	s_cbranch_vccz .LBB94_23
; %bb.16:
	s_movk_i32 s4, 0x80
	v_cmp_gt_u32_e64 s[4:5], s4, v0
	s_getpc_b64 s[6:7]
	s_add_u32 s6, s6, _ZN7rocprim17ROCPRIM_400000_NS16block_radix_sortIhLj16ELj2ElLj1ELj1ELj0ELNS0_26block_radix_rank_algorithmE1ELNS0_18block_padding_hintE2ELNS0_4arch9wavefront6targetE1EE19radix_bits_per_passE@rel32@lo+4
	s_addc_u32 s7, s7, _ZN7rocprim17ROCPRIM_400000_NS16block_radix_sortIhLj16ELj2ElLj1ELj1ELj0ELNS0_26block_radix_rank_algorithmE1ELNS0_18block_padding_hintE2ELNS0_4arch9wavefront6targetE1EE19radix_bits_per_passE@rel32@hi+12
	s_and_saveexec_b64 s[8:9], s[4:5]
	s_cbranch_execz .LBB94_24
; %bb.17:
	s_mov_b32 s16, 0
	s_mov_b64 s[10:11], 0
	v_mov_b32_e32 v8, 0
	v_pk_mov_b32 v[6:7], v[0:1], v[0:1] op_sel:[0,1]
	s_branch .LBB94_19
.LBB94_18:                              ;   in Loop: Header=BB94_19 Depth=1
	s_or_b64 exec, exec, s[14:15]
	s_add_i32 s16, s16, 2
	v_cmp_eq_u32_e64 s[12:13], 8, s16
	v_add_u32_e32 v7, 32, v7
	s_or_b64 s[10:11], s[12:13], s[10:11]
	v_add_u32_e32 v6, 32, v6
	s_andn2_b64 exec, exec, s[10:11]
	s_cbranch_execz .LBB94_24
.LBB94_19:                              ; =>This Inner Loop Header: Depth=1
	s_or_b32 s12, s16, 1
	v_cmp_le_u32_e64 s[12:13], s12, 7
	v_cmp_le_u32_e64 s[24:25], s16, 7
	s_and_saveexec_b64 s[14:15], s[24:25]
	s_cbranch_execz .LBB94_21
; %bb.20:                               ;   in Loop: Header=BB94_19 Depth=1
	v_lshlrev_b32_e32 v9, 2, v6
	ds_write_b32 v9, v8
.LBB94_21:                              ;   in Loop: Header=BB94_19 Depth=1
	s_or_b64 exec, exec, s[14:15]
	s_and_saveexec_b64 s[14:15], s[12:13]
	s_cbranch_execz .LBB94_18
; %bb.22:                               ;   in Loop: Header=BB94_19 Depth=1
	v_lshlrev_b32_e32 v9, 2, v7
	ds_write_b32 v9, v8
	s_branch .LBB94_18
.LBB94_23:
                                        ; implicit-def: $vgpr8_vgpr9
                                        ; implicit-def: $vgpr12
	s_cbranch_execnz .LBB94_36
	s_branch .LBB94_55
.LBB94_24:
	s_or_b64 exec, exec, s[8:9]
	s_load_dword s28, s[6:7], 0x0
	s_movk_i32 s7, 0x70
	v_lshlrev_b32_e32 v25, 5, v0
	v_cmp_eq_u32_e32 vcc, 15, v0
	s_waitcnt lgkmcnt(0)
	s_min_u32 s6, s28, 8
	s_lshl_b32 s6, -1, s6
	s_not_b32 s6, s6
	v_and_b32_e32 v6, s6, v24
	v_bfe_u32 v7, v6, 3, 5
	v_lshlrev_b32_e32 v6, 4, v6
	v_and_or_b32 v6, v6, s7, v0
	v_lshlrev_b32_e32 v6, 1, v6
	v_add_lshl_u32 v18, v6, v7, 1
	ds_read_u16 v17, v18
	v_and_b32_e32 v6, s6, v23
	v_bfe_u32 v7, v6, 3, 5
	v_lshlrev_b32_e32 v6, 4, v6
	v_and_or_b32 v6, v6, s7, v0
	s_waitcnt lgkmcnt(0)
	v_add_u16_e32 v8, 1, v17
	v_lshlrev_b32_e32 v6, 1, v6
	ds_write_b16 v18, v8
	v_add_lshl_u32 v27, v6, v7, 1
	ds_read_u16 v19, v27
	v_mbcnt_lo_u32_b32 v6, -1, 0
	v_mbcnt_hi_u32_b32 v28, -1, v6
	v_and_b32_e32 v16, 15, v28
	v_cmp_eq_u32_e64 s[6:7], 0, v16
	s_waitcnt lgkmcnt(0)
	v_add_u16_e32 v6, 1, v19
	ds_write_b16 v27, v6
	s_waitcnt lgkmcnt(0)
	; wave barrier
	s_waitcnt lgkmcnt(0)
	ds_read2_b32 v[14:15], v25 offset1:1
	ds_read2_b32 v[12:13], v25 offset0:2 offset1:3
	ds_read2_b32 v[6:7], v25 offset0:4 offset1:5
	;; [unrolled: 1-line block ×3, first 2 shown]
	v_cmp_lt_u32_e64 s[8:9], 1, v16
	s_waitcnt lgkmcnt(3)
	v_add_u32_e32 v26, v15, v14
	s_waitcnt lgkmcnt(2)
	v_add3_u32 v26, v26, v12, v13
	s_waitcnt lgkmcnt(1)
	v_add3_u32 v26, v26, v6, v7
	;; [unrolled: 2-line block ×3, first 2 shown]
	v_cmp_lt_u32_e64 s[10:11], 3, v16
	v_cmp_lt_u32_e64 s[14:15], 7, v16
	v_mov_b32_dpp v26, v9 row_shr:1 row_mask:0xf bank_mask:0xf
	v_cndmask_b32_e64 v26, v26, 0, s[6:7]
	v_add_u32_e32 v9, v26, v9
	s_nop 1
	v_mov_b32_dpp v26, v9 row_shr:2 row_mask:0xf bank_mask:0xf
	v_cndmask_b32_e64 v26, 0, v26, s[8:9]
	v_add_u32_e32 v9, v9, v26
	s_nop 1
	;; [unrolled: 4-line block ×3, first 2 shown]
	v_mov_b32_dpp v26, v9 row_shr:8 row_mask:0xf bank_mask:0xf
	v_cndmask_b32_e64 v16, 0, v26, s[14:15]
	v_add_u32_e32 v9, v9, v16
	s_and_saveexec_b64 s[12:13], vcc
	s_cbranch_execz .LBB94_26
; %bb.25:
	v_mov_b32_e32 v16, 0
	ds_write_b32 v16, v9 offset:512
.LBB94_26:
	s_or_b64 exec, exec, s[12:13]
	v_add_u32_e32 v16, -1, v28
	v_and_b32_e32 v26, 0x70, v28
	v_cmp_lt_i32_e64 s[12:13], v16, v26
	v_cndmask_b32_e64 v16, v16, v28, s[12:13]
	v_lshlrev_b32_e32 v26, 2, v16
	ds_bpermute_b32 v9, v26, v9
	v_mov_b32_e32 v16, 0
	s_waitcnt lgkmcnt(0)
	; wave barrier
	s_waitcnt lgkmcnt(0)
	ds_read_b32 v29, v16 offset:512
	v_cmp_eq_u32_e64 s[12:13], 0, v28
	v_cndmask_b32_e64 v9, v9, 0, s[12:13]
	s_waitcnt lgkmcnt(0)
	v_lshl_add_u32 v9, v29, 16, v9
	v_add_u32_e32 v14, v9, v14
	v_add_u32_e32 v15, v14, v15
	;; [unrolled: 1-line block ×7, first 2 shown]
	ds_write2_b32 v25, v9, v14 offset1:1
	ds_write2_b32 v25, v15, v12 offset0:2 offset1:3
	ds_write2_b32 v25, v13, v6 offset0:4 offset1:5
	;; [unrolled: 1-line block ×3, first 2 shown]
	s_waitcnt lgkmcnt(0)
	; wave barrier
	s_waitcnt lgkmcnt(0)
	ds_read_u16 v6, v18
	ds_read_u16 v7, v27
	s_waitcnt lgkmcnt(0)
	; wave barrier
	s_waitcnt lgkmcnt(0)
	v_add_u32_sdwa v6, v6, v17 dst_sel:DWORD dst_unused:UNUSED_PAD src0_sel:DWORD src1_sel:WORD_0
	v_add_u32_sdwa v7, v7, v19 dst_sel:DWORD dst_unused:UNUSED_PAD src0_sel:DWORD src1_sel:WORD_0
	ds_write_b8 v6, v24
	ds_write_b8 v7, v23
	v_lshlrev_b32_e32 v6, 3, v6
	s_waitcnt lgkmcnt(0)
	; wave barrier
	s_waitcnt lgkmcnt(0)
	ds_read_u8 v27, v21
	ds_read_u8 v28, v21 offset:1
	s_waitcnt lgkmcnt(0)
	; wave barrier
	s_waitcnt lgkmcnt(0)
	ds_write_b64 v6, v[2:3]
	v_lshlrev_b32_e32 v6, 3, v7
	ds_write_b64 v6, v[4:5]
	s_waitcnt lgkmcnt(0)
	; wave barrier
	s_waitcnt lgkmcnt(0)
	ds_read2_b64 v[6:9], v11 offset1:1
	s_waitcnt lgkmcnt(0)
	; wave barrier
	s_waitcnt lgkmcnt(0)
	s_and_saveexec_b64 s[16:17], s[4:5]
	s_cbranch_execz .LBB94_33
; %bb.27:
	s_mov_b32 s29, 0
	s_mov_b64 s[4:5], 0
	v_pk_mov_b32 v[12:13], v[0:1], v[0:1] op_sel:[0,1]
	s_branch .LBB94_29
.LBB94_28:                              ;   in Loop: Header=BB94_29 Depth=1
	s_or_b64 exec, exec, s[26:27]
	s_add_i32 s29, s29, 2
	v_cmp_eq_u32_e64 s[24:25], 8, s29
	v_add_u32_e32 v13, 32, v13
	s_or_b64 s[4:5], s[24:25], s[4:5]
	v_add_u32_e32 v12, 32, v12
	s_andn2_b64 exec, exec, s[4:5]
	s_cbranch_execz .LBB94_33
.LBB94_29:                              ; =>This Inner Loop Header: Depth=1
	s_or_b32 s24, s29, 1
	v_cmp_le_u32_e64 s[24:25], s24, 7
	v_cmp_le_u32_e64 s[30:31], s29, 7
	s_and_saveexec_b64 s[26:27], s[30:31]
	s_cbranch_execz .LBB94_31
; %bb.30:                               ;   in Loop: Header=BB94_29 Depth=1
	v_lshlrev_b32_e32 v14, 2, v12
	ds_write_b32 v14, v16
.LBB94_31:                              ;   in Loop: Header=BB94_29 Depth=1
	s_or_b64 exec, exec, s[26:27]
	s_and_saveexec_b64 s[26:27], s[24:25]
	s_cbranch_execz .LBB94_28
; %bb.32:                               ;   in Loop: Header=BB94_29 Depth=1
	v_lshlrev_b32_e32 v14, 2, v13
	ds_write_b32 v14, v16
	s_branch .LBB94_28
.LBB94_33:
	s_or_b64 exec, exec, s[16:17]
	s_min_u32 s4, s28, 4
	s_lshl_b32 s4, -1, s4
	v_lshrrev_b16_e32 v12, 4, v27
	s_not_b32 s4, s4
	v_and_b32_e32 v12, 15, v12
	v_and_b32_sdwa v12, v12, s4 dst_sel:DWORD dst_unused:UNUSED_PAD src0_sel:WORD_0 src1_sel:DWORD
	v_lshlrev_b32_e32 v13, 4, v12
	s_movk_i32 s5, 0x70
	v_lshrrev_b32_e32 v12, 2, v12
	v_and_or_b32 v13, v13, s5, v0
	v_and_b32_e32 v12, 2, v12
	v_lshl_or_b32 v30, v13, 2, v12
	ds_read_u16 v29, v30
	s_waitcnt lgkmcnt(0)
	v_add_u16_e32 v12, 1, v29
	ds_write_b16 v30, v12
	v_lshrrev_b16_e32 v12, 4, v28
	v_and_b32_e32 v12, 15, v12
	v_and_b32_sdwa v12, v12, s4 dst_sel:DWORD dst_unused:UNUSED_PAD src0_sel:WORD_0 src1_sel:DWORD
	v_lshlrev_b32_e32 v13, 4, v12
	v_lshrrev_b32_e32 v12, 2, v12
	v_and_or_b32 v13, v13, s5, v0
	v_and_b32_e32 v12, 2, v12
	v_lshl_or_b32 v32, v13, 2, v12
	ds_read_u16 v31, v32
	s_waitcnt lgkmcnt(0)
	v_add_u16_e32 v12, 1, v31
	ds_write_b16 v32, v12
	s_waitcnt lgkmcnt(0)
	; wave barrier
	s_waitcnt lgkmcnt(0)
	ds_read2_b32 v[18:19], v25 offset1:1
	ds_read2_b32 v[16:17], v25 offset0:2 offset1:3
	ds_read2_b32 v[12:13], v25 offset0:4 offset1:5
	;; [unrolled: 1-line block ×3, first 2 shown]
	s_waitcnt lgkmcnt(3)
	v_add_u32_e32 v33, v19, v18
	s_waitcnt lgkmcnt(2)
	v_add3_u32 v33, v33, v16, v17
	s_waitcnt lgkmcnt(1)
	v_add3_u32 v33, v33, v12, v13
	s_waitcnt lgkmcnt(0)
	v_add3_u32 v15, v33, v14, v15
	s_nop 1
	v_mov_b32_dpp v33, v15 row_shr:1 row_mask:0xf bank_mask:0xf
	v_cndmask_b32_e64 v33, v33, 0, s[6:7]
	v_add_u32_e32 v15, v33, v15
	s_nop 1
	v_mov_b32_dpp v33, v15 row_shr:2 row_mask:0xf bank_mask:0xf
	v_cndmask_b32_e64 v33, 0, v33, s[8:9]
	v_add_u32_e32 v15, v15, v33
	;; [unrolled: 4-line block ×4, first 2 shown]
	s_and_saveexec_b64 s[4:5], vcc
	s_cbranch_execz .LBB94_35
; %bb.34:
	v_mov_b32_e32 v33, 0
	ds_write_b32 v33, v15 offset:512
.LBB94_35:
	s_or_b64 exec, exec, s[4:5]
	ds_bpermute_b32 v15, v26, v15
	v_mov_b32_e32 v26, 0
	s_waitcnt lgkmcnt(0)
	; wave barrier
	s_waitcnt lgkmcnt(0)
	ds_read_b32 v26, v26 offset:512
	v_cndmask_b32_e64 v15, v15, 0, s[12:13]
	s_waitcnt lgkmcnt(0)
	v_lshl_add_u32 v15, v26, 16, v15
	v_add_u32_e32 v18, v15, v18
	v_add_u32_e32 v19, v18, v19
	;; [unrolled: 1-line block ×7, first 2 shown]
	ds_write2_b32 v25, v15, v18 offset1:1
	ds_write2_b32 v25, v19, v16 offset0:2 offset1:3
	ds_write2_b32 v25, v17, v12 offset0:4 offset1:5
	;; [unrolled: 1-line block ×3, first 2 shown]
	s_waitcnt lgkmcnt(0)
	; wave barrier
	s_waitcnt lgkmcnt(0)
	ds_read_u16 v12, v32
	ds_read_u16 v13, v30
	s_waitcnt lgkmcnt(0)
	; wave barrier
	s_waitcnt lgkmcnt(0)
	v_add_u32_sdwa v12, v12, v31 dst_sel:DWORD dst_unused:UNUSED_PAD src0_sel:DWORD src1_sel:WORD_0
	v_add_u32_sdwa v13, v13, v29 dst_sel:DWORD dst_unused:UNUSED_PAD src0_sel:DWORD src1_sel:WORD_0
	ds_write_b8 v13, v27
	ds_write_b8 v12, v28
	s_waitcnt lgkmcnt(0)
	; wave barrier
	s_waitcnt lgkmcnt(0)
	ds_read_u8 v14, v21
	ds_read_u8 v15, v21 offset:1
	v_lshlrev_b32_e32 v13, 3, v13
	s_waitcnt lgkmcnt(0)
	; wave barrier
	s_waitcnt lgkmcnt(0)
	ds_write_b64 v13, v[6:7]
	v_lshlrev_b32_e32 v6, 3, v12
	ds_write_b64 v6, v[8:9]
	s_waitcnt lgkmcnt(0)
	; wave barrier
	s_waitcnt lgkmcnt(0)
	ds_read2_b64 v[6:9], v11 offset1:1
	v_lshlrev_b16_e32 v12, 8, v15
	v_or_b32_e32 v12, v14, v12
	v_and_b32_e32 v12, 0xffff, v12
	s_branch .LBB94_55
.LBB94_36:
	s_movk_i32 s4, 0x80
	v_cmp_gt_u32_e64 s[4:5], s4, v0
	s_getpc_b64 s[6:7]
	s_add_u32 s6, s6, _ZN7rocprim17ROCPRIM_400000_NS16block_radix_sortIhLj16ELj2ElLj1ELj1ELj0ELNS0_26block_radix_rank_algorithmE1ELNS0_18block_padding_hintE2ELNS0_4arch9wavefront6targetE1EE19radix_bits_per_passE@rel32@lo+4
	s_addc_u32 s7, s7, _ZN7rocprim17ROCPRIM_400000_NS16block_radix_sortIhLj16ELj2ElLj1ELj1ELj0ELNS0_26block_radix_rank_algorithmE1ELNS0_18block_padding_hintE2ELNS0_4arch9wavefront6targetE1EE19radix_bits_per_passE@rel32@hi+12
	s_and_saveexec_b64 s[8:9], s[4:5]
	s_cbranch_execz .LBB94_43
; %bb.37:
	s_mov_b32 s16, 0
	s_mov_b64 s[10:11], 0
	s_waitcnt lgkmcnt(0)
	v_mov_b32_e32 v8, 0
	v_pk_mov_b32 v[6:7], v[0:1], v[0:1] op_sel:[0,1]
	s_branch .LBB94_39
.LBB94_38:                              ;   in Loop: Header=BB94_39 Depth=1
	s_or_b64 exec, exec, s[14:15]
	s_add_i32 s16, s16, 2
	v_cmp_eq_u32_e64 s[12:13], 8, s16
	v_add_u32_e32 v7, 32, v7
	s_or_b64 s[10:11], s[12:13], s[10:11]
	v_add_u32_e32 v6, 32, v6
	s_andn2_b64 exec, exec, s[10:11]
	s_cbranch_execz .LBB94_43
.LBB94_39:                              ; =>This Inner Loop Header: Depth=1
	s_or_b32 s12, s16, 1
	v_cmp_le_u32_e64 s[12:13], s12, 7
	v_cmp_le_u32_e64 s[24:25], s16, 7
	s_and_saveexec_b64 s[14:15], s[24:25]
	s_cbranch_execz .LBB94_41
; %bb.40:                               ;   in Loop: Header=BB94_39 Depth=1
	v_lshlrev_b32_e32 v9, 2, v6
	ds_write_b32 v9, v8
.LBB94_41:                              ;   in Loop: Header=BB94_39 Depth=1
	s_or_b64 exec, exec, s[14:15]
	s_and_saveexec_b64 s[14:15], s[12:13]
	s_cbranch_execz .LBB94_38
; %bb.42:                               ;   in Loop: Header=BB94_39 Depth=1
	v_lshlrev_b32_e32 v9, 2, v7
	ds_write_b32 v9, v8
	s_branch .LBB94_38
.LBB94_43:
	s_or_b64 exec, exec, s[8:9]
	s_load_dword s28, s[6:7], 0x0
	v_xor_b32_e32 v18, -1, v24
	s_movk_i32 s7, 0x70
	v_xor_b32_e32 v19, -1, v23
	v_lshlrev_b32_e32 v16, 5, v0
	s_waitcnt lgkmcnt(0)
	s_min_u32 s6, s28, 8
	s_lshl_b32 s6, -1, s6
	s_not_b32 s6, s6
	v_and_b32_e32 v6, s6, v18
	v_bfe_u32 v7, v6, 3, 5
	v_lshlrev_b32_e32 v6, 4, v6
	v_and_or_b32 v6, v6, s7, v0
	v_lshlrev_b32_e32 v6, 1, v6
	v_add_lshl_u32 v25, v6, v7, 1
	ds_read_u16 v24, v25
	v_cmp_eq_u32_e32 vcc, 15, v0
	s_waitcnt lgkmcnt(0)
	v_add_u16_e32 v6, 1, v24
	ds_write_b16 v25, v6
	v_and_b32_e32 v6, s6, v19
	v_bfe_u32 v7, v6, 3, 5
	v_lshlrev_b32_e32 v6, 4, v6
	v_and_or_b32 v6, v6, s7, v0
	v_lshlrev_b32_e32 v6, 1, v6
	v_add_lshl_u32 v26, v6, v7, 1
	ds_read_u16 v23, v26
	v_mbcnt_lo_u32_b32 v6, -1, 0
	v_mbcnt_hi_u32_b32 v27, -1, v6
	v_and_b32_e32 v17, 15, v27
	v_cmp_eq_u32_e64 s[6:7], 0, v17
	s_waitcnt lgkmcnt(0)
	v_add_u16_e32 v6, 1, v23
	ds_write_b16 v26, v6
	s_waitcnt lgkmcnt(0)
	; wave barrier
	s_waitcnt lgkmcnt(0)
	ds_read2_b32 v[14:15], v16 offset1:1
	ds_read2_b32 v[12:13], v16 offset0:2 offset1:3
	ds_read2_b32 v[6:7], v16 offset0:4 offset1:5
	;; [unrolled: 1-line block ×3, first 2 shown]
	v_cmp_lt_u32_e64 s[8:9], 1, v17
	s_waitcnt lgkmcnt(3)
	v_add_u32_e32 v28, v15, v14
	s_waitcnt lgkmcnt(2)
	v_add3_u32 v28, v28, v12, v13
	s_waitcnt lgkmcnt(1)
	v_add3_u32 v28, v28, v6, v7
	s_waitcnt lgkmcnt(0)
	v_add3_u32 v9, v28, v8, v9
	v_cmp_lt_u32_e64 s[10:11], 3, v17
	v_cmp_lt_u32_e64 s[14:15], 7, v17
	v_mov_b32_dpp v28, v9 row_shr:1 row_mask:0xf bank_mask:0xf
	v_cndmask_b32_e64 v28, v28, 0, s[6:7]
	v_add_u32_e32 v9, v28, v9
	s_nop 1
	v_mov_b32_dpp v28, v9 row_shr:2 row_mask:0xf bank_mask:0xf
	v_cndmask_b32_e64 v28, 0, v28, s[8:9]
	v_add_u32_e32 v9, v9, v28
	s_nop 1
	;; [unrolled: 4-line block ×3, first 2 shown]
	v_mov_b32_dpp v28, v9 row_shr:8 row_mask:0xf bank_mask:0xf
	v_cndmask_b32_e64 v17, 0, v28, s[14:15]
	v_add_u32_e32 v9, v9, v17
	s_and_saveexec_b64 s[12:13], vcc
	s_cbranch_execz .LBB94_45
; %bb.44:
	v_mov_b32_e32 v17, 0
	ds_write_b32 v17, v9 offset:512
.LBB94_45:
	s_or_b64 exec, exec, s[12:13]
	v_add_u32_e32 v17, -1, v27
	v_and_b32_e32 v28, 0x70, v27
	v_cmp_lt_i32_e64 s[12:13], v17, v28
	v_cndmask_b32_e64 v17, v17, v27, s[12:13]
	v_lshlrev_b32_e32 v17, 2, v17
	ds_bpermute_b32 v28, v17, v9
	v_mov_b32_e32 v9, 0
	s_waitcnt lgkmcnt(0)
	; wave barrier
	s_waitcnt lgkmcnt(0)
	ds_read_b32 v29, v9 offset:512
	v_cmp_eq_u32_e64 s[12:13], 0, v27
	v_cndmask_b32_e64 v27, v28, 0, s[12:13]
	s_waitcnt lgkmcnt(0)
	v_lshl_add_u32 v27, v29, 16, v27
	v_add_u32_e32 v14, v27, v14
	v_add_u32_e32 v15, v14, v15
	v_add_u32_e32 v12, v15, v12
	v_add_u32_e32 v13, v12, v13
	v_add_u32_e32 v6, v13, v6
	v_add_u32_e32 v7, v6, v7
	v_add_u32_e32 v8, v7, v8
	ds_write2_b32 v16, v27, v14 offset1:1
	ds_write2_b32 v16, v15, v12 offset0:2 offset1:3
	ds_write2_b32 v16, v13, v6 offset0:4 offset1:5
	;; [unrolled: 1-line block ×3, first 2 shown]
	s_waitcnt lgkmcnt(0)
	; wave barrier
	s_waitcnt lgkmcnt(0)
	ds_read_u16 v6, v25
	ds_read_u16 v7, v26
	s_waitcnt lgkmcnt(0)
	; wave barrier
	s_waitcnt lgkmcnt(0)
	v_add_u32_sdwa v6, v6, v24 dst_sel:DWORD dst_unused:UNUSED_PAD src0_sel:DWORD src1_sel:WORD_0
	v_add_u32_sdwa v7, v7, v23 dst_sel:DWORD dst_unused:UNUSED_PAD src0_sel:DWORD src1_sel:WORD_0
	ds_write_b8 v6, v18
	ds_write_b8 v7, v19
	v_lshlrev_b32_e32 v6, 3, v6
	s_waitcnt lgkmcnt(0)
	; wave barrier
	s_waitcnt lgkmcnt(0)
	ds_read_u8 v18, v21
	ds_read_u8 v19, v21 offset:1
	s_waitcnt lgkmcnt(0)
	; wave barrier
	s_waitcnt lgkmcnt(0)
	ds_write_b64 v6, v[2:3]
	v_lshlrev_b32_e32 v2, 3, v7
	ds_write_b64 v2, v[4:5]
	s_waitcnt lgkmcnt(0)
	; wave barrier
	s_waitcnt lgkmcnt(0)
	ds_read2_b64 v[2:5], v11 offset1:1
	s_waitcnt lgkmcnt(0)
	; wave barrier
	s_waitcnt lgkmcnt(0)
	s_and_saveexec_b64 s[16:17], s[4:5]
	s_cbranch_execz .LBB94_52
; %bb.46:
	s_mov_b32 s29, 0
	s_mov_b64 s[4:5], 0
	v_pk_mov_b32 v[6:7], v[0:1], v[0:1] op_sel:[0,1]
	s_branch .LBB94_48
.LBB94_47:                              ;   in Loop: Header=BB94_48 Depth=1
	s_or_b64 exec, exec, s[26:27]
	s_add_i32 s29, s29, 2
	v_cmp_eq_u32_e64 s[24:25], 8, s29
	v_add_u32_e32 v7, 32, v7
	s_or_b64 s[4:5], s[24:25], s[4:5]
	v_add_u32_e32 v6, 32, v6
	s_andn2_b64 exec, exec, s[4:5]
	s_cbranch_execz .LBB94_52
.LBB94_48:                              ; =>This Inner Loop Header: Depth=1
	s_or_b32 s24, s29, 1
	v_cmp_le_u32_e64 s[24:25], s24, 7
	v_cmp_le_u32_e64 s[30:31], s29, 7
	s_and_saveexec_b64 s[26:27], s[30:31]
	s_cbranch_execz .LBB94_50
; %bb.49:                               ;   in Loop: Header=BB94_48 Depth=1
	v_lshlrev_b32_e32 v1, 2, v6
	ds_write_b32 v1, v9
.LBB94_50:                              ;   in Loop: Header=BB94_48 Depth=1
	s_or_b64 exec, exec, s[26:27]
	s_and_saveexec_b64 s[26:27], s[24:25]
	s_cbranch_execz .LBB94_47
; %bb.51:                               ;   in Loop: Header=BB94_48 Depth=1
	v_lshlrev_b32_e32 v1, 2, v7
	ds_write_b32 v1, v9
	s_branch .LBB94_47
.LBB94_52:
	s_or_b64 exec, exec, s[16:17]
	s_min_u32 s4, s28, 4
	s_lshl_b32 s4, -1, s4
	v_lshrrev_b16_e32 v1, 4, v18
	s_not_b32 s4, s4
	v_and_b32_e32 v1, 15, v1
	v_and_b32_sdwa v1, v1, s4 dst_sel:DWORD dst_unused:UNUSED_PAD src0_sel:WORD_0 src1_sel:DWORD
	v_lshlrev_b32_e32 v6, 4, v1
	s_movk_i32 s5, 0x70
	v_lshrrev_b32_e32 v1, 2, v1
	v_and_or_b32 v6, v6, s5, v0
	v_and_b32_e32 v1, 2, v1
	v_lshl_or_b32 v23, v6, 2, v1
	ds_read_u16 v1, v23
	s_waitcnt lgkmcnt(0)
	v_add_u16_e32 v6, 1, v1
	ds_write_b16 v23, v6
	v_lshrrev_b16_e32 v6, 4, v19
	v_and_b32_e32 v6, 15, v6
	v_and_b32_sdwa v6, v6, s4 dst_sel:DWORD dst_unused:UNUSED_PAD src0_sel:WORD_0 src1_sel:DWORD
	v_lshlrev_b32_e32 v7, 4, v6
	v_lshrrev_b32_e32 v6, 2, v6
	v_and_or_b32 v7, v7, s5, v0
	v_and_b32_e32 v6, 2, v6
	v_lshl_or_b32 v25, v7, 2, v6
	ds_read_u16 v24, v25
	s_waitcnt lgkmcnt(0)
	v_add_u16_e32 v6, 1, v24
	ds_write_b16 v25, v6
	s_waitcnt lgkmcnt(0)
	; wave barrier
	s_waitcnt lgkmcnt(0)
	ds_read2_b32 v[14:15], v16 offset1:1
	ds_read2_b32 v[12:13], v16 offset0:2 offset1:3
	ds_read2_b32 v[6:7], v16 offset0:4 offset1:5
	;; [unrolled: 1-line block ×3, first 2 shown]
	s_waitcnt lgkmcnt(3)
	v_add_u32_e32 v26, v15, v14
	s_waitcnt lgkmcnt(2)
	v_add3_u32 v26, v26, v12, v13
	s_waitcnt lgkmcnt(1)
	v_add3_u32 v26, v26, v6, v7
	;; [unrolled: 2-line block ×3, first 2 shown]
	s_nop 1
	v_mov_b32_dpp v26, v9 row_shr:1 row_mask:0xf bank_mask:0xf
	v_cndmask_b32_e64 v26, v26, 0, s[6:7]
	v_add_u32_e32 v9, v26, v9
	s_nop 1
	v_mov_b32_dpp v26, v9 row_shr:2 row_mask:0xf bank_mask:0xf
	v_cndmask_b32_e64 v26, 0, v26, s[8:9]
	v_add_u32_e32 v9, v9, v26
	;; [unrolled: 4-line block ×4, first 2 shown]
	s_and_saveexec_b64 s[4:5], vcc
	s_cbranch_execz .LBB94_54
; %bb.53:
	v_mov_b32_e32 v26, 0
	ds_write_b32 v26, v9 offset:512
.LBB94_54:
	s_or_b64 exec, exec, s[4:5]
	ds_bpermute_b32 v9, v17, v9
	v_mov_b32_e32 v17, 0
	s_waitcnt lgkmcnt(0)
	; wave barrier
	s_waitcnt lgkmcnt(0)
	ds_read_b32 v17, v17 offset:512
	v_cndmask_b32_e64 v9, v9, 0, s[12:13]
	s_waitcnt lgkmcnt(0)
	v_lshl_add_u32 v9, v17, 16, v9
	v_add_u32_e32 v14, v9, v14
	v_add_u32_e32 v15, v14, v15
	;; [unrolled: 1-line block ×7, first 2 shown]
	ds_write2_b32 v16, v9, v14 offset1:1
	ds_write2_b32 v16, v15, v12 offset0:2 offset1:3
	ds_write2_b32 v16, v13, v6 offset0:4 offset1:5
	;; [unrolled: 1-line block ×3, first 2 shown]
	s_waitcnt lgkmcnt(0)
	; wave barrier
	s_waitcnt lgkmcnt(0)
	ds_read_u16 v6, v25
	ds_read_u16 v7, v23
	s_waitcnt lgkmcnt(0)
	; wave barrier
	s_waitcnt lgkmcnt(0)
	v_add_u32_sdwa v6, v6, v24 dst_sel:DWORD dst_unused:UNUSED_PAD src0_sel:DWORD src1_sel:WORD_0
	v_add_u32_sdwa v1, v7, v1 dst_sel:DWORD dst_unused:UNUSED_PAD src0_sel:DWORD src1_sel:WORD_0
	ds_write_b8 v1, v18
	ds_write_b8 v6, v19
	s_waitcnt lgkmcnt(0)
	; wave barrier
	s_waitcnt lgkmcnt(0)
	ds_read_u8 v12, v21
	ds_read_u8 v13, v21 offset:1
	v_lshlrev_b32_e32 v1, 3, v1
	s_waitcnt lgkmcnt(0)
	; wave barrier
	s_waitcnt lgkmcnt(0)
	ds_write_b64 v1, v[2:3]
	v_lshlrev_b32_e32 v1, 3, v6
	ds_write_b64 v1, v[4:5]
	s_waitcnt lgkmcnt(0)
	; wave barrier
	s_waitcnt lgkmcnt(0)
	ds_read2_b64 v[6:9], v11 offset1:1
	v_mov_b32_e32 v2, -1
	v_xor_b32_e32 v1, 0xff, v12
	v_xor_b32_sdwa v2, v13, v2 dst_sel:BYTE_1 dst_unused:UNUSED_PAD src0_sel:DWORD src1_sel:DWORD
	v_or_b32_e32 v1, v1, v2
	v_and_b32_e32 v12, 0xffff, v1
.LBB94_55:
	v_lshrrev_b16_e32 v1, 8, v12
	s_waitcnt lgkmcnt(0)
	; wave barrier
	s_waitcnt lgkmcnt(0)
	ds_write_b8 v21, v12
	ds_write_b8 v21, v1 offset:1
	s_waitcnt lgkmcnt(0)
	; wave barrier
	s_waitcnt lgkmcnt(0)
	ds_read_u8 v1, v0 offset:16
	v_mov_b32_e32 v3, s23
	v_add_co_u32_e32 v2, vcc, s22, v20
	v_addc_co_u32_e32 v3, vcc, 0, v3, vcc
	s_and_saveexec_b64 s[4:5], s[0:1]
	s_cbranch_execz .LBB94_57
; %bb.56:
	ds_read_u8 v0, v0
	s_waitcnt lgkmcnt(0)
	global_store_byte v[2:3], v0, off
.LBB94_57:
	s_or_b64 exec, exec, s[4:5]
	s_and_saveexec_b64 s[4:5], s[2:3]
	s_cbranch_execz .LBB94_59
; %bb.58:
	s_lshl_b32 s6, s18, 4
	v_add_co_u32_e32 v2, vcc, s6, v2
	v_addc_co_u32_e32 v3, vcc, 0, v3, vcc
	s_waitcnt lgkmcnt(0)
	global_store_byte v[2:3], v1, off
.LBB94_59:
	s_or_b64 exec, exec, s[4:5]
	s_waitcnt lgkmcnt(0)
	; wave barrier
	s_waitcnt lgkmcnt(0)
	ds_write2_b64 v11, v[6:7], v[8:9] offset1:1
	s_waitcnt lgkmcnt(0)
	; wave barrier
	s_waitcnt lgkmcnt(0)
	ds_read_b64 v[0:1], v22 offset:128
	v_mov_b32_e32 v11, 0
	v_lshlrev_b64 v[2:3], 3, v[10:11]
	v_mov_b32_e32 v4, s21
	v_add_co_u32_e32 v2, vcc, s19, v2
	v_addc_co_u32_e32 v3, vcc, v4, v3, vcc
	s_and_saveexec_b64 s[4:5], s[0:1]
	s_cbranch_execz .LBB94_61
; %bb.60:
	ds_read_b64 v[4:5], v22
	s_waitcnt lgkmcnt(0)
	global_store_dwordx2 v[2:3], v[4:5], off
.LBB94_61:
	s_or_b64 exec, exec, s[4:5]
	s_and_saveexec_b64 s[0:1], s[2:3]
	s_cbranch_execz .LBB94_63
; %bb.62:
	s_lshl_b32 s0, s20, 4
	s_mov_b32 s1, 0
	s_lshl_b64 s[0:1], s[0:1], 3
	v_mov_b32_e32 v4, s1
	v_add_co_u32_e32 v2, vcc, s0, v2
	v_addc_co_u32_e32 v3, vcc, v3, v4, vcc
	s_waitcnt lgkmcnt(0)
	global_store_dwordx2 v[2:3], v[0:1], off
.LBB94_63:
	s_endpgm
	.section	.rodata,"a",@progbits
	.p2align	6, 0x0
	.amdhsa_kernel _ZN2at6native18radixSortKVInPlaceILin1ELin1ELi16ELi2EhljEEvNS_4cuda6detail10TensorInfoIT3_T5_EES6_S6_S6_NS4_IT4_S6_EES6_b
		.amdhsa_group_segment_fixed_size 528
		.amdhsa_private_segment_fixed_size 0
		.amdhsa_kernarg_size 712
		.amdhsa_user_sgpr_count 6
		.amdhsa_user_sgpr_private_segment_buffer 1
		.amdhsa_user_sgpr_dispatch_ptr 0
		.amdhsa_user_sgpr_queue_ptr 0
		.amdhsa_user_sgpr_kernarg_segment_ptr 1
		.amdhsa_user_sgpr_dispatch_id 0
		.amdhsa_user_sgpr_flat_scratch_init 0
		.amdhsa_user_sgpr_kernarg_preload_length 0
		.amdhsa_user_sgpr_kernarg_preload_offset 0
		.amdhsa_user_sgpr_private_segment_size 0
		.amdhsa_uses_dynamic_stack 0
		.amdhsa_system_sgpr_private_segment_wavefront_offset 0
		.amdhsa_system_sgpr_workgroup_id_x 1
		.amdhsa_system_sgpr_workgroup_id_y 1
		.amdhsa_system_sgpr_workgroup_id_z 1
		.amdhsa_system_sgpr_workgroup_info 0
		.amdhsa_system_vgpr_workitem_id 0
		.amdhsa_next_free_vgpr 34
		.amdhsa_next_free_sgpr 32
		.amdhsa_accum_offset 36
		.amdhsa_reserve_vcc 1
		.amdhsa_reserve_flat_scratch 0
		.amdhsa_float_round_mode_32 0
		.amdhsa_float_round_mode_16_64 0
		.amdhsa_float_denorm_mode_32 3
		.amdhsa_float_denorm_mode_16_64 3
		.amdhsa_dx10_clamp 1
		.amdhsa_ieee_mode 1
		.amdhsa_fp16_overflow 0
		.amdhsa_tg_split 0
		.amdhsa_exception_fp_ieee_invalid_op 0
		.amdhsa_exception_fp_denorm_src 0
		.amdhsa_exception_fp_ieee_div_zero 0
		.amdhsa_exception_fp_ieee_overflow 0
		.amdhsa_exception_fp_ieee_underflow 0
		.amdhsa_exception_fp_ieee_inexact 0
		.amdhsa_exception_int_div_zero 0
	.end_amdhsa_kernel
	.section	.text._ZN2at6native18radixSortKVInPlaceILin1ELin1ELi16ELi2EhljEEvNS_4cuda6detail10TensorInfoIT3_T5_EES6_S6_S6_NS4_IT4_S6_EES6_b,"axG",@progbits,_ZN2at6native18radixSortKVInPlaceILin1ELin1ELi16ELi2EhljEEvNS_4cuda6detail10TensorInfoIT3_T5_EES6_S6_S6_NS4_IT4_S6_EES6_b,comdat
.Lfunc_end94:
	.size	_ZN2at6native18radixSortKVInPlaceILin1ELin1ELi16ELi2EhljEEvNS_4cuda6detail10TensorInfoIT3_T5_EES6_S6_S6_NS4_IT4_S6_EES6_b, .Lfunc_end94-_ZN2at6native18radixSortKVInPlaceILin1ELin1ELi16ELi2EhljEEvNS_4cuda6detail10TensorInfoIT3_T5_EES6_S6_S6_NS4_IT4_S6_EES6_b
                                        ; -- End function
	.section	.AMDGPU.csdata,"",@progbits
; Kernel info:
; codeLenInByte = 4508
; NumSgprs: 36
; NumVgprs: 34
; NumAgprs: 0
; TotalNumVgprs: 34
; ScratchSize: 0
; MemoryBound: 0
; FloatMode: 240
; IeeeMode: 1
; LDSByteSize: 528 bytes/workgroup (compile time only)
; SGPRBlocks: 4
; VGPRBlocks: 4
; NumSGPRsForWavesPerEU: 36
; NumVGPRsForWavesPerEU: 34
; AccumOffset: 36
; Occupancy: 8
; WaveLimiterHint : 1
; COMPUTE_PGM_RSRC2:SCRATCH_EN: 0
; COMPUTE_PGM_RSRC2:USER_SGPR: 6
; COMPUTE_PGM_RSRC2:TRAP_HANDLER: 0
; COMPUTE_PGM_RSRC2:TGID_X_EN: 1
; COMPUTE_PGM_RSRC2:TGID_Y_EN: 1
; COMPUTE_PGM_RSRC2:TGID_Z_EN: 1
; COMPUTE_PGM_RSRC2:TIDIG_COMP_CNT: 0
; COMPUTE_PGM_RSRC3_GFX90A:ACCUM_OFFSET: 8
; COMPUTE_PGM_RSRC3_GFX90A:TG_SPLIT: 0
	.section	.text._ZN2at6native18radixSortKVInPlaceILin1ELin1ELi512ELi8EhlmEEvNS_4cuda6detail10TensorInfoIT3_T5_EES6_S6_S6_NS4_IT4_S6_EES6_b,"axG",@progbits,_ZN2at6native18radixSortKVInPlaceILin1ELin1ELi512ELi8EhlmEEvNS_4cuda6detail10TensorInfoIT3_T5_EES6_S6_S6_NS4_IT4_S6_EES6_b,comdat
	.protected	_ZN2at6native18radixSortKVInPlaceILin1ELin1ELi512ELi8EhlmEEvNS_4cuda6detail10TensorInfoIT3_T5_EES6_S6_S6_NS4_IT4_S6_EES6_b ; -- Begin function _ZN2at6native18radixSortKVInPlaceILin1ELin1ELi512ELi8EhlmEEvNS_4cuda6detail10TensorInfoIT3_T5_EES6_S6_S6_NS4_IT4_S6_EES6_b
	.globl	_ZN2at6native18radixSortKVInPlaceILin1ELin1ELi512ELi8EhlmEEvNS_4cuda6detail10TensorInfoIT3_T5_EES6_S6_S6_NS4_IT4_S6_EES6_b
	.p2align	8
	.type	_ZN2at6native18radixSortKVInPlaceILin1ELin1ELi512ELi8EhlmEEvNS_4cuda6detail10TensorInfoIT3_T5_EES6_S6_S6_NS4_IT4_S6_EES6_b,@function
_ZN2at6native18radixSortKVInPlaceILin1ELin1ELi512ELi8EhlmEEvNS_4cuda6detail10TensorInfoIT3_T5_EES6_S6_S6_NS4_IT4_S6_EES6_b: ; @_ZN2at6native18radixSortKVInPlaceILin1ELin1ELi512ELi8EhlmEEvNS_4cuda6detail10TensorInfoIT3_T5_EES6_S6_S6_NS4_IT4_S6_EES6_b
; %bb.0:
	s_load_dwordx4 s[12:15], s[4:5], 0x1a0
	s_load_dwordx2 s[0:1], s[4:5], 0x368
	s_add_u32 s24, s4, 0x368
	s_addc_u32 s25, s5, 0
	s_waitcnt lgkmcnt(0)
	v_mov_b32_e32 v2, s12
	s_mul_i32 s1, s1, s8
	s_add_i32 s1, s1, s7
	s_mul_i32 s0, s1, s0
	v_mov_b32_e32 v3, s13
	s_add_i32 s6, s0, s6
	s_mov_b32 s7, 0
	v_cmp_ge_u64_e32 vcc, s[6:7], v[2:3]
	s_cbranch_vccnz .LBB95_116
; %bb.1:
	s_load_dword s0, s[4:5], 0x198
	s_load_dwordx2 s[18:19], s[4:5], 0x1b0
	s_mov_b64 s[2:3], 0
	s_mov_b64 s[8:9], s[6:7]
	s_waitcnt lgkmcnt(0)
	s_cmp_lt_i32 s0, 2
	s_cbranch_scc1 .LBB95_9
; %bb.2:
	s_mov_b32 s10, 0
	s_add_i32 s15, s0, 1
	s_add_i32 s0, s0, -1
	s_mov_b32 s1, s10
	s_lshl_b64 s[0:1], s[0:1], 3
	s_add_u32 s0, s0, s4
	s_addc_u32 s1, s1, s5
	s_add_u32 s12, s0, 8
	s_addc_u32 s13, s1, 0
	s_mov_b64 s[16:17], s[6:7]
.LBB95_3:                               ; =>This Inner Loop Header: Depth=1
	s_load_dwordx2 s[20:21], s[12:13], 0x0
	s_waitcnt lgkmcnt(0)
	s_or_b64 s[0:1], s[16:17], s[20:21]
	s_mov_b32 s11, s1
	s_cmp_lg_u64 s[10:11], 0
	s_cbranch_scc0 .LBB95_8
; %bb.4:                                ;   in Loop: Header=BB95_3 Depth=1
	v_cvt_f32_u32_e32 v1, s20
	v_cvt_f32_u32_e32 v2, s21
	s_sub_u32 s0, 0, s20
	s_subb_u32 s1, 0, s21
	v_mac_f32_e32 v1, 0x4f800000, v2
	v_rcp_f32_e32 v1, v1
	v_mul_f32_e32 v1, 0x5f7ffffc, v1
	v_mul_f32_e32 v2, 0x2f800000, v1
	v_trunc_f32_e32 v2, v2
	v_mac_f32_e32 v1, 0xcf800000, v2
	v_cvt_u32_f32_e32 v2, v2
	v_cvt_u32_f32_e32 v1, v1
	v_readfirstlane_b32 s8, v2
	v_readfirstlane_b32 s9, v1
	s_mul_i32 s11, s0, s8
	s_mul_hi_u32 s23, s0, s9
	s_mul_i32 s22, s1, s9
	s_add_i32 s11, s23, s11
	s_mul_i32 s26, s0, s9
	s_add_i32 s11, s11, s22
	s_mul_hi_u32 s22, s9, s11
	s_mul_i32 s23, s9, s11
	s_mul_hi_u32 s9, s9, s26
	s_add_u32 s9, s9, s23
	s_addc_u32 s22, 0, s22
	s_mul_hi_u32 s27, s8, s26
	s_mul_i32 s26, s8, s26
	s_add_u32 s9, s9, s26
	s_mul_hi_u32 s23, s8, s11
	s_addc_u32 s9, s22, s27
	s_addc_u32 s22, s23, 0
	s_mul_i32 s11, s8, s11
	s_add_u32 s9, s9, s11
	s_addc_u32 s11, 0, s22
	v_add_co_u32_e32 v1, vcc, s9, v1
	s_cmp_lg_u64 vcc, 0
	s_addc_u32 s8, s8, s11
	v_readfirstlane_b32 s11, v1
	s_mul_i32 s9, s0, s8
	s_mul_hi_u32 s22, s0, s11
	s_add_i32 s9, s22, s9
	s_mul_i32 s1, s1, s11
	s_add_i32 s9, s9, s1
	s_mul_i32 s0, s0, s11
	s_mul_hi_u32 s22, s8, s0
	s_mul_i32 s23, s8, s0
	s_mul_i32 s27, s11, s9
	s_mul_hi_u32 s0, s11, s0
	s_mul_hi_u32 s26, s11, s9
	s_add_u32 s0, s0, s27
	s_addc_u32 s11, 0, s26
	s_add_u32 s0, s0, s23
	s_mul_hi_u32 s1, s8, s9
	s_addc_u32 s0, s11, s22
	s_addc_u32 s1, s1, 0
	s_mul_i32 s9, s8, s9
	s_add_u32 s0, s0, s9
	s_addc_u32 s1, 0, s1
	v_add_co_u32_e32 v1, vcc, s0, v1
	s_cmp_lg_u64 vcc, 0
	s_addc_u32 s0, s8, s1
	v_readfirstlane_b32 s9, v1
	s_mul_i32 s8, s16, s0
	s_mul_hi_u32 s11, s16, s9
	s_mul_hi_u32 s1, s16, s0
	s_add_u32 s8, s11, s8
	s_addc_u32 s1, 0, s1
	s_mul_hi_u32 s22, s17, s9
	s_mul_i32 s9, s17, s9
	s_add_u32 s8, s8, s9
	s_mul_hi_u32 s11, s17, s0
	s_addc_u32 s1, s1, s22
	s_addc_u32 s8, s11, 0
	s_mul_i32 s0, s17, s0
	s_add_u32 s11, s1, s0
	s_addc_u32 s8, 0, s8
	s_mul_i32 s0, s20, s8
	s_mul_hi_u32 s1, s20, s11
	s_add_i32 s0, s1, s0
	s_mul_i32 s1, s21, s11
	s_add_i32 s9, s0, s1
	s_mul_i32 s1, s20, s11
	v_mov_b32_e32 v1, s1
	s_sub_i32 s0, s17, s9
	v_sub_co_u32_e32 v1, vcc, s16, v1
	s_cmp_lg_u64 vcc, 0
	s_subb_u32 s22, s0, s21
	v_subrev_co_u32_e64 v2, s[0:1], s20, v1
	s_cmp_lg_u64 s[0:1], 0
	s_subb_u32 s0, s22, 0
	s_cmp_ge_u32 s0, s21
	v_readfirstlane_b32 s22, v2
	s_cselect_b32 s1, -1, 0
	s_cmp_ge_u32 s22, s20
	s_cselect_b32 s22, -1, 0
	s_cmp_eq_u32 s0, s21
	s_cselect_b32 s0, s22, s1
	s_add_u32 s1, s11, 1
	s_addc_u32 s22, s8, 0
	s_add_u32 s23, s11, 2
	s_addc_u32 s26, s8, 0
	s_cmp_lg_u32 s0, 0
	s_cselect_b32 s0, s23, s1
	s_cselect_b32 s1, s26, s22
	s_cmp_lg_u64 vcc, 0
	s_subb_u32 s9, s17, s9
	s_cmp_ge_u32 s9, s21
	v_readfirstlane_b32 s23, v1
	s_cselect_b32 s22, -1, 0
	s_cmp_ge_u32 s23, s20
	s_cselect_b32 s23, -1, 0
	s_cmp_eq_u32 s9, s21
	s_cselect_b32 s9, s23, s22
	s_cmp_lg_u32 s9, 0
	s_cselect_b32 s9, s1, s8
	s_cselect_b32 s8, s0, s11
	s_cbranch_execnz .LBB95_6
.LBB95_5:                               ;   in Loop: Header=BB95_3 Depth=1
	v_cvt_f32_u32_e32 v1, s20
	s_sub_i32 s0, 0, s20
	v_rcp_iflag_f32_e32 v1, v1
	v_mul_f32_e32 v1, 0x4f7ffffe, v1
	v_cvt_u32_f32_e32 v1, v1
	v_readfirstlane_b32 s1, v1
	s_mul_i32 s0, s0, s1
	s_mul_hi_u32 s0, s1, s0
	s_add_i32 s1, s1, s0
	s_mul_hi_u32 s0, s16, s1
	s_mul_i32 s8, s0, s20
	s_sub_i32 s8, s16, s8
	s_add_i32 s1, s0, 1
	s_sub_i32 s9, s8, s20
	s_cmp_ge_u32 s8, s20
	s_cselect_b32 s0, s1, s0
	s_cselect_b32 s8, s9, s8
	s_add_i32 s1, s0, 1
	s_cmp_ge_u32 s8, s20
	s_cselect_b32 s8, s1, s0
	s_mov_b32 s9, s10
.LBB95_6:                               ;   in Loop: Header=BB95_3 Depth=1
	s_mul_i32 s0, s8, s21
	s_mul_hi_u32 s1, s8, s20
	s_add_i32 s11, s1, s0
	s_load_dwordx2 s[0:1], s[12:13], 0xc8
	s_mul_i32 s21, s9, s20
	s_add_i32 s11, s11, s21
	s_mul_i32 s20, s8, s20
	s_sub_u32 s16, s16, s20
	s_subb_u32 s11, s17, s11
	s_waitcnt lgkmcnt(0)
	s_mul_i32 s11, s0, s11
	s_mul_hi_u32 s17, s0, s16
	s_add_i32 s11, s17, s11
	s_mul_i32 s1, s1, s16
	s_add_i32 s11, s11, s1
	s_mul_i32 s0, s0, s16
	s_add_u32 s2, s0, s2
	s_addc_u32 s3, s11, s3
	s_add_i32 s15, s15, -1
	s_add_u32 s12, s12, -8
	s_addc_u32 s13, s13, -1
	s_cmp_gt_u32 s15, 2
	s_cbranch_scc0 .LBB95_9
; %bb.7:                                ;   in Loop: Header=BB95_3 Depth=1
	s_mov_b64 s[16:17], s[8:9]
	s_branch .LBB95_3
.LBB95_8:                               ;   in Loop: Header=BB95_3 Depth=1
                                        ; implicit-def: $sgpr8_sgpr9
	s_branch .LBB95_5
.LBB95_9:
	s_load_dword s0, s[4:5], 0x350
	s_load_dwordx2 s[10:11], s[4:5], 0xd0
	s_mov_b64 s[20:21], 0
	s_waitcnt lgkmcnt(0)
	s_cmp_lt_i32 s0, 2
	s_cbranch_scc1 .LBB95_17
; %bb.10:
	s_mov_b32 s12, 0
	s_add_i32 s15, s0, 1
	s_add_i32 s0, s0, -1
	s_mov_b32 s1, s12
	s_lshl_b64 s[0:1], s[0:1], 3
	s_add_u32 s0, s0, s4
	s_addc_u32 s1, s1, s5
	s_add_u32 s16, s0, 0x1c0
	s_addc_u32 s17, s1, 0
.LBB95_11:                              ; =>This Inner Loop Header: Depth=1
	s_load_dwordx2 s[22:23], s[16:17], 0x0
	s_waitcnt lgkmcnt(0)
	s_or_b64 s[0:1], s[6:7], s[22:23]
	s_mov_b32 s13, s1
	s_cmp_lg_u64 s[12:13], 0
	s_cbranch_scc0 .LBB95_16
; %bb.12:                               ;   in Loop: Header=BB95_11 Depth=1
	v_cvt_f32_u32_e32 v1, s22
	v_cvt_f32_u32_e32 v2, s23
	s_sub_u32 s0, 0, s22
	s_subb_u32 s1, 0, s23
	v_mac_f32_e32 v1, 0x4f800000, v2
	v_rcp_f32_e32 v1, v1
	v_mul_f32_e32 v1, 0x5f7ffffc, v1
	v_mul_f32_e32 v2, 0x2f800000, v1
	v_trunc_f32_e32 v2, v2
	v_mac_f32_e32 v1, 0xcf800000, v2
	v_cvt_u32_f32_e32 v2, v2
	v_cvt_u32_f32_e32 v1, v1
	v_readfirstlane_b32 s13, v2
	v_readfirstlane_b32 s26, v1
	s_mul_i32 s27, s0, s13
	s_mul_hi_u32 s29, s0, s26
	s_mul_i32 s28, s1, s26
	s_add_i32 s27, s29, s27
	s_mul_i32 s30, s0, s26
	s_add_i32 s27, s27, s28
	s_mul_hi_u32 s28, s26, s27
	s_mul_i32 s29, s26, s27
	s_mul_hi_u32 s26, s26, s30
	s_add_u32 s26, s26, s29
	s_addc_u32 s28, 0, s28
	s_mul_hi_u32 s31, s13, s30
	s_mul_i32 s30, s13, s30
	s_add_u32 s26, s26, s30
	s_mul_hi_u32 s29, s13, s27
	s_addc_u32 s26, s28, s31
	s_addc_u32 s28, s29, 0
	s_mul_i32 s27, s13, s27
	s_add_u32 s26, s26, s27
	s_addc_u32 s27, 0, s28
	v_add_co_u32_e32 v1, vcc, s26, v1
	s_cmp_lg_u64 vcc, 0
	s_addc_u32 s13, s13, s27
	v_readfirstlane_b32 s27, v1
	s_mul_i32 s26, s0, s13
	s_mul_hi_u32 s28, s0, s27
	s_add_i32 s26, s28, s26
	s_mul_i32 s1, s1, s27
	s_add_i32 s26, s26, s1
	s_mul_i32 s0, s0, s27
	s_mul_hi_u32 s28, s13, s0
	s_mul_i32 s29, s13, s0
	s_mul_i32 s31, s27, s26
	s_mul_hi_u32 s0, s27, s0
	s_mul_hi_u32 s30, s27, s26
	s_add_u32 s0, s0, s31
	s_addc_u32 s27, 0, s30
	s_add_u32 s0, s0, s29
	s_mul_hi_u32 s1, s13, s26
	s_addc_u32 s0, s27, s28
	s_addc_u32 s1, s1, 0
	s_mul_i32 s26, s13, s26
	s_add_u32 s0, s0, s26
	s_addc_u32 s1, 0, s1
	v_add_co_u32_e32 v1, vcc, s0, v1
	s_cmp_lg_u64 vcc, 0
	s_addc_u32 s0, s13, s1
	v_readfirstlane_b32 s26, v1
	s_mul_i32 s13, s6, s0
	s_mul_hi_u32 s27, s6, s26
	s_mul_hi_u32 s1, s6, s0
	s_add_u32 s13, s27, s13
	s_addc_u32 s1, 0, s1
	s_mul_hi_u32 s28, s7, s26
	s_mul_i32 s26, s7, s26
	s_add_u32 s13, s13, s26
	s_mul_hi_u32 s27, s7, s0
	s_addc_u32 s1, s1, s28
	s_addc_u32 s13, s27, 0
	s_mul_i32 s0, s7, s0
	s_add_u32 s26, s1, s0
	s_addc_u32 s13, 0, s13
	s_mul_i32 s0, s22, s13
	s_mul_hi_u32 s1, s22, s26
	s_add_i32 s0, s1, s0
	s_mul_i32 s1, s23, s26
	s_add_i32 s27, s0, s1
	s_mul_i32 s1, s22, s26
	v_mov_b32_e32 v1, s1
	s_sub_i32 s0, s7, s27
	v_sub_co_u32_e32 v1, vcc, s6, v1
	s_cmp_lg_u64 vcc, 0
	s_subb_u32 s28, s0, s23
	v_subrev_co_u32_e64 v2, s[0:1], s22, v1
	s_cmp_lg_u64 s[0:1], 0
	s_subb_u32 s0, s28, 0
	s_cmp_ge_u32 s0, s23
	v_readfirstlane_b32 s28, v2
	s_cselect_b32 s1, -1, 0
	s_cmp_ge_u32 s28, s22
	s_cselect_b32 s28, -1, 0
	s_cmp_eq_u32 s0, s23
	s_cselect_b32 s0, s28, s1
	s_add_u32 s1, s26, 1
	s_addc_u32 s28, s13, 0
	s_add_u32 s29, s26, 2
	s_addc_u32 s30, s13, 0
	s_cmp_lg_u32 s0, 0
	s_cselect_b32 s0, s29, s1
	s_cselect_b32 s1, s30, s28
	s_cmp_lg_u64 vcc, 0
	s_subb_u32 s27, s7, s27
	s_cmp_ge_u32 s27, s23
	v_readfirstlane_b32 s29, v1
	s_cselect_b32 s28, -1, 0
	s_cmp_ge_u32 s29, s22
	s_cselect_b32 s29, -1, 0
	s_cmp_eq_u32 s27, s23
	s_cselect_b32 s27, s29, s28
	s_cmp_lg_u32 s27, 0
	s_cselect_b32 s29, s1, s13
	s_cselect_b32 s28, s0, s26
	s_cbranch_execnz .LBB95_14
.LBB95_13:                              ;   in Loop: Header=BB95_11 Depth=1
	v_cvt_f32_u32_e32 v1, s22
	s_sub_i32 s0, 0, s22
	s_mov_b32 s29, s12
	v_rcp_iflag_f32_e32 v1, v1
	v_mul_f32_e32 v1, 0x4f7ffffe, v1
	v_cvt_u32_f32_e32 v1, v1
	v_readfirstlane_b32 s1, v1
	s_mul_i32 s0, s0, s1
	s_mul_hi_u32 s0, s1, s0
	s_add_i32 s1, s1, s0
	s_mul_hi_u32 s0, s6, s1
	s_mul_i32 s13, s0, s22
	s_sub_i32 s13, s6, s13
	s_add_i32 s1, s0, 1
	s_sub_i32 s26, s13, s22
	s_cmp_ge_u32 s13, s22
	s_cselect_b32 s0, s1, s0
	s_cselect_b32 s13, s26, s13
	s_add_i32 s1, s0, 1
	s_cmp_ge_u32 s13, s22
	s_cselect_b32 s28, s1, s0
.LBB95_14:                              ;   in Loop: Header=BB95_11 Depth=1
	s_mul_i32 s0, s28, s23
	s_mul_hi_u32 s1, s28, s22
	s_add_i32 s13, s1, s0
	s_load_dwordx2 s[0:1], s[16:17], 0xc8
	s_mul_i32 s23, s29, s22
	s_add_i32 s13, s13, s23
	s_mul_i32 s22, s28, s22
	s_sub_u32 s6, s6, s22
	s_subb_u32 s7, s7, s13
	s_waitcnt lgkmcnt(0)
	s_mul_i32 s7, s0, s7
	s_mul_hi_u32 s13, s0, s6
	s_add_i32 s7, s13, s7
	s_mul_i32 s1, s1, s6
	s_add_i32 s7, s7, s1
	s_mul_i32 s0, s0, s6
	s_add_u32 s20, s0, s20
	s_addc_u32 s21, s7, s21
	s_add_i32 s15, s15, -1
	s_add_u32 s16, s16, -8
	s_addc_u32 s17, s17, -1
	s_cmp_gt_u32 s15, 2
	s_cbranch_scc0 .LBB95_18
; %bb.15:                               ;   in Loop: Header=BB95_11 Depth=1
	s_mov_b64 s[6:7], s[28:29]
	s_branch .LBB95_11
.LBB95_16:                              ;   in Loop: Header=BB95_11 Depth=1
                                        ; implicit-def: $sgpr28_sgpr29
	s_branch .LBB95_13
.LBB95_17:
	s_mov_b64 s[28:29], s[6:7]
.LBB95_18:
	s_mul_i32 s0, s10, s9
	s_mul_hi_u32 s1, s10, s8
	s_load_dword s7, s[4:5], 0x360
	s_add_i32 s6, s1, s0
	s_load_dwordx2 s[0:1], s[4:5], 0x0
	s_mul_i32 s9, s11, s8
	s_add_i32 s9, s6, s9
	s_mul_i32 s8, s10, s8
	s_waitcnt lgkmcnt(0)
	s_bitcmp1_b32 s7, 0
	s_cselect_b64 s[6:7], -1, 0
	s_add_u32 s0, s0, s8
	s_addc_u32 s1, s1, s9
	s_add_u32 s22, s0, s2
	s_addc_u32 s23, s1, s3
	s_xor_b64 s[26:27], s[6:7], -1
	v_cndmask_b32_e64 v4, 0, -1, s[26:27]
	v_lshlrev_b16_e32 v1, 8, v4
	v_or_b32_sdwa v1, v4, v1 dst_sel:DWORD dst_unused:UNUSED_PAD src0_sel:BYTE_0 src1_sel:DWORD
	v_lshlrev_b32_e32 v2, 16, v1
	v_and_b32_e32 v34, 0x3ff, v0
	v_or_b32_sdwa v2, v1, v2 dst_sel:DWORD dst_unused:UNUSED_PAD src0_sel:WORD_0 src1_sel:DWORD
	v_mov_b32_e32 v3, v2
	v_cmp_gt_u32_e64 s[0:1], s14, v34
	s_and_saveexec_b64 s[2:3], s[0:1]
	s_cbranch_execz .LBB95_20
; %bb.19:
	v_pk_mov_b32 v[4:5], s[22:23], s[22:23] op_sel:[0,1]
	v_mad_u64_u32 v[4:5], s[6:7], v34, s18, v[4:5]
	v_mov_b32_e32 v6, v5
	v_mad_u64_u32 v[6:7], s[6:7], v34, s19, v[6:7]
	v_mov_b32_e32 v5, v6
	global_load_ubyte v4, v[4:5], off
	s_mov_b32 s6, 0x3020104
	v_mov_b32_e32 v7, v2
	s_waitcnt vmcnt(0)
	v_perm_b32 v6, v4, v2, s6
	v_pk_mov_b32 v[2:3], v[6:7], v[6:7] op_sel:[0,1]
.LBB95_20:
	s_or_b64 exec, exec, s[2:3]
	v_add_u32_e32 v26, 0x200, v34
	v_cmp_gt_u32_e64 s[2:3], s14, v26
	s_and_saveexec_b64 s[6:7], s[2:3]
	s_cbranch_execz .LBB95_22
; %bb.21:
	v_pk_mov_b32 v[6:7], s[22:23], s[22:23] op_sel:[0,1]
	v_mad_u64_u32 v[6:7], s[8:9], v26, s18, v[6:7]
	v_mov_b32_e32 v8, v7
	v_mad_u64_u32 v[8:9], s[8:9], v26, s19, v[8:9]
	v_mov_b32_e32 v7, v8
	global_load_ubyte v1, v[6:7], off
	s_mov_b32 s8, 0x7060004
	s_waitcnt vmcnt(0)
	v_perm_b32 v2, v2, v1, s8
.LBB95_22:
	s_or_b64 exec, exec, s[6:7]
	v_or_b32_e32 v20, 0x400, v34
	v_cmp_gt_u32_e64 s[16:17], s14, v20
	s_and_saveexec_b64 s[6:7], s[16:17]
	s_cbranch_execz .LBB95_24
; %bb.23:
	v_pk_mov_b32 v[6:7], s[22:23], s[22:23] op_sel:[0,1]
	v_mad_u64_u32 v[6:7], s[8:9], v20, s18, v[6:7]
	v_mov_b32_e32 v8, v7
	v_mad_u64_u32 v[8:9], s[8:9], v20, s19, v[8:9]
	v_mov_b32_e32 v7, v8
	global_load_ubyte v1, v[6:7], off
	s_movk_i32 s8, 0xff00
	v_and_b32_sdwa v5, v2, s8 dst_sel:DWORD dst_unused:UNUSED_PAD src0_sel:WORD_1 src1_sel:DWORD
	s_mov_b32 s8, 0xffff
	s_waitcnt vmcnt(0)
	v_or_b32_sdwa v1, v1, v5 dst_sel:WORD_1 dst_unused:UNUSED_PAD src0_sel:DWORD src1_sel:DWORD
	v_and_or_b32 v2, v2, s8, v1
.LBB95_24:
	s_or_b64 exec, exec, s[6:7]
	v_add_u32_e32 v21, 0x600, v34
	v_cmp_gt_u32_e64 s[6:7], s14, v21
	s_and_saveexec_b64 s[8:9], s[6:7]
	s_cbranch_execz .LBB95_26
; %bb.25:
	v_pk_mov_b32 v[6:7], s[22:23], s[22:23] op_sel:[0,1]
	v_mad_u64_u32 v[6:7], s[10:11], v21, s18, v[6:7]
	v_mov_b32_e32 v8, v7
	v_mad_u64_u32 v[8:9], s[10:11], v21, s19, v[8:9]
	v_mov_b32_e32 v7, v8
	global_load_ubyte v1, v[6:7], off
	s_movk_i32 s10, 0xff
	v_and_b32_sdwa v5, v2, s10 dst_sel:DWORD dst_unused:UNUSED_PAD src0_sel:WORD_1 src1_sel:DWORD
	s_mov_b32 s10, 0xffff
	s_waitcnt vmcnt(0)
	v_lshlrev_b16_e32 v1, 8, v1
	v_or_b32_sdwa v1, v5, v1 dst_sel:WORD_1 dst_unused:UNUSED_PAD src0_sel:DWORD src1_sel:DWORD
	v_and_or_b32 v2, v2, s10, v1
.LBB95_26:
	s_or_b64 exec, exec, s[8:9]
	v_or_b32_e32 v22, 0x800, v34
	v_cmp_gt_u32_e64 s[8:9], s14, v22
	s_and_saveexec_b64 s[10:11], s[8:9]
	s_cbranch_execz .LBB95_28
; %bb.27:
	v_pk_mov_b32 v[6:7], s[22:23], s[22:23] op_sel:[0,1]
	v_mad_u64_u32 v[6:7], s[12:13], v22, s18, v[6:7]
	v_mov_b32_e32 v8, v7
	v_mad_u64_u32 v[8:9], s[12:13], v22, s19, v[8:9]
	v_mov_b32_e32 v7, v8
	global_load_ubyte v1, v[6:7], off
	s_mov_b32 s12, 0x3020104
	s_waitcnt vmcnt(0)
	v_perm_b32 v3, v1, v3, s12
.LBB95_28:
	s_or_b64 exec, exec, s[10:11]
	v_add_u32_e32 v19, 0xa00, v34
	v_cmp_gt_u32_e64 s[10:11], s14, v19
	s_and_saveexec_b64 s[12:13], s[10:11]
	s_cbranch_execz .LBB95_30
; %bb.29:
	v_pk_mov_b32 v[6:7], s[22:23], s[22:23] op_sel:[0,1]
	v_mad_u64_u32 v[6:7], s[30:31], v19, s18, v[6:7]
	v_mov_b32_e32 v8, v7
	v_mad_u64_u32 v[8:9], s[30:31], v19, s19, v[8:9]
	v_mov_b32_e32 v7, v8
	global_load_ubyte v1, v[6:7], off
	s_mov_b32 s15, 0x7060004
	s_waitcnt vmcnt(0)
	v_perm_b32 v3, v3, v1, s15
.LBB95_30:
	s_or_b64 exec, exec, s[12:13]
	s_load_dwordx2 s[34:35], s[4:5], 0x288
	s_load_dwordx2 s[30:31], s[4:5], 0x1b8
	v_or_b32_e32 v18, 0xc00, v34
	v_cmp_gt_u32_e64 s[12:13], s14, v18
	s_and_saveexec_b64 s[36:37], s[12:13]
	s_cbranch_execz .LBB95_32
; %bb.31:
	v_pk_mov_b32 v[6:7], s[22:23], s[22:23] op_sel:[0,1]
	v_mad_u64_u32 v[6:7], s[38:39], v18, s18, v[6:7]
	v_mov_b32_e32 v8, v7
	v_mad_u64_u32 v[8:9], s[38:39], v18, s19, v[8:9]
	v_mov_b32_e32 v7, v8
	global_load_ubyte v1, v[6:7], off
	s_mov_b32 s15, 0x7000504
	s_waitcnt vmcnt(0)
	v_perm_b32 v3, v3, v1, s15
.LBB95_32:
	s_or_b64 exec, exec, s[36:37]
	v_add_u32_e32 v1, 0xe00, v34
	v_cmp_gt_u32_e64 s[14:15], s14, v1
	s_and_saveexec_b64 s[36:37], s[14:15]
	s_cbranch_execz .LBB95_34
; %bb.33:
	v_pk_mov_b32 v[6:7], s[22:23], s[22:23] op_sel:[0,1]
	v_mad_u64_u32 v[6:7], s[38:39], v1, s18, v[6:7]
	v_mov_b32_e32 v8, v7
	v_mad_u64_u32 v[8:9], s[38:39], v1, s19, v[8:9]
	v_mov_b32_e32 v7, v8
	global_load_ubyte v5, v[6:7], off
	s_mov_b32 s33, 0x60504
	s_waitcnt vmcnt(0)
	v_perm_b32 v3, v3, v5, s33
.LBB95_34:
	s_or_b64 exec, exec, s[36:37]
	v_lshrrev_b32_e32 v32, 5, v34
	v_and_b32_e32 v5, 28, v32
	v_add_u32_e32 v35, v5, v34
	v_lshrrev_b32_e32 v31, 5, v26
	ds_write_b8 v35, v4
	v_and_b32_e32 v4, 60, v31
	v_lshrrev_b32_e32 v30, 5, v20
	v_add_u32_e32 v42, v4, v34
	v_and_b32_e32 v4, 60, v30
	v_lshrrev_b32_e32 v29, 5, v21
	v_lshrrev_b32_e32 v5, 8, v2
	v_add_u32_e32 v43, v4, v34
	v_and_b32_e32 v4, 0x7c, v29
	s_waitcnt lgkmcnt(0)
	s_mul_i32 s29, s34, s29
	s_mul_hi_u32 s33, s34, s28
	ds_write_b8 v42, v5 offset:512
	ds_write_b8_d16_hi v43, v2 offset:1024
	v_lshrrev_b32_e32 v2, 24, v2
	v_add_u32_e32 v44, v4, v34
	v_lshrrev_b32_e32 v28, 5, v22
	s_add_i32 s29, s33, s29
	s_mul_i32 s33, s35, s28
	ds_write_b8 v44, v2 offset:1536
	v_and_b32_e32 v2, 0x5c, v28
	v_lshrrev_b32_e32 v25, 5, v19
	s_add_i32 s29, s29, s33
	s_mul_i32 s28, s34, s28
	v_add_u32_e32 v45, v2, v34
	v_and_b32_e32 v2, 0x7c, v25
	v_lshrrev_b32_e32 v24, 5, v18
	s_lshl_b64 s[28:29], s[28:29], 3
	v_add_u32_e32 v46, v2, v34
	v_and_b32_e32 v2, 0x7c, v24
	v_lshrrev_b32_e32 v23, 5, v1
	s_add_u32 s28, s30, s28
	v_add_u32_e32 v47, v2, v34
	v_and_b32_e32 v2, 0xfc, v23
	v_lshrrev_b32_e32 v27, 2, v34
	s_addc_u32 s29, s31, s29
	s_lshl_b64 s[20:21], s[20:21], 3
	v_lshrrev_b32_e32 v4, 8, v3
	v_add_u32_e32 v48, v2, v34
	v_lshlrev_b32_e32 v50, 3, v34
	v_and_b32_e32 v2, 0xfc, v27
	s_add_u32 s28, s28, s20
	ds_write_b8 v45, v3 offset:2048
	ds_write_b8 v46, v4 offset:2560
	ds_write_b8_d16_hi v47, v3 offset:3072
	v_lshrrev_b32_e32 v3, 24, v3
	v_add_u32_e32 v49, v2, v50
	s_addc_u32 s29, s29, s21
	s_load_dwordx2 s[20:21], s[4:5], 0x358
	ds_write_b8 v48, v3 offset:3584
	s_waitcnt lgkmcnt(0)
	s_barrier
	ds_read_b64 v[36:37], v49
	s_mov_b32 s36, 0
	s_mov_b32 s37, s36
	;; [unrolled: 1-line block ×16, first 2 shown]
	v_pk_mov_b32 v[2:3], s[36:37], s[36:37] op_sel:[0,1]
	v_pk_mov_b32 v[4:5], s[38:39], s[38:39] op_sel:[0,1]
	;; [unrolled: 1-line block ×8, first 2 shown]
	v_pk_mov_b32 v[2:3], 0, 0
	s_waitcnt lgkmcnt(0)
	s_barrier
	s_and_saveexec_b64 s[4:5], s[0:1]
	s_cbranch_execnz .LBB95_67
; %bb.35:
	s_or_b64 exec, exec, s[4:5]
	s_and_saveexec_b64 s[4:5], s[2:3]
	s_cbranch_execnz .LBB95_68
.LBB95_36:
	s_or_b64 exec, exec, s[4:5]
	s_and_saveexec_b64 s[4:5], s[16:17]
	s_cbranch_execnz .LBB95_69
.LBB95_37:
	s_or_b64 exec, exec, s[4:5]
	s_and_saveexec_b64 s[4:5], s[6:7]
	s_cbranch_execnz .LBB95_70
.LBB95_38:
	s_or_b64 exec, exec, s[4:5]
	s_and_saveexec_b64 s[4:5], s[8:9]
	s_cbranch_execnz .LBB95_71
.LBB95_39:
	s_or_b64 exec, exec, s[4:5]
	s_and_saveexec_b64 s[4:5], s[10:11]
	s_cbranch_execnz .LBB95_72
.LBB95_40:
	s_or_b64 exec, exec, s[4:5]
	s_and_saveexec_b64 s[4:5], s[12:13]
	s_cbranch_execnz .LBB95_73
.LBB95_41:
	s_or_b64 exec, exec, s[4:5]
	s_and_saveexec_b64 s[4:5], s[14:15]
	s_cbranch_execz .LBB95_43
.LBB95_42:
	v_mad_u64_u32 v[16:17], s[30:31], v1, s20, 0
	v_mov_b32_e32 v18, v17
	v_mad_u64_u32 v[18:19], s[30:31], v1, s21, v[18:19]
	v_mov_b32_e32 v17, v18
	v_lshlrev_b64 v[16:17], 3, v[16:17]
	v_mov_b32_e32 v1, s29
	v_add_co_u32_e32 v16, vcc, s28, v16
	v_addc_co_u32_e32 v17, vcc, v1, v17, vcc
	global_load_dwordx2 v[16:17], v[16:17], off
.LBB95_43:
	s_or_b64 exec, exec, s[4:5]
	v_lshrrev_b64 v[38:39], 24, v[36:37]
	v_add_lshl_u32 v39, v32, v34, 3
	v_add_lshl_u32 v51, v31, v34, 3
	;; [unrolled: 1-line block ×9, first 2 shown]
	s_waitcnt vmcnt(0)
	ds_write_b64 v39, v[2:3]
	ds_write_b64 v51, v[4:5] offset:4096
	ds_write_b64 v52, v[6:7] offset:8192
	;; [unrolled: 1-line block ×7, first 2 shown]
	s_waitcnt lgkmcnt(0)
	s_barrier
	ds_read2_b64 v[14:17], v58 offset1:1
	ds_read2_b64 v[10:13], v58 offset0:2 offset1:3
	ds_read2_b64 v[6:9], v58 offset0:4 offset1:5
	ds_read2_b64 v[2:5], v58 offset0:6 offset1:7
	v_lshrrev_b32_e32 v62, 8, v36
	v_lshrrev_b32_e32 v63, 8, v37
	s_and_b64 vcc, exec, s[26:27]
	v_bfe_u32 v60, v0, 10, 10
	v_bfe_u32 v61, v0, 20, 10
	v_mbcnt_lo_u32_b32 v64, -1, 0
	v_lshlrev_b32_e32 v59, 4, v34
	s_waitcnt lgkmcnt(0)
	s_barrier
	s_cbranch_vccz .LBB95_74
; %bb.44:
	s_movk_i32 s4, 0xff
	v_mov_b32_e32 v1, 8
	v_lshlrev_b16_e32 v0, 8, v63
	v_lshlrev_b16_sdwa v1, v1, v37 dst_sel:DWORD dst_unused:UNUSED_PAD src0_sel:DWORD src1_sel:BYTE_3
	v_and_b32_sdwa v20, v37, s4 dst_sel:DWORD dst_unused:UNUSED_PAD src0_sel:WORD_1 src1_sel:DWORD
	v_or_b32_sdwa v0, v37, v0 dst_sel:DWORD dst_unused:UNUSED_PAD src0_sel:BYTE_0 src1_sel:DWORD
	v_or_b32_sdwa v1, v20, v1 dst_sel:WORD_1 dst_unused:UNUSED_PAD src0_sel:DWORD src1_sel:DWORD
	v_mbcnt_hi_u32_b32 v73, -1, v64
	v_and_b32_e32 v74, 0x3c0, v34
	v_or_b32_sdwa v1, v0, v1 dst_sel:DWORD dst_unused:UNUSED_PAD src0_sel:WORD_0 src1_sel:DWORD
	v_lshlrev_b16_e32 v0, 8, v62
	v_lshlrev_b16_e32 v20, 8, v38
	v_and_b32_sdwa v21, v36, s4 dst_sel:DWORD dst_unused:UNUSED_PAD src0_sel:WORD_1 src1_sel:DWORD
	v_add_u32_e32 v18, v73, v74
	v_or_b32_sdwa v0, v36, v0 dst_sel:DWORD dst_unused:UNUSED_PAD src0_sel:BYTE_0 src1_sel:DWORD
	v_or_b32_sdwa v20, v21, v20 dst_sel:WORD_1 dst_unused:UNUSED_PAD src0_sel:DWORD src1_sel:DWORD
	v_lshlrev_b32_e32 v19, 3, v18
	v_or_b32_sdwa v0, v0, v20 dst_sel:DWORD dst_unused:UNUSED_PAD src0_sel:WORD_0 src1_sel:DWORD
	s_movk_i32 s4, 0x1e00
	ds_write_b64 v19, v[0:1]
	v_and_or_b32 v0, v50, s4, v73
	; wave barrier
	ds_read_u8 v65, v0
	ds_read_u8 v66, v0 offset:64
	ds_read_u8 v67, v0 offset:128
	;; [unrolled: 1-line block ×7, first 2 shown]
	v_lshlrev_b32_e32 v1, 6, v18
	v_lshlrev_b32_e32 v0, 3, v0
	s_getpc_b64 s[4:5]
	s_add_u32 s4, s4, _ZN7rocprim17ROCPRIM_400000_NS16block_radix_sortIhLj512ELj8ElLj1ELj1ELj0ELNS0_26block_radix_rank_algorithmE1ELNS0_18block_padding_hintE2ELNS0_4arch9wavefront6targetE1EE19radix_bits_per_passE@rel32@lo+4
	s_addc_u32 s5, s5, _ZN7rocprim17ROCPRIM_400000_NS16block_radix_sortIhLj512ELj8ElLj1ELj1ELj0ELNS0_26block_radix_rank_algorithmE1ELNS0_18block_padding_hintE2ELNS0_4arch9wavefront6targetE1EE19radix_bits_per_passE@rel32@hi+12
	s_waitcnt lgkmcnt(0)
	s_barrier
	ds_write2_b64 v1, v[14:15], v[16:17] offset1:1
	ds_write2_b64 v1, v[10:11], v[12:13] offset0:2 offset1:3
	ds_write2_b64 v1, v[6:7], v[8:9] offset0:4 offset1:5
	;; [unrolled: 1-line block ×3, first 2 shown]
	; wave barrier
	ds_read2st64_b64 v[30:33], v0 offset1:1
	ds_read2st64_b64 v[26:29], v0 offset0:2 offset1:3
	ds_read2st64_b64 v[22:25], v0 offset0:4 offset1:5
	;; [unrolled: 1-line block ×3, first 2 shown]
	s_waitcnt lgkmcnt(0)
	s_barrier
	s_load_dword s26, s[4:5], 0x0
	s_load_dword s27, s[24:25], 0xc
	v_mov_b32_e32 v77, 3
	v_mov_b32_e32 v0, 0
	ds_write2_b32 v59, v0, v0 offset0:8 offset1:9
	ds_write2_b32 v59, v0, v0 offset0:10 offset1:11
	s_waitcnt lgkmcnt(0)
	s_min_u32 s26, s26, 8
	s_lshr_b32 s4, s27, 16
	s_and_b32 s5, s27, 0xffff
	v_mad_u32_u24 v1, v61, s4, v60
	v_mad_u64_u32 v[40:41], s[4:5], v1, s5, v[34:35]
	s_lshl_b32 s4, -1, s26
	s_not_b32 s26, s4
	v_lshrrev_b32_e32 v81, 6, v40
	v_and_b32_e32 v40, s26, v65
	v_lshlrev_b32_sdwa v1, v77, v40 dst_sel:DWORD dst_unused:UNUSED_PAD src0_sel:DWORD src1_sel:BYTE_0
	v_add_lshl_u32 v75, v81, v1, 2
	v_and_b32_e32 v1, 1, v40
	v_add_co_u32_e32 v41, vcc, -1, v1
	v_addc_co_u32_e64 v76, s[4:5], 0, -1, vcc
	v_cmp_ne_u32_e32 vcc, 0, v1
	v_xor_b32_e32 v1, vcc_hi, v76
	v_and_b32_e32 v76, exec_hi, v1
	v_lshlrev_b32_e32 v1, 30, v40
	v_xor_b32_e32 v41, vcc_lo, v41
	v_cmp_gt_i64_e32 vcc, 0, v[0:1]
	v_not_b32_e32 v1, v1
	v_ashrrev_i32_e32 v1, 31, v1
	v_and_b32_e32 v41, exec_lo, v41
	v_xor_b32_e32 v78, vcc_hi, v1
	v_xor_b32_e32 v1, vcc_lo, v1
	v_and_b32_e32 v41, v41, v1
	v_lshlrev_b32_e32 v1, 29, v40
	v_cmp_gt_i64_e32 vcc, 0, v[0:1]
	v_not_b32_e32 v1, v1
	v_ashrrev_i32_e32 v1, 31, v1
	v_and_b32_e32 v76, v76, v78
	v_xor_b32_e32 v78, vcc_hi, v1
	v_xor_b32_e32 v1, vcc_lo, v1
	v_and_b32_e32 v41, v41, v1
	v_lshlrev_b32_e32 v1, 28, v40
	v_cmp_gt_i64_e32 vcc, 0, v[0:1]
	v_not_b32_e32 v1, v1
	v_ashrrev_i32_e32 v1, 31, v1
	v_and_b32_e32 v76, v76, v78
	;; [unrolled: 8-line block ×5, first 2 shown]
	v_xor_b32_e32 v78, vcc_hi, v1
	v_xor_b32_e32 v1, vcc_lo, v1
	v_and_b32_e32 v76, v76, v78
	v_and_b32_e32 v78, v41, v1
	v_lshlrev_b32_e32 v1, 24, v40
	v_cmp_gt_i64_e32 vcc, 0, v[0:1]
	v_not_b32_e32 v1, v1
	v_ashrrev_i32_e32 v1, 31, v1
	v_xor_b32_e32 v40, vcc_hi, v1
	v_xor_b32_e32 v1, vcc_lo, v1
	v_and_b32_e32 v41, v76, v40
	v_and_b32_e32 v40, v78, v1
	v_mbcnt_lo_u32_b32 v1, v40, 0
	v_mbcnt_hi_u32_b32 v76, v41, v1
	v_cmp_eq_u32_e32 vcc, 0, v76
	v_cmp_ne_u64_e64 s[4:5], 0, v[40:41]
	s_and_b64 s[30:31], s[4:5], vcc
	s_barrier
	s_waitcnt lgkmcnt(0)
	; wave barrier
	s_and_saveexec_b64 s[4:5], s[30:31]
	s_cbranch_execz .LBB95_46
; %bb.45:
	v_bcnt_u32_b32 v1, v40, 0
	v_bcnt_u32_b32 v1, v41, v1
	ds_write_b32 v75, v1 offset:32
.LBB95_46:
	s_or_b64 exec, exec, s[4:5]
	v_and_b32_e32 v40, s26, v66
	v_lshlrev_b32_sdwa v1, v77, v40 dst_sel:DWORD dst_unused:UNUSED_PAD src0_sel:DWORD src1_sel:BYTE_0
	v_add_lshl_u32 v78, v81, v1, 2
	v_and_b32_e32 v1, 1, v40
	v_add_co_u32_e32 v41, vcc, -1, v1
	v_addc_co_u32_e64 v79, s[4:5], 0, -1, vcc
	v_cmp_ne_u32_e32 vcc, 0, v1
	v_xor_b32_e32 v1, vcc_hi, v79
	v_and_b32_e32 v79, exec_hi, v1
	v_lshlrev_b32_e32 v1, 30, v40
	v_xor_b32_e32 v41, vcc_lo, v41
	v_cmp_gt_i64_e32 vcc, 0, v[0:1]
	v_not_b32_e32 v1, v1
	v_ashrrev_i32_e32 v1, 31, v1
	v_and_b32_e32 v41, exec_lo, v41
	v_xor_b32_e32 v80, vcc_hi, v1
	v_xor_b32_e32 v1, vcc_lo, v1
	v_and_b32_e32 v41, v41, v1
	v_lshlrev_b32_e32 v1, 29, v40
	v_cmp_gt_i64_e32 vcc, 0, v[0:1]
	v_not_b32_e32 v1, v1
	v_ashrrev_i32_e32 v1, 31, v1
	v_and_b32_e32 v79, v79, v80
	v_xor_b32_e32 v80, vcc_hi, v1
	v_xor_b32_e32 v1, vcc_lo, v1
	v_and_b32_e32 v41, v41, v1
	v_lshlrev_b32_e32 v1, 28, v40
	v_cmp_gt_i64_e32 vcc, 0, v[0:1]
	v_not_b32_e32 v1, v1
	v_ashrrev_i32_e32 v1, 31, v1
	v_and_b32_e32 v79, v79, v80
	;; [unrolled: 8-line block ×5, first 2 shown]
	v_xor_b32_e32 v80, vcc_hi, v1
	v_xor_b32_e32 v1, vcc_lo, v1
	v_and_b32_e32 v41, v41, v1
	v_lshlrev_b32_e32 v1, 24, v40
	v_cmp_gt_i64_e32 vcc, 0, v[0:1]
	v_not_b32_e32 v0, v1
	v_ashrrev_i32_e32 v0, 31, v0
	v_xor_b32_e32 v1, vcc_hi, v0
	v_xor_b32_e32 v0, vcc_lo, v0
	; wave barrier
	ds_read_b32 v77, v78 offset:32
	v_and_b32_e32 v79, v79, v80
	v_and_b32_e32 v0, v41, v0
	v_and_b32_e32 v1, v79, v1
	v_mbcnt_lo_u32_b32 v40, v0, 0
	v_mbcnt_hi_u32_b32 v79, v1, v40
	v_cmp_eq_u32_e32 vcc, 0, v79
	v_cmp_ne_u64_e64 s[4:5], 0, v[0:1]
	s_and_b64 s[30:31], s[4:5], vcc
	; wave barrier
	s_and_saveexec_b64 s[4:5], s[30:31]
	s_cbranch_execz .LBB95_48
; %bb.47:
	v_bcnt_u32_b32 v0, v0, 0
	v_bcnt_u32_b32 v0, v1, v0
	s_waitcnt lgkmcnt(0)
	v_add_u32_e32 v0, v77, v0
	ds_write_b32 v78, v0 offset:32
.LBB95_48:
	s_or_b64 exec, exec, s[4:5]
	v_and_b32_e32 v40, s26, v67
	v_and_b32_e32 v1, 1, v40
	v_add_co_u32_e32 v41, vcc, -1, v1
	v_mov_b32_e32 v84, 3
	v_addc_co_u32_e64 v83, s[4:5], 0, -1, vcc
	v_cmp_ne_u32_e32 vcc, 0, v1
	v_lshlrev_b32_sdwa v0, v84, v40 dst_sel:DWORD dst_unused:UNUSED_PAD src0_sel:DWORD src1_sel:BYTE_0
	v_xor_b32_e32 v1, vcc_hi, v83
	v_add_lshl_u32 v82, v81, v0, 2
	v_mov_b32_e32 v0, 0
	v_and_b32_e32 v83, exec_hi, v1
	v_lshlrev_b32_e32 v1, 30, v40
	v_xor_b32_e32 v41, vcc_lo, v41
	v_cmp_gt_i64_e32 vcc, 0, v[0:1]
	v_not_b32_e32 v1, v1
	v_ashrrev_i32_e32 v1, 31, v1
	v_and_b32_e32 v41, exec_lo, v41
	v_xor_b32_e32 v85, vcc_hi, v1
	v_xor_b32_e32 v1, vcc_lo, v1
	v_and_b32_e32 v41, v41, v1
	v_lshlrev_b32_e32 v1, 29, v40
	v_cmp_gt_i64_e32 vcc, 0, v[0:1]
	v_not_b32_e32 v1, v1
	v_ashrrev_i32_e32 v1, 31, v1
	v_and_b32_e32 v83, v83, v85
	v_xor_b32_e32 v85, vcc_hi, v1
	v_xor_b32_e32 v1, vcc_lo, v1
	v_and_b32_e32 v41, v41, v1
	v_lshlrev_b32_e32 v1, 28, v40
	v_cmp_gt_i64_e32 vcc, 0, v[0:1]
	v_not_b32_e32 v1, v1
	v_ashrrev_i32_e32 v1, 31, v1
	v_and_b32_e32 v83, v83, v85
	;; [unrolled: 8-line block ×5, first 2 shown]
	v_xor_b32_e32 v85, vcc_hi, v1
	v_xor_b32_e32 v1, vcc_lo, v1
	v_and_b32_e32 v83, v83, v85
	v_and_b32_e32 v85, v41, v1
	v_lshlrev_b32_e32 v1, 24, v40
	v_cmp_gt_i64_e32 vcc, 0, v[0:1]
	v_not_b32_e32 v1, v1
	v_ashrrev_i32_e32 v1, 31, v1
	v_xor_b32_e32 v40, vcc_hi, v1
	v_xor_b32_e32 v1, vcc_lo, v1
	; wave barrier
	ds_read_b32 v80, v82 offset:32
	v_and_b32_e32 v41, v83, v40
	v_and_b32_e32 v40, v85, v1
	v_mbcnt_lo_u32_b32 v1, v40, 0
	v_mbcnt_hi_u32_b32 v83, v41, v1
	v_cmp_eq_u32_e32 vcc, 0, v83
	v_cmp_ne_u64_e64 s[4:5], 0, v[40:41]
	s_and_b64 s[30:31], s[4:5], vcc
	; wave barrier
	s_and_saveexec_b64 s[4:5], s[30:31]
	s_cbranch_execz .LBB95_50
; %bb.49:
	v_bcnt_u32_b32 v1, v40, 0
	v_bcnt_u32_b32 v1, v41, v1
	s_waitcnt lgkmcnt(0)
	v_add_u32_e32 v1, v80, v1
	ds_write_b32 v82, v1 offset:32
.LBB95_50:
	s_or_b64 exec, exec, s[4:5]
	v_and_b32_e32 v40, s26, v68
	v_lshlrev_b32_sdwa v1, v84, v40 dst_sel:DWORD dst_unused:UNUSED_PAD src0_sel:DWORD src1_sel:BYTE_0
	v_add_lshl_u32 v85, v81, v1, 2
	v_and_b32_e32 v1, 1, v40
	v_add_co_u32_e32 v41, vcc, -1, v1
	v_addc_co_u32_e64 v86, s[4:5], 0, -1, vcc
	v_cmp_ne_u32_e32 vcc, 0, v1
	v_xor_b32_e32 v1, vcc_hi, v86
	v_and_b32_e32 v86, exec_hi, v1
	v_lshlrev_b32_e32 v1, 30, v40
	v_xor_b32_e32 v41, vcc_lo, v41
	v_cmp_gt_i64_e32 vcc, 0, v[0:1]
	v_not_b32_e32 v1, v1
	v_ashrrev_i32_e32 v1, 31, v1
	v_and_b32_e32 v41, exec_lo, v41
	v_xor_b32_e32 v87, vcc_hi, v1
	v_xor_b32_e32 v1, vcc_lo, v1
	v_and_b32_e32 v41, v41, v1
	v_lshlrev_b32_e32 v1, 29, v40
	v_cmp_gt_i64_e32 vcc, 0, v[0:1]
	v_not_b32_e32 v1, v1
	v_ashrrev_i32_e32 v1, 31, v1
	v_and_b32_e32 v86, v86, v87
	v_xor_b32_e32 v87, vcc_hi, v1
	v_xor_b32_e32 v1, vcc_lo, v1
	v_and_b32_e32 v41, v41, v1
	v_lshlrev_b32_e32 v1, 28, v40
	v_cmp_gt_i64_e32 vcc, 0, v[0:1]
	v_not_b32_e32 v1, v1
	v_ashrrev_i32_e32 v1, 31, v1
	v_and_b32_e32 v86, v86, v87
	;; [unrolled: 8-line block ×5, first 2 shown]
	v_xor_b32_e32 v87, vcc_hi, v1
	v_xor_b32_e32 v1, vcc_lo, v1
	v_and_b32_e32 v41, v41, v1
	v_lshlrev_b32_e32 v1, 24, v40
	v_cmp_gt_i64_e32 vcc, 0, v[0:1]
	v_not_b32_e32 v0, v1
	v_ashrrev_i32_e32 v0, 31, v0
	v_xor_b32_e32 v1, vcc_hi, v0
	v_xor_b32_e32 v0, vcc_lo, v0
	; wave barrier
	ds_read_b32 v84, v85 offset:32
	v_and_b32_e32 v86, v86, v87
	v_and_b32_e32 v0, v41, v0
	;; [unrolled: 1-line block ×3, first 2 shown]
	v_mbcnt_lo_u32_b32 v40, v0, 0
	v_mbcnt_hi_u32_b32 v86, v1, v40
	v_cmp_eq_u32_e32 vcc, 0, v86
	v_cmp_ne_u64_e64 s[4:5], 0, v[0:1]
	s_and_b64 s[30:31], s[4:5], vcc
	; wave barrier
	s_and_saveexec_b64 s[4:5], s[30:31]
	s_cbranch_execz .LBB95_52
; %bb.51:
	v_bcnt_u32_b32 v0, v0, 0
	v_bcnt_u32_b32 v0, v1, v0
	s_waitcnt lgkmcnt(0)
	v_add_u32_e32 v0, v84, v0
	ds_write_b32 v85, v0 offset:32
.LBB95_52:
	s_or_b64 exec, exec, s[4:5]
	v_and_b32_e32 v40, s26, v69
	v_and_b32_e32 v1, 1, v40
	v_add_co_u32_e32 v41, vcc, -1, v1
	v_mov_b32_e32 v90, 3
	v_addc_co_u32_e64 v89, s[4:5], 0, -1, vcc
	v_cmp_ne_u32_e32 vcc, 0, v1
	v_lshlrev_b32_sdwa v0, v90, v40 dst_sel:DWORD dst_unused:UNUSED_PAD src0_sel:DWORD src1_sel:BYTE_0
	v_xor_b32_e32 v1, vcc_hi, v89
	v_add_lshl_u32 v88, v81, v0, 2
	v_mov_b32_e32 v0, 0
	v_and_b32_e32 v89, exec_hi, v1
	v_lshlrev_b32_e32 v1, 30, v40
	v_xor_b32_e32 v41, vcc_lo, v41
	v_cmp_gt_i64_e32 vcc, 0, v[0:1]
	v_not_b32_e32 v1, v1
	v_ashrrev_i32_e32 v1, 31, v1
	v_and_b32_e32 v41, exec_lo, v41
	v_xor_b32_e32 v91, vcc_hi, v1
	v_xor_b32_e32 v1, vcc_lo, v1
	v_and_b32_e32 v41, v41, v1
	v_lshlrev_b32_e32 v1, 29, v40
	v_cmp_gt_i64_e32 vcc, 0, v[0:1]
	v_not_b32_e32 v1, v1
	v_ashrrev_i32_e32 v1, 31, v1
	v_and_b32_e32 v89, v89, v91
	v_xor_b32_e32 v91, vcc_hi, v1
	v_xor_b32_e32 v1, vcc_lo, v1
	v_and_b32_e32 v41, v41, v1
	v_lshlrev_b32_e32 v1, 28, v40
	v_cmp_gt_i64_e32 vcc, 0, v[0:1]
	v_not_b32_e32 v1, v1
	v_ashrrev_i32_e32 v1, 31, v1
	v_and_b32_e32 v89, v89, v91
	;; [unrolled: 8-line block ×5, first 2 shown]
	v_xor_b32_e32 v91, vcc_hi, v1
	v_xor_b32_e32 v1, vcc_lo, v1
	v_and_b32_e32 v89, v89, v91
	v_and_b32_e32 v91, v41, v1
	v_lshlrev_b32_e32 v1, 24, v40
	v_cmp_gt_i64_e32 vcc, 0, v[0:1]
	v_not_b32_e32 v1, v1
	v_ashrrev_i32_e32 v1, 31, v1
	v_xor_b32_e32 v40, vcc_hi, v1
	v_xor_b32_e32 v1, vcc_lo, v1
	; wave barrier
	ds_read_b32 v87, v88 offset:32
	v_and_b32_e32 v41, v89, v40
	v_and_b32_e32 v40, v91, v1
	v_mbcnt_lo_u32_b32 v1, v40, 0
	v_mbcnt_hi_u32_b32 v89, v41, v1
	v_cmp_eq_u32_e32 vcc, 0, v89
	v_cmp_ne_u64_e64 s[4:5], 0, v[40:41]
	s_and_b64 s[30:31], s[4:5], vcc
	; wave barrier
	s_and_saveexec_b64 s[4:5], s[30:31]
	s_cbranch_execz .LBB95_54
; %bb.53:
	v_bcnt_u32_b32 v1, v40, 0
	v_bcnt_u32_b32 v1, v41, v1
	s_waitcnt lgkmcnt(0)
	v_add_u32_e32 v1, v87, v1
	ds_write_b32 v88, v1 offset:32
.LBB95_54:
	s_or_b64 exec, exec, s[4:5]
	v_and_b32_e32 v40, s26, v70
	v_lshlrev_b32_sdwa v1, v90, v40 dst_sel:DWORD dst_unused:UNUSED_PAD src0_sel:DWORD src1_sel:BYTE_0
	v_add_lshl_u32 v91, v81, v1, 2
	v_and_b32_e32 v1, 1, v40
	v_add_co_u32_e32 v41, vcc, -1, v1
	v_addc_co_u32_e64 v92, s[4:5], 0, -1, vcc
	v_cmp_ne_u32_e32 vcc, 0, v1
	v_xor_b32_e32 v1, vcc_hi, v92
	v_and_b32_e32 v92, exec_hi, v1
	v_lshlrev_b32_e32 v1, 30, v40
	v_xor_b32_e32 v41, vcc_lo, v41
	v_cmp_gt_i64_e32 vcc, 0, v[0:1]
	v_not_b32_e32 v1, v1
	v_ashrrev_i32_e32 v1, 31, v1
	v_and_b32_e32 v41, exec_lo, v41
	v_xor_b32_e32 v93, vcc_hi, v1
	v_xor_b32_e32 v1, vcc_lo, v1
	v_and_b32_e32 v41, v41, v1
	v_lshlrev_b32_e32 v1, 29, v40
	v_cmp_gt_i64_e32 vcc, 0, v[0:1]
	v_not_b32_e32 v1, v1
	v_ashrrev_i32_e32 v1, 31, v1
	v_and_b32_e32 v92, v92, v93
	v_xor_b32_e32 v93, vcc_hi, v1
	v_xor_b32_e32 v1, vcc_lo, v1
	v_and_b32_e32 v41, v41, v1
	v_lshlrev_b32_e32 v1, 28, v40
	v_cmp_gt_i64_e32 vcc, 0, v[0:1]
	v_not_b32_e32 v1, v1
	v_ashrrev_i32_e32 v1, 31, v1
	v_and_b32_e32 v92, v92, v93
	;; [unrolled: 8-line block ×5, first 2 shown]
	v_xor_b32_e32 v93, vcc_hi, v1
	v_xor_b32_e32 v1, vcc_lo, v1
	v_and_b32_e32 v41, v41, v1
	v_lshlrev_b32_e32 v1, 24, v40
	v_cmp_gt_i64_e32 vcc, 0, v[0:1]
	v_not_b32_e32 v0, v1
	v_ashrrev_i32_e32 v0, 31, v0
	v_xor_b32_e32 v1, vcc_hi, v0
	v_xor_b32_e32 v0, vcc_lo, v0
	; wave barrier
	ds_read_b32 v90, v91 offset:32
	v_and_b32_e32 v92, v92, v93
	v_and_b32_e32 v0, v41, v0
	v_and_b32_e32 v1, v92, v1
	v_mbcnt_lo_u32_b32 v40, v0, 0
	v_mbcnt_hi_u32_b32 v92, v1, v40
	v_cmp_eq_u32_e32 vcc, 0, v92
	v_cmp_ne_u64_e64 s[4:5], 0, v[0:1]
	s_and_b64 s[30:31], s[4:5], vcc
	; wave barrier
	s_and_saveexec_b64 s[4:5], s[30:31]
	s_cbranch_execz .LBB95_56
; %bb.55:
	v_bcnt_u32_b32 v0, v0, 0
	v_bcnt_u32_b32 v0, v1, v0
	s_waitcnt lgkmcnt(0)
	v_add_u32_e32 v0, v90, v0
	ds_write_b32 v91, v0 offset:32
.LBB95_56:
	s_or_b64 exec, exec, s[4:5]
	v_and_b32_e32 v40, s26, v71
	v_and_b32_e32 v1, 1, v40
	v_add_co_u32_e32 v41, vcc, -1, v1
	v_mov_b32_e32 v96, 3
	v_addc_co_u32_e64 v95, s[4:5], 0, -1, vcc
	v_cmp_ne_u32_e32 vcc, 0, v1
	v_lshlrev_b32_sdwa v0, v96, v40 dst_sel:DWORD dst_unused:UNUSED_PAD src0_sel:DWORD src1_sel:BYTE_0
	v_xor_b32_e32 v1, vcc_hi, v95
	v_add_lshl_u32 v94, v81, v0, 2
	v_mov_b32_e32 v0, 0
	v_and_b32_e32 v95, exec_hi, v1
	v_lshlrev_b32_e32 v1, 30, v40
	v_xor_b32_e32 v41, vcc_lo, v41
	v_cmp_gt_i64_e32 vcc, 0, v[0:1]
	v_not_b32_e32 v1, v1
	v_ashrrev_i32_e32 v1, 31, v1
	v_and_b32_e32 v41, exec_lo, v41
	v_xor_b32_e32 v97, vcc_hi, v1
	v_xor_b32_e32 v1, vcc_lo, v1
	v_and_b32_e32 v41, v41, v1
	v_lshlrev_b32_e32 v1, 29, v40
	v_cmp_gt_i64_e32 vcc, 0, v[0:1]
	v_not_b32_e32 v1, v1
	v_ashrrev_i32_e32 v1, 31, v1
	v_and_b32_e32 v95, v95, v97
	v_xor_b32_e32 v97, vcc_hi, v1
	v_xor_b32_e32 v1, vcc_lo, v1
	v_and_b32_e32 v41, v41, v1
	v_lshlrev_b32_e32 v1, 28, v40
	v_cmp_gt_i64_e32 vcc, 0, v[0:1]
	v_not_b32_e32 v1, v1
	v_ashrrev_i32_e32 v1, 31, v1
	v_and_b32_e32 v95, v95, v97
	;; [unrolled: 8-line block ×5, first 2 shown]
	v_xor_b32_e32 v97, vcc_hi, v1
	v_xor_b32_e32 v1, vcc_lo, v1
	v_and_b32_e32 v95, v95, v97
	v_and_b32_e32 v97, v41, v1
	v_lshlrev_b32_e32 v1, 24, v40
	v_cmp_gt_i64_e32 vcc, 0, v[0:1]
	v_not_b32_e32 v1, v1
	v_ashrrev_i32_e32 v1, 31, v1
	v_xor_b32_e32 v40, vcc_hi, v1
	v_xor_b32_e32 v1, vcc_lo, v1
	; wave barrier
	ds_read_b32 v93, v94 offset:32
	v_and_b32_e32 v41, v95, v40
	v_and_b32_e32 v40, v97, v1
	v_mbcnt_lo_u32_b32 v1, v40, 0
	v_mbcnt_hi_u32_b32 v95, v41, v1
	v_cmp_eq_u32_e32 vcc, 0, v95
	v_cmp_ne_u64_e64 s[4:5], 0, v[40:41]
	s_and_b64 s[30:31], s[4:5], vcc
	; wave barrier
	s_and_saveexec_b64 s[4:5], s[30:31]
	s_cbranch_execz .LBB95_58
; %bb.57:
	v_bcnt_u32_b32 v1, v40, 0
	v_bcnt_u32_b32 v1, v41, v1
	s_waitcnt lgkmcnt(0)
	v_add_u32_e32 v1, v93, v1
	ds_write_b32 v94, v1 offset:32
.LBB95_58:
	s_or_b64 exec, exec, s[4:5]
	v_and_b32_e32 v40, s26, v72
	v_lshlrev_b32_sdwa v1, v96, v40 dst_sel:DWORD dst_unused:UNUSED_PAD src0_sel:DWORD src1_sel:BYTE_0
	v_add_lshl_u32 v96, v81, v1, 2
	v_and_b32_e32 v1, 1, v40
	v_add_co_u32_e32 v41, vcc, -1, v1
	v_addc_co_u32_e64 v98, s[4:5], 0, -1, vcc
	v_cmp_ne_u32_e32 vcc, 0, v1
	v_xor_b32_e32 v1, vcc_hi, v98
	v_and_b32_e32 v98, exec_hi, v1
	v_lshlrev_b32_e32 v1, 30, v40
	v_xor_b32_e32 v41, vcc_lo, v41
	v_cmp_gt_i64_e32 vcc, 0, v[0:1]
	v_not_b32_e32 v1, v1
	v_ashrrev_i32_e32 v1, 31, v1
	v_and_b32_e32 v41, exec_lo, v41
	v_xor_b32_e32 v99, vcc_hi, v1
	v_xor_b32_e32 v1, vcc_lo, v1
	v_and_b32_e32 v41, v41, v1
	v_lshlrev_b32_e32 v1, 29, v40
	v_cmp_gt_i64_e32 vcc, 0, v[0:1]
	v_not_b32_e32 v1, v1
	v_ashrrev_i32_e32 v1, 31, v1
	v_and_b32_e32 v98, v98, v99
	v_xor_b32_e32 v99, vcc_hi, v1
	v_xor_b32_e32 v1, vcc_lo, v1
	v_and_b32_e32 v41, v41, v1
	v_lshlrev_b32_e32 v1, 28, v40
	v_cmp_gt_i64_e32 vcc, 0, v[0:1]
	v_not_b32_e32 v1, v1
	v_ashrrev_i32_e32 v1, 31, v1
	v_and_b32_e32 v98, v98, v99
	;; [unrolled: 8-line block ×5, first 2 shown]
	v_xor_b32_e32 v99, vcc_hi, v1
	v_xor_b32_e32 v1, vcc_lo, v1
	v_and_b32_e32 v41, v41, v1
	v_lshlrev_b32_e32 v1, 24, v40
	v_cmp_gt_i64_e32 vcc, 0, v[0:1]
	v_not_b32_e32 v0, v1
	v_ashrrev_i32_e32 v0, 31, v0
	v_xor_b32_e32 v1, vcc_hi, v0
	v_xor_b32_e32 v0, vcc_lo, v0
	; wave barrier
	ds_read_b32 v81, v96 offset:32
	v_and_b32_e32 v98, v98, v99
	v_and_b32_e32 v0, v41, v0
	;; [unrolled: 1-line block ×3, first 2 shown]
	v_mbcnt_lo_u32_b32 v40, v0, 0
	v_mbcnt_hi_u32_b32 v98, v1, v40
	v_cmp_eq_u32_e32 vcc, 0, v98
	v_cmp_ne_u64_e64 s[4:5], 0, v[0:1]
	v_add_u32_e32 v97, 32, v59
	s_and_b64 s[26:27], s[4:5], vcc
	; wave barrier
	s_and_saveexec_b64 s[4:5], s[26:27]
	s_cbranch_execz .LBB95_60
; %bb.59:
	v_bcnt_u32_b32 v0, v0, 0
	v_bcnt_u32_b32 v0, v1, v0
	s_waitcnt lgkmcnt(0)
	v_add_u32_e32 v0, v81, v0
	ds_write_b32 v96, v0 offset:32
.LBB95_60:
	s_or_b64 exec, exec, s[4:5]
	; wave barrier
	s_waitcnt lgkmcnt(0)
	s_barrier
	ds_read2_b32 v[0:1], v59 offset0:8 offset1:9
	ds_read2_b32 v[40:41], v97 offset0:2 offset1:3
	v_min_u32_e32 v74, 0x1c0, v74
	v_or_b32_e32 v74, 63, v74
	s_waitcnt lgkmcnt(1)
	v_add_u32_e32 v99, v1, v0
	s_waitcnt lgkmcnt(0)
	v_add3_u32 v41, v99, v40, v41
	v_and_b32_e32 v99, 15, v73
	v_cmp_ne_u32_e32 vcc, 0, v99
	v_mov_b32_dpp v100, v41 row_shr:1 row_mask:0xf bank_mask:0xf
	v_cndmask_b32_e32 v100, 0, v100, vcc
	v_add_u32_e32 v41, v100, v41
	v_cmp_lt_u32_e32 vcc, 1, v99
	s_nop 0
	v_mov_b32_dpp v100, v41 row_shr:2 row_mask:0xf bank_mask:0xf
	v_cndmask_b32_e32 v100, 0, v100, vcc
	v_add_u32_e32 v41, v41, v100
	v_cmp_lt_u32_e32 vcc, 3, v99
	s_nop 0
	;; [unrolled: 5-line block ×3, first 2 shown]
	v_mov_b32_dpp v100, v41 row_shr:8 row_mask:0xf bank_mask:0xf
	v_cndmask_b32_e32 v99, 0, v100, vcc
	v_add_u32_e32 v41, v41, v99
	v_bfe_i32 v100, v73, 4, 1
	v_cmp_lt_u32_e32 vcc, 31, v73
	v_mov_b32_dpp v99, v41 row_bcast:15 row_mask:0xf bank_mask:0xf
	v_and_b32_e32 v99, v100, v99
	v_add_u32_e32 v41, v41, v99
	s_nop 1
	v_mov_b32_dpp v99, v41 row_bcast:31 row_mask:0xf bank_mask:0xf
	v_cndmask_b32_e32 v99, 0, v99, vcc
	v_add_u32_e32 v41, v41, v99
	v_lshrrev_b32_e32 v99, 6, v34
	v_cmp_eq_u32_e32 vcc, v74, v34
	s_and_saveexec_b64 s[4:5], vcc
	s_cbranch_execz .LBB95_62
; %bb.61:
	v_lshlrev_b32_e32 v74, 2, v99
	ds_write_b32 v74, v41
.LBB95_62:
	s_or_b64 exec, exec, s[4:5]
	v_cmp_gt_u32_e32 vcc, 8, v34
	s_waitcnt lgkmcnt(0)
	s_barrier
	s_and_saveexec_b64 s[4:5], vcc
	s_cbranch_execz .LBB95_64
; %bb.63:
	v_lshlrev_b32_e32 v74, 2, v34
	ds_read_b32 v100, v74
	v_and_b32_e32 v101, 7, v73
	v_cmp_ne_u32_e32 vcc, 0, v101
	s_waitcnt lgkmcnt(0)
	v_mov_b32_dpp v102, v100 row_shr:1 row_mask:0xf bank_mask:0xf
	v_cndmask_b32_e32 v102, 0, v102, vcc
	v_add_u32_e32 v100, v102, v100
	v_cmp_lt_u32_e32 vcc, 1, v101
	s_nop 0
	v_mov_b32_dpp v102, v100 row_shr:2 row_mask:0xf bank_mask:0xf
	v_cndmask_b32_e32 v102, 0, v102, vcc
	v_add_u32_e32 v100, v100, v102
	v_cmp_lt_u32_e32 vcc, 3, v101
	s_nop 0
	v_mov_b32_dpp v102, v100 row_shr:4 row_mask:0xf bank_mask:0xf
	v_cndmask_b32_e32 v101, 0, v102, vcc
	v_add_u32_e32 v100, v100, v101
	ds_write_b32 v74, v100
.LBB95_64:
	s_or_b64 exec, exec, s[4:5]
	v_cmp_lt_u32_e32 vcc, 63, v34
	v_mov_b32_e32 v74, 0
	s_waitcnt lgkmcnt(0)
	s_barrier
	s_and_saveexec_b64 s[4:5], vcc
	s_cbranch_execz .LBB95_66
; %bb.65:
	v_lshl_add_u32 v74, v99, 2, -4
	ds_read_b32 v74, v74
.LBB95_66:
	s_or_b64 exec, exec, s[4:5]
	v_add_u32_e32 v99, -1, v73
	v_and_b32_e32 v100, 64, v73
	v_cmp_lt_i32_e32 vcc, v99, v100
	v_cndmask_b32_e32 v99, v99, v73, vcc
	s_waitcnt lgkmcnt(0)
	v_add_u32_e32 v41, v74, v41
	v_lshlrev_b32_e32 v99, 2, v99
	ds_bpermute_b32 v41, v99, v41
	v_cmp_eq_u32_e32 vcc, 0, v73
	s_waitcnt lgkmcnt(0)
	v_cndmask_b32_e32 v41, v41, v74, vcc
	v_cmp_ne_u32_e32 vcc, 0, v34
	v_cndmask_b32_e32 v41, 0, v41, vcc
	v_add_u32_e32 v0, v41, v0
	v_add_u32_e32 v1, v0, v1
	;; [unrolled: 1-line block ×3, first 2 shown]
	ds_write2_b32 v59, v41, v0 offset0:8 offset1:9
	ds_write2_b32 v97, v1, v40 offset0:2 offset1:3
	s_waitcnt lgkmcnt(0)
	s_barrier
	ds_read_b32 v0, v75 offset:32
	ds_read_b32 v1, v78 offset:32
	;; [unrolled: 1-line block ×8, first 2 shown]
	s_waitcnt lgkmcnt(7)
	v_add_u32_e32 v76, v0, v76
	s_waitcnt lgkmcnt(6)
	v_add3_u32 v77, v79, v77, v1
	s_waitcnt lgkmcnt(5)
	v_add3_u32 v40, v83, v80, v40
	;; [unrolled: 2-line block ×7, first 2 shown]
	s_barrier
	ds_write_b8 v76, v65
	ds_write_b8 v77, v66
	;; [unrolled: 1-line block ×8, first 2 shown]
	v_lshlrev_b32_e32 v65, 3, v76
	s_waitcnt lgkmcnt(0)
	s_barrier
	ds_read_b64 v[0:1], v50
	s_waitcnt lgkmcnt(0)
	s_barrier
	ds_write_b64 v65, v[30:31]
	v_lshlrev_b32_e32 v30, 3, v77
	ds_write_b64 v30, v[32:33]
	v_lshlrev_b32_e32 v30, 3, v40
	;; [unrolled: 2-line block ×7, first 2 shown]
	v_lshlrev_b32_e32 v30, 3, v50
	ds_write_b64 v18, v[20:21]
	s_waitcnt lgkmcnt(0)
	s_barrier
	ds_read2_b64 v[18:21], v30 offset1:1
	ds_read2_b64 v[22:25], v30 offset0:2 offset1:3
	ds_read2_b64 v[26:29], v30 offset0:4 offset1:5
	;; [unrolled: 1-line block ×3, first 2 shown]
	s_branch .LBB95_98
.LBB95_67:
	v_mad_u64_u32 v[2:3], s[30:31], v34, s20, 0
	v_mov_b32_e32 v4, v3
	v_mad_u64_u32 v[4:5], s[30:31], v34, s21, v[4:5]
	v_mov_b32_e32 v3, v4
	v_lshlrev_b64 v[2:3], 3, v[2:3]
	v_mov_b32_e32 v4, s29
	v_add_co_u32_e32 v2, vcc, s28, v2
	v_addc_co_u32_e32 v3, vcc, v4, v3, vcc
	global_load_dwordx2 v[2:3], v[2:3], off
	v_mov_b32_e32 v4, 0
	v_mov_b32_e32 v5, v4
	;; [unrolled: 1-line block ×14, first 2 shown]
	s_or_b64 exec, exec, s[4:5]
	s_and_saveexec_b64 s[4:5], s[2:3]
	s_cbranch_execz .LBB95_36
.LBB95_68:
	v_mad_u64_u32 v[4:5], s[30:31], v26, s20, 0
	v_mov_b32_e32 v38, v5
	v_mad_u64_u32 v[38:39], s[30:31], v26, s21, v[38:39]
	v_mov_b32_e32 v5, v38
	v_lshlrev_b64 v[4:5], 3, v[4:5]
	v_mov_b32_e32 v26, s29
	v_add_co_u32_e32 v4, vcc, s28, v4
	v_addc_co_u32_e32 v5, vcc, v26, v5, vcc
	global_load_dwordx2 v[4:5], v[4:5], off
	s_or_b64 exec, exec, s[4:5]
	s_and_saveexec_b64 s[4:5], s[16:17]
	s_cbranch_execz .LBB95_37
.LBB95_69:
	v_mad_u64_u32 v[6:7], s[30:31], v20, s20, 0
	v_mov_b32_e32 v26, v7
	v_mad_u64_u32 v[38:39], s[30:31], v20, s21, v[26:27]
	v_mov_b32_e32 v7, v38
	v_lshlrev_b64 v[6:7], 3, v[6:7]
	v_mov_b32_e32 v20, s29
	v_add_co_u32_e32 v6, vcc, s28, v6
	v_addc_co_u32_e32 v7, vcc, v20, v7, vcc
	global_load_dwordx2 v[6:7], v[6:7], off
	s_or_b64 exec, exec, s[4:5]
	s_and_saveexec_b64 s[4:5], s[6:7]
	s_cbranch_execz .LBB95_38
.LBB95_70:
	v_mad_u64_u32 v[8:9], s[30:31], v21, s20, 0
	v_mov_b32_e32 v20, v9
	v_mad_u64_u32 v[20:21], s[30:31], v21, s21, v[20:21]
	v_mov_b32_e32 v9, v20
	v_lshlrev_b64 v[8:9], 3, v[8:9]
	v_mov_b32_e32 v20, s29
	v_add_co_u32_e32 v8, vcc, s28, v8
	v_addc_co_u32_e32 v9, vcc, v20, v9, vcc
	global_load_dwordx2 v[8:9], v[8:9], off
	s_or_b64 exec, exec, s[4:5]
	s_and_saveexec_b64 s[4:5], s[8:9]
	s_cbranch_execz .LBB95_39
.LBB95_71:
	v_mad_u64_u32 v[10:11], s[30:31], v22, s20, 0
	v_mov_b32_e32 v20, v11
	v_mad_u64_u32 v[20:21], s[30:31], v22, s21, v[20:21]
	v_mov_b32_e32 v11, v20
	v_lshlrev_b64 v[10:11], 3, v[10:11]
	v_mov_b32_e32 v20, s29
	v_add_co_u32_e32 v10, vcc, s28, v10
	v_addc_co_u32_e32 v11, vcc, v20, v11, vcc
	global_load_dwordx2 v[10:11], v[10:11], off
	s_or_b64 exec, exec, s[4:5]
	s_and_saveexec_b64 s[4:5], s[10:11]
	s_cbranch_execz .LBB95_40
.LBB95_72:
	v_mad_u64_u32 v[12:13], s[30:31], v19, s20, 0
	v_mov_b32_e32 v20, v13
	v_mad_u64_u32 v[20:21], s[30:31], v19, s21, v[20:21]
	v_mov_b32_e32 v13, v20
	v_lshlrev_b64 v[12:13], 3, v[12:13]
	v_mov_b32_e32 v19, s29
	v_add_co_u32_e32 v12, vcc, s28, v12
	v_addc_co_u32_e32 v13, vcc, v19, v13, vcc
	global_load_dwordx2 v[12:13], v[12:13], off
	s_or_b64 exec, exec, s[4:5]
	s_and_saveexec_b64 s[4:5], s[12:13]
	s_cbranch_execz .LBB95_41
.LBB95_73:
	v_mad_u64_u32 v[14:15], s[30:31], v18, s20, 0
	v_mov_b32_e32 v20, v15
	v_mad_u64_u32 v[18:19], s[30:31], v18, s21, v[20:21]
	v_mov_b32_e32 v15, v18
	v_lshlrev_b64 v[14:15], 3, v[14:15]
	v_mov_b32_e32 v18, s29
	v_add_co_u32_e32 v14, vcc, s28, v14
	v_addc_co_u32_e32 v15, vcc, v18, v15, vcc
	global_load_dwordx2 v[14:15], v[14:15], off
	s_or_b64 exec, exec, s[4:5]
	s_and_saveexec_b64 s[4:5], s[14:15]
	s_cbranch_execnz .LBB95_42
	s_branch .LBB95_43
.LBB95_74:
                                        ; implicit-def: $vgpr1
                                        ; implicit-def: $vgpr32_vgpr33
                                        ; implicit-def: $vgpr28_vgpr29
                                        ; implicit-def: $vgpr24_vgpr25
                                        ; implicit-def: $vgpr20_vgpr21
	s_cbranch_execz .LBB95_98
; %bb.75:
	v_mov_b32_e32 v0, -1
	v_xor_b32_sdwa v1, v63, v0 dst_sel:BYTE_1 dst_unused:UNUSED_PAD src0_sel:DWORD src1_sel:DWORD
	s_waitcnt lgkmcnt(3)
	v_xor_b32_e32 v18, -1, v37
	v_or_b32_sdwa v1, v18, v1 dst_sel:DWORD dst_unused:UNUSED_PAD src0_sel:BYTE_0 src1_sel:DWORD
	v_xor_b32_sdwa v18, v37, v0 dst_sel:DWORD dst_unused:UNUSED_PAD src0_sel:BYTE_3 src1_sel:DWORD
	v_lshlrev_b16_e32 v18, 8, v18
	v_xor_b32_sdwa v19, v37, v0 dst_sel:DWORD dst_unused:UNUSED_PAD src0_sel:WORD_1 src1_sel:DWORD
	v_or_b32_sdwa v18, v19, v18 dst_sel:WORD_1 dst_unused:UNUSED_PAD src0_sel:BYTE_0 src1_sel:DWORD
	v_or_b32_sdwa v1, v1, v18 dst_sel:DWORD dst_unused:UNUSED_PAD src0_sel:WORD_0 src1_sel:DWORD
	v_xor_b32_sdwa v18, v62, v0 dst_sel:BYTE_1 dst_unused:UNUSED_PAD src0_sel:DWORD src1_sel:DWORD
	v_xor_b32_e32 v19, -1, v36
	v_or_b32_sdwa v18, v19, v18 dst_sel:DWORD dst_unused:UNUSED_PAD src0_sel:BYTE_0 src1_sel:DWORD
	v_xor_b32_sdwa v19, v38, v0 dst_sel:BYTE_1 dst_unused:UNUSED_PAD src0_sel:DWORD src1_sel:DWORD
	v_xor_b32_sdwa v0, v36, v0 dst_sel:DWORD dst_unused:UNUSED_PAD src0_sel:WORD_1 src1_sel:DWORD
	v_or_b32_sdwa v0, v0, v19 dst_sel:WORD_1 dst_unused:UNUSED_PAD src0_sel:BYTE_0 src1_sel:DWORD
	s_waitcnt lgkmcnt(1)
	v_mbcnt_hi_u32_b32 v28, -1, v64
	s_waitcnt lgkmcnt(0)
	v_and_b32_e32 v30, 0x3c0, v34
	v_or_b32_sdwa v0, v18, v0 dst_sel:DWORD dst_unused:UNUSED_PAD src0_sel:WORD_0 src1_sel:DWORD
	v_add_u32_e32 v18, v28, v30
	v_lshlrev_b32_e32 v19, 3, v18
	s_movk_i32 s4, 0x1e00
	ds_write_b64 v19, v[0:1]
	v_and_or_b32 v0, v50, s4, v28
	; wave barrier
	ds_read_u8 v20, v0
	ds_read_u8 v21, v0 offset:64
	ds_read_u8 v22, v0 offset:128
	ds_read_u8 v23, v0 offset:192
	ds_read_u8 v24, v0 offset:256
	ds_read_u8 v25, v0 offset:320
	ds_read_u8 v26, v0 offset:384
	ds_read_u8 v27, v0 offset:448
	v_lshlrev_b32_e32 v1, 6, v18
	v_lshlrev_b32_e32 v0, 3, v0
	s_getpc_b64 s[4:5]
	s_add_u32 s4, s4, _ZN7rocprim17ROCPRIM_400000_NS16block_radix_sortIhLj512ELj8ElLj1ELj1ELj0ELNS0_26block_radix_rank_algorithmE1ELNS0_18block_padding_hintE2ELNS0_4arch9wavefront6targetE1EE19radix_bits_per_passE@rel32@lo+4
	s_addc_u32 s5, s5, _ZN7rocprim17ROCPRIM_400000_NS16block_radix_sortIhLj512ELj8ElLj1ELj1ELj0ELNS0_26block_radix_rank_algorithmE1ELNS0_18block_padding_hintE2ELNS0_4arch9wavefront6targetE1EE19radix_bits_per_passE@rel32@hi+12
	s_waitcnt lgkmcnt(0)
	s_barrier
	ds_write2_b64 v1, v[14:15], v[16:17] offset1:1
	ds_write2_b64 v1, v[10:11], v[12:13] offset0:2 offset1:3
	ds_write2_b64 v1, v[6:7], v[8:9] offset0:4 offset1:5
	;; [unrolled: 1-line block ×3, first 2 shown]
	; wave barrier
	ds_read2st64_b64 v[12:15], v0 offset1:1
	ds_read2st64_b64 v[8:11], v0 offset0:2 offset1:3
	ds_read2st64_b64 v[4:7], v0 offset0:4 offset1:5
	;; [unrolled: 1-line block ×3, first 2 shown]
	s_waitcnt lgkmcnt(0)
	s_barrier
	s_load_dword s26, s[4:5], 0x0
	s_load_dword s27, s[24:25], 0xc
	v_mov_b32_e32 v32, 3
	v_mov_b32_e32 v16, 0
	ds_write2_b32 v59, v16, v16 offset0:8 offset1:9
	ds_write2_b32 v59, v16, v16 offset0:10 offset1:11
	s_waitcnt lgkmcnt(0)
	s_min_u32 s24, s26, 8
	s_lshr_b32 s4, s27, 16
	s_and_b32 s5, s27, 0xffff
	v_mad_u32_u24 v17, v61, s4, v60
	v_mad_u64_u32 v[18:19], s[4:5], v17, s5, v[34:35]
	s_lshl_b32 s4, -1, s24
	s_not_b32 s24, s4
	v_lshrrev_b32_e32 v38, 6, v18
	v_and_b32_e32 v18, s24, v20
	v_lshlrev_b32_sdwa v17, v32, v18 dst_sel:DWORD dst_unused:UNUSED_PAD src0_sel:DWORD src1_sel:BYTE_0
	v_add_lshl_u32 v29, v38, v17, 2
	v_and_b32_e32 v17, 1, v18
	v_add_co_u32_e32 v19, vcc, -1, v17
	v_addc_co_u32_e64 v31, s[4:5], 0, -1, vcc
	v_cmp_ne_u32_e32 vcc, 0, v17
	v_xor_b32_e32 v17, vcc_hi, v31
	v_and_b32_e32 v31, exec_hi, v17
	v_lshlrev_b32_e32 v17, 30, v18
	v_xor_b32_e32 v19, vcc_lo, v19
	v_cmp_gt_i64_e32 vcc, 0, v[16:17]
	v_not_b32_e32 v17, v17
	v_ashrrev_i32_e32 v17, 31, v17
	v_and_b32_e32 v19, exec_lo, v19
	v_xor_b32_e32 v33, vcc_hi, v17
	v_xor_b32_e32 v17, vcc_lo, v17
	v_and_b32_e32 v19, v19, v17
	v_lshlrev_b32_e32 v17, 29, v18
	v_cmp_gt_i64_e32 vcc, 0, v[16:17]
	v_not_b32_e32 v17, v17
	v_ashrrev_i32_e32 v17, 31, v17
	v_and_b32_e32 v31, v31, v33
	v_xor_b32_e32 v33, vcc_hi, v17
	v_xor_b32_e32 v17, vcc_lo, v17
	v_and_b32_e32 v19, v19, v17
	v_lshlrev_b32_e32 v17, 28, v18
	v_cmp_gt_i64_e32 vcc, 0, v[16:17]
	v_not_b32_e32 v17, v17
	v_ashrrev_i32_e32 v17, 31, v17
	v_and_b32_e32 v31, v31, v33
	;; [unrolled: 8-line block ×5, first 2 shown]
	v_xor_b32_e32 v33, vcc_hi, v17
	v_xor_b32_e32 v17, vcc_lo, v17
	v_and_b32_e32 v31, v31, v33
	v_and_b32_e32 v33, v19, v17
	v_lshlrev_b32_e32 v17, 24, v18
	v_cmp_gt_i64_e32 vcc, 0, v[16:17]
	v_not_b32_e32 v17, v17
	v_ashrrev_i32_e32 v17, 31, v17
	v_xor_b32_e32 v18, vcc_hi, v17
	v_xor_b32_e32 v17, vcc_lo, v17
	v_and_b32_e32 v19, v31, v18
	v_and_b32_e32 v18, v33, v17
	v_mbcnt_lo_u32_b32 v17, v18, 0
	v_mbcnt_hi_u32_b32 v31, v19, v17
	v_cmp_eq_u32_e32 vcc, 0, v31
	v_cmp_ne_u64_e64 s[4:5], 0, v[18:19]
	s_and_b64 s[26:27], s[4:5], vcc
	s_barrier
	s_waitcnt lgkmcnt(0)
	; wave barrier
	s_and_saveexec_b64 s[4:5], s[26:27]
	s_cbranch_execz .LBB95_77
; %bb.76:
	v_bcnt_u32_b32 v17, v18, 0
	v_bcnt_u32_b32 v17, v19, v17
	ds_write_b32 v29, v17 offset:32
.LBB95_77:
	s_or_b64 exec, exec, s[4:5]
	v_and_b32_e32 v18, s24, v21
	v_lshlrev_b32_sdwa v17, v32, v18 dst_sel:DWORD dst_unused:UNUSED_PAD src0_sel:DWORD src1_sel:BYTE_0
	v_add_lshl_u32 v33, v38, v17, 2
	v_and_b32_e32 v17, 1, v18
	v_add_co_u32_e32 v19, vcc, -1, v17
	v_addc_co_u32_e64 v36, s[4:5], 0, -1, vcc
	v_cmp_ne_u32_e32 vcc, 0, v17
	v_xor_b32_e32 v17, vcc_hi, v36
	v_and_b32_e32 v36, exec_hi, v17
	v_lshlrev_b32_e32 v17, 30, v18
	v_xor_b32_e32 v19, vcc_lo, v19
	v_cmp_gt_i64_e32 vcc, 0, v[16:17]
	v_not_b32_e32 v17, v17
	v_ashrrev_i32_e32 v17, 31, v17
	v_and_b32_e32 v19, exec_lo, v19
	v_xor_b32_e32 v37, vcc_hi, v17
	v_xor_b32_e32 v17, vcc_lo, v17
	v_and_b32_e32 v19, v19, v17
	v_lshlrev_b32_e32 v17, 29, v18
	v_cmp_gt_i64_e32 vcc, 0, v[16:17]
	v_not_b32_e32 v17, v17
	v_ashrrev_i32_e32 v17, 31, v17
	v_and_b32_e32 v36, v36, v37
	v_xor_b32_e32 v37, vcc_hi, v17
	v_xor_b32_e32 v17, vcc_lo, v17
	v_and_b32_e32 v19, v19, v17
	v_lshlrev_b32_e32 v17, 28, v18
	v_cmp_gt_i64_e32 vcc, 0, v[16:17]
	v_not_b32_e32 v17, v17
	v_ashrrev_i32_e32 v17, 31, v17
	v_and_b32_e32 v36, v36, v37
	;; [unrolled: 8-line block ×5, first 2 shown]
	v_xor_b32_e32 v37, vcc_hi, v17
	v_xor_b32_e32 v17, vcc_lo, v17
	v_and_b32_e32 v19, v19, v17
	v_lshlrev_b32_e32 v17, 24, v18
	v_cmp_gt_i64_e32 vcc, 0, v[16:17]
	v_not_b32_e32 v16, v17
	v_ashrrev_i32_e32 v16, 31, v16
	v_xor_b32_e32 v17, vcc_hi, v16
	v_xor_b32_e32 v16, vcc_lo, v16
	; wave barrier
	ds_read_b32 v32, v33 offset:32
	v_and_b32_e32 v36, v36, v37
	v_and_b32_e32 v16, v19, v16
	;; [unrolled: 1-line block ×3, first 2 shown]
	v_mbcnt_lo_u32_b32 v18, v16, 0
	v_mbcnt_hi_u32_b32 v36, v17, v18
	v_cmp_eq_u32_e32 vcc, 0, v36
	v_cmp_ne_u64_e64 s[4:5], 0, v[16:17]
	s_and_b64 s[26:27], s[4:5], vcc
	; wave barrier
	s_and_saveexec_b64 s[4:5], s[26:27]
	s_cbranch_execz .LBB95_79
; %bb.78:
	v_bcnt_u32_b32 v16, v16, 0
	v_bcnt_u32_b32 v16, v17, v16
	s_waitcnt lgkmcnt(0)
	v_add_u32_e32 v16, v32, v16
	ds_write_b32 v33, v16 offset:32
.LBB95_79:
	s_or_b64 exec, exec, s[4:5]
	v_and_b32_e32 v18, s24, v22
	v_and_b32_e32 v17, 1, v18
	v_add_co_u32_e32 v19, vcc, -1, v17
	v_mov_b32_e32 v60, 3
	v_addc_co_u32_e64 v41, s[4:5], 0, -1, vcc
	v_cmp_ne_u32_e32 vcc, 0, v17
	v_lshlrev_b32_sdwa v16, v60, v18 dst_sel:DWORD dst_unused:UNUSED_PAD src0_sel:DWORD src1_sel:BYTE_0
	v_xor_b32_e32 v17, vcc_hi, v41
	v_add_lshl_u32 v40, v38, v16, 2
	v_mov_b32_e32 v16, 0
	v_and_b32_e32 v41, exec_hi, v17
	v_lshlrev_b32_e32 v17, 30, v18
	v_xor_b32_e32 v19, vcc_lo, v19
	v_cmp_gt_i64_e32 vcc, 0, v[16:17]
	v_not_b32_e32 v17, v17
	v_ashrrev_i32_e32 v17, 31, v17
	v_and_b32_e32 v19, exec_lo, v19
	v_xor_b32_e32 v61, vcc_hi, v17
	v_xor_b32_e32 v17, vcc_lo, v17
	v_and_b32_e32 v19, v19, v17
	v_lshlrev_b32_e32 v17, 29, v18
	v_cmp_gt_i64_e32 vcc, 0, v[16:17]
	v_not_b32_e32 v17, v17
	v_ashrrev_i32_e32 v17, 31, v17
	v_and_b32_e32 v41, v41, v61
	v_xor_b32_e32 v61, vcc_hi, v17
	v_xor_b32_e32 v17, vcc_lo, v17
	v_and_b32_e32 v19, v19, v17
	v_lshlrev_b32_e32 v17, 28, v18
	v_cmp_gt_i64_e32 vcc, 0, v[16:17]
	v_not_b32_e32 v17, v17
	v_ashrrev_i32_e32 v17, 31, v17
	v_and_b32_e32 v41, v41, v61
	;; [unrolled: 8-line block ×5, first 2 shown]
	v_xor_b32_e32 v61, vcc_hi, v17
	v_xor_b32_e32 v17, vcc_lo, v17
	v_and_b32_e32 v41, v41, v61
	v_and_b32_e32 v61, v19, v17
	v_lshlrev_b32_e32 v17, 24, v18
	v_cmp_gt_i64_e32 vcc, 0, v[16:17]
	v_not_b32_e32 v17, v17
	v_ashrrev_i32_e32 v17, 31, v17
	v_xor_b32_e32 v18, vcc_hi, v17
	v_xor_b32_e32 v17, vcc_lo, v17
	; wave barrier
	ds_read_b32 v37, v40 offset:32
	v_and_b32_e32 v19, v41, v18
	v_and_b32_e32 v18, v61, v17
	v_mbcnt_lo_u32_b32 v17, v18, 0
	v_mbcnt_hi_u32_b32 v41, v19, v17
	v_cmp_eq_u32_e32 vcc, 0, v41
	v_cmp_ne_u64_e64 s[4:5], 0, v[18:19]
	s_and_b64 s[26:27], s[4:5], vcc
	; wave barrier
	s_and_saveexec_b64 s[4:5], s[26:27]
	s_cbranch_execz .LBB95_81
; %bb.80:
	v_bcnt_u32_b32 v17, v18, 0
	v_bcnt_u32_b32 v17, v19, v17
	s_waitcnt lgkmcnt(0)
	v_add_u32_e32 v17, v37, v17
	ds_write_b32 v40, v17 offset:32
.LBB95_81:
	s_or_b64 exec, exec, s[4:5]
	v_and_b32_e32 v18, s24, v23
	v_lshlrev_b32_sdwa v17, v60, v18 dst_sel:DWORD dst_unused:UNUSED_PAD src0_sel:DWORD src1_sel:BYTE_0
	v_add_lshl_u32 v61, v38, v17, 2
	v_and_b32_e32 v17, 1, v18
	v_add_co_u32_e32 v19, vcc, -1, v17
	v_addc_co_u32_e64 v62, s[4:5], 0, -1, vcc
	v_cmp_ne_u32_e32 vcc, 0, v17
	v_xor_b32_e32 v17, vcc_hi, v62
	v_and_b32_e32 v62, exec_hi, v17
	v_lshlrev_b32_e32 v17, 30, v18
	v_xor_b32_e32 v19, vcc_lo, v19
	v_cmp_gt_i64_e32 vcc, 0, v[16:17]
	v_not_b32_e32 v17, v17
	v_ashrrev_i32_e32 v17, 31, v17
	v_and_b32_e32 v19, exec_lo, v19
	v_xor_b32_e32 v63, vcc_hi, v17
	v_xor_b32_e32 v17, vcc_lo, v17
	v_and_b32_e32 v19, v19, v17
	v_lshlrev_b32_e32 v17, 29, v18
	v_cmp_gt_i64_e32 vcc, 0, v[16:17]
	v_not_b32_e32 v17, v17
	v_ashrrev_i32_e32 v17, 31, v17
	v_and_b32_e32 v62, v62, v63
	v_xor_b32_e32 v63, vcc_hi, v17
	v_xor_b32_e32 v17, vcc_lo, v17
	v_and_b32_e32 v19, v19, v17
	v_lshlrev_b32_e32 v17, 28, v18
	v_cmp_gt_i64_e32 vcc, 0, v[16:17]
	v_not_b32_e32 v17, v17
	v_ashrrev_i32_e32 v17, 31, v17
	v_and_b32_e32 v62, v62, v63
	;; [unrolled: 8-line block ×5, first 2 shown]
	v_xor_b32_e32 v63, vcc_hi, v17
	v_xor_b32_e32 v17, vcc_lo, v17
	v_and_b32_e32 v19, v19, v17
	v_lshlrev_b32_e32 v17, 24, v18
	v_cmp_gt_i64_e32 vcc, 0, v[16:17]
	v_not_b32_e32 v16, v17
	v_ashrrev_i32_e32 v16, 31, v16
	v_xor_b32_e32 v17, vcc_hi, v16
	v_xor_b32_e32 v16, vcc_lo, v16
	; wave barrier
	ds_read_b32 v60, v61 offset:32
	v_and_b32_e32 v62, v62, v63
	v_and_b32_e32 v16, v19, v16
	;; [unrolled: 1-line block ×3, first 2 shown]
	v_mbcnt_lo_u32_b32 v18, v16, 0
	v_mbcnt_hi_u32_b32 v62, v17, v18
	v_cmp_eq_u32_e32 vcc, 0, v62
	v_cmp_ne_u64_e64 s[4:5], 0, v[16:17]
	s_and_b64 s[26:27], s[4:5], vcc
	; wave barrier
	s_and_saveexec_b64 s[4:5], s[26:27]
	s_cbranch_execz .LBB95_83
; %bb.82:
	v_bcnt_u32_b32 v16, v16, 0
	v_bcnt_u32_b32 v16, v17, v16
	s_waitcnt lgkmcnt(0)
	v_add_u32_e32 v16, v60, v16
	ds_write_b32 v61, v16 offset:32
.LBB95_83:
	s_or_b64 exec, exec, s[4:5]
	v_and_b32_e32 v18, s24, v24
	v_and_b32_e32 v17, 1, v18
	v_add_co_u32_e32 v19, vcc, -1, v17
	v_mov_b32_e32 v66, 3
	v_addc_co_u32_e64 v65, s[4:5], 0, -1, vcc
	v_cmp_ne_u32_e32 vcc, 0, v17
	v_lshlrev_b32_sdwa v16, v66, v18 dst_sel:DWORD dst_unused:UNUSED_PAD src0_sel:DWORD src1_sel:BYTE_0
	v_xor_b32_e32 v17, vcc_hi, v65
	v_add_lshl_u32 v64, v38, v16, 2
	v_mov_b32_e32 v16, 0
	v_and_b32_e32 v65, exec_hi, v17
	v_lshlrev_b32_e32 v17, 30, v18
	v_xor_b32_e32 v19, vcc_lo, v19
	v_cmp_gt_i64_e32 vcc, 0, v[16:17]
	v_not_b32_e32 v17, v17
	v_ashrrev_i32_e32 v17, 31, v17
	v_and_b32_e32 v19, exec_lo, v19
	v_xor_b32_e32 v67, vcc_hi, v17
	v_xor_b32_e32 v17, vcc_lo, v17
	v_and_b32_e32 v19, v19, v17
	v_lshlrev_b32_e32 v17, 29, v18
	v_cmp_gt_i64_e32 vcc, 0, v[16:17]
	v_not_b32_e32 v17, v17
	v_ashrrev_i32_e32 v17, 31, v17
	v_and_b32_e32 v65, v65, v67
	v_xor_b32_e32 v67, vcc_hi, v17
	v_xor_b32_e32 v17, vcc_lo, v17
	v_and_b32_e32 v19, v19, v17
	v_lshlrev_b32_e32 v17, 28, v18
	v_cmp_gt_i64_e32 vcc, 0, v[16:17]
	v_not_b32_e32 v17, v17
	v_ashrrev_i32_e32 v17, 31, v17
	v_and_b32_e32 v65, v65, v67
	;; [unrolled: 8-line block ×5, first 2 shown]
	v_xor_b32_e32 v67, vcc_hi, v17
	v_xor_b32_e32 v17, vcc_lo, v17
	v_and_b32_e32 v65, v65, v67
	v_and_b32_e32 v67, v19, v17
	v_lshlrev_b32_e32 v17, 24, v18
	v_cmp_gt_i64_e32 vcc, 0, v[16:17]
	v_not_b32_e32 v17, v17
	v_ashrrev_i32_e32 v17, 31, v17
	v_xor_b32_e32 v18, vcc_hi, v17
	v_xor_b32_e32 v17, vcc_lo, v17
	; wave barrier
	ds_read_b32 v63, v64 offset:32
	v_and_b32_e32 v19, v65, v18
	v_and_b32_e32 v18, v67, v17
	v_mbcnt_lo_u32_b32 v17, v18, 0
	v_mbcnt_hi_u32_b32 v65, v19, v17
	v_cmp_eq_u32_e32 vcc, 0, v65
	v_cmp_ne_u64_e64 s[4:5], 0, v[18:19]
	s_and_b64 s[26:27], s[4:5], vcc
	; wave barrier
	s_and_saveexec_b64 s[4:5], s[26:27]
	s_cbranch_execz .LBB95_85
; %bb.84:
	v_bcnt_u32_b32 v17, v18, 0
	v_bcnt_u32_b32 v17, v19, v17
	s_waitcnt lgkmcnt(0)
	v_add_u32_e32 v17, v63, v17
	ds_write_b32 v64, v17 offset:32
.LBB95_85:
	s_or_b64 exec, exec, s[4:5]
	v_and_b32_e32 v18, s24, v25
	v_lshlrev_b32_sdwa v17, v66, v18 dst_sel:DWORD dst_unused:UNUSED_PAD src0_sel:DWORD src1_sel:BYTE_0
	v_add_lshl_u32 v67, v38, v17, 2
	v_and_b32_e32 v17, 1, v18
	v_add_co_u32_e32 v19, vcc, -1, v17
	v_addc_co_u32_e64 v68, s[4:5], 0, -1, vcc
	v_cmp_ne_u32_e32 vcc, 0, v17
	v_xor_b32_e32 v17, vcc_hi, v68
	v_and_b32_e32 v68, exec_hi, v17
	v_lshlrev_b32_e32 v17, 30, v18
	v_xor_b32_e32 v19, vcc_lo, v19
	v_cmp_gt_i64_e32 vcc, 0, v[16:17]
	v_not_b32_e32 v17, v17
	v_ashrrev_i32_e32 v17, 31, v17
	v_and_b32_e32 v19, exec_lo, v19
	v_xor_b32_e32 v69, vcc_hi, v17
	v_xor_b32_e32 v17, vcc_lo, v17
	v_and_b32_e32 v19, v19, v17
	v_lshlrev_b32_e32 v17, 29, v18
	v_cmp_gt_i64_e32 vcc, 0, v[16:17]
	v_not_b32_e32 v17, v17
	v_ashrrev_i32_e32 v17, 31, v17
	v_and_b32_e32 v68, v68, v69
	v_xor_b32_e32 v69, vcc_hi, v17
	v_xor_b32_e32 v17, vcc_lo, v17
	v_and_b32_e32 v19, v19, v17
	v_lshlrev_b32_e32 v17, 28, v18
	v_cmp_gt_i64_e32 vcc, 0, v[16:17]
	v_not_b32_e32 v17, v17
	v_ashrrev_i32_e32 v17, 31, v17
	v_and_b32_e32 v68, v68, v69
	;; [unrolled: 8-line block ×5, first 2 shown]
	v_xor_b32_e32 v69, vcc_hi, v17
	v_xor_b32_e32 v17, vcc_lo, v17
	v_and_b32_e32 v19, v19, v17
	v_lshlrev_b32_e32 v17, 24, v18
	v_cmp_gt_i64_e32 vcc, 0, v[16:17]
	v_not_b32_e32 v16, v17
	v_ashrrev_i32_e32 v16, 31, v16
	v_xor_b32_e32 v17, vcc_hi, v16
	v_xor_b32_e32 v16, vcc_lo, v16
	; wave barrier
	ds_read_b32 v66, v67 offset:32
	v_and_b32_e32 v68, v68, v69
	v_and_b32_e32 v16, v19, v16
	;; [unrolled: 1-line block ×3, first 2 shown]
	v_mbcnt_lo_u32_b32 v18, v16, 0
	v_mbcnt_hi_u32_b32 v68, v17, v18
	v_cmp_eq_u32_e32 vcc, 0, v68
	v_cmp_ne_u64_e64 s[4:5], 0, v[16:17]
	s_and_b64 s[26:27], s[4:5], vcc
	; wave barrier
	s_and_saveexec_b64 s[4:5], s[26:27]
	s_cbranch_execz .LBB95_87
; %bb.86:
	v_bcnt_u32_b32 v16, v16, 0
	v_bcnt_u32_b32 v16, v17, v16
	s_waitcnt lgkmcnt(0)
	v_add_u32_e32 v16, v66, v16
	ds_write_b32 v67, v16 offset:32
.LBB95_87:
	s_or_b64 exec, exec, s[4:5]
	v_and_b32_e32 v18, s24, v26
	v_and_b32_e32 v17, 1, v18
	v_add_co_u32_e32 v19, vcc, -1, v17
	v_mov_b32_e32 v72, 3
	v_addc_co_u32_e64 v71, s[4:5], 0, -1, vcc
	v_cmp_ne_u32_e32 vcc, 0, v17
	v_lshlrev_b32_sdwa v16, v72, v18 dst_sel:DWORD dst_unused:UNUSED_PAD src0_sel:DWORD src1_sel:BYTE_0
	v_xor_b32_e32 v17, vcc_hi, v71
	v_add_lshl_u32 v70, v38, v16, 2
	v_mov_b32_e32 v16, 0
	v_and_b32_e32 v71, exec_hi, v17
	v_lshlrev_b32_e32 v17, 30, v18
	v_xor_b32_e32 v19, vcc_lo, v19
	v_cmp_gt_i64_e32 vcc, 0, v[16:17]
	v_not_b32_e32 v17, v17
	v_ashrrev_i32_e32 v17, 31, v17
	v_and_b32_e32 v19, exec_lo, v19
	v_xor_b32_e32 v73, vcc_hi, v17
	v_xor_b32_e32 v17, vcc_lo, v17
	v_and_b32_e32 v19, v19, v17
	v_lshlrev_b32_e32 v17, 29, v18
	v_cmp_gt_i64_e32 vcc, 0, v[16:17]
	v_not_b32_e32 v17, v17
	v_ashrrev_i32_e32 v17, 31, v17
	v_and_b32_e32 v71, v71, v73
	v_xor_b32_e32 v73, vcc_hi, v17
	v_xor_b32_e32 v17, vcc_lo, v17
	v_and_b32_e32 v19, v19, v17
	v_lshlrev_b32_e32 v17, 28, v18
	v_cmp_gt_i64_e32 vcc, 0, v[16:17]
	v_not_b32_e32 v17, v17
	v_ashrrev_i32_e32 v17, 31, v17
	v_and_b32_e32 v71, v71, v73
	;; [unrolled: 8-line block ×5, first 2 shown]
	v_xor_b32_e32 v73, vcc_hi, v17
	v_xor_b32_e32 v17, vcc_lo, v17
	v_and_b32_e32 v71, v71, v73
	v_and_b32_e32 v73, v19, v17
	v_lshlrev_b32_e32 v17, 24, v18
	v_cmp_gt_i64_e32 vcc, 0, v[16:17]
	v_not_b32_e32 v17, v17
	v_ashrrev_i32_e32 v17, 31, v17
	v_xor_b32_e32 v18, vcc_hi, v17
	v_xor_b32_e32 v17, vcc_lo, v17
	; wave barrier
	ds_read_b32 v69, v70 offset:32
	v_and_b32_e32 v19, v71, v18
	v_and_b32_e32 v18, v73, v17
	v_mbcnt_lo_u32_b32 v17, v18, 0
	v_mbcnt_hi_u32_b32 v71, v19, v17
	v_cmp_eq_u32_e32 vcc, 0, v71
	v_cmp_ne_u64_e64 s[4:5], 0, v[18:19]
	s_and_b64 s[26:27], s[4:5], vcc
	; wave barrier
	s_and_saveexec_b64 s[4:5], s[26:27]
	s_cbranch_execz .LBB95_89
; %bb.88:
	v_bcnt_u32_b32 v17, v18, 0
	v_bcnt_u32_b32 v17, v19, v17
	s_waitcnt lgkmcnt(0)
	v_add_u32_e32 v17, v69, v17
	ds_write_b32 v70, v17 offset:32
.LBB95_89:
	s_or_b64 exec, exec, s[4:5]
	v_and_b32_e32 v18, s24, v27
	v_lshlrev_b32_sdwa v17, v72, v18 dst_sel:DWORD dst_unused:UNUSED_PAD src0_sel:DWORD src1_sel:BYTE_0
	v_add_lshl_u32 v72, v38, v17, 2
	v_and_b32_e32 v17, 1, v18
	v_add_co_u32_e32 v19, vcc, -1, v17
	v_addc_co_u32_e64 v74, s[4:5], 0, -1, vcc
	v_cmp_ne_u32_e32 vcc, 0, v17
	v_xor_b32_e32 v17, vcc_hi, v74
	v_and_b32_e32 v74, exec_hi, v17
	v_lshlrev_b32_e32 v17, 30, v18
	v_xor_b32_e32 v19, vcc_lo, v19
	v_cmp_gt_i64_e32 vcc, 0, v[16:17]
	v_not_b32_e32 v17, v17
	v_ashrrev_i32_e32 v17, 31, v17
	v_and_b32_e32 v19, exec_lo, v19
	v_xor_b32_e32 v75, vcc_hi, v17
	v_xor_b32_e32 v17, vcc_lo, v17
	v_and_b32_e32 v19, v19, v17
	v_lshlrev_b32_e32 v17, 29, v18
	v_cmp_gt_i64_e32 vcc, 0, v[16:17]
	v_not_b32_e32 v17, v17
	v_ashrrev_i32_e32 v17, 31, v17
	v_and_b32_e32 v74, v74, v75
	v_xor_b32_e32 v75, vcc_hi, v17
	v_xor_b32_e32 v17, vcc_lo, v17
	v_and_b32_e32 v19, v19, v17
	v_lshlrev_b32_e32 v17, 28, v18
	v_cmp_gt_i64_e32 vcc, 0, v[16:17]
	v_not_b32_e32 v17, v17
	v_ashrrev_i32_e32 v17, 31, v17
	v_and_b32_e32 v74, v74, v75
	v_xor_b32_e32 v75, vcc_hi, v17
	v_xor_b32_e32 v17, vcc_lo, v17
	v_and_b32_e32 v19, v19, v17
	v_lshlrev_b32_e32 v17, 27, v18
	v_cmp_gt_i64_e32 vcc, 0, v[16:17]
	v_not_b32_e32 v17, v17
	v_ashrrev_i32_e32 v17, 31, v17
	v_and_b32_e32 v74, v74, v75
	v_xor_b32_e32 v75, vcc_hi, v17
	v_xor_b32_e32 v17, vcc_lo, v17
	v_and_b32_e32 v19, v19, v17
	v_lshlrev_b32_e32 v17, 26, v18
	v_cmp_gt_i64_e32 vcc, 0, v[16:17]
	v_not_b32_e32 v17, v17
	v_ashrrev_i32_e32 v17, 31, v17
	v_and_b32_e32 v74, v74, v75
	v_xor_b32_e32 v75, vcc_hi, v17
	v_xor_b32_e32 v17, vcc_lo, v17
	v_and_b32_e32 v19, v19, v17
	v_lshlrev_b32_e32 v17, 25, v18
	v_cmp_gt_i64_e32 vcc, 0, v[16:17]
	v_not_b32_e32 v17, v17
	v_ashrrev_i32_e32 v17, 31, v17
	v_and_b32_e32 v74, v74, v75
	v_xor_b32_e32 v75, vcc_hi, v17
	v_xor_b32_e32 v17, vcc_lo, v17
	v_and_b32_e32 v19, v19, v17
	v_lshlrev_b32_e32 v17, 24, v18
	v_cmp_gt_i64_e32 vcc, 0, v[16:17]
	v_not_b32_e32 v16, v17
	v_ashrrev_i32_e32 v16, 31, v16
	v_xor_b32_e32 v17, vcc_hi, v16
	v_xor_b32_e32 v16, vcc_lo, v16
	; wave barrier
	ds_read_b32 v38, v72 offset:32
	v_and_b32_e32 v74, v74, v75
	v_and_b32_e32 v16, v19, v16
	v_and_b32_e32 v17, v74, v17
	v_mbcnt_lo_u32_b32 v18, v16, 0
	v_mbcnt_hi_u32_b32 v74, v17, v18
	v_cmp_eq_u32_e32 vcc, 0, v74
	v_cmp_ne_u64_e64 s[4:5], 0, v[16:17]
	v_add_u32_e32 v73, 32, v59
	s_and_b64 s[24:25], s[4:5], vcc
	; wave barrier
	s_and_saveexec_b64 s[4:5], s[24:25]
	s_cbranch_execz .LBB95_91
; %bb.90:
	v_bcnt_u32_b32 v16, v16, 0
	v_bcnt_u32_b32 v16, v17, v16
	s_waitcnt lgkmcnt(0)
	v_add_u32_e32 v16, v38, v16
	ds_write_b32 v72, v16 offset:32
.LBB95_91:
	s_or_b64 exec, exec, s[4:5]
	; wave barrier
	s_waitcnt lgkmcnt(0)
	s_barrier
	ds_read2_b32 v[16:17], v59 offset0:8 offset1:9
	ds_read2_b32 v[18:19], v73 offset0:2 offset1:3
	v_min_u32_e32 v30, 0x1c0, v30
	v_or_b32_e32 v30, 63, v30
	s_waitcnt lgkmcnt(1)
	v_add_u32_e32 v75, v17, v16
	s_waitcnt lgkmcnt(0)
	v_add3_u32 v19, v75, v18, v19
	v_and_b32_e32 v75, 15, v28
	v_cmp_ne_u32_e32 vcc, 0, v75
	v_mov_b32_dpp v76, v19 row_shr:1 row_mask:0xf bank_mask:0xf
	v_cndmask_b32_e32 v76, 0, v76, vcc
	v_add_u32_e32 v19, v76, v19
	v_cmp_lt_u32_e32 vcc, 1, v75
	s_nop 0
	v_mov_b32_dpp v76, v19 row_shr:2 row_mask:0xf bank_mask:0xf
	v_cndmask_b32_e32 v76, 0, v76, vcc
	v_add_u32_e32 v19, v19, v76
	v_cmp_lt_u32_e32 vcc, 3, v75
	s_nop 0
	;; [unrolled: 5-line block ×3, first 2 shown]
	v_mov_b32_dpp v76, v19 row_shr:8 row_mask:0xf bank_mask:0xf
	v_cndmask_b32_e32 v75, 0, v76, vcc
	v_add_u32_e32 v19, v19, v75
	v_bfe_i32 v76, v28, 4, 1
	v_cmp_lt_u32_e32 vcc, 31, v28
	v_mov_b32_dpp v75, v19 row_bcast:15 row_mask:0xf bank_mask:0xf
	v_and_b32_e32 v75, v76, v75
	v_add_u32_e32 v19, v19, v75
	s_nop 1
	v_mov_b32_dpp v75, v19 row_bcast:31 row_mask:0xf bank_mask:0xf
	v_cndmask_b32_e32 v75, 0, v75, vcc
	v_add_u32_e32 v19, v19, v75
	v_lshrrev_b32_e32 v75, 6, v34
	v_cmp_eq_u32_e32 vcc, v30, v34
	s_and_saveexec_b64 s[4:5], vcc
	s_cbranch_execz .LBB95_93
; %bb.92:
	v_lshlrev_b32_e32 v30, 2, v75
	ds_write_b32 v30, v19
.LBB95_93:
	s_or_b64 exec, exec, s[4:5]
	v_cmp_gt_u32_e32 vcc, 8, v34
	s_waitcnt lgkmcnt(0)
	s_barrier
	s_and_saveexec_b64 s[4:5], vcc
	s_cbranch_execz .LBB95_95
; %bb.94:
	v_lshlrev_b32_e32 v30, 2, v34
	ds_read_b32 v76, v30
	v_and_b32_e32 v77, 7, v28
	v_cmp_ne_u32_e32 vcc, 0, v77
	s_waitcnt lgkmcnt(0)
	v_mov_b32_dpp v78, v76 row_shr:1 row_mask:0xf bank_mask:0xf
	v_cndmask_b32_e32 v78, 0, v78, vcc
	v_add_u32_e32 v76, v78, v76
	v_cmp_lt_u32_e32 vcc, 1, v77
	s_nop 0
	v_mov_b32_dpp v78, v76 row_shr:2 row_mask:0xf bank_mask:0xf
	v_cndmask_b32_e32 v78, 0, v78, vcc
	v_add_u32_e32 v76, v76, v78
	v_cmp_lt_u32_e32 vcc, 3, v77
	s_nop 0
	v_mov_b32_dpp v78, v76 row_shr:4 row_mask:0xf bank_mask:0xf
	v_cndmask_b32_e32 v77, 0, v78, vcc
	v_add_u32_e32 v76, v76, v77
	ds_write_b32 v30, v76
.LBB95_95:
	s_or_b64 exec, exec, s[4:5]
	v_cmp_lt_u32_e32 vcc, 63, v34
	v_mov_b32_e32 v30, 0
	s_waitcnt lgkmcnt(0)
	s_barrier
	s_and_saveexec_b64 s[4:5], vcc
	s_cbranch_execz .LBB95_97
; %bb.96:
	v_lshl_add_u32 v30, v75, 2, -4
	ds_read_b32 v30, v30
.LBB95_97:
	s_or_b64 exec, exec, s[4:5]
	v_add_u32_e32 v75, -1, v28
	v_and_b32_e32 v76, 64, v28
	v_cmp_lt_i32_e32 vcc, v75, v76
	v_cndmask_b32_e32 v75, v75, v28, vcc
	s_waitcnt lgkmcnt(0)
	v_add_u32_e32 v19, v30, v19
	v_lshlrev_b32_e32 v75, 2, v75
	ds_bpermute_b32 v19, v75, v19
	v_cmp_eq_u32_e32 vcc, 0, v28
	s_waitcnt lgkmcnt(0)
	v_cndmask_b32_e32 v19, v19, v30, vcc
	v_cmp_ne_u32_e32 vcc, 0, v34
	v_cndmask_b32_e32 v19, 0, v19, vcc
	v_add_u32_e32 v16, v19, v16
	v_add_u32_e32 v17, v16, v17
	;; [unrolled: 1-line block ×3, first 2 shown]
	ds_write2_b32 v59, v19, v16 offset0:8 offset1:9
	ds_write2_b32 v73, v17, v18 offset0:2 offset1:3
	s_waitcnt lgkmcnt(0)
	s_barrier
	ds_read_b32 v16, v29 offset:32
	ds_read_b32 v17, v33 offset:32
	;; [unrolled: 1-line block ×8, first 2 shown]
	s_waitcnt lgkmcnt(7)
	v_add_u32_e32 v31, v16, v31
	s_waitcnt lgkmcnt(6)
	v_add3_u32 v32, v36, v32, v17
	s_waitcnt lgkmcnt(5)
	v_add3_u32 v18, v41, v37, v18
	s_waitcnt lgkmcnt(4)
	v_add3_u32 v19, v62, v60, v19
	s_waitcnt lgkmcnt(3)
	v_add3_u32 v28, v65, v63, v28
	s_waitcnt lgkmcnt(2)
	v_add3_u32 v29, v68, v66, v29
	s_waitcnt lgkmcnt(1)
	v_add3_u32 v30, v71, v69, v30
	s_waitcnt lgkmcnt(0)
	v_add3_u32 v33, v74, v38, v33
	s_barrier
	ds_write_b8 v31, v20
	ds_write_b8 v32, v21
	;; [unrolled: 1-line block ×8, first 2 shown]
	v_lshlrev_b32_e32 v20, 3, v31
	s_waitcnt lgkmcnt(0)
	s_barrier
	ds_read_b64 v[16:17], v50
	s_waitcnt lgkmcnt(0)
	s_barrier
	ds_write_b64 v20, v[12:13]
	v_lshlrev_b32_e32 v12, 3, v32
	ds_write_b64 v12, v[14:15]
	v_lshlrev_b32_e32 v12, 3, v18
	;; [unrolled: 2-line block ×8, first 2 shown]
	s_waitcnt lgkmcnt(0)
	s_barrier
	ds_read2_b64 v[18:21], v0 offset1:1
	ds_read2_b64 v[22:25], v0 offset0:2 offset1:3
	ds_read2_b64 v[26:29], v0 offset0:4 offset1:5
	;; [unrolled: 1-line block ×3, first 2 shown]
	v_lshrrev_b32_e32 v36, 8, v16
	v_mov_b32_e32 v1, -1
	v_lshrrev_b32_e32 v37, 8, v17
	v_xor_b32_e32 v0, -1, v16
	v_xor_b32_sdwa v2, v36, v1 dst_sel:BYTE_1 dst_unused:UNUSED_PAD src0_sel:DWORD src1_sel:DWORD
	v_xor_b32_sdwa v3, v16, v1 dst_sel:DWORD dst_unused:UNUSED_PAD src0_sel:WORD_1 src1_sel:DWORD
	v_xor_b32_sdwa v4, v16, v1 dst_sel:BYTE_1 dst_unused:UNUSED_PAD src0_sel:BYTE_3 src1_sel:DWORD
	v_xor_b32_e32 v5, -1, v17
	v_xor_b32_sdwa v6, v37, v1 dst_sel:BYTE_1 dst_unused:UNUSED_PAD src0_sel:DWORD src1_sel:DWORD
	v_xor_b32_sdwa v7, v17, v1 dst_sel:DWORD dst_unused:UNUSED_PAD src0_sel:WORD_1 src1_sel:DWORD
	v_xor_b32_sdwa v1, v17, v1 dst_sel:BYTE_1 dst_unused:UNUSED_PAD src0_sel:BYTE_3 src1_sel:DWORD
	v_or_b32_sdwa v0, v0, v2 dst_sel:DWORD dst_unused:UNUSED_PAD src0_sel:BYTE_0 src1_sel:DWORD
	v_or_b32_sdwa v2, v3, v4 dst_sel:WORD_1 dst_unused:UNUSED_PAD src0_sel:BYTE_0 src1_sel:DWORD
	v_or_b32_sdwa v0, v0, v2 dst_sel:DWORD dst_unused:UNUSED_PAD src0_sel:WORD_0 src1_sel:DWORD
	v_or_b32_sdwa v2, v5, v6 dst_sel:DWORD dst_unused:UNUSED_PAD src0_sel:BYTE_0 src1_sel:DWORD
	v_or_b32_sdwa v1, v7, v1 dst_sel:WORD_1 dst_unused:UNUSED_PAD src0_sel:BYTE_0 src1_sel:DWORD
	v_or_b32_sdwa v1, v2, v1 dst_sel:DWORD dst_unused:UNUSED_PAD src0_sel:WORD_0 src1_sel:DWORD
.LBB95_98:
	s_waitcnt lgkmcnt(0)
	s_barrier
	ds_write_b64 v49, v[0:1]
	s_waitcnt lgkmcnt(0)
	s_barrier
	ds_read_u8 v8, v42 offset:512
	ds_read_u8 v7, v43 offset:1024
	;; [unrolled: 1-line block ×7, first 2 shown]
	v_pk_mov_b32 v[0:1], s[22:23], s[22:23] op_sel:[0,1]
	v_mad_u64_u32 v[0:1], s[4:5], v34, s18, v[0:1]
	v_mov_b32_e32 v10, v1
	v_mad_u64_u32 v[10:11], s[4:5], v34, s19, v[10:11]
	v_mov_b32_e32 v1, v10
	s_and_saveexec_b64 s[4:5], s[0:1]
	s_cbranch_execnz .LBB95_117
; %bb.99:
	s_or_b64 exec, exec, s[4:5]
	s_and_saveexec_b64 s[4:5], s[2:3]
	s_cbranch_execnz .LBB95_118
.LBB95_100:
	s_or_b64 exec, exec, s[4:5]
	s_and_saveexec_b64 s[4:5], s[16:17]
	s_cbranch_execnz .LBB95_119
.LBB95_101:
	s_or_b64 exec, exec, s[4:5]
	s_and_saveexec_b64 s[4:5], s[6:7]
	s_cbranch_execnz .LBB95_120
.LBB95_102:
	s_or_b64 exec, exec, s[4:5]
	s_and_saveexec_b64 s[4:5], s[8:9]
	s_cbranch_execnz .LBB95_121
.LBB95_103:
	s_or_b64 exec, exec, s[4:5]
	s_and_saveexec_b64 s[4:5], s[10:11]
	s_cbranch_execnz .LBB95_122
.LBB95_104:
	s_or_b64 exec, exec, s[4:5]
	s_and_saveexec_b64 s[4:5], s[12:13]
	s_cbranch_execnz .LBB95_123
.LBB95_105:
	s_or_b64 exec, exec, s[4:5]
	s_and_saveexec_b64 s[4:5], s[14:15]
	s_cbranch_execz .LBB95_107
.LBB95_106:
	s_waitcnt lgkmcnt(1)
	v_mov_b32_e32 v3, 0xe00
	v_mad_u64_u32 v[0:1], s[22:23], s18, v3, v[0:1]
	s_mul_i32 s18, s19, 0xe00
	v_add_u32_e32 v1, s18, v1
	s_waitcnt lgkmcnt(0)
	global_store_byte v[0:1], v2, off
.LBB95_107:
	s_or_b64 exec, exec, s[4:5]
	s_waitcnt lgkmcnt(0)
	s_barrier
	ds_write2_b64 v58, v[18:19], v[20:21] offset1:1
	ds_write2_b64 v58, v[22:23], v[24:25] offset0:2 offset1:3
	ds_write2_b64 v58, v[26:27], v[28:29] offset0:4 offset1:5
	;; [unrolled: 1-line block ×3, first 2 shown]
	s_waitcnt lgkmcnt(0)
	s_barrier
	ds_read_b64 v[14:15], v51 offset:4096
	ds_read_b64 v[12:13], v52 offset:8192
	;; [unrolled: 1-line block ×7, first 2 shown]
	v_mad_u64_u32 v[4:5], s[4:5], v34, s20, 0
	v_mov_b32_e32 v16, v5
	v_mad_u64_u32 v[16:17], s[4:5], v34, s21, v[16:17]
	v_mov_b32_e32 v5, v16
	v_lshlrev_b64 v[4:5], 3, v[4:5]
	v_mov_b32_e32 v16, s29
	v_add_co_u32_e32 v4, vcc, s28, v4
	v_addc_co_u32_e32 v5, vcc, v16, v5, vcc
	s_and_saveexec_b64 s[4:5], s[0:1]
	s_cbranch_execnz .LBB95_124
; %bb.108:
	s_or_b64 exec, exec, s[4:5]
	s_and_saveexec_b64 s[0:1], s[2:3]
	s_cbranch_execnz .LBB95_125
.LBB95_109:
	s_or_b64 exec, exec, s[0:1]
	s_and_saveexec_b64 s[0:1], s[16:17]
	s_cbranch_execnz .LBB95_126
.LBB95_110:
	s_or_b64 exec, exec, s[0:1]
	s_and_saveexec_b64 s[0:1], s[6:7]
	s_cbranch_execnz .LBB95_127
.LBB95_111:
	s_or_b64 exec, exec, s[0:1]
	s_and_saveexec_b64 s[0:1], s[8:9]
	s_cbranch_execnz .LBB95_128
.LBB95_112:
	s_or_b64 exec, exec, s[0:1]
	s_and_saveexec_b64 s[0:1], s[10:11]
	s_cbranch_execnz .LBB95_129
.LBB95_113:
	s_or_b64 exec, exec, s[0:1]
	s_and_saveexec_b64 s[0:1], s[12:13]
	s_cbranch_execnz .LBB95_130
.LBB95_114:
	s_or_b64 exec, exec, s[0:1]
	s_and_saveexec_b64 s[0:1], s[14:15]
	s_cbranch_execz .LBB95_116
.LBB95_115:
	s_waitcnt lgkmcnt(1)
	v_mov_b32_e32 v2, 0x7000
	v_mad_u64_u32 v[2:3], s[0:1], s20, v2, v[4:5]
	s_mul_i32 s0, s21, 0x7000
	v_add_u32_e32 v3, s0, v3
	s_waitcnt lgkmcnt(0)
	global_store_dwordx2 v[2:3], v[0:1], off
.LBB95_116:
	s_endpgm
.LBB95_117:
	ds_read_u8 v9, v35
	s_waitcnt lgkmcnt(0)
	global_store_byte v[0:1], v9, off
	s_or_b64 exec, exec, s[4:5]
	s_and_saveexec_b64 s[4:5], s[2:3]
	s_cbranch_execz .LBB95_100
.LBB95_118:
	s_lshl_b64 s[22:23], s[18:19], 9
	v_mov_b32_e32 v9, s23
	v_add_co_u32_e32 v10, vcc, s22, v0
	v_addc_co_u32_e32 v11, vcc, v1, v9, vcc
	s_waitcnt lgkmcnt(6)
	global_store_byte v[10:11], v8, off
	s_or_b64 exec, exec, s[4:5]
	s_and_saveexec_b64 s[4:5], s[16:17]
	s_cbranch_execz .LBB95_101
.LBB95_119:
	s_lshl_b64 s[22:23], s[18:19], 10
	v_mov_b32_e32 v9, s23
	s_waitcnt lgkmcnt(6)
	v_add_co_u32_e32 v8, vcc, s22, v0
	v_addc_co_u32_e32 v9, vcc, v1, v9, vcc
	s_waitcnt lgkmcnt(5)
	global_store_byte v[8:9], v7, off
	s_or_b64 exec, exec, s[4:5]
	s_and_saveexec_b64 s[4:5], s[6:7]
	s_cbranch_execz .LBB95_102
.LBB95_120:
	s_waitcnt lgkmcnt(5)
	v_mov_b32_e32 v7, 0x600
	v_mad_u64_u32 v[8:9], s[22:23], s18, v7, v[0:1]
	s_mul_i32 s22, s19, 0x600
	v_add_u32_e32 v9, s22, v9
	s_waitcnt lgkmcnt(4)
	global_store_byte v[8:9], v6, off
	s_or_b64 exec, exec, s[4:5]
	s_and_saveexec_b64 s[4:5], s[8:9]
	s_cbranch_execz .LBB95_103
.LBB95_121:
	s_lshl_b64 s[22:23], s[18:19], 11
	s_waitcnt lgkmcnt(5)
	v_mov_b32_e32 v7, s23
	s_waitcnt lgkmcnt(4)
	v_add_co_u32_e32 v6, vcc, s22, v0
	v_addc_co_u32_e32 v7, vcc, v1, v7, vcc
	s_waitcnt lgkmcnt(3)
	global_store_byte v[6:7], v5, off
	s_or_b64 exec, exec, s[4:5]
	s_and_saveexec_b64 s[4:5], s[10:11]
	s_cbranch_execz .LBB95_104
.LBB95_122:
	s_waitcnt lgkmcnt(3)
	v_mov_b32_e32 v5, 0xa00
	v_mad_u64_u32 v[6:7], s[22:23], s18, v5, v[0:1]
	s_mul_i32 s22, s19, 0xa00
	v_add_u32_e32 v7, s22, v7
	s_waitcnt lgkmcnt(2)
	global_store_byte v[6:7], v4, off
	s_or_b64 exec, exec, s[4:5]
	s_and_saveexec_b64 s[4:5], s[12:13]
	s_cbranch_execz .LBB95_105
.LBB95_123:
	s_waitcnt lgkmcnt(2)
	v_mov_b32_e32 v4, 0xc00
	v_mad_u64_u32 v[4:5], s[22:23], s18, v4, v[0:1]
	s_mul_i32 s22, s19, 0xc00
	v_add_u32_e32 v5, s22, v5
	s_waitcnt lgkmcnt(1)
	global_store_byte v[4:5], v3, off
	s_or_b64 exec, exec, s[4:5]
	s_and_saveexec_b64 s[4:5], s[14:15]
	s_cbranch_execnz .LBB95_106
	s_branch .LBB95_107
.LBB95_124:
	ds_read_b64 v[16:17], v39
	s_waitcnt lgkmcnt(0)
	global_store_dwordx2 v[4:5], v[16:17], off
	s_or_b64 exec, exec, s[4:5]
	s_and_saveexec_b64 s[0:1], s[2:3]
	s_cbranch_execz .LBB95_109
.LBB95_125:
	s_lshl_b64 s[2:3], s[20:21], 12
	v_mov_b32_e32 v17, s3
	v_add_co_u32_e32 v16, vcc, s2, v4
	v_addc_co_u32_e32 v17, vcc, v5, v17, vcc
	s_waitcnt lgkmcnt(6)
	global_store_dwordx2 v[16:17], v[14:15], off
	s_or_b64 exec, exec, s[0:1]
	s_and_saveexec_b64 s[0:1], s[16:17]
	s_cbranch_execz .LBB95_110
.LBB95_126:
	s_lshl_b64 s[2:3], s[20:21], 13
	s_waitcnt lgkmcnt(6)
	v_mov_b32_e32 v15, s3
	v_add_co_u32_e32 v14, vcc, s2, v4
	v_addc_co_u32_e32 v15, vcc, v5, v15, vcc
	s_waitcnt lgkmcnt(5)
	global_store_dwordx2 v[14:15], v[12:13], off
	s_or_b64 exec, exec, s[0:1]
	s_and_saveexec_b64 s[0:1], s[6:7]
	s_cbranch_execz .LBB95_111
.LBB95_127:
	s_waitcnt lgkmcnt(5)
	v_mov_b32_e32 v12, 0x3000
	v_mad_u64_u32 v[12:13], s[2:3], s20, v12, v[4:5]
	s_mul_i32 s2, s21, 0x3000
	v_add_u32_e32 v13, s2, v13
	s_waitcnt lgkmcnt(4)
	global_store_dwordx2 v[12:13], v[10:11], off
	s_or_b64 exec, exec, s[0:1]
	s_and_saveexec_b64 s[0:1], s[8:9]
	s_cbranch_execz .LBB95_112
.LBB95_128:
	s_lshl_b64 s[2:3], s[20:21], 14
	s_waitcnt lgkmcnt(4)
	v_mov_b32_e32 v11, s3
	v_add_co_u32_e32 v10, vcc, s2, v4
	v_addc_co_u32_e32 v11, vcc, v5, v11, vcc
	s_waitcnt lgkmcnt(3)
	global_store_dwordx2 v[10:11], v[8:9], off
	s_or_b64 exec, exec, s[0:1]
	s_and_saveexec_b64 s[0:1], s[10:11]
	s_cbranch_execz .LBB95_113
.LBB95_129:
	s_waitcnt lgkmcnt(3)
	v_mov_b32_e32 v8, 0x5000
	v_mad_u64_u32 v[8:9], s[2:3], s20, v8, v[4:5]
	s_mul_i32 s2, s21, 0x5000
	v_add_u32_e32 v9, s2, v9
	s_waitcnt lgkmcnt(2)
	global_store_dwordx2 v[8:9], v[6:7], off
	s_or_b64 exec, exec, s[0:1]
	s_and_saveexec_b64 s[0:1], s[12:13]
	s_cbranch_execz .LBB95_114
.LBB95_130:
	s_waitcnt lgkmcnt(2)
	v_mov_b32_e32 v6, 0x6000
	v_mad_u64_u32 v[6:7], s[2:3], s20, v6, v[4:5]
	s_mul_i32 s2, s21, 0x6000
	v_add_u32_e32 v7, s2, v7
	s_waitcnt lgkmcnt(1)
	global_store_dwordx2 v[6:7], v[2:3], off
	s_or_b64 exec, exec, s[0:1]
	s_and_saveexec_b64 s[0:1], s[14:15]
	s_cbranch_execnz .LBB95_115
	s_branch .LBB95_116
	.section	.rodata,"a",@progbits
	.p2align	6, 0x0
	.amdhsa_kernel _ZN2at6native18radixSortKVInPlaceILin1ELin1ELi512ELi8EhlmEEvNS_4cuda6detail10TensorInfoIT3_T5_EES6_S6_S6_NS4_IT4_S6_EES6_b
		.amdhsa_group_segment_fixed_size 33792
		.amdhsa_private_segment_fixed_size 0
		.amdhsa_kernarg_size 1128
		.amdhsa_user_sgpr_count 6
		.amdhsa_user_sgpr_private_segment_buffer 1
		.amdhsa_user_sgpr_dispatch_ptr 0
		.amdhsa_user_sgpr_queue_ptr 0
		.amdhsa_user_sgpr_kernarg_segment_ptr 1
		.amdhsa_user_sgpr_dispatch_id 0
		.amdhsa_user_sgpr_flat_scratch_init 0
		.amdhsa_user_sgpr_kernarg_preload_length 0
		.amdhsa_user_sgpr_kernarg_preload_offset 0
		.amdhsa_user_sgpr_private_segment_size 0
		.amdhsa_uses_dynamic_stack 0
		.amdhsa_system_sgpr_private_segment_wavefront_offset 0
		.amdhsa_system_sgpr_workgroup_id_x 1
		.amdhsa_system_sgpr_workgroup_id_y 1
		.amdhsa_system_sgpr_workgroup_id_z 1
		.amdhsa_system_sgpr_workgroup_info 0
		.amdhsa_system_vgpr_workitem_id 2
		.amdhsa_next_free_vgpr 103
		.amdhsa_next_free_sgpr 52
		.amdhsa_accum_offset 104
		.amdhsa_reserve_vcc 1
		.amdhsa_reserve_flat_scratch 0
		.amdhsa_float_round_mode_32 0
		.amdhsa_float_round_mode_16_64 0
		.amdhsa_float_denorm_mode_32 3
		.amdhsa_float_denorm_mode_16_64 3
		.amdhsa_dx10_clamp 1
		.amdhsa_ieee_mode 1
		.amdhsa_fp16_overflow 0
		.amdhsa_tg_split 0
		.amdhsa_exception_fp_ieee_invalid_op 0
		.amdhsa_exception_fp_denorm_src 0
		.amdhsa_exception_fp_ieee_div_zero 0
		.amdhsa_exception_fp_ieee_overflow 0
		.amdhsa_exception_fp_ieee_underflow 0
		.amdhsa_exception_fp_ieee_inexact 0
		.amdhsa_exception_int_div_zero 0
	.end_amdhsa_kernel
	.section	.text._ZN2at6native18radixSortKVInPlaceILin1ELin1ELi512ELi8EhlmEEvNS_4cuda6detail10TensorInfoIT3_T5_EES6_S6_S6_NS4_IT4_S6_EES6_b,"axG",@progbits,_ZN2at6native18radixSortKVInPlaceILin1ELin1ELi512ELi8EhlmEEvNS_4cuda6detail10TensorInfoIT3_T5_EES6_S6_S6_NS4_IT4_S6_EES6_b,comdat
.Lfunc_end95:
	.size	_ZN2at6native18radixSortKVInPlaceILin1ELin1ELi512ELi8EhlmEEvNS_4cuda6detail10TensorInfoIT3_T5_EES6_S6_S6_NS4_IT4_S6_EES6_b, .Lfunc_end95-_ZN2at6native18radixSortKVInPlaceILin1ELin1ELi512ELi8EhlmEEvNS_4cuda6detail10TensorInfoIT3_T5_EES6_S6_S6_NS4_IT4_S6_EES6_b
                                        ; -- End function
	.section	.AMDGPU.csdata,"",@progbits
; Kernel info:
; codeLenInByte = 13632
; NumSgprs: 56
; NumVgprs: 103
; NumAgprs: 0
; TotalNumVgprs: 103
; ScratchSize: 0
; MemoryBound: 0
; FloatMode: 240
; IeeeMode: 1
; LDSByteSize: 33792 bytes/workgroup (compile time only)
; SGPRBlocks: 6
; VGPRBlocks: 12
; NumSGPRsForWavesPerEU: 56
; NumVGPRsForWavesPerEU: 103
; AccumOffset: 104
; Occupancy: 2
; WaveLimiterHint : 1
; COMPUTE_PGM_RSRC2:SCRATCH_EN: 0
; COMPUTE_PGM_RSRC2:USER_SGPR: 6
; COMPUTE_PGM_RSRC2:TRAP_HANDLER: 0
; COMPUTE_PGM_RSRC2:TGID_X_EN: 1
; COMPUTE_PGM_RSRC2:TGID_Y_EN: 1
; COMPUTE_PGM_RSRC2:TGID_Z_EN: 1
; COMPUTE_PGM_RSRC2:TIDIG_COMP_CNT: 2
; COMPUTE_PGM_RSRC3_GFX90A:ACCUM_OFFSET: 25
; COMPUTE_PGM_RSRC3_GFX90A:TG_SPLIT: 0
	.section	.text._ZN2at6native18radixSortKVInPlaceILin1ELin1ELi256ELi8EhlmEEvNS_4cuda6detail10TensorInfoIT3_T5_EES6_S6_S6_NS4_IT4_S6_EES6_b,"axG",@progbits,_ZN2at6native18radixSortKVInPlaceILin1ELin1ELi256ELi8EhlmEEvNS_4cuda6detail10TensorInfoIT3_T5_EES6_S6_S6_NS4_IT4_S6_EES6_b,comdat
	.protected	_ZN2at6native18radixSortKVInPlaceILin1ELin1ELi256ELi8EhlmEEvNS_4cuda6detail10TensorInfoIT3_T5_EES6_S6_S6_NS4_IT4_S6_EES6_b ; -- Begin function _ZN2at6native18radixSortKVInPlaceILin1ELin1ELi256ELi8EhlmEEvNS_4cuda6detail10TensorInfoIT3_T5_EES6_S6_S6_NS4_IT4_S6_EES6_b
	.globl	_ZN2at6native18radixSortKVInPlaceILin1ELin1ELi256ELi8EhlmEEvNS_4cuda6detail10TensorInfoIT3_T5_EES6_S6_S6_NS4_IT4_S6_EES6_b
	.p2align	8
	.type	_ZN2at6native18radixSortKVInPlaceILin1ELin1ELi256ELi8EhlmEEvNS_4cuda6detail10TensorInfoIT3_T5_EES6_S6_S6_NS4_IT4_S6_EES6_b,@function
_ZN2at6native18radixSortKVInPlaceILin1ELin1ELi256ELi8EhlmEEvNS_4cuda6detail10TensorInfoIT3_T5_EES6_S6_S6_NS4_IT4_S6_EES6_b: ; @_ZN2at6native18radixSortKVInPlaceILin1ELin1ELi256ELi8EhlmEEvNS_4cuda6detail10TensorInfoIT3_T5_EES6_S6_S6_NS4_IT4_S6_EES6_b
; %bb.0:
	s_load_dwordx4 s[12:15], s[4:5], 0x1a0
	s_load_dwordx2 s[0:1], s[4:5], 0x368
	s_add_u32 s24, s4, 0x368
	s_addc_u32 s25, s5, 0
	s_waitcnt lgkmcnt(0)
	v_mov_b32_e32 v2, s12
	s_mul_i32 s1, s1, s8
	s_add_i32 s1, s1, s7
	s_mul_i32 s0, s1, s0
	v_mov_b32_e32 v3, s13
	s_add_i32 s6, s0, s6
	s_mov_b32 s7, 0
	v_cmp_ge_u64_e32 vcc, s[6:7], v[2:3]
	s_cbranch_vccnz .LBB96_116
; %bb.1:
	s_load_dword s0, s[4:5], 0x198
	s_load_dwordx2 s[18:19], s[4:5], 0x1b0
	s_mov_b64 s[2:3], 0
	s_mov_b64 s[8:9], s[6:7]
	s_waitcnt lgkmcnt(0)
	s_cmp_lt_i32 s0, 2
	s_cbranch_scc1 .LBB96_9
; %bb.2:
	s_mov_b32 s10, 0
	s_add_i32 s15, s0, 1
	s_add_i32 s0, s0, -1
	s_mov_b32 s1, s10
	s_lshl_b64 s[0:1], s[0:1], 3
	s_add_u32 s0, s0, s4
	s_addc_u32 s1, s1, s5
	s_add_u32 s12, s0, 8
	s_addc_u32 s13, s1, 0
	s_mov_b64 s[16:17], s[6:7]
.LBB96_3:                               ; =>This Inner Loop Header: Depth=1
	s_load_dwordx2 s[20:21], s[12:13], 0x0
	s_waitcnt lgkmcnt(0)
	s_or_b64 s[0:1], s[16:17], s[20:21]
	s_mov_b32 s11, s1
	s_cmp_lg_u64 s[10:11], 0
	s_cbranch_scc0 .LBB96_8
; %bb.4:                                ;   in Loop: Header=BB96_3 Depth=1
	v_cvt_f32_u32_e32 v1, s20
	v_cvt_f32_u32_e32 v2, s21
	s_sub_u32 s0, 0, s20
	s_subb_u32 s1, 0, s21
	v_mac_f32_e32 v1, 0x4f800000, v2
	v_rcp_f32_e32 v1, v1
	v_mul_f32_e32 v1, 0x5f7ffffc, v1
	v_mul_f32_e32 v2, 0x2f800000, v1
	v_trunc_f32_e32 v2, v2
	v_mac_f32_e32 v1, 0xcf800000, v2
	v_cvt_u32_f32_e32 v2, v2
	v_cvt_u32_f32_e32 v1, v1
	v_readfirstlane_b32 s8, v2
	v_readfirstlane_b32 s9, v1
	s_mul_i32 s11, s0, s8
	s_mul_hi_u32 s23, s0, s9
	s_mul_i32 s22, s1, s9
	s_add_i32 s11, s23, s11
	s_mul_i32 s26, s0, s9
	s_add_i32 s11, s11, s22
	s_mul_hi_u32 s22, s9, s11
	s_mul_i32 s23, s9, s11
	s_mul_hi_u32 s9, s9, s26
	s_add_u32 s9, s9, s23
	s_addc_u32 s22, 0, s22
	s_mul_hi_u32 s27, s8, s26
	s_mul_i32 s26, s8, s26
	s_add_u32 s9, s9, s26
	s_mul_hi_u32 s23, s8, s11
	s_addc_u32 s9, s22, s27
	s_addc_u32 s22, s23, 0
	s_mul_i32 s11, s8, s11
	s_add_u32 s9, s9, s11
	s_addc_u32 s11, 0, s22
	v_add_co_u32_e32 v1, vcc, s9, v1
	s_cmp_lg_u64 vcc, 0
	s_addc_u32 s8, s8, s11
	v_readfirstlane_b32 s11, v1
	s_mul_i32 s9, s0, s8
	s_mul_hi_u32 s22, s0, s11
	s_add_i32 s9, s22, s9
	s_mul_i32 s1, s1, s11
	s_add_i32 s9, s9, s1
	s_mul_i32 s0, s0, s11
	s_mul_hi_u32 s22, s8, s0
	s_mul_i32 s23, s8, s0
	s_mul_i32 s27, s11, s9
	s_mul_hi_u32 s0, s11, s0
	s_mul_hi_u32 s26, s11, s9
	s_add_u32 s0, s0, s27
	s_addc_u32 s11, 0, s26
	s_add_u32 s0, s0, s23
	s_mul_hi_u32 s1, s8, s9
	s_addc_u32 s0, s11, s22
	s_addc_u32 s1, s1, 0
	s_mul_i32 s9, s8, s9
	s_add_u32 s0, s0, s9
	s_addc_u32 s1, 0, s1
	v_add_co_u32_e32 v1, vcc, s0, v1
	s_cmp_lg_u64 vcc, 0
	s_addc_u32 s0, s8, s1
	v_readfirstlane_b32 s9, v1
	s_mul_i32 s8, s16, s0
	s_mul_hi_u32 s11, s16, s9
	s_mul_hi_u32 s1, s16, s0
	s_add_u32 s8, s11, s8
	s_addc_u32 s1, 0, s1
	s_mul_hi_u32 s22, s17, s9
	s_mul_i32 s9, s17, s9
	s_add_u32 s8, s8, s9
	s_mul_hi_u32 s11, s17, s0
	s_addc_u32 s1, s1, s22
	s_addc_u32 s8, s11, 0
	s_mul_i32 s0, s17, s0
	s_add_u32 s11, s1, s0
	s_addc_u32 s8, 0, s8
	s_mul_i32 s0, s20, s8
	s_mul_hi_u32 s1, s20, s11
	s_add_i32 s0, s1, s0
	s_mul_i32 s1, s21, s11
	s_add_i32 s9, s0, s1
	s_mul_i32 s1, s20, s11
	v_mov_b32_e32 v1, s1
	s_sub_i32 s0, s17, s9
	v_sub_co_u32_e32 v1, vcc, s16, v1
	s_cmp_lg_u64 vcc, 0
	s_subb_u32 s22, s0, s21
	v_subrev_co_u32_e64 v2, s[0:1], s20, v1
	s_cmp_lg_u64 s[0:1], 0
	s_subb_u32 s0, s22, 0
	s_cmp_ge_u32 s0, s21
	v_readfirstlane_b32 s22, v2
	s_cselect_b32 s1, -1, 0
	s_cmp_ge_u32 s22, s20
	s_cselect_b32 s22, -1, 0
	s_cmp_eq_u32 s0, s21
	s_cselect_b32 s0, s22, s1
	s_add_u32 s1, s11, 1
	s_addc_u32 s22, s8, 0
	s_add_u32 s23, s11, 2
	s_addc_u32 s26, s8, 0
	s_cmp_lg_u32 s0, 0
	s_cselect_b32 s0, s23, s1
	s_cselect_b32 s1, s26, s22
	s_cmp_lg_u64 vcc, 0
	s_subb_u32 s9, s17, s9
	s_cmp_ge_u32 s9, s21
	v_readfirstlane_b32 s23, v1
	s_cselect_b32 s22, -1, 0
	s_cmp_ge_u32 s23, s20
	s_cselect_b32 s23, -1, 0
	s_cmp_eq_u32 s9, s21
	s_cselect_b32 s9, s23, s22
	s_cmp_lg_u32 s9, 0
	s_cselect_b32 s9, s1, s8
	s_cselect_b32 s8, s0, s11
	s_cbranch_execnz .LBB96_6
.LBB96_5:                               ;   in Loop: Header=BB96_3 Depth=1
	v_cvt_f32_u32_e32 v1, s20
	s_sub_i32 s0, 0, s20
	v_rcp_iflag_f32_e32 v1, v1
	v_mul_f32_e32 v1, 0x4f7ffffe, v1
	v_cvt_u32_f32_e32 v1, v1
	v_readfirstlane_b32 s1, v1
	s_mul_i32 s0, s0, s1
	s_mul_hi_u32 s0, s1, s0
	s_add_i32 s1, s1, s0
	s_mul_hi_u32 s0, s16, s1
	s_mul_i32 s8, s0, s20
	s_sub_i32 s8, s16, s8
	s_add_i32 s1, s0, 1
	s_sub_i32 s9, s8, s20
	s_cmp_ge_u32 s8, s20
	s_cselect_b32 s0, s1, s0
	s_cselect_b32 s8, s9, s8
	s_add_i32 s1, s0, 1
	s_cmp_ge_u32 s8, s20
	s_cselect_b32 s8, s1, s0
	s_mov_b32 s9, s10
.LBB96_6:                               ;   in Loop: Header=BB96_3 Depth=1
	s_mul_i32 s0, s8, s21
	s_mul_hi_u32 s1, s8, s20
	s_add_i32 s11, s1, s0
	s_load_dwordx2 s[0:1], s[12:13], 0xc8
	s_mul_i32 s21, s9, s20
	s_add_i32 s11, s11, s21
	s_mul_i32 s20, s8, s20
	s_sub_u32 s16, s16, s20
	s_subb_u32 s11, s17, s11
	s_waitcnt lgkmcnt(0)
	s_mul_i32 s11, s0, s11
	s_mul_hi_u32 s17, s0, s16
	s_add_i32 s11, s17, s11
	s_mul_i32 s1, s1, s16
	s_add_i32 s11, s11, s1
	s_mul_i32 s0, s0, s16
	s_add_u32 s2, s0, s2
	s_addc_u32 s3, s11, s3
	s_add_i32 s15, s15, -1
	s_add_u32 s12, s12, -8
	s_addc_u32 s13, s13, -1
	s_cmp_gt_u32 s15, 2
	s_cbranch_scc0 .LBB96_9
; %bb.7:                                ;   in Loop: Header=BB96_3 Depth=1
	s_mov_b64 s[16:17], s[8:9]
	s_branch .LBB96_3
.LBB96_8:                               ;   in Loop: Header=BB96_3 Depth=1
                                        ; implicit-def: $sgpr8_sgpr9
	s_branch .LBB96_5
.LBB96_9:
	s_load_dword s0, s[4:5], 0x350
	s_load_dwordx2 s[10:11], s[4:5], 0xd0
	s_mov_b64 s[20:21], 0
	s_waitcnt lgkmcnt(0)
	s_cmp_lt_i32 s0, 2
	s_cbranch_scc1 .LBB96_17
; %bb.10:
	s_mov_b32 s12, 0
	s_add_i32 s15, s0, 1
	s_add_i32 s0, s0, -1
	s_mov_b32 s1, s12
	s_lshl_b64 s[0:1], s[0:1], 3
	s_add_u32 s0, s0, s4
	s_addc_u32 s1, s1, s5
	s_add_u32 s16, s0, 0x1c0
	s_addc_u32 s17, s1, 0
.LBB96_11:                              ; =>This Inner Loop Header: Depth=1
	s_load_dwordx2 s[22:23], s[16:17], 0x0
	s_waitcnt lgkmcnt(0)
	s_or_b64 s[0:1], s[6:7], s[22:23]
	s_mov_b32 s13, s1
	s_cmp_lg_u64 s[12:13], 0
	s_cbranch_scc0 .LBB96_16
; %bb.12:                               ;   in Loop: Header=BB96_11 Depth=1
	v_cvt_f32_u32_e32 v1, s22
	v_cvt_f32_u32_e32 v2, s23
	s_sub_u32 s0, 0, s22
	s_subb_u32 s1, 0, s23
	v_mac_f32_e32 v1, 0x4f800000, v2
	v_rcp_f32_e32 v1, v1
	v_mul_f32_e32 v1, 0x5f7ffffc, v1
	v_mul_f32_e32 v2, 0x2f800000, v1
	v_trunc_f32_e32 v2, v2
	v_mac_f32_e32 v1, 0xcf800000, v2
	v_cvt_u32_f32_e32 v2, v2
	v_cvt_u32_f32_e32 v1, v1
	v_readfirstlane_b32 s13, v2
	v_readfirstlane_b32 s26, v1
	s_mul_i32 s27, s0, s13
	s_mul_hi_u32 s29, s0, s26
	s_mul_i32 s28, s1, s26
	s_add_i32 s27, s29, s27
	s_mul_i32 s30, s0, s26
	s_add_i32 s27, s27, s28
	s_mul_hi_u32 s28, s26, s27
	s_mul_i32 s29, s26, s27
	s_mul_hi_u32 s26, s26, s30
	s_add_u32 s26, s26, s29
	s_addc_u32 s28, 0, s28
	s_mul_hi_u32 s31, s13, s30
	s_mul_i32 s30, s13, s30
	s_add_u32 s26, s26, s30
	s_mul_hi_u32 s29, s13, s27
	s_addc_u32 s26, s28, s31
	s_addc_u32 s28, s29, 0
	s_mul_i32 s27, s13, s27
	s_add_u32 s26, s26, s27
	s_addc_u32 s27, 0, s28
	v_add_co_u32_e32 v1, vcc, s26, v1
	s_cmp_lg_u64 vcc, 0
	s_addc_u32 s13, s13, s27
	v_readfirstlane_b32 s27, v1
	s_mul_i32 s26, s0, s13
	s_mul_hi_u32 s28, s0, s27
	s_add_i32 s26, s28, s26
	s_mul_i32 s1, s1, s27
	s_add_i32 s26, s26, s1
	s_mul_i32 s0, s0, s27
	s_mul_hi_u32 s28, s13, s0
	s_mul_i32 s29, s13, s0
	s_mul_i32 s31, s27, s26
	s_mul_hi_u32 s0, s27, s0
	s_mul_hi_u32 s30, s27, s26
	s_add_u32 s0, s0, s31
	s_addc_u32 s27, 0, s30
	s_add_u32 s0, s0, s29
	s_mul_hi_u32 s1, s13, s26
	s_addc_u32 s0, s27, s28
	s_addc_u32 s1, s1, 0
	s_mul_i32 s26, s13, s26
	s_add_u32 s0, s0, s26
	s_addc_u32 s1, 0, s1
	v_add_co_u32_e32 v1, vcc, s0, v1
	s_cmp_lg_u64 vcc, 0
	s_addc_u32 s0, s13, s1
	v_readfirstlane_b32 s26, v1
	s_mul_i32 s13, s6, s0
	s_mul_hi_u32 s27, s6, s26
	s_mul_hi_u32 s1, s6, s0
	s_add_u32 s13, s27, s13
	s_addc_u32 s1, 0, s1
	s_mul_hi_u32 s28, s7, s26
	s_mul_i32 s26, s7, s26
	s_add_u32 s13, s13, s26
	s_mul_hi_u32 s27, s7, s0
	s_addc_u32 s1, s1, s28
	s_addc_u32 s13, s27, 0
	s_mul_i32 s0, s7, s0
	s_add_u32 s26, s1, s0
	s_addc_u32 s13, 0, s13
	s_mul_i32 s0, s22, s13
	s_mul_hi_u32 s1, s22, s26
	s_add_i32 s0, s1, s0
	s_mul_i32 s1, s23, s26
	s_add_i32 s27, s0, s1
	s_mul_i32 s1, s22, s26
	v_mov_b32_e32 v1, s1
	s_sub_i32 s0, s7, s27
	v_sub_co_u32_e32 v1, vcc, s6, v1
	s_cmp_lg_u64 vcc, 0
	s_subb_u32 s28, s0, s23
	v_subrev_co_u32_e64 v2, s[0:1], s22, v1
	s_cmp_lg_u64 s[0:1], 0
	s_subb_u32 s0, s28, 0
	s_cmp_ge_u32 s0, s23
	v_readfirstlane_b32 s28, v2
	s_cselect_b32 s1, -1, 0
	s_cmp_ge_u32 s28, s22
	s_cselect_b32 s28, -1, 0
	s_cmp_eq_u32 s0, s23
	s_cselect_b32 s0, s28, s1
	s_add_u32 s1, s26, 1
	s_addc_u32 s28, s13, 0
	s_add_u32 s29, s26, 2
	s_addc_u32 s30, s13, 0
	s_cmp_lg_u32 s0, 0
	s_cselect_b32 s0, s29, s1
	s_cselect_b32 s1, s30, s28
	s_cmp_lg_u64 vcc, 0
	s_subb_u32 s27, s7, s27
	s_cmp_ge_u32 s27, s23
	v_readfirstlane_b32 s29, v1
	s_cselect_b32 s28, -1, 0
	s_cmp_ge_u32 s29, s22
	s_cselect_b32 s29, -1, 0
	s_cmp_eq_u32 s27, s23
	s_cselect_b32 s27, s29, s28
	s_cmp_lg_u32 s27, 0
	s_cselect_b32 s29, s1, s13
	s_cselect_b32 s28, s0, s26
	s_cbranch_execnz .LBB96_14
.LBB96_13:                              ;   in Loop: Header=BB96_11 Depth=1
	v_cvt_f32_u32_e32 v1, s22
	s_sub_i32 s0, 0, s22
	s_mov_b32 s29, s12
	v_rcp_iflag_f32_e32 v1, v1
	v_mul_f32_e32 v1, 0x4f7ffffe, v1
	v_cvt_u32_f32_e32 v1, v1
	v_readfirstlane_b32 s1, v1
	s_mul_i32 s0, s0, s1
	s_mul_hi_u32 s0, s1, s0
	s_add_i32 s1, s1, s0
	s_mul_hi_u32 s0, s6, s1
	s_mul_i32 s13, s0, s22
	s_sub_i32 s13, s6, s13
	s_add_i32 s1, s0, 1
	s_sub_i32 s26, s13, s22
	s_cmp_ge_u32 s13, s22
	s_cselect_b32 s0, s1, s0
	s_cselect_b32 s13, s26, s13
	s_add_i32 s1, s0, 1
	s_cmp_ge_u32 s13, s22
	s_cselect_b32 s28, s1, s0
.LBB96_14:                              ;   in Loop: Header=BB96_11 Depth=1
	s_mul_i32 s0, s28, s23
	s_mul_hi_u32 s1, s28, s22
	s_add_i32 s13, s1, s0
	s_load_dwordx2 s[0:1], s[16:17], 0xc8
	s_mul_i32 s23, s29, s22
	s_add_i32 s13, s13, s23
	s_mul_i32 s22, s28, s22
	s_sub_u32 s6, s6, s22
	s_subb_u32 s7, s7, s13
	s_waitcnt lgkmcnt(0)
	s_mul_i32 s7, s0, s7
	s_mul_hi_u32 s13, s0, s6
	s_add_i32 s7, s13, s7
	s_mul_i32 s1, s1, s6
	s_add_i32 s7, s7, s1
	s_mul_i32 s0, s0, s6
	s_add_u32 s20, s0, s20
	s_addc_u32 s21, s7, s21
	s_add_i32 s15, s15, -1
	s_add_u32 s16, s16, -8
	s_addc_u32 s17, s17, -1
	s_cmp_gt_u32 s15, 2
	s_cbranch_scc0 .LBB96_18
; %bb.15:                               ;   in Loop: Header=BB96_11 Depth=1
	s_mov_b64 s[6:7], s[28:29]
	s_branch .LBB96_11
.LBB96_16:                              ;   in Loop: Header=BB96_11 Depth=1
                                        ; implicit-def: $sgpr28_sgpr29
	s_branch .LBB96_13
.LBB96_17:
	s_mov_b64 s[28:29], s[6:7]
.LBB96_18:
	s_mul_i32 s0, s10, s9
	s_mul_hi_u32 s1, s10, s8
	s_load_dword s7, s[4:5], 0x360
	s_add_i32 s6, s1, s0
	s_load_dwordx2 s[0:1], s[4:5], 0x0
	s_mul_i32 s9, s11, s8
	s_add_i32 s9, s6, s9
	s_mul_i32 s8, s10, s8
	s_waitcnt lgkmcnt(0)
	s_bitcmp1_b32 s7, 0
	s_cselect_b64 s[6:7], -1, 0
	s_add_u32 s0, s0, s8
	s_addc_u32 s1, s1, s9
	s_add_u32 s22, s0, s2
	s_addc_u32 s23, s1, s3
	s_xor_b64 s[26:27], s[6:7], -1
	v_cndmask_b32_e64 v4, 0, -1, s[26:27]
	v_lshlrev_b16_e32 v1, 8, v4
	v_or_b32_sdwa v1, v4, v1 dst_sel:DWORD dst_unused:UNUSED_PAD src0_sel:BYTE_0 src1_sel:DWORD
	v_lshlrev_b32_e32 v2, 16, v1
	v_and_b32_e32 v34, 0x3ff, v0
	v_or_b32_sdwa v2, v1, v2 dst_sel:DWORD dst_unused:UNUSED_PAD src0_sel:WORD_0 src1_sel:DWORD
	v_mov_b32_e32 v3, v2
	v_cmp_gt_u32_e64 s[0:1], s14, v34
	s_and_saveexec_b64 s[2:3], s[0:1]
	s_cbranch_execz .LBB96_20
; %bb.19:
	v_pk_mov_b32 v[4:5], s[22:23], s[22:23] op_sel:[0,1]
	v_mad_u64_u32 v[4:5], s[6:7], v34, s18, v[4:5]
	v_mov_b32_e32 v6, v5
	v_mad_u64_u32 v[6:7], s[6:7], v34, s19, v[6:7]
	v_mov_b32_e32 v5, v6
	global_load_ubyte v4, v[4:5], off
	s_mov_b32 s6, 0x3020104
	v_mov_b32_e32 v7, v2
	s_waitcnt vmcnt(0)
	v_perm_b32 v6, v4, v2, s6
	v_pk_mov_b32 v[2:3], v[6:7], v[6:7] op_sel:[0,1]
.LBB96_20:
	s_or_b64 exec, exec, s[2:3]
	v_add_u32_e32 v26, 0x100, v34
	v_cmp_gt_u32_e64 s[2:3], s14, v26
	s_and_saveexec_b64 s[6:7], s[2:3]
	s_cbranch_execz .LBB96_22
; %bb.21:
	v_pk_mov_b32 v[6:7], s[22:23], s[22:23] op_sel:[0,1]
	v_mad_u64_u32 v[6:7], s[8:9], v26, s18, v[6:7]
	v_mov_b32_e32 v8, v7
	v_mad_u64_u32 v[8:9], s[8:9], v26, s19, v[8:9]
	v_mov_b32_e32 v7, v8
	global_load_ubyte v1, v[6:7], off
	s_mov_b32 s8, 0x7060004
	s_waitcnt vmcnt(0)
	v_perm_b32 v2, v2, v1, s8
.LBB96_22:
	s_or_b64 exec, exec, s[6:7]
	v_add_u32_e32 v20, 0x200, v34
	v_cmp_gt_u32_e64 s[16:17], s14, v20
	s_and_saveexec_b64 s[6:7], s[16:17]
	s_cbranch_execz .LBB96_24
; %bb.23:
	v_pk_mov_b32 v[6:7], s[22:23], s[22:23] op_sel:[0,1]
	v_mad_u64_u32 v[6:7], s[8:9], v20, s18, v[6:7]
	v_mov_b32_e32 v8, v7
	v_mad_u64_u32 v[8:9], s[8:9], v20, s19, v[8:9]
	v_mov_b32_e32 v7, v8
	global_load_ubyte v1, v[6:7], off
	s_movk_i32 s8, 0xff00
	v_and_b32_sdwa v5, v2, s8 dst_sel:DWORD dst_unused:UNUSED_PAD src0_sel:WORD_1 src1_sel:DWORD
	s_mov_b32 s8, 0xffff
	s_waitcnt vmcnt(0)
	v_or_b32_sdwa v1, v1, v5 dst_sel:WORD_1 dst_unused:UNUSED_PAD src0_sel:DWORD src1_sel:DWORD
	v_and_or_b32 v2, v2, s8, v1
.LBB96_24:
	s_or_b64 exec, exec, s[6:7]
	v_add_u32_e32 v21, 0x300, v34
	v_cmp_gt_u32_e64 s[6:7], s14, v21
	s_and_saveexec_b64 s[8:9], s[6:7]
	s_cbranch_execz .LBB96_26
; %bb.25:
	v_pk_mov_b32 v[6:7], s[22:23], s[22:23] op_sel:[0,1]
	v_mad_u64_u32 v[6:7], s[10:11], v21, s18, v[6:7]
	v_mov_b32_e32 v8, v7
	v_mad_u64_u32 v[8:9], s[10:11], v21, s19, v[8:9]
	v_mov_b32_e32 v7, v8
	global_load_ubyte v1, v[6:7], off
	s_movk_i32 s10, 0xff
	v_and_b32_sdwa v5, v2, s10 dst_sel:DWORD dst_unused:UNUSED_PAD src0_sel:WORD_1 src1_sel:DWORD
	s_mov_b32 s10, 0xffff
	s_waitcnt vmcnt(0)
	v_lshlrev_b16_e32 v1, 8, v1
	v_or_b32_sdwa v1, v5, v1 dst_sel:WORD_1 dst_unused:UNUSED_PAD src0_sel:DWORD src1_sel:DWORD
	v_and_or_b32 v2, v2, s10, v1
.LBB96_26:
	s_or_b64 exec, exec, s[8:9]
	v_or_b32_e32 v22, 0x400, v34
	v_cmp_gt_u32_e64 s[8:9], s14, v22
	s_and_saveexec_b64 s[10:11], s[8:9]
	s_cbranch_execz .LBB96_28
; %bb.27:
	v_pk_mov_b32 v[6:7], s[22:23], s[22:23] op_sel:[0,1]
	v_mad_u64_u32 v[6:7], s[12:13], v22, s18, v[6:7]
	v_mov_b32_e32 v8, v7
	v_mad_u64_u32 v[8:9], s[12:13], v22, s19, v[8:9]
	v_mov_b32_e32 v7, v8
	global_load_ubyte v1, v[6:7], off
	s_mov_b32 s12, 0x3020104
	s_waitcnt vmcnt(0)
	v_perm_b32 v3, v1, v3, s12
.LBB96_28:
	s_or_b64 exec, exec, s[10:11]
	v_add_u32_e32 v19, 0x500, v34
	v_cmp_gt_u32_e64 s[10:11], s14, v19
	s_and_saveexec_b64 s[12:13], s[10:11]
	s_cbranch_execz .LBB96_30
; %bb.29:
	v_pk_mov_b32 v[6:7], s[22:23], s[22:23] op_sel:[0,1]
	v_mad_u64_u32 v[6:7], s[30:31], v19, s18, v[6:7]
	v_mov_b32_e32 v8, v7
	v_mad_u64_u32 v[8:9], s[30:31], v19, s19, v[8:9]
	v_mov_b32_e32 v7, v8
	global_load_ubyte v1, v[6:7], off
	s_mov_b32 s15, 0x7060004
	s_waitcnt vmcnt(0)
	v_perm_b32 v3, v3, v1, s15
.LBB96_30:
	s_or_b64 exec, exec, s[12:13]
	s_load_dwordx2 s[34:35], s[4:5], 0x288
	s_load_dwordx2 s[30:31], s[4:5], 0x1b8
	v_add_u32_e32 v18, 0x600, v34
	v_cmp_gt_u32_e64 s[12:13], s14, v18
	s_and_saveexec_b64 s[36:37], s[12:13]
	s_cbranch_execz .LBB96_32
; %bb.31:
	v_pk_mov_b32 v[6:7], s[22:23], s[22:23] op_sel:[0,1]
	v_mad_u64_u32 v[6:7], s[38:39], v18, s18, v[6:7]
	v_mov_b32_e32 v8, v7
	v_mad_u64_u32 v[8:9], s[38:39], v18, s19, v[8:9]
	v_mov_b32_e32 v7, v8
	global_load_ubyte v1, v[6:7], off
	s_mov_b32 s15, 0x7000504
	s_waitcnt vmcnt(0)
	v_perm_b32 v3, v3, v1, s15
.LBB96_32:
	s_or_b64 exec, exec, s[36:37]
	v_add_u32_e32 v1, 0x700, v34
	v_cmp_gt_u32_e64 s[14:15], s14, v1
	s_and_saveexec_b64 s[36:37], s[14:15]
	s_cbranch_execz .LBB96_34
; %bb.33:
	v_pk_mov_b32 v[6:7], s[22:23], s[22:23] op_sel:[0,1]
	v_mad_u64_u32 v[6:7], s[38:39], v1, s18, v[6:7]
	v_mov_b32_e32 v8, v7
	v_mad_u64_u32 v[8:9], s[38:39], v1, s19, v[8:9]
	v_mov_b32_e32 v7, v8
	global_load_ubyte v5, v[6:7], off
	s_mov_b32 s33, 0x60504
	s_waitcnt vmcnt(0)
	v_perm_b32 v3, v3, v5, s33
.LBB96_34:
	s_or_b64 exec, exec, s[36:37]
	v_lshrrev_b32_e32 v32, 5, v34
	v_and_b32_e32 v5, 28, v32
	v_add_u32_e32 v35, v5, v34
	v_lshrrev_b32_e32 v31, 5, v26
	ds_write_b8 v35, v4
	v_and_b32_e32 v4, 60, v31
	v_lshrrev_b32_e32 v30, 5, v20
	v_add_u32_e32 v42, v4, v34
	v_and_b32_e32 v4, 60, v30
	v_lshrrev_b32_e32 v29, 5, v21
	v_lshrrev_b32_e32 v5, 8, v2
	v_add_u32_e32 v43, v4, v34
	v_and_b32_e32 v4, 60, v29
	s_waitcnt lgkmcnt(0)
	s_mul_i32 s29, s34, s29
	s_mul_hi_u32 s33, s34, s28
	ds_write_b8 v42, v5 offset:256
	ds_write_b8_d16_hi v43, v2 offset:512
	v_lshrrev_b32_e32 v2, 24, v2
	v_add_u32_e32 v44, v4, v34
	v_lshrrev_b32_e32 v28, 5, v22
	s_add_i32 s29, s33, s29
	s_mul_i32 s33, s35, s28
	ds_write_b8 v44, v2 offset:768
	v_and_b32_e32 v2, 60, v28
	v_lshrrev_b32_e32 v25, 5, v19
	s_add_i32 s29, s29, s33
	s_mul_i32 s28, s34, s28
	v_add_u32_e32 v45, v2, v34
	v_and_b32_e32 v2, 0x7c, v25
	v_lshrrev_b32_e32 v24, 5, v18
	s_lshl_b64 s[28:29], s[28:29], 3
	v_add_u32_e32 v46, v2, v34
	v_and_b32_e32 v2, 0x7c, v24
	v_lshrrev_b32_e32 v23, 5, v1
	s_add_u32 s28, s30, s28
	v_add_u32_e32 v47, v2, v34
	v_and_b32_e32 v2, 0x7c, v23
	v_lshrrev_b32_e32 v27, 2, v34
	s_addc_u32 s29, s31, s29
	s_lshl_b64 s[20:21], s[20:21], 3
	v_lshrrev_b32_e32 v4, 8, v3
	v_add_u32_e32 v48, v2, v34
	v_lshlrev_b32_e32 v50, 3, v34
	v_and_b32_e32 v2, 0xfc, v27
	s_add_u32 s28, s28, s20
	ds_write_b8 v45, v3 offset:1024
	ds_write_b8 v46, v4 offset:1280
	ds_write_b8_d16_hi v47, v3 offset:1536
	v_lshrrev_b32_e32 v3, 24, v3
	v_add_u32_e32 v49, v2, v50
	s_addc_u32 s29, s29, s21
	s_load_dwordx2 s[20:21], s[4:5], 0x358
	ds_write_b8 v48, v3 offset:1792
	s_waitcnt lgkmcnt(0)
	s_barrier
	ds_read_b64 v[36:37], v49
	s_mov_b32 s36, 0
	s_mov_b32 s37, s36
	;; [unrolled: 1-line block ×16, first 2 shown]
	v_pk_mov_b32 v[2:3], s[36:37], s[36:37] op_sel:[0,1]
	v_pk_mov_b32 v[4:5], s[38:39], s[38:39] op_sel:[0,1]
	;; [unrolled: 1-line block ×8, first 2 shown]
	v_pk_mov_b32 v[2:3], 0, 0
	s_waitcnt lgkmcnt(0)
	s_barrier
	s_and_saveexec_b64 s[4:5], s[0:1]
	s_cbranch_execnz .LBB96_67
; %bb.35:
	s_or_b64 exec, exec, s[4:5]
	s_and_saveexec_b64 s[4:5], s[2:3]
	s_cbranch_execnz .LBB96_68
.LBB96_36:
	s_or_b64 exec, exec, s[4:5]
	s_and_saveexec_b64 s[4:5], s[16:17]
	s_cbranch_execnz .LBB96_69
.LBB96_37:
	s_or_b64 exec, exec, s[4:5]
	s_and_saveexec_b64 s[4:5], s[6:7]
	s_cbranch_execnz .LBB96_70
.LBB96_38:
	s_or_b64 exec, exec, s[4:5]
	s_and_saveexec_b64 s[4:5], s[8:9]
	s_cbranch_execnz .LBB96_71
.LBB96_39:
	s_or_b64 exec, exec, s[4:5]
	s_and_saveexec_b64 s[4:5], s[10:11]
	s_cbranch_execnz .LBB96_72
.LBB96_40:
	s_or_b64 exec, exec, s[4:5]
	s_and_saveexec_b64 s[4:5], s[12:13]
	s_cbranch_execnz .LBB96_73
.LBB96_41:
	s_or_b64 exec, exec, s[4:5]
	s_and_saveexec_b64 s[4:5], s[14:15]
	s_cbranch_execz .LBB96_43
.LBB96_42:
	v_mad_u64_u32 v[16:17], s[30:31], v1, s20, 0
	v_mov_b32_e32 v18, v17
	v_mad_u64_u32 v[18:19], s[30:31], v1, s21, v[18:19]
	v_mov_b32_e32 v17, v18
	v_lshlrev_b64 v[16:17], 3, v[16:17]
	v_mov_b32_e32 v1, s29
	v_add_co_u32_e32 v16, vcc, s28, v16
	v_addc_co_u32_e32 v17, vcc, v1, v17, vcc
	global_load_dwordx2 v[16:17], v[16:17], off
.LBB96_43:
	s_or_b64 exec, exec, s[4:5]
	v_lshrrev_b64 v[38:39], 24, v[36:37]
	v_add_lshl_u32 v39, v32, v34, 3
	v_add_lshl_u32 v51, v31, v34, 3
	;; [unrolled: 1-line block ×9, first 2 shown]
	s_waitcnt vmcnt(0)
	ds_write_b64 v39, v[2:3]
	ds_write_b64 v51, v[4:5] offset:2048
	ds_write_b64 v52, v[6:7] offset:4096
	;; [unrolled: 1-line block ×7, first 2 shown]
	s_waitcnt lgkmcnt(0)
	s_barrier
	ds_read2_b64 v[14:17], v58 offset1:1
	ds_read2_b64 v[10:13], v58 offset0:2 offset1:3
	ds_read2_b64 v[6:9], v58 offset0:4 offset1:5
	;; [unrolled: 1-line block ×3, first 2 shown]
	v_lshrrev_b32_e32 v62, 8, v36
	v_lshrrev_b32_e32 v63, 8, v37
	s_and_b64 vcc, exec, s[26:27]
	v_bfe_u32 v60, v0, 10, 10
	v_bfe_u32 v61, v0, 20, 10
	v_mbcnt_lo_u32_b32 v64, -1, 0
	v_lshlrev_b32_e32 v59, 4, v34
	s_waitcnt lgkmcnt(0)
	s_barrier
	s_cbranch_vccz .LBB96_74
; %bb.44:
	s_movk_i32 s4, 0xff
	v_mov_b32_e32 v1, 8
	v_lshlrev_b16_e32 v0, 8, v63
	v_lshlrev_b16_sdwa v1, v1, v37 dst_sel:DWORD dst_unused:UNUSED_PAD src0_sel:DWORD src1_sel:BYTE_3
	v_and_b32_sdwa v20, v37, s4 dst_sel:DWORD dst_unused:UNUSED_PAD src0_sel:WORD_1 src1_sel:DWORD
	v_or_b32_sdwa v0, v37, v0 dst_sel:DWORD dst_unused:UNUSED_PAD src0_sel:BYTE_0 src1_sel:DWORD
	v_or_b32_sdwa v1, v20, v1 dst_sel:WORD_1 dst_unused:UNUSED_PAD src0_sel:DWORD src1_sel:DWORD
	v_mbcnt_hi_u32_b32 v73, -1, v64
	v_and_b32_e32 v74, 0x3c0, v34
	v_or_b32_sdwa v1, v0, v1 dst_sel:DWORD dst_unused:UNUSED_PAD src0_sel:WORD_0 src1_sel:DWORD
	v_lshlrev_b16_e32 v0, 8, v62
	v_lshlrev_b16_e32 v20, 8, v38
	v_and_b32_sdwa v21, v36, s4 dst_sel:DWORD dst_unused:UNUSED_PAD src0_sel:WORD_1 src1_sel:DWORD
	v_add_u32_e32 v18, v73, v74
	v_or_b32_sdwa v0, v36, v0 dst_sel:DWORD dst_unused:UNUSED_PAD src0_sel:BYTE_0 src1_sel:DWORD
	v_or_b32_sdwa v20, v21, v20 dst_sel:WORD_1 dst_unused:UNUSED_PAD src0_sel:DWORD src1_sel:DWORD
	v_lshlrev_b32_e32 v19, 3, v18
	v_or_b32_sdwa v0, v0, v20 dst_sel:DWORD dst_unused:UNUSED_PAD src0_sel:WORD_0 src1_sel:DWORD
	s_movk_i32 s4, 0x1e00
	ds_write_b64 v19, v[0:1]
	v_and_or_b32 v0, v50, s4, v73
	; wave barrier
	ds_read_u8 v65, v0
	ds_read_u8 v66, v0 offset:64
	ds_read_u8 v67, v0 offset:128
	ds_read_u8 v68, v0 offset:192
	ds_read_u8 v69, v0 offset:256
	ds_read_u8 v70, v0 offset:320
	ds_read_u8 v71, v0 offset:384
	ds_read_u8 v72, v0 offset:448
	v_lshlrev_b32_e32 v1, 6, v18
	v_lshlrev_b32_e32 v0, 3, v0
	s_getpc_b64 s[4:5]
	s_add_u32 s4, s4, _ZN7rocprim17ROCPRIM_400000_NS16block_radix_sortIhLj256ELj8ElLj1ELj1ELj0ELNS0_26block_radix_rank_algorithmE1ELNS0_18block_padding_hintE2ELNS0_4arch9wavefront6targetE1EE19radix_bits_per_passE@rel32@lo+4
	s_addc_u32 s5, s5, _ZN7rocprim17ROCPRIM_400000_NS16block_radix_sortIhLj256ELj8ElLj1ELj1ELj0ELNS0_26block_radix_rank_algorithmE1ELNS0_18block_padding_hintE2ELNS0_4arch9wavefront6targetE1EE19radix_bits_per_passE@rel32@hi+12
	s_waitcnt lgkmcnt(0)
	s_barrier
	ds_write2_b64 v1, v[14:15], v[16:17] offset1:1
	ds_write2_b64 v1, v[10:11], v[12:13] offset0:2 offset1:3
	ds_write2_b64 v1, v[6:7], v[8:9] offset0:4 offset1:5
	;; [unrolled: 1-line block ×3, first 2 shown]
	; wave barrier
	ds_read2st64_b64 v[30:33], v0 offset1:1
	ds_read2st64_b64 v[26:29], v0 offset0:2 offset1:3
	ds_read2st64_b64 v[22:25], v0 offset0:4 offset1:5
	;; [unrolled: 1-line block ×3, first 2 shown]
	s_waitcnt lgkmcnt(0)
	s_barrier
	s_load_dword s26, s[4:5], 0x0
	s_load_dword s27, s[24:25], 0xc
	v_mov_b32_e32 v77, 2
	v_mov_b32_e32 v0, 0
	ds_write2_b32 v59, v0, v0 offset0:4 offset1:5
	ds_write2_b32 v59, v0, v0 offset0:6 offset1:7
	s_waitcnt lgkmcnt(0)
	s_min_u32 s26, s26, 8
	s_lshr_b32 s4, s27, 16
	s_and_b32 s5, s27, 0xffff
	v_mad_u32_u24 v1, v61, s4, v60
	v_mad_u64_u32 v[40:41], s[4:5], v1, s5, v[34:35]
	s_lshl_b32 s4, -1, s26
	s_not_b32 s26, s4
	v_lshrrev_b32_e32 v81, 6, v40
	v_and_b32_e32 v40, s26, v65
	v_lshlrev_b32_sdwa v1, v77, v40 dst_sel:DWORD dst_unused:UNUSED_PAD src0_sel:DWORD src1_sel:BYTE_0
	v_add_lshl_u32 v75, v81, v1, 2
	v_and_b32_e32 v1, 1, v40
	v_add_co_u32_e32 v41, vcc, -1, v1
	v_addc_co_u32_e64 v76, s[4:5], 0, -1, vcc
	v_cmp_ne_u32_e32 vcc, 0, v1
	v_xor_b32_e32 v1, vcc_hi, v76
	v_and_b32_e32 v76, exec_hi, v1
	v_lshlrev_b32_e32 v1, 30, v40
	v_xor_b32_e32 v41, vcc_lo, v41
	v_cmp_gt_i64_e32 vcc, 0, v[0:1]
	v_not_b32_e32 v1, v1
	v_ashrrev_i32_e32 v1, 31, v1
	v_and_b32_e32 v41, exec_lo, v41
	v_xor_b32_e32 v78, vcc_hi, v1
	v_xor_b32_e32 v1, vcc_lo, v1
	v_and_b32_e32 v41, v41, v1
	v_lshlrev_b32_e32 v1, 29, v40
	v_cmp_gt_i64_e32 vcc, 0, v[0:1]
	v_not_b32_e32 v1, v1
	v_ashrrev_i32_e32 v1, 31, v1
	v_and_b32_e32 v76, v76, v78
	v_xor_b32_e32 v78, vcc_hi, v1
	v_xor_b32_e32 v1, vcc_lo, v1
	v_and_b32_e32 v41, v41, v1
	v_lshlrev_b32_e32 v1, 28, v40
	v_cmp_gt_i64_e32 vcc, 0, v[0:1]
	v_not_b32_e32 v1, v1
	v_ashrrev_i32_e32 v1, 31, v1
	v_and_b32_e32 v76, v76, v78
	;; [unrolled: 8-line block ×5, first 2 shown]
	v_xor_b32_e32 v78, vcc_hi, v1
	v_xor_b32_e32 v1, vcc_lo, v1
	v_and_b32_e32 v76, v76, v78
	v_and_b32_e32 v78, v41, v1
	v_lshlrev_b32_e32 v1, 24, v40
	v_cmp_gt_i64_e32 vcc, 0, v[0:1]
	v_not_b32_e32 v1, v1
	v_ashrrev_i32_e32 v1, 31, v1
	v_xor_b32_e32 v40, vcc_hi, v1
	v_xor_b32_e32 v1, vcc_lo, v1
	v_and_b32_e32 v41, v76, v40
	v_and_b32_e32 v40, v78, v1
	v_mbcnt_lo_u32_b32 v1, v40, 0
	v_mbcnt_hi_u32_b32 v76, v41, v1
	v_cmp_eq_u32_e32 vcc, 0, v76
	v_cmp_ne_u64_e64 s[4:5], 0, v[40:41]
	s_and_b64 s[30:31], s[4:5], vcc
	s_barrier
	s_waitcnt lgkmcnt(0)
	; wave barrier
	s_and_saveexec_b64 s[4:5], s[30:31]
	s_cbranch_execz .LBB96_46
; %bb.45:
	v_bcnt_u32_b32 v1, v40, 0
	v_bcnt_u32_b32 v1, v41, v1
	ds_write_b32 v75, v1 offset:16
.LBB96_46:
	s_or_b64 exec, exec, s[4:5]
	v_and_b32_e32 v40, s26, v66
	v_lshlrev_b32_sdwa v1, v77, v40 dst_sel:DWORD dst_unused:UNUSED_PAD src0_sel:DWORD src1_sel:BYTE_0
	v_add_lshl_u32 v78, v81, v1, 2
	v_and_b32_e32 v1, 1, v40
	v_add_co_u32_e32 v41, vcc, -1, v1
	v_addc_co_u32_e64 v79, s[4:5], 0, -1, vcc
	v_cmp_ne_u32_e32 vcc, 0, v1
	v_xor_b32_e32 v1, vcc_hi, v79
	v_and_b32_e32 v79, exec_hi, v1
	v_lshlrev_b32_e32 v1, 30, v40
	v_xor_b32_e32 v41, vcc_lo, v41
	v_cmp_gt_i64_e32 vcc, 0, v[0:1]
	v_not_b32_e32 v1, v1
	v_ashrrev_i32_e32 v1, 31, v1
	v_and_b32_e32 v41, exec_lo, v41
	v_xor_b32_e32 v80, vcc_hi, v1
	v_xor_b32_e32 v1, vcc_lo, v1
	v_and_b32_e32 v41, v41, v1
	v_lshlrev_b32_e32 v1, 29, v40
	v_cmp_gt_i64_e32 vcc, 0, v[0:1]
	v_not_b32_e32 v1, v1
	v_ashrrev_i32_e32 v1, 31, v1
	v_and_b32_e32 v79, v79, v80
	v_xor_b32_e32 v80, vcc_hi, v1
	v_xor_b32_e32 v1, vcc_lo, v1
	v_and_b32_e32 v41, v41, v1
	v_lshlrev_b32_e32 v1, 28, v40
	v_cmp_gt_i64_e32 vcc, 0, v[0:1]
	v_not_b32_e32 v1, v1
	v_ashrrev_i32_e32 v1, 31, v1
	v_and_b32_e32 v79, v79, v80
	;; [unrolled: 8-line block ×5, first 2 shown]
	v_xor_b32_e32 v80, vcc_hi, v1
	v_xor_b32_e32 v1, vcc_lo, v1
	v_and_b32_e32 v41, v41, v1
	v_lshlrev_b32_e32 v1, 24, v40
	v_cmp_gt_i64_e32 vcc, 0, v[0:1]
	v_not_b32_e32 v0, v1
	v_ashrrev_i32_e32 v0, 31, v0
	v_xor_b32_e32 v1, vcc_hi, v0
	v_xor_b32_e32 v0, vcc_lo, v0
	; wave barrier
	ds_read_b32 v77, v78 offset:16
	v_and_b32_e32 v79, v79, v80
	v_and_b32_e32 v0, v41, v0
	;; [unrolled: 1-line block ×3, first 2 shown]
	v_mbcnt_lo_u32_b32 v40, v0, 0
	v_mbcnt_hi_u32_b32 v79, v1, v40
	v_cmp_eq_u32_e32 vcc, 0, v79
	v_cmp_ne_u64_e64 s[4:5], 0, v[0:1]
	s_and_b64 s[30:31], s[4:5], vcc
	; wave barrier
	s_and_saveexec_b64 s[4:5], s[30:31]
	s_cbranch_execz .LBB96_48
; %bb.47:
	v_bcnt_u32_b32 v0, v0, 0
	v_bcnt_u32_b32 v0, v1, v0
	s_waitcnt lgkmcnt(0)
	v_add_u32_e32 v0, v77, v0
	ds_write_b32 v78, v0 offset:16
.LBB96_48:
	s_or_b64 exec, exec, s[4:5]
	v_and_b32_e32 v40, s26, v67
	v_and_b32_e32 v1, 1, v40
	v_add_co_u32_e32 v41, vcc, -1, v1
	v_mov_b32_e32 v84, 2
	v_addc_co_u32_e64 v83, s[4:5], 0, -1, vcc
	v_cmp_ne_u32_e32 vcc, 0, v1
	v_lshlrev_b32_sdwa v0, v84, v40 dst_sel:DWORD dst_unused:UNUSED_PAD src0_sel:DWORD src1_sel:BYTE_0
	v_xor_b32_e32 v1, vcc_hi, v83
	v_add_lshl_u32 v82, v81, v0, 2
	v_mov_b32_e32 v0, 0
	v_and_b32_e32 v83, exec_hi, v1
	v_lshlrev_b32_e32 v1, 30, v40
	v_xor_b32_e32 v41, vcc_lo, v41
	v_cmp_gt_i64_e32 vcc, 0, v[0:1]
	v_not_b32_e32 v1, v1
	v_ashrrev_i32_e32 v1, 31, v1
	v_and_b32_e32 v41, exec_lo, v41
	v_xor_b32_e32 v85, vcc_hi, v1
	v_xor_b32_e32 v1, vcc_lo, v1
	v_and_b32_e32 v41, v41, v1
	v_lshlrev_b32_e32 v1, 29, v40
	v_cmp_gt_i64_e32 vcc, 0, v[0:1]
	v_not_b32_e32 v1, v1
	v_ashrrev_i32_e32 v1, 31, v1
	v_and_b32_e32 v83, v83, v85
	v_xor_b32_e32 v85, vcc_hi, v1
	v_xor_b32_e32 v1, vcc_lo, v1
	v_and_b32_e32 v41, v41, v1
	v_lshlrev_b32_e32 v1, 28, v40
	v_cmp_gt_i64_e32 vcc, 0, v[0:1]
	v_not_b32_e32 v1, v1
	v_ashrrev_i32_e32 v1, 31, v1
	v_and_b32_e32 v83, v83, v85
	v_xor_b32_e32 v85, vcc_hi, v1
	v_xor_b32_e32 v1, vcc_lo, v1
	v_and_b32_e32 v41, v41, v1
	v_lshlrev_b32_e32 v1, 27, v40
	v_cmp_gt_i64_e32 vcc, 0, v[0:1]
	v_not_b32_e32 v1, v1
	v_ashrrev_i32_e32 v1, 31, v1
	v_and_b32_e32 v83, v83, v85
	v_xor_b32_e32 v85, vcc_hi, v1
	v_xor_b32_e32 v1, vcc_lo, v1
	v_and_b32_e32 v41, v41, v1
	v_lshlrev_b32_e32 v1, 26, v40
	v_cmp_gt_i64_e32 vcc, 0, v[0:1]
	v_not_b32_e32 v1, v1
	v_ashrrev_i32_e32 v1, 31, v1
	v_and_b32_e32 v83, v83, v85
	v_xor_b32_e32 v85, vcc_hi, v1
	v_xor_b32_e32 v1, vcc_lo, v1
	v_and_b32_e32 v41, v41, v1
	v_lshlrev_b32_e32 v1, 25, v40
	v_cmp_gt_i64_e32 vcc, 0, v[0:1]
	v_not_b32_e32 v1, v1
	v_ashrrev_i32_e32 v1, 31, v1
	v_and_b32_e32 v83, v83, v85
	v_xor_b32_e32 v85, vcc_hi, v1
	v_xor_b32_e32 v1, vcc_lo, v1
	v_and_b32_e32 v83, v83, v85
	v_and_b32_e32 v85, v41, v1
	v_lshlrev_b32_e32 v1, 24, v40
	v_cmp_gt_i64_e32 vcc, 0, v[0:1]
	v_not_b32_e32 v1, v1
	v_ashrrev_i32_e32 v1, 31, v1
	v_xor_b32_e32 v40, vcc_hi, v1
	v_xor_b32_e32 v1, vcc_lo, v1
	; wave barrier
	ds_read_b32 v80, v82 offset:16
	v_and_b32_e32 v41, v83, v40
	v_and_b32_e32 v40, v85, v1
	v_mbcnt_lo_u32_b32 v1, v40, 0
	v_mbcnt_hi_u32_b32 v83, v41, v1
	v_cmp_eq_u32_e32 vcc, 0, v83
	v_cmp_ne_u64_e64 s[4:5], 0, v[40:41]
	s_and_b64 s[30:31], s[4:5], vcc
	; wave barrier
	s_and_saveexec_b64 s[4:5], s[30:31]
	s_cbranch_execz .LBB96_50
; %bb.49:
	v_bcnt_u32_b32 v1, v40, 0
	v_bcnt_u32_b32 v1, v41, v1
	s_waitcnt lgkmcnt(0)
	v_add_u32_e32 v1, v80, v1
	ds_write_b32 v82, v1 offset:16
.LBB96_50:
	s_or_b64 exec, exec, s[4:5]
	v_and_b32_e32 v40, s26, v68
	v_lshlrev_b32_sdwa v1, v84, v40 dst_sel:DWORD dst_unused:UNUSED_PAD src0_sel:DWORD src1_sel:BYTE_0
	v_add_lshl_u32 v85, v81, v1, 2
	v_and_b32_e32 v1, 1, v40
	v_add_co_u32_e32 v41, vcc, -1, v1
	v_addc_co_u32_e64 v86, s[4:5], 0, -1, vcc
	v_cmp_ne_u32_e32 vcc, 0, v1
	v_xor_b32_e32 v1, vcc_hi, v86
	v_and_b32_e32 v86, exec_hi, v1
	v_lshlrev_b32_e32 v1, 30, v40
	v_xor_b32_e32 v41, vcc_lo, v41
	v_cmp_gt_i64_e32 vcc, 0, v[0:1]
	v_not_b32_e32 v1, v1
	v_ashrrev_i32_e32 v1, 31, v1
	v_and_b32_e32 v41, exec_lo, v41
	v_xor_b32_e32 v87, vcc_hi, v1
	v_xor_b32_e32 v1, vcc_lo, v1
	v_and_b32_e32 v41, v41, v1
	v_lshlrev_b32_e32 v1, 29, v40
	v_cmp_gt_i64_e32 vcc, 0, v[0:1]
	v_not_b32_e32 v1, v1
	v_ashrrev_i32_e32 v1, 31, v1
	v_and_b32_e32 v86, v86, v87
	v_xor_b32_e32 v87, vcc_hi, v1
	v_xor_b32_e32 v1, vcc_lo, v1
	v_and_b32_e32 v41, v41, v1
	v_lshlrev_b32_e32 v1, 28, v40
	v_cmp_gt_i64_e32 vcc, 0, v[0:1]
	v_not_b32_e32 v1, v1
	v_ashrrev_i32_e32 v1, 31, v1
	v_and_b32_e32 v86, v86, v87
	;; [unrolled: 8-line block ×5, first 2 shown]
	v_xor_b32_e32 v87, vcc_hi, v1
	v_xor_b32_e32 v1, vcc_lo, v1
	v_and_b32_e32 v41, v41, v1
	v_lshlrev_b32_e32 v1, 24, v40
	v_cmp_gt_i64_e32 vcc, 0, v[0:1]
	v_not_b32_e32 v0, v1
	v_ashrrev_i32_e32 v0, 31, v0
	v_xor_b32_e32 v1, vcc_hi, v0
	v_xor_b32_e32 v0, vcc_lo, v0
	; wave barrier
	ds_read_b32 v84, v85 offset:16
	v_and_b32_e32 v86, v86, v87
	v_and_b32_e32 v0, v41, v0
	;; [unrolled: 1-line block ×3, first 2 shown]
	v_mbcnt_lo_u32_b32 v40, v0, 0
	v_mbcnt_hi_u32_b32 v86, v1, v40
	v_cmp_eq_u32_e32 vcc, 0, v86
	v_cmp_ne_u64_e64 s[4:5], 0, v[0:1]
	s_and_b64 s[30:31], s[4:5], vcc
	; wave barrier
	s_and_saveexec_b64 s[4:5], s[30:31]
	s_cbranch_execz .LBB96_52
; %bb.51:
	v_bcnt_u32_b32 v0, v0, 0
	v_bcnt_u32_b32 v0, v1, v0
	s_waitcnt lgkmcnt(0)
	v_add_u32_e32 v0, v84, v0
	ds_write_b32 v85, v0 offset:16
.LBB96_52:
	s_or_b64 exec, exec, s[4:5]
	v_and_b32_e32 v40, s26, v69
	v_and_b32_e32 v1, 1, v40
	v_add_co_u32_e32 v41, vcc, -1, v1
	v_mov_b32_e32 v90, 2
	v_addc_co_u32_e64 v89, s[4:5], 0, -1, vcc
	v_cmp_ne_u32_e32 vcc, 0, v1
	v_lshlrev_b32_sdwa v0, v90, v40 dst_sel:DWORD dst_unused:UNUSED_PAD src0_sel:DWORD src1_sel:BYTE_0
	v_xor_b32_e32 v1, vcc_hi, v89
	v_add_lshl_u32 v88, v81, v0, 2
	v_mov_b32_e32 v0, 0
	v_and_b32_e32 v89, exec_hi, v1
	v_lshlrev_b32_e32 v1, 30, v40
	v_xor_b32_e32 v41, vcc_lo, v41
	v_cmp_gt_i64_e32 vcc, 0, v[0:1]
	v_not_b32_e32 v1, v1
	v_ashrrev_i32_e32 v1, 31, v1
	v_and_b32_e32 v41, exec_lo, v41
	v_xor_b32_e32 v91, vcc_hi, v1
	v_xor_b32_e32 v1, vcc_lo, v1
	v_and_b32_e32 v41, v41, v1
	v_lshlrev_b32_e32 v1, 29, v40
	v_cmp_gt_i64_e32 vcc, 0, v[0:1]
	v_not_b32_e32 v1, v1
	v_ashrrev_i32_e32 v1, 31, v1
	v_and_b32_e32 v89, v89, v91
	v_xor_b32_e32 v91, vcc_hi, v1
	v_xor_b32_e32 v1, vcc_lo, v1
	v_and_b32_e32 v41, v41, v1
	v_lshlrev_b32_e32 v1, 28, v40
	v_cmp_gt_i64_e32 vcc, 0, v[0:1]
	v_not_b32_e32 v1, v1
	v_ashrrev_i32_e32 v1, 31, v1
	v_and_b32_e32 v89, v89, v91
	;; [unrolled: 8-line block ×5, first 2 shown]
	v_xor_b32_e32 v91, vcc_hi, v1
	v_xor_b32_e32 v1, vcc_lo, v1
	v_and_b32_e32 v89, v89, v91
	v_and_b32_e32 v91, v41, v1
	v_lshlrev_b32_e32 v1, 24, v40
	v_cmp_gt_i64_e32 vcc, 0, v[0:1]
	v_not_b32_e32 v1, v1
	v_ashrrev_i32_e32 v1, 31, v1
	v_xor_b32_e32 v40, vcc_hi, v1
	v_xor_b32_e32 v1, vcc_lo, v1
	; wave barrier
	ds_read_b32 v87, v88 offset:16
	v_and_b32_e32 v41, v89, v40
	v_and_b32_e32 v40, v91, v1
	v_mbcnt_lo_u32_b32 v1, v40, 0
	v_mbcnt_hi_u32_b32 v89, v41, v1
	v_cmp_eq_u32_e32 vcc, 0, v89
	v_cmp_ne_u64_e64 s[4:5], 0, v[40:41]
	s_and_b64 s[30:31], s[4:5], vcc
	; wave barrier
	s_and_saveexec_b64 s[4:5], s[30:31]
	s_cbranch_execz .LBB96_54
; %bb.53:
	v_bcnt_u32_b32 v1, v40, 0
	v_bcnt_u32_b32 v1, v41, v1
	s_waitcnt lgkmcnt(0)
	v_add_u32_e32 v1, v87, v1
	ds_write_b32 v88, v1 offset:16
.LBB96_54:
	s_or_b64 exec, exec, s[4:5]
	v_and_b32_e32 v40, s26, v70
	v_lshlrev_b32_sdwa v1, v90, v40 dst_sel:DWORD dst_unused:UNUSED_PAD src0_sel:DWORD src1_sel:BYTE_0
	v_add_lshl_u32 v91, v81, v1, 2
	v_and_b32_e32 v1, 1, v40
	v_add_co_u32_e32 v41, vcc, -1, v1
	v_addc_co_u32_e64 v92, s[4:5], 0, -1, vcc
	v_cmp_ne_u32_e32 vcc, 0, v1
	v_xor_b32_e32 v1, vcc_hi, v92
	v_and_b32_e32 v92, exec_hi, v1
	v_lshlrev_b32_e32 v1, 30, v40
	v_xor_b32_e32 v41, vcc_lo, v41
	v_cmp_gt_i64_e32 vcc, 0, v[0:1]
	v_not_b32_e32 v1, v1
	v_ashrrev_i32_e32 v1, 31, v1
	v_and_b32_e32 v41, exec_lo, v41
	v_xor_b32_e32 v93, vcc_hi, v1
	v_xor_b32_e32 v1, vcc_lo, v1
	v_and_b32_e32 v41, v41, v1
	v_lshlrev_b32_e32 v1, 29, v40
	v_cmp_gt_i64_e32 vcc, 0, v[0:1]
	v_not_b32_e32 v1, v1
	v_ashrrev_i32_e32 v1, 31, v1
	v_and_b32_e32 v92, v92, v93
	v_xor_b32_e32 v93, vcc_hi, v1
	v_xor_b32_e32 v1, vcc_lo, v1
	v_and_b32_e32 v41, v41, v1
	v_lshlrev_b32_e32 v1, 28, v40
	v_cmp_gt_i64_e32 vcc, 0, v[0:1]
	v_not_b32_e32 v1, v1
	v_ashrrev_i32_e32 v1, 31, v1
	v_and_b32_e32 v92, v92, v93
	;; [unrolled: 8-line block ×5, first 2 shown]
	v_xor_b32_e32 v93, vcc_hi, v1
	v_xor_b32_e32 v1, vcc_lo, v1
	v_and_b32_e32 v41, v41, v1
	v_lshlrev_b32_e32 v1, 24, v40
	v_cmp_gt_i64_e32 vcc, 0, v[0:1]
	v_not_b32_e32 v0, v1
	v_ashrrev_i32_e32 v0, 31, v0
	v_xor_b32_e32 v1, vcc_hi, v0
	v_xor_b32_e32 v0, vcc_lo, v0
	; wave barrier
	ds_read_b32 v90, v91 offset:16
	v_and_b32_e32 v92, v92, v93
	v_and_b32_e32 v0, v41, v0
	;; [unrolled: 1-line block ×3, first 2 shown]
	v_mbcnt_lo_u32_b32 v40, v0, 0
	v_mbcnt_hi_u32_b32 v92, v1, v40
	v_cmp_eq_u32_e32 vcc, 0, v92
	v_cmp_ne_u64_e64 s[4:5], 0, v[0:1]
	s_and_b64 s[30:31], s[4:5], vcc
	; wave barrier
	s_and_saveexec_b64 s[4:5], s[30:31]
	s_cbranch_execz .LBB96_56
; %bb.55:
	v_bcnt_u32_b32 v0, v0, 0
	v_bcnt_u32_b32 v0, v1, v0
	s_waitcnt lgkmcnt(0)
	v_add_u32_e32 v0, v90, v0
	ds_write_b32 v91, v0 offset:16
.LBB96_56:
	s_or_b64 exec, exec, s[4:5]
	v_and_b32_e32 v40, s26, v71
	v_and_b32_e32 v1, 1, v40
	v_add_co_u32_e32 v41, vcc, -1, v1
	v_mov_b32_e32 v96, 2
	v_addc_co_u32_e64 v95, s[4:5], 0, -1, vcc
	v_cmp_ne_u32_e32 vcc, 0, v1
	v_lshlrev_b32_sdwa v0, v96, v40 dst_sel:DWORD dst_unused:UNUSED_PAD src0_sel:DWORD src1_sel:BYTE_0
	v_xor_b32_e32 v1, vcc_hi, v95
	v_add_lshl_u32 v94, v81, v0, 2
	v_mov_b32_e32 v0, 0
	v_and_b32_e32 v95, exec_hi, v1
	v_lshlrev_b32_e32 v1, 30, v40
	v_xor_b32_e32 v41, vcc_lo, v41
	v_cmp_gt_i64_e32 vcc, 0, v[0:1]
	v_not_b32_e32 v1, v1
	v_ashrrev_i32_e32 v1, 31, v1
	v_and_b32_e32 v41, exec_lo, v41
	v_xor_b32_e32 v97, vcc_hi, v1
	v_xor_b32_e32 v1, vcc_lo, v1
	v_and_b32_e32 v41, v41, v1
	v_lshlrev_b32_e32 v1, 29, v40
	v_cmp_gt_i64_e32 vcc, 0, v[0:1]
	v_not_b32_e32 v1, v1
	v_ashrrev_i32_e32 v1, 31, v1
	v_and_b32_e32 v95, v95, v97
	v_xor_b32_e32 v97, vcc_hi, v1
	v_xor_b32_e32 v1, vcc_lo, v1
	v_and_b32_e32 v41, v41, v1
	v_lshlrev_b32_e32 v1, 28, v40
	v_cmp_gt_i64_e32 vcc, 0, v[0:1]
	v_not_b32_e32 v1, v1
	v_ashrrev_i32_e32 v1, 31, v1
	v_and_b32_e32 v95, v95, v97
	;; [unrolled: 8-line block ×5, first 2 shown]
	v_xor_b32_e32 v97, vcc_hi, v1
	v_xor_b32_e32 v1, vcc_lo, v1
	v_and_b32_e32 v95, v95, v97
	v_and_b32_e32 v97, v41, v1
	v_lshlrev_b32_e32 v1, 24, v40
	v_cmp_gt_i64_e32 vcc, 0, v[0:1]
	v_not_b32_e32 v1, v1
	v_ashrrev_i32_e32 v1, 31, v1
	v_xor_b32_e32 v40, vcc_hi, v1
	v_xor_b32_e32 v1, vcc_lo, v1
	; wave barrier
	ds_read_b32 v93, v94 offset:16
	v_and_b32_e32 v41, v95, v40
	v_and_b32_e32 v40, v97, v1
	v_mbcnt_lo_u32_b32 v1, v40, 0
	v_mbcnt_hi_u32_b32 v95, v41, v1
	v_cmp_eq_u32_e32 vcc, 0, v95
	v_cmp_ne_u64_e64 s[4:5], 0, v[40:41]
	s_and_b64 s[30:31], s[4:5], vcc
	; wave barrier
	s_and_saveexec_b64 s[4:5], s[30:31]
	s_cbranch_execz .LBB96_58
; %bb.57:
	v_bcnt_u32_b32 v1, v40, 0
	v_bcnt_u32_b32 v1, v41, v1
	s_waitcnt lgkmcnt(0)
	v_add_u32_e32 v1, v93, v1
	ds_write_b32 v94, v1 offset:16
.LBB96_58:
	s_or_b64 exec, exec, s[4:5]
	v_and_b32_e32 v40, s26, v72
	v_lshlrev_b32_sdwa v1, v96, v40 dst_sel:DWORD dst_unused:UNUSED_PAD src0_sel:DWORD src1_sel:BYTE_0
	v_add_lshl_u32 v96, v81, v1, 2
	v_and_b32_e32 v1, 1, v40
	v_add_co_u32_e32 v41, vcc, -1, v1
	v_addc_co_u32_e64 v98, s[4:5], 0, -1, vcc
	v_cmp_ne_u32_e32 vcc, 0, v1
	v_xor_b32_e32 v1, vcc_hi, v98
	v_and_b32_e32 v98, exec_hi, v1
	v_lshlrev_b32_e32 v1, 30, v40
	v_xor_b32_e32 v41, vcc_lo, v41
	v_cmp_gt_i64_e32 vcc, 0, v[0:1]
	v_not_b32_e32 v1, v1
	v_ashrrev_i32_e32 v1, 31, v1
	v_and_b32_e32 v41, exec_lo, v41
	v_xor_b32_e32 v99, vcc_hi, v1
	v_xor_b32_e32 v1, vcc_lo, v1
	v_and_b32_e32 v41, v41, v1
	v_lshlrev_b32_e32 v1, 29, v40
	v_cmp_gt_i64_e32 vcc, 0, v[0:1]
	v_not_b32_e32 v1, v1
	v_ashrrev_i32_e32 v1, 31, v1
	v_and_b32_e32 v98, v98, v99
	v_xor_b32_e32 v99, vcc_hi, v1
	v_xor_b32_e32 v1, vcc_lo, v1
	v_and_b32_e32 v41, v41, v1
	v_lshlrev_b32_e32 v1, 28, v40
	v_cmp_gt_i64_e32 vcc, 0, v[0:1]
	v_not_b32_e32 v1, v1
	v_ashrrev_i32_e32 v1, 31, v1
	v_and_b32_e32 v98, v98, v99
	;; [unrolled: 8-line block ×5, first 2 shown]
	v_xor_b32_e32 v99, vcc_hi, v1
	v_xor_b32_e32 v1, vcc_lo, v1
	v_and_b32_e32 v41, v41, v1
	v_lshlrev_b32_e32 v1, 24, v40
	v_cmp_gt_i64_e32 vcc, 0, v[0:1]
	v_not_b32_e32 v0, v1
	v_ashrrev_i32_e32 v0, 31, v0
	v_xor_b32_e32 v1, vcc_hi, v0
	v_xor_b32_e32 v0, vcc_lo, v0
	; wave barrier
	ds_read_b32 v81, v96 offset:16
	v_and_b32_e32 v98, v98, v99
	v_and_b32_e32 v0, v41, v0
	;; [unrolled: 1-line block ×3, first 2 shown]
	v_mbcnt_lo_u32_b32 v40, v0, 0
	v_mbcnt_hi_u32_b32 v98, v1, v40
	v_cmp_eq_u32_e32 vcc, 0, v98
	v_cmp_ne_u64_e64 s[4:5], 0, v[0:1]
	v_add_u32_e32 v97, 16, v59
	s_and_b64 s[26:27], s[4:5], vcc
	; wave barrier
	s_and_saveexec_b64 s[4:5], s[26:27]
	s_cbranch_execz .LBB96_60
; %bb.59:
	v_bcnt_u32_b32 v0, v0, 0
	v_bcnt_u32_b32 v0, v1, v0
	s_waitcnt lgkmcnt(0)
	v_add_u32_e32 v0, v81, v0
	ds_write_b32 v96, v0 offset:16
.LBB96_60:
	s_or_b64 exec, exec, s[4:5]
	; wave barrier
	s_waitcnt lgkmcnt(0)
	s_barrier
	ds_read2_b32 v[0:1], v59 offset0:4 offset1:5
	ds_read2_b32 v[40:41], v97 offset0:2 offset1:3
	v_min_u32_e32 v74, 0xc0, v74
	v_or_b32_e32 v74, 63, v74
	s_waitcnt lgkmcnt(1)
	v_add_u32_e32 v99, v1, v0
	s_waitcnt lgkmcnt(0)
	v_add3_u32 v41, v99, v40, v41
	v_and_b32_e32 v99, 15, v73
	v_cmp_ne_u32_e32 vcc, 0, v99
	v_mov_b32_dpp v100, v41 row_shr:1 row_mask:0xf bank_mask:0xf
	v_cndmask_b32_e32 v100, 0, v100, vcc
	v_add_u32_e32 v41, v100, v41
	v_cmp_lt_u32_e32 vcc, 1, v99
	s_nop 0
	v_mov_b32_dpp v100, v41 row_shr:2 row_mask:0xf bank_mask:0xf
	v_cndmask_b32_e32 v100, 0, v100, vcc
	v_add_u32_e32 v41, v41, v100
	v_cmp_lt_u32_e32 vcc, 3, v99
	s_nop 0
	;; [unrolled: 5-line block ×3, first 2 shown]
	v_mov_b32_dpp v100, v41 row_shr:8 row_mask:0xf bank_mask:0xf
	v_cndmask_b32_e32 v99, 0, v100, vcc
	v_add_u32_e32 v41, v41, v99
	v_bfe_i32 v100, v73, 4, 1
	v_cmp_lt_u32_e32 vcc, 31, v73
	v_mov_b32_dpp v99, v41 row_bcast:15 row_mask:0xf bank_mask:0xf
	v_and_b32_e32 v99, v100, v99
	v_add_u32_e32 v41, v41, v99
	s_nop 1
	v_mov_b32_dpp v99, v41 row_bcast:31 row_mask:0xf bank_mask:0xf
	v_cndmask_b32_e32 v99, 0, v99, vcc
	v_add_u32_e32 v41, v41, v99
	v_lshrrev_b32_e32 v99, 6, v34
	v_cmp_eq_u32_e32 vcc, v74, v34
	s_and_saveexec_b64 s[4:5], vcc
	s_cbranch_execz .LBB96_62
; %bb.61:
	v_lshlrev_b32_e32 v74, 2, v99
	ds_write_b32 v74, v41
.LBB96_62:
	s_or_b64 exec, exec, s[4:5]
	v_cmp_gt_u32_e32 vcc, 4, v34
	s_waitcnt lgkmcnt(0)
	s_barrier
	s_and_saveexec_b64 s[4:5], vcc
	s_cbranch_execz .LBB96_64
; %bb.63:
	v_lshlrev_b32_e32 v74, 2, v34
	ds_read_b32 v100, v74
	v_and_b32_e32 v101, 3, v73
	v_cmp_ne_u32_e32 vcc, 0, v101
	s_waitcnt lgkmcnt(0)
	v_mov_b32_dpp v102, v100 row_shr:1 row_mask:0xf bank_mask:0xf
	v_cndmask_b32_e32 v102, 0, v102, vcc
	v_add_u32_e32 v100, v102, v100
	v_cmp_lt_u32_e32 vcc, 1, v101
	s_nop 0
	v_mov_b32_dpp v102, v100 row_shr:2 row_mask:0xf bank_mask:0xf
	v_cndmask_b32_e32 v101, 0, v102, vcc
	v_add_u32_e32 v100, v100, v101
	ds_write_b32 v74, v100
.LBB96_64:
	s_or_b64 exec, exec, s[4:5]
	v_cmp_lt_u32_e32 vcc, 63, v34
	v_mov_b32_e32 v74, 0
	s_waitcnt lgkmcnt(0)
	s_barrier
	s_and_saveexec_b64 s[4:5], vcc
	s_cbranch_execz .LBB96_66
; %bb.65:
	v_lshl_add_u32 v74, v99, 2, -4
	ds_read_b32 v74, v74
.LBB96_66:
	s_or_b64 exec, exec, s[4:5]
	v_add_u32_e32 v99, -1, v73
	v_and_b32_e32 v100, 64, v73
	v_cmp_lt_i32_e32 vcc, v99, v100
	v_cndmask_b32_e32 v99, v99, v73, vcc
	s_waitcnt lgkmcnt(0)
	v_add_u32_e32 v41, v74, v41
	v_lshlrev_b32_e32 v99, 2, v99
	ds_bpermute_b32 v41, v99, v41
	v_cmp_eq_u32_e32 vcc, 0, v73
	s_waitcnt lgkmcnt(0)
	v_cndmask_b32_e32 v41, v41, v74, vcc
	v_cmp_ne_u32_e32 vcc, 0, v34
	v_cndmask_b32_e32 v41, 0, v41, vcc
	v_add_u32_e32 v0, v41, v0
	v_add_u32_e32 v1, v0, v1
	;; [unrolled: 1-line block ×3, first 2 shown]
	ds_write2_b32 v59, v41, v0 offset0:4 offset1:5
	ds_write2_b32 v97, v1, v40 offset0:2 offset1:3
	s_waitcnt lgkmcnt(0)
	s_barrier
	ds_read_b32 v0, v75 offset:16
	ds_read_b32 v1, v78 offset:16
	;; [unrolled: 1-line block ×8, first 2 shown]
	s_waitcnt lgkmcnt(7)
	v_add_u32_e32 v76, v0, v76
	s_waitcnt lgkmcnt(6)
	v_add3_u32 v77, v79, v77, v1
	s_waitcnt lgkmcnt(5)
	v_add3_u32 v40, v83, v80, v40
	s_waitcnt lgkmcnt(4)
	v_add3_u32 v41, v86, v84, v41
	s_waitcnt lgkmcnt(3)
	v_add3_u32 v73, v89, v87, v73
	s_waitcnt lgkmcnt(2)
	v_add3_u32 v74, v92, v90, v74
	s_waitcnt lgkmcnt(1)
	v_add3_u32 v75, v95, v93, v75
	s_waitcnt lgkmcnt(0)
	v_add3_u32 v78, v98, v81, v78
	s_barrier
	ds_write_b8 v76, v65
	ds_write_b8 v77, v66
	;; [unrolled: 1-line block ×8, first 2 shown]
	v_lshlrev_b32_e32 v65, 3, v76
	s_waitcnt lgkmcnt(0)
	s_barrier
	ds_read_b64 v[0:1], v50
	s_waitcnt lgkmcnt(0)
	s_barrier
	ds_write_b64 v65, v[30:31]
	v_lshlrev_b32_e32 v30, 3, v77
	ds_write_b64 v30, v[32:33]
	v_lshlrev_b32_e32 v30, 3, v40
	;; [unrolled: 2-line block ×7, first 2 shown]
	v_lshlrev_b32_e32 v30, 3, v50
	ds_write_b64 v18, v[20:21]
	s_waitcnt lgkmcnt(0)
	s_barrier
	ds_read2_b64 v[18:21], v30 offset1:1
	ds_read2_b64 v[22:25], v30 offset0:2 offset1:3
	ds_read2_b64 v[26:29], v30 offset0:4 offset1:5
	;; [unrolled: 1-line block ×3, first 2 shown]
	s_branch .LBB96_98
.LBB96_67:
	v_mad_u64_u32 v[2:3], s[30:31], v34, s20, 0
	v_mov_b32_e32 v4, v3
	v_mad_u64_u32 v[4:5], s[30:31], v34, s21, v[4:5]
	v_mov_b32_e32 v3, v4
	v_lshlrev_b64 v[2:3], 3, v[2:3]
	v_mov_b32_e32 v4, s29
	v_add_co_u32_e32 v2, vcc, s28, v2
	v_addc_co_u32_e32 v3, vcc, v4, v3, vcc
	global_load_dwordx2 v[2:3], v[2:3], off
	v_mov_b32_e32 v4, 0
	v_mov_b32_e32 v5, v4
	;; [unrolled: 1-line block ×14, first 2 shown]
	s_or_b64 exec, exec, s[4:5]
	s_and_saveexec_b64 s[4:5], s[2:3]
	s_cbranch_execz .LBB96_36
.LBB96_68:
	v_mad_u64_u32 v[4:5], s[30:31], v26, s20, 0
	v_mov_b32_e32 v38, v5
	v_mad_u64_u32 v[38:39], s[30:31], v26, s21, v[38:39]
	v_mov_b32_e32 v5, v38
	v_lshlrev_b64 v[4:5], 3, v[4:5]
	v_mov_b32_e32 v26, s29
	v_add_co_u32_e32 v4, vcc, s28, v4
	v_addc_co_u32_e32 v5, vcc, v26, v5, vcc
	global_load_dwordx2 v[4:5], v[4:5], off
	s_or_b64 exec, exec, s[4:5]
	s_and_saveexec_b64 s[4:5], s[16:17]
	s_cbranch_execz .LBB96_37
.LBB96_69:
	v_mad_u64_u32 v[6:7], s[30:31], v20, s20, 0
	v_mov_b32_e32 v26, v7
	v_mad_u64_u32 v[38:39], s[30:31], v20, s21, v[26:27]
	v_mov_b32_e32 v7, v38
	v_lshlrev_b64 v[6:7], 3, v[6:7]
	v_mov_b32_e32 v20, s29
	v_add_co_u32_e32 v6, vcc, s28, v6
	v_addc_co_u32_e32 v7, vcc, v20, v7, vcc
	global_load_dwordx2 v[6:7], v[6:7], off
	s_or_b64 exec, exec, s[4:5]
	s_and_saveexec_b64 s[4:5], s[6:7]
	s_cbranch_execz .LBB96_38
.LBB96_70:
	v_mad_u64_u32 v[8:9], s[30:31], v21, s20, 0
	v_mov_b32_e32 v20, v9
	v_mad_u64_u32 v[20:21], s[30:31], v21, s21, v[20:21]
	v_mov_b32_e32 v9, v20
	v_lshlrev_b64 v[8:9], 3, v[8:9]
	v_mov_b32_e32 v20, s29
	v_add_co_u32_e32 v8, vcc, s28, v8
	v_addc_co_u32_e32 v9, vcc, v20, v9, vcc
	global_load_dwordx2 v[8:9], v[8:9], off
	s_or_b64 exec, exec, s[4:5]
	s_and_saveexec_b64 s[4:5], s[8:9]
	s_cbranch_execz .LBB96_39
.LBB96_71:
	v_mad_u64_u32 v[10:11], s[30:31], v22, s20, 0
	v_mov_b32_e32 v20, v11
	v_mad_u64_u32 v[20:21], s[30:31], v22, s21, v[20:21]
	v_mov_b32_e32 v11, v20
	v_lshlrev_b64 v[10:11], 3, v[10:11]
	v_mov_b32_e32 v20, s29
	v_add_co_u32_e32 v10, vcc, s28, v10
	v_addc_co_u32_e32 v11, vcc, v20, v11, vcc
	global_load_dwordx2 v[10:11], v[10:11], off
	s_or_b64 exec, exec, s[4:5]
	s_and_saveexec_b64 s[4:5], s[10:11]
	s_cbranch_execz .LBB96_40
.LBB96_72:
	v_mad_u64_u32 v[12:13], s[30:31], v19, s20, 0
	v_mov_b32_e32 v20, v13
	v_mad_u64_u32 v[20:21], s[30:31], v19, s21, v[20:21]
	v_mov_b32_e32 v13, v20
	v_lshlrev_b64 v[12:13], 3, v[12:13]
	v_mov_b32_e32 v19, s29
	v_add_co_u32_e32 v12, vcc, s28, v12
	v_addc_co_u32_e32 v13, vcc, v19, v13, vcc
	global_load_dwordx2 v[12:13], v[12:13], off
	s_or_b64 exec, exec, s[4:5]
	s_and_saveexec_b64 s[4:5], s[12:13]
	s_cbranch_execz .LBB96_41
.LBB96_73:
	v_mad_u64_u32 v[14:15], s[30:31], v18, s20, 0
	v_mov_b32_e32 v20, v15
	v_mad_u64_u32 v[18:19], s[30:31], v18, s21, v[20:21]
	v_mov_b32_e32 v15, v18
	v_lshlrev_b64 v[14:15], 3, v[14:15]
	v_mov_b32_e32 v18, s29
	v_add_co_u32_e32 v14, vcc, s28, v14
	v_addc_co_u32_e32 v15, vcc, v18, v15, vcc
	global_load_dwordx2 v[14:15], v[14:15], off
	s_or_b64 exec, exec, s[4:5]
	s_and_saveexec_b64 s[4:5], s[14:15]
	s_cbranch_execnz .LBB96_42
	s_branch .LBB96_43
.LBB96_74:
                                        ; implicit-def: $vgpr1
                                        ; implicit-def: $vgpr32_vgpr33
                                        ; implicit-def: $vgpr28_vgpr29
                                        ; implicit-def: $vgpr24_vgpr25
                                        ; implicit-def: $vgpr20_vgpr21
	s_cbranch_execz .LBB96_98
; %bb.75:
	v_mov_b32_e32 v0, -1
	v_xor_b32_sdwa v1, v63, v0 dst_sel:BYTE_1 dst_unused:UNUSED_PAD src0_sel:DWORD src1_sel:DWORD
	s_waitcnt lgkmcnt(3)
	v_xor_b32_e32 v18, -1, v37
	v_or_b32_sdwa v1, v18, v1 dst_sel:DWORD dst_unused:UNUSED_PAD src0_sel:BYTE_0 src1_sel:DWORD
	v_xor_b32_sdwa v18, v37, v0 dst_sel:DWORD dst_unused:UNUSED_PAD src0_sel:BYTE_3 src1_sel:DWORD
	v_lshlrev_b16_e32 v18, 8, v18
	v_xor_b32_sdwa v19, v37, v0 dst_sel:DWORD dst_unused:UNUSED_PAD src0_sel:WORD_1 src1_sel:DWORD
	v_or_b32_sdwa v18, v19, v18 dst_sel:WORD_1 dst_unused:UNUSED_PAD src0_sel:BYTE_0 src1_sel:DWORD
	v_or_b32_sdwa v1, v1, v18 dst_sel:DWORD dst_unused:UNUSED_PAD src0_sel:WORD_0 src1_sel:DWORD
	v_xor_b32_sdwa v18, v62, v0 dst_sel:BYTE_1 dst_unused:UNUSED_PAD src0_sel:DWORD src1_sel:DWORD
	v_xor_b32_e32 v19, -1, v36
	v_or_b32_sdwa v18, v19, v18 dst_sel:DWORD dst_unused:UNUSED_PAD src0_sel:BYTE_0 src1_sel:DWORD
	v_xor_b32_sdwa v19, v38, v0 dst_sel:BYTE_1 dst_unused:UNUSED_PAD src0_sel:DWORD src1_sel:DWORD
	v_xor_b32_sdwa v0, v36, v0 dst_sel:DWORD dst_unused:UNUSED_PAD src0_sel:WORD_1 src1_sel:DWORD
	v_or_b32_sdwa v0, v0, v19 dst_sel:WORD_1 dst_unused:UNUSED_PAD src0_sel:BYTE_0 src1_sel:DWORD
	s_waitcnt lgkmcnt(1)
	v_mbcnt_hi_u32_b32 v28, -1, v64
	v_and_b32_e32 v29, 0x3c0, v34
	v_or_b32_sdwa v0, v18, v0 dst_sel:DWORD dst_unused:UNUSED_PAD src0_sel:WORD_0 src1_sel:DWORD
	v_add_u32_e32 v18, v28, v29
	v_lshlrev_b32_e32 v19, 3, v18
	s_movk_i32 s4, 0x1e00
	ds_write_b64 v19, v[0:1]
	v_and_or_b32 v0, v50, s4, v28
	; wave barrier
	ds_read_u8 v20, v0
	ds_read_u8 v21, v0 offset:64
	ds_read_u8 v22, v0 offset:128
	;; [unrolled: 1-line block ×7, first 2 shown]
	v_lshlrev_b32_e32 v1, 6, v18
	v_lshlrev_b32_e32 v0, 3, v0
	s_getpc_b64 s[4:5]
	s_add_u32 s4, s4, _ZN7rocprim17ROCPRIM_400000_NS16block_radix_sortIhLj256ELj8ElLj1ELj1ELj0ELNS0_26block_radix_rank_algorithmE1ELNS0_18block_padding_hintE2ELNS0_4arch9wavefront6targetE1EE19radix_bits_per_passE@rel32@lo+4
	s_addc_u32 s5, s5, _ZN7rocprim17ROCPRIM_400000_NS16block_radix_sortIhLj256ELj8ElLj1ELj1ELj0ELNS0_26block_radix_rank_algorithmE1ELNS0_18block_padding_hintE2ELNS0_4arch9wavefront6targetE1EE19radix_bits_per_passE@rel32@hi+12
	s_waitcnt lgkmcnt(0)
	s_barrier
	ds_write2_b64 v1, v[14:15], v[16:17] offset1:1
	ds_write2_b64 v1, v[10:11], v[12:13] offset0:2 offset1:3
	ds_write2_b64 v1, v[6:7], v[8:9] offset0:4 offset1:5
	;; [unrolled: 1-line block ×3, first 2 shown]
	; wave barrier
	ds_read2st64_b64 v[12:15], v0 offset1:1
	ds_read2st64_b64 v[8:11], v0 offset0:2 offset1:3
	ds_read2st64_b64 v[4:7], v0 offset0:4 offset1:5
	;; [unrolled: 1-line block ×3, first 2 shown]
	s_waitcnt lgkmcnt(0)
	s_barrier
	s_load_dword s26, s[4:5], 0x0
	s_load_dword s27, s[24:25], 0xc
	v_mov_b32_e32 v32, 2
	v_mov_b32_e32 v16, 0
	ds_write2_b32 v59, v16, v16 offset0:4 offset1:5
	ds_write2_b32 v59, v16, v16 offset0:6 offset1:7
	s_waitcnt lgkmcnt(0)
	s_min_u32 s24, s26, 8
	s_lshr_b32 s4, s27, 16
	s_and_b32 s5, s27, 0xffff
	v_mad_u32_u24 v17, v61, s4, v60
	v_mad_u64_u32 v[18:19], s[4:5], v17, s5, v[34:35]
	s_lshl_b32 s4, -1, s24
	s_not_b32 s24, s4
	v_lshrrev_b32_e32 v38, 6, v18
	v_and_b32_e32 v18, s24, v20
	v_lshlrev_b32_sdwa v17, v32, v18 dst_sel:DWORD dst_unused:UNUSED_PAD src0_sel:DWORD src1_sel:BYTE_0
	v_add_lshl_u32 v30, v38, v17, 2
	v_and_b32_e32 v17, 1, v18
	v_add_co_u32_e32 v19, vcc, -1, v17
	v_addc_co_u32_e64 v31, s[4:5], 0, -1, vcc
	v_cmp_ne_u32_e32 vcc, 0, v17
	v_xor_b32_e32 v17, vcc_hi, v31
	v_and_b32_e32 v31, exec_hi, v17
	v_lshlrev_b32_e32 v17, 30, v18
	v_xor_b32_e32 v19, vcc_lo, v19
	v_cmp_gt_i64_e32 vcc, 0, v[16:17]
	v_not_b32_e32 v17, v17
	v_ashrrev_i32_e32 v17, 31, v17
	v_and_b32_e32 v19, exec_lo, v19
	v_xor_b32_e32 v33, vcc_hi, v17
	v_xor_b32_e32 v17, vcc_lo, v17
	v_and_b32_e32 v19, v19, v17
	v_lshlrev_b32_e32 v17, 29, v18
	v_cmp_gt_i64_e32 vcc, 0, v[16:17]
	v_not_b32_e32 v17, v17
	v_ashrrev_i32_e32 v17, 31, v17
	v_and_b32_e32 v31, v31, v33
	v_xor_b32_e32 v33, vcc_hi, v17
	v_xor_b32_e32 v17, vcc_lo, v17
	v_and_b32_e32 v19, v19, v17
	v_lshlrev_b32_e32 v17, 28, v18
	v_cmp_gt_i64_e32 vcc, 0, v[16:17]
	v_not_b32_e32 v17, v17
	v_ashrrev_i32_e32 v17, 31, v17
	v_and_b32_e32 v31, v31, v33
	;; [unrolled: 8-line block ×5, first 2 shown]
	v_xor_b32_e32 v33, vcc_hi, v17
	v_xor_b32_e32 v17, vcc_lo, v17
	v_and_b32_e32 v31, v31, v33
	v_and_b32_e32 v33, v19, v17
	v_lshlrev_b32_e32 v17, 24, v18
	v_cmp_gt_i64_e32 vcc, 0, v[16:17]
	v_not_b32_e32 v17, v17
	v_ashrrev_i32_e32 v17, 31, v17
	v_xor_b32_e32 v18, vcc_hi, v17
	v_xor_b32_e32 v17, vcc_lo, v17
	v_and_b32_e32 v19, v31, v18
	v_and_b32_e32 v18, v33, v17
	v_mbcnt_lo_u32_b32 v17, v18, 0
	v_mbcnt_hi_u32_b32 v31, v19, v17
	v_cmp_eq_u32_e32 vcc, 0, v31
	v_cmp_ne_u64_e64 s[4:5], 0, v[18:19]
	s_and_b64 s[26:27], s[4:5], vcc
	s_barrier
	s_waitcnt lgkmcnt(0)
	; wave barrier
	s_and_saveexec_b64 s[4:5], s[26:27]
	s_cbranch_execz .LBB96_77
; %bb.76:
	v_bcnt_u32_b32 v17, v18, 0
	v_bcnt_u32_b32 v17, v19, v17
	ds_write_b32 v30, v17 offset:16
.LBB96_77:
	s_or_b64 exec, exec, s[4:5]
	v_and_b32_e32 v18, s24, v21
	v_lshlrev_b32_sdwa v17, v32, v18 dst_sel:DWORD dst_unused:UNUSED_PAD src0_sel:DWORD src1_sel:BYTE_0
	v_add_lshl_u32 v33, v38, v17, 2
	v_and_b32_e32 v17, 1, v18
	v_add_co_u32_e32 v19, vcc, -1, v17
	v_addc_co_u32_e64 v36, s[4:5], 0, -1, vcc
	v_cmp_ne_u32_e32 vcc, 0, v17
	v_xor_b32_e32 v17, vcc_hi, v36
	v_and_b32_e32 v36, exec_hi, v17
	v_lshlrev_b32_e32 v17, 30, v18
	v_xor_b32_e32 v19, vcc_lo, v19
	v_cmp_gt_i64_e32 vcc, 0, v[16:17]
	v_not_b32_e32 v17, v17
	v_ashrrev_i32_e32 v17, 31, v17
	v_and_b32_e32 v19, exec_lo, v19
	v_xor_b32_e32 v37, vcc_hi, v17
	v_xor_b32_e32 v17, vcc_lo, v17
	v_and_b32_e32 v19, v19, v17
	v_lshlrev_b32_e32 v17, 29, v18
	v_cmp_gt_i64_e32 vcc, 0, v[16:17]
	v_not_b32_e32 v17, v17
	v_ashrrev_i32_e32 v17, 31, v17
	v_and_b32_e32 v36, v36, v37
	v_xor_b32_e32 v37, vcc_hi, v17
	v_xor_b32_e32 v17, vcc_lo, v17
	v_and_b32_e32 v19, v19, v17
	v_lshlrev_b32_e32 v17, 28, v18
	v_cmp_gt_i64_e32 vcc, 0, v[16:17]
	v_not_b32_e32 v17, v17
	v_ashrrev_i32_e32 v17, 31, v17
	v_and_b32_e32 v36, v36, v37
	;; [unrolled: 8-line block ×5, first 2 shown]
	v_xor_b32_e32 v37, vcc_hi, v17
	v_xor_b32_e32 v17, vcc_lo, v17
	v_and_b32_e32 v19, v19, v17
	v_lshlrev_b32_e32 v17, 24, v18
	v_cmp_gt_i64_e32 vcc, 0, v[16:17]
	v_not_b32_e32 v16, v17
	v_ashrrev_i32_e32 v16, 31, v16
	v_xor_b32_e32 v17, vcc_hi, v16
	v_xor_b32_e32 v16, vcc_lo, v16
	; wave barrier
	ds_read_b32 v32, v33 offset:16
	v_and_b32_e32 v36, v36, v37
	v_and_b32_e32 v16, v19, v16
	;; [unrolled: 1-line block ×3, first 2 shown]
	v_mbcnt_lo_u32_b32 v18, v16, 0
	v_mbcnt_hi_u32_b32 v36, v17, v18
	v_cmp_eq_u32_e32 vcc, 0, v36
	v_cmp_ne_u64_e64 s[4:5], 0, v[16:17]
	s_and_b64 s[26:27], s[4:5], vcc
	; wave barrier
	s_and_saveexec_b64 s[4:5], s[26:27]
	s_cbranch_execz .LBB96_79
; %bb.78:
	v_bcnt_u32_b32 v16, v16, 0
	v_bcnt_u32_b32 v16, v17, v16
	s_waitcnt lgkmcnt(0)
	v_add_u32_e32 v16, v32, v16
	ds_write_b32 v33, v16 offset:16
.LBB96_79:
	s_or_b64 exec, exec, s[4:5]
	v_and_b32_e32 v18, s24, v22
	v_and_b32_e32 v17, 1, v18
	v_add_co_u32_e32 v19, vcc, -1, v17
	v_mov_b32_e32 v60, 2
	v_addc_co_u32_e64 v41, s[4:5], 0, -1, vcc
	v_cmp_ne_u32_e32 vcc, 0, v17
	v_lshlrev_b32_sdwa v16, v60, v18 dst_sel:DWORD dst_unused:UNUSED_PAD src0_sel:DWORD src1_sel:BYTE_0
	v_xor_b32_e32 v17, vcc_hi, v41
	v_add_lshl_u32 v40, v38, v16, 2
	v_mov_b32_e32 v16, 0
	v_and_b32_e32 v41, exec_hi, v17
	v_lshlrev_b32_e32 v17, 30, v18
	v_xor_b32_e32 v19, vcc_lo, v19
	v_cmp_gt_i64_e32 vcc, 0, v[16:17]
	v_not_b32_e32 v17, v17
	v_ashrrev_i32_e32 v17, 31, v17
	v_and_b32_e32 v19, exec_lo, v19
	v_xor_b32_e32 v61, vcc_hi, v17
	v_xor_b32_e32 v17, vcc_lo, v17
	v_and_b32_e32 v19, v19, v17
	v_lshlrev_b32_e32 v17, 29, v18
	v_cmp_gt_i64_e32 vcc, 0, v[16:17]
	v_not_b32_e32 v17, v17
	v_ashrrev_i32_e32 v17, 31, v17
	v_and_b32_e32 v41, v41, v61
	v_xor_b32_e32 v61, vcc_hi, v17
	v_xor_b32_e32 v17, vcc_lo, v17
	v_and_b32_e32 v19, v19, v17
	v_lshlrev_b32_e32 v17, 28, v18
	v_cmp_gt_i64_e32 vcc, 0, v[16:17]
	v_not_b32_e32 v17, v17
	v_ashrrev_i32_e32 v17, 31, v17
	v_and_b32_e32 v41, v41, v61
	v_xor_b32_e32 v61, vcc_hi, v17
	v_xor_b32_e32 v17, vcc_lo, v17
	v_and_b32_e32 v19, v19, v17
	v_lshlrev_b32_e32 v17, 27, v18
	v_cmp_gt_i64_e32 vcc, 0, v[16:17]
	v_not_b32_e32 v17, v17
	v_ashrrev_i32_e32 v17, 31, v17
	v_and_b32_e32 v41, v41, v61
	v_xor_b32_e32 v61, vcc_hi, v17
	v_xor_b32_e32 v17, vcc_lo, v17
	v_and_b32_e32 v19, v19, v17
	v_lshlrev_b32_e32 v17, 26, v18
	v_cmp_gt_i64_e32 vcc, 0, v[16:17]
	v_not_b32_e32 v17, v17
	v_ashrrev_i32_e32 v17, 31, v17
	v_and_b32_e32 v41, v41, v61
	v_xor_b32_e32 v61, vcc_hi, v17
	v_xor_b32_e32 v17, vcc_lo, v17
	v_and_b32_e32 v19, v19, v17
	v_lshlrev_b32_e32 v17, 25, v18
	v_cmp_gt_i64_e32 vcc, 0, v[16:17]
	v_not_b32_e32 v17, v17
	v_ashrrev_i32_e32 v17, 31, v17
	v_and_b32_e32 v41, v41, v61
	v_xor_b32_e32 v61, vcc_hi, v17
	v_xor_b32_e32 v17, vcc_lo, v17
	v_and_b32_e32 v41, v41, v61
	v_and_b32_e32 v61, v19, v17
	v_lshlrev_b32_e32 v17, 24, v18
	v_cmp_gt_i64_e32 vcc, 0, v[16:17]
	v_not_b32_e32 v17, v17
	v_ashrrev_i32_e32 v17, 31, v17
	v_xor_b32_e32 v18, vcc_hi, v17
	v_xor_b32_e32 v17, vcc_lo, v17
	; wave barrier
	ds_read_b32 v37, v40 offset:16
	v_and_b32_e32 v19, v41, v18
	v_and_b32_e32 v18, v61, v17
	v_mbcnt_lo_u32_b32 v17, v18, 0
	v_mbcnt_hi_u32_b32 v41, v19, v17
	v_cmp_eq_u32_e32 vcc, 0, v41
	v_cmp_ne_u64_e64 s[4:5], 0, v[18:19]
	s_and_b64 s[26:27], s[4:5], vcc
	; wave barrier
	s_and_saveexec_b64 s[4:5], s[26:27]
	s_cbranch_execz .LBB96_81
; %bb.80:
	v_bcnt_u32_b32 v17, v18, 0
	v_bcnt_u32_b32 v17, v19, v17
	s_waitcnt lgkmcnt(0)
	v_add_u32_e32 v17, v37, v17
	ds_write_b32 v40, v17 offset:16
.LBB96_81:
	s_or_b64 exec, exec, s[4:5]
	v_and_b32_e32 v18, s24, v23
	v_lshlrev_b32_sdwa v17, v60, v18 dst_sel:DWORD dst_unused:UNUSED_PAD src0_sel:DWORD src1_sel:BYTE_0
	v_add_lshl_u32 v61, v38, v17, 2
	v_and_b32_e32 v17, 1, v18
	v_add_co_u32_e32 v19, vcc, -1, v17
	v_addc_co_u32_e64 v62, s[4:5], 0, -1, vcc
	v_cmp_ne_u32_e32 vcc, 0, v17
	v_xor_b32_e32 v17, vcc_hi, v62
	v_and_b32_e32 v62, exec_hi, v17
	v_lshlrev_b32_e32 v17, 30, v18
	v_xor_b32_e32 v19, vcc_lo, v19
	v_cmp_gt_i64_e32 vcc, 0, v[16:17]
	v_not_b32_e32 v17, v17
	v_ashrrev_i32_e32 v17, 31, v17
	v_and_b32_e32 v19, exec_lo, v19
	v_xor_b32_e32 v63, vcc_hi, v17
	v_xor_b32_e32 v17, vcc_lo, v17
	v_and_b32_e32 v19, v19, v17
	v_lshlrev_b32_e32 v17, 29, v18
	v_cmp_gt_i64_e32 vcc, 0, v[16:17]
	v_not_b32_e32 v17, v17
	v_ashrrev_i32_e32 v17, 31, v17
	v_and_b32_e32 v62, v62, v63
	v_xor_b32_e32 v63, vcc_hi, v17
	v_xor_b32_e32 v17, vcc_lo, v17
	v_and_b32_e32 v19, v19, v17
	v_lshlrev_b32_e32 v17, 28, v18
	v_cmp_gt_i64_e32 vcc, 0, v[16:17]
	v_not_b32_e32 v17, v17
	v_ashrrev_i32_e32 v17, 31, v17
	v_and_b32_e32 v62, v62, v63
	;; [unrolled: 8-line block ×5, first 2 shown]
	v_xor_b32_e32 v63, vcc_hi, v17
	v_xor_b32_e32 v17, vcc_lo, v17
	v_and_b32_e32 v19, v19, v17
	v_lshlrev_b32_e32 v17, 24, v18
	v_cmp_gt_i64_e32 vcc, 0, v[16:17]
	v_not_b32_e32 v16, v17
	v_ashrrev_i32_e32 v16, 31, v16
	v_xor_b32_e32 v17, vcc_hi, v16
	v_xor_b32_e32 v16, vcc_lo, v16
	; wave barrier
	ds_read_b32 v60, v61 offset:16
	v_and_b32_e32 v62, v62, v63
	v_and_b32_e32 v16, v19, v16
	;; [unrolled: 1-line block ×3, first 2 shown]
	v_mbcnt_lo_u32_b32 v18, v16, 0
	v_mbcnt_hi_u32_b32 v62, v17, v18
	v_cmp_eq_u32_e32 vcc, 0, v62
	v_cmp_ne_u64_e64 s[4:5], 0, v[16:17]
	s_and_b64 s[26:27], s[4:5], vcc
	; wave barrier
	s_and_saveexec_b64 s[4:5], s[26:27]
	s_cbranch_execz .LBB96_83
; %bb.82:
	v_bcnt_u32_b32 v16, v16, 0
	v_bcnt_u32_b32 v16, v17, v16
	s_waitcnt lgkmcnt(0)
	v_add_u32_e32 v16, v60, v16
	ds_write_b32 v61, v16 offset:16
.LBB96_83:
	s_or_b64 exec, exec, s[4:5]
	v_and_b32_e32 v18, s24, v24
	v_and_b32_e32 v17, 1, v18
	v_add_co_u32_e32 v19, vcc, -1, v17
	v_mov_b32_e32 v66, 2
	v_addc_co_u32_e64 v65, s[4:5], 0, -1, vcc
	v_cmp_ne_u32_e32 vcc, 0, v17
	v_lshlrev_b32_sdwa v16, v66, v18 dst_sel:DWORD dst_unused:UNUSED_PAD src0_sel:DWORD src1_sel:BYTE_0
	v_xor_b32_e32 v17, vcc_hi, v65
	v_add_lshl_u32 v64, v38, v16, 2
	v_mov_b32_e32 v16, 0
	v_and_b32_e32 v65, exec_hi, v17
	v_lshlrev_b32_e32 v17, 30, v18
	v_xor_b32_e32 v19, vcc_lo, v19
	v_cmp_gt_i64_e32 vcc, 0, v[16:17]
	v_not_b32_e32 v17, v17
	v_ashrrev_i32_e32 v17, 31, v17
	v_and_b32_e32 v19, exec_lo, v19
	v_xor_b32_e32 v67, vcc_hi, v17
	v_xor_b32_e32 v17, vcc_lo, v17
	v_and_b32_e32 v19, v19, v17
	v_lshlrev_b32_e32 v17, 29, v18
	v_cmp_gt_i64_e32 vcc, 0, v[16:17]
	v_not_b32_e32 v17, v17
	v_ashrrev_i32_e32 v17, 31, v17
	v_and_b32_e32 v65, v65, v67
	v_xor_b32_e32 v67, vcc_hi, v17
	v_xor_b32_e32 v17, vcc_lo, v17
	v_and_b32_e32 v19, v19, v17
	v_lshlrev_b32_e32 v17, 28, v18
	v_cmp_gt_i64_e32 vcc, 0, v[16:17]
	v_not_b32_e32 v17, v17
	v_ashrrev_i32_e32 v17, 31, v17
	v_and_b32_e32 v65, v65, v67
	;; [unrolled: 8-line block ×5, first 2 shown]
	v_xor_b32_e32 v67, vcc_hi, v17
	v_xor_b32_e32 v17, vcc_lo, v17
	v_and_b32_e32 v65, v65, v67
	v_and_b32_e32 v67, v19, v17
	v_lshlrev_b32_e32 v17, 24, v18
	v_cmp_gt_i64_e32 vcc, 0, v[16:17]
	v_not_b32_e32 v17, v17
	v_ashrrev_i32_e32 v17, 31, v17
	v_xor_b32_e32 v18, vcc_hi, v17
	v_xor_b32_e32 v17, vcc_lo, v17
	; wave barrier
	ds_read_b32 v63, v64 offset:16
	v_and_b32_e32 v19, v65, v18
	v_and_b32_e32 v18, v67, v17
	v_mbcnt_lo_u32_b32 v17, v18, 0
	v_mbcnt_hi_u32_b32 v65, v19, v17
	v_cmp_eq_u32_e32 vcc, 0, v65
	v_cmp_ne_u64_e64 s[4:5], 0, v[18:19]
	s_and_b64 s[26:27], s[4:5], vcc
	; wave barrier
	s_and_saveexec_b64 s[4:5], s[26:27]
	s_cbranch_execz .LBB96_85
; %bb.84:
	v_bcnt_u32_b32 v17, v18, 0
	v_bcnt_u32_b32 v17, v19, v17
	s_waitcnt lgkmcnt(0)
	v_add_u32_e32 v17, v63, v17
	ds_write_b32 v64, v17 offset:16
.LBB96_85:
	s_or_b64 exec, exec, s[4:5]
	v_and_b32_e32 v18, s24, v25
	v_lshlrev_b32_sdwa v17, v66, v18 dst_sel:DWORD dst_unused:UNUSED_PAD src0_sel:DWORD src1_sel:BYTE_0
	v_add_lshl_u32 v67, v38, v17, 2
	v_and_b32_e32 v17, 1, v18
	v_add_co_u32_e32 v19, vcc, -1, v17
	v_addc_co_u32_e64 v68, s[4:5], 0, -1, vcc
	v_cmp_ne_u32_e32 vcc, 0, v17
	v_xor_b32_e32 v17, vcc_hi, v68
	v_and_b32_e32 v68, exec_hi, v17
	v_lshlrev_b32_e32 v17, 30, v18
	v_xor_b32_e32 v19, vcc_lo, v19
	v_cmp_gt_i64_e32 vcc, 0, v[16:17]
	v_not_b32_e32 v17, v17
	v_ashrrev_i32_e32 v17, 31, v17
	v_and_b32_e32 v19, exec_lo, v19
	v_xor_b32_e32 v69, vcc_hi, v17
	v_xor_b32_e32 v17, vcc_lo, v17
	v_and_b32_e32 v19, v19, v17
	v_lshlrev_b32_e32 v17, 29, v18
	v_cmp_gt_i64_e32 vcc, 0, v[16:17]
	v_not_b32_e32 v17, v17
	v_ashrrev_i32_e32 v17, 31, v17
	v_and_b32_e32 v68, v68, v69
	v_xor_b32_e32 v69, vcc_hi, v17
	v_xor_b32_e32 v17, vcc_lo, v17
	v_and_b32_e32 v19, v19, v17
	v_lshlrev_b32_e32 v17, 28, v18
	v_cmp_gt_i64_e32 vcc, 0, v[16:17]
	v_not_b32_e32 v17, v17
	v_ashrrev_i32_e32 v17, 31, v17
	v_and_b32_e32 v68, v68, v69
	;; [unrolled: 8-line block ×5, first 2 shown]
	v_xor_b32_e32 v69, vcc_hi, v17
	v_xor_b32_e32 v17, vcc_lo, v17
	v_and_b32_e32 v19, v19, v17
	v_lshlrev_b32_e32 v17, 24, v18
	v_cmp_gt_i64_e32 vcc, 0, v[16:17]
	v_not_b32_e32 v16, v17
	v_ashrrev_i32_e32 v16, 31, v16
	v_xor_b32_e32 v17, vcc_hi, v16
	v_xor_b32_e32 v16, vcc_lo, v16
	; wave barrier
	ds_read_b32 v66, v67 offset:16
	v_and_b32_e32 v68, v68, v69
	v_and_b32_e32 v16, v19, v16
	;; [unrolled: 1-line block ×3, first 2 shown]
	v_mbcnt_lo_u32_b32 v18, v16, 0
	v_mbcnt_hi_u32_b32 v68, v17, v18
	v_cmp_eq_u32_e32 vcc, 0, v68
	v_cmp_ne_u64_e64 s[4:5], 0, v[16:17]
	s_and_b64 s[26:27], s[4:5], vcc
	; wave barrier
	s_and_saveexec_b64 s[4:5], s[26:27]
	s_cbranch_execz .LBB96_87
; %bb.86:
	v_bcnt_u32_b32 v16, v16, 0
	v_bcnt_u32_b32 v16, v17, v16
	s_waitcnt lgkmcnt(0)
	v_add_u32_e32 v16, v66, v16
	ds_write_b32 v67, v16 offset:16
.LBB96_87:
	s_or_b64 exec, exec, s[4:5]
	v_and_b32_e32 v18, s24, v26
	v_and_b32_e32 v17, 1, v18
	v_add_co_u32_e32 v19, vcc, -1, v17
	v_mov_b32_e32 v72, 2
	v_addc_co_u32_e64 v71, s[4:5], 0, -1, vcc
	v_cmp_ne_u32_e32 vcc, 0, v17
	v_lshlrev_b32_sdwa v16, v72, v18 dst_sel:DWORD dst_unused:UNUSED_PAD src0_sel:DWORD src1_sel:BYTE_0
	v_xor_b32_e32 v17, vcc_hi, v71
	v_add_lshl_u32 v70, v38, v16, 2
	v_mov_b32_e32 v16, 0
	v_and_b32_e32 v71, exec_hi, v17
	v_lshlrev_b32_e32 v17, 30, v18
	v_xor_b32_e32 v19, vcc_lo, v19
	v_cmp_gt_i64_e32 vcc, 0, v[16:17]
	v_not_b32_e32 v17, v17
	v_ashrrev_i32_e32 v17, 31, v17
	v_and_b32_e32 v19, exec_lo, v19
	v_xor_b32_e32 v73, vcc_hi, v17
	v_xor_b32_e32 v17, vcc_lo, v17
	v_and_b32_e32 v19, v19, v17
	v_lshlrev_b32_e32 v17, 29, v18
	v_cmp_gt_i64_e32 vcc, 0, v[16:17]
	v_not_b32_e32 v17, v17
	v_ashrrev_i32_e32 v17, 31, v17
	v_and_b32_e32 v71, v71, v73
	v_xor_b32_e32 v73, vcc_hi, v17
	v_xor_b32_e32 v17, vcc_lo, v17
	v_and_b32_e32 v19, v19, v17
	v_lshlrev_b32_e32 v17, 28, v18
	v_cmp_gt_i64_e32 vcc, 0, v[16:17]
	v_not_b32_e32 v17, v17
	v_ashrrev_i32_e32 v17, 31, v17
	v_and_b32_e32 v71, v71, v73
	;; [unrolled: 8-line block ×5, first 2 shown]
	v_xor_b32_e32 v73, vcc_hi, v17
	v_xor_b32_e32 v17, vcc_lo, v17
	v_and_b32_e32 v71, v71, v73
	v_and_b32_e32 v73, v19, v17
	v_lshlrev_b32_e32 v17, 24, v18
	v_cmp_gt_i64_e32 vcc, 0, v[16:17]
	v_not_b32_e32 v17, v17
	v_ashrrev_i32_e32 v17, 31, v17
	v_xor_b32_e32 v18, vcc_hi, v17
	v_xor_b32_e32 v17, vcc_lo, v17
	; wave barrier
	ds_read_b32 v69, v70 offset:16
	v_and_b32_e32 v19, v71, v18
	v_and_b32_e32 v18, v73, v17
	v_mbcnt_lo_u32_b32 v17, v18, 0
	v_mbcnt_hi_u32_b32 v71, v19, v17
	v_cmp_eq_u32_e32 vcc, 0, v71
	v_cmp_ne_u64_e64 s[4:5], 0, v[18:19]
	s_and_b64 s[26:27], s[4:5], vcc
	; wave barrier
	s_and_saveexec_b64 s[4:5], s[26:27]
	s_cbranch_execz .LBB96_89
; %bb.88:
	v_bcnt_u32_b32 v17, v18, 0
	v_bcnt_u32_b32 v17, v19, v17
	s_waitcnt lgkmcnt(0)
	v_add_u32_e32 v17, v69, v17
	ds_write_b32 v70, v17 offset:16
.LBB96_89:
	s_or_b64 exec, exec, s[4:5]
	v_and_b32_e32 v18, s24, v27
	v_lshlrev_b32_sdwa v17, v72, v18 dst_sel:DWORD dst_unused:UNUSED_PAD src0_sel:DWORD src1_sel:BYTE_0
	v_add_lshl_u32 v72, v38, v17, 2
	v_and_b32_e32 v17, 1, v18
	v_add_co_u32_e32 v19, vcc, -1, v17
	v_addc_co_u32_e64 v74, s[4:5], 0, -1, vcc
	v_cmp_ne_u32_e32 vcc, 0, v17
	v_xor_b32_e32 v17, vcc_hi, v74
	v_and_b32_e32 v74, exec_hi, v17
	v_lshlrev_b32_e32 v17, 30, v18
	v_xor_b32_e32 v19, vcc_lo, v19
	v_cmp_gt_i64_e32 vcc, 0, v[16:17]
	v_not_b32_e32 v17, v17
	v_ashrrev_i32_e32 v17, 31, v17
	v_and_b32_e32 v19, exec_lo, v19
	v_xor_b32_e32 v75, vcc_hi, v17
	v_xor_b32_e32 v17, vcc_lo, v17
	v_and_b32_e32 v19, v19, v17
	v_lshlrev_b32_e32 v17, 29, v18
	v_cmp_gt_i64_e32 vcc, 0, v[16:17]
	v_not_b32_e32 v17, v17
	v_ashrrev_i32_e32 v17, 31, v17
	v_and_b32_e32 v74, v74, v75
	v_xor_b32_e32 v75, vcc_hi, v17
	v_xor_b32_e32 v17, vcc_lo, v17
	v_and_b32_e32 v19, v19, v17
	v_lshlrev_b32_e32 v17, 28, v18
	v_cmp_gt_i64_e32 vcc, 0, v[16:17]
	v_not_b32_e32 v17, v17
	v_ashrrev_i32_e32 v17, 31, v17
	v_and_b32_e32 v74, v74, v75
	v_xor_b32_e32 v75, vcc_hi, v17
	v_xor_b32_e32 v17, vcc_lo, v17
	v_and_b32_e32 v19, v19, v17
	v_lshlrev_b32_e32 v17, 27, v18
	v_cmp_gt_i64_e32 vcc, 0, v[16:17]
	v_not_b32_e32 v17, v17
	v_ashrrev_i32_e32 v17, 31, v17
	v_and_b32_e32 v74, v74, v75
	v_xor_b32_e32 v75, vcc_hi, v17
	v_xor_b32_e32 v17, vcc_lo, v17
	v_and_b32_e32 v19, v19, v17
	v_lshlrev_b32_e32 v17, 26, v18
	v_cmp_gt_i64_e32 vcc, 0, v[16:17]
	v_not_b32_e32 v17, v17
	v_ashrrev_i32_e32 v17, 31, v17
	v_and_b32_e32 v74, v74, v75
	v_xor_b32_e32 v75, vcc_hi, v17
	v_xor_b32_e32 v17, vcc_lo, v17
	v_and_b32_e32 v19, v19, v17
	v_lshlrev_b32_e32 v17, 25, v18
	v_cmp_gt_i64_e32 vcc, 0, v[16:17]
	v_not_b32_e32 v17, v17
	v_ashrrev_i32_e32 v17, 31, v17
	v_and_b32_e32 v74, v74, v75
	v_xor_b32_e32 v75, vcc_hi, v17
	v_xor_b32_e32 v17, vcc_lo, v17
	v_and_b32_e32 v19, v19, v17
	v_lshlrev_b32_e32 v17, 24, v18
	v_cmp_gt_i64_e32 vcc, 0, v[16:17]
	v_not_b32_e32 v16, v17
	v_ashrrev_i32_e32 v16, 31, v16
	v_xor_b32_e32 v17, vcc_hi, v16
	v_xor_b32_e32 v16, vcc_lo, v16
	; wave barrier
	ds_read_b32 v38, v72 offset:16
	v_and_b32_e32 v74, v74, v75
	v_and_b32_e32 v16, v19, v16
	;; [unrolled: 1-line block ×3, first 2 shown]
	v_mbcnt_lo_u32_b32 v18, v16, 0
	v_mbcnt_hi_u32_b32 v74, v17, v18
	v_cmp_eq_u32_e32 vcc, 0, v74
	v_cmp_ne_u64_e64 s[4:5], 0, v[16:17]
	v_add_u32_e32 v73, 16, v59
	s_and_b64 s[24:25], s[4:5], vcc
	; wave barrier
	s_and_saveexec_b64 s[4:5], s[24:25]
	s_cbranch_execz .LBB96_91
; %bb.90:
	v_bcnt_u32_b32 v16, v16, 0
	v_bcnt_u32_b32 v16, v17, v16
	s_waitcnt lgkmcnt(0)
	v_add_u32_e32 v16, v38, v16
	ds_write_b32 v72, v16 offset:16
.LBB96_91:
	s_or_b64 exec, exec, s[4:5]
	; wave barrier
	s_waitcnt lgkmcnt(0)
	s_barrier
	ds_read2_b32 v[16:17], v59 offset0:4 offset1:5
	ds_read2_b32 v[18:19], v73 offset0:2 offset1:3
	v_min_u32_e32 v29, 0xc0, v29
	v_or_b32_e32 v29, 63, v29
	s_waitcnt lgkmcnt(1)
	v_add_u32_e32 v75, v17, v16
	s_waitcnt lgkmcnt(0)
	v_add3_u32 v19, v75, v18, v19
	v_and_b32_e32 v75, 15, v28
	v_cmp_ne_u32_e32 vcc, 0, v75
	v_mov_b32_dpp v76, v19 row_shr:1 row_mask:0xf bank_mask:0xf
	v_cndmask_b32_e32 v76, 0, v76, vcc
	v_add_u32_e32 v19, v76, v19
	v_cmp_lt_u32_e32 vcc, 1, v75
	s_nop 0
	v_mov_b32_dpp v76, v19 row_shr:2 row_mask:0xf bank_mask:0xf
	v_cndmask_b32_e32 v76, 0, v76, vcc
	v_add_u32_e32 v19, v19, v76
	v_cmp_lt_u32_e32 vcc, 3, v75
	s_nop 0
	;; [unrolled: 5-line block ×3, first 2 shown]
	v_mov_b32_dpp v76, v19 row_shr:8 row_mask:0xf bank_mask:0xf
	v_cndmask_b32_e32 v75, 0, v76, vcc
	v_add_u32_e32 v19, v19, v75
	v_bfe_i32 v76, v28, 4, 1
	v_cmp_lt_u32_e32 vcc, 31, v28
	v_mov_b32_dpp v75, v19 row_bcast:15 row_mask:0xf bank_mask:0xf
	v_and_b32_e32 v75, v76, v75
	v_add_u32_e32 v19, v19, v75
	s_nop 1
	v_mov_b32_dpp v75, v19 row_bcast:31 row_mask:0xf bank_mask:0xf
	v_cndmask_b32_e32 v75, 0, v75, vcc
	v_add_u32_e32 v19, v19, v75
	v_lshrrev_b32_e32 v75, 6, v34
	v_cmp_eq_u32_e32 vcc, v29, v34
	s_and_saveexec_b64 s[4:5], vcc
	s_cbranch_execz .LBB96_93
; %bb.92:
	v_lshlrev_b32_e32 v29, 2, v75
	ds_write_b32 v29, v19
.LBB96_93:
	s_or_b64 exec, exec, s[4:5]
	v_cmp_gt_u32_e32 vcc, 4, v34
	s_waitcnt lgkmcnt(0)
	s_barrier
	s_and_saveexec_b64 s[4:5], vcc
	s_cbranch_execz .LBB96_95
; %bb.94:
	v_lshlrev_b32_e32 v29, 2, v34
	ds_read_b32 v76, v29
	v_and_b32_e32 v77, 3, v28
	v_cmp_ne_u32_e32 vcc, 0, v77
	s_waitcnt lgkmcnt(0)
	v_mov_b32_dpp v78, v76 row_shr:1 row_mask:0xf bank_mask:0xf
	v_cndmask_b32_e32 v78, 0, v78, vcc
	v_add_u32_e32 v76, v78, v76
	v_cmp_lt_u32_e32 vcc, 1, v77
	s_nop 0
	v_mov_b32_dpp v78, v76 row_shr:2 row_mask:0xf bank_mask:0xf
	v_cndmask_b32_e32 v77, 0, v78, vcc
	v_add_u32_e32 v76, v76, v77
	ds_write_b32 v29, v76
.LBB96_95:
	s_or_b64 exec, exec, s[4:5]
	v_cmp_lt_u32_e32 vcc, 63, v34
	v_mov_b32_e32 v29, 0
	s_waitcnt lgkmcnt(0)
	s_barrier
	s_and_saveexec_b64 s[4:5], vcc
	s_cbranch_execz .LBB96_97
; %bb.96:
	v_lshl_add_u32 v29, v75, 2, -4
	ds_read_b32 v29, v29
.LBB96_97:
	s_or_b64 exec, exec, s[4:5]
	v_add_u32_e32 v75, -1, v28
	v_and_b32_e32 v76, 64, v28
	v_cmp_lt_i32_e32 vcc, v75, v76
	v_cndmask_b32_e32 v75, v75, v28, vcc
	s_waitcnt lgkmcnt(0)
	v_add_u32_e32 v19, v29, v19
	v_lshlrev_b32_e32 v75, 2, v75
	ds_bpermute_b32 v19, v75, v19
	v_cmp_eq_u32_e32 vcc, 0, v28
	s_waitcnt lgkmcnt(0)
	v_cndmask_b32_e32 v19, v19, v29, vcc
	v_cmp_ne_u32_e32 vcc, 0, v34
	v_cndmask_b32_e32 v19, 0, v19, vcc
	v_add_u32_e32 v16, v19, v16
	v_add_u32_e32 v17, v16, v17
	;; [unrolled: 1-line block ×3, first 2 shown]
	ds_write2_b32 v59, v19, v16 offset0:4 offset1:5
	ds_write2_b32 v73, v17, v18 offset0:2 offset1:3
	s_waitcnt lgkmcnt(0)
	s_barrier
	ds_read_b32 v16, v30 offset:16
	ds_read_b32 v17, v33 offset:16
	;; [unrolled: 1-line block ×8, first 2 shown]
	s_waitcnt lgkmcnt(7)
	v_add_u32_e32 v31, v16, v31
	s_waitcnt lgkmcnt(6)
	v_add3_u32 v32, v36, v32, v17
	s_waitcnt lgkmcnt(5)
	v_add3_u32 v18, v41, v37, v18
	;; [unrolled: 2-line block ×7, first 2 shown]
	s_barrier
	ds_write_b8 v31, v20
	ds_write_b8 v32, v21
	;; [unrolled: 1-line block ×8, first 2 shown]
	v_lshlrev_b32_e32 v20, 3, v31
	s_waitcnt lgkmcnt(0)
	s_barrier
	ds_read_b64 v[16:17], v50
	s_waitcnt lgkmcnt(0)
	s_barrier
	ds_write_b64 v20, v[12:13]
	v_lshlrev_b32_e32 v12, 3, v32
	ds_write_b64 v12, v[14:15]
	v_lshlrev_b32_e32 v12, 3, v18
	;; [unrolled: 2-line block ×8, first 2 shown]
	s_waitcnt lgkmcnt(0)
	s_barrier
	ds_read2_b64 v[18:21], v0 offset1:1
	ds_read2_b64 v[22:25], v0 offset0:2 offset1:3
	ds_read2_b64 v[26:29], v0 offset0:4 offset1:5
	;; [unrolled: 1-line block ×3, first 2 shown]
	v_lshrrev_b32_e32 v36, 8, v16
	v_mov_b32_e32 v1, -1
	v_lshrrev_b32_e32 v37, 8, v17
	v_xor_b32_e32 v0, -1, v16
	v_xor_b32_sdwa v2, v36, v1 dst_sel:BYTE_1 dst_unused:UNUSED_PAD src0_sel:DWORD src1_sel:DWORD
	v_xor_b32_sdwa v3, v16, v1 dst_sel:DWORD dst_unused:UNUSED_PAD src0_sel:WORD_1 src1_sel:DWORD
	v_xor_b32_sdwa v4, v16, v1 dst_sel:BYTE_1 dst_unused:UNUSED_PAD src0_sel:BYTE_3 src1_sel:DWORD
	v_xor_b32_e32 v5, -1, v17
	v_xor_b32_sdwa v6, v37, v1 dst_sel:BYTE_1 dst_unused:UNUSED_PAD src0_sel:DWORD src1_sel:DWORD
	v_xor_b32_sdwa v7, v17, v1 dst_sel:DWORD dst_unused:UNUSED_PAD src0_sel:WORD_1 src1_sel:DWORD
	v_xor_b32_sdwa v1, v17, v1 dst_sel:BYTE_1 dst_unused:UNUSED_PAD src0_sel:BYTE_3 src1_sel:DWORD
	v_or_b32_sdwa v0, v0, v2 dst_sel:DWORD dst_unused:UNUSED_PAD src0_sel:BYTE_0 src1_sel:DWORD
	v_or_b32_sdwa v2, v3, v4 dst_sel:WORD_1 dst_unused:UNUSED_PAD src0_sel:BYTE_0 src1_sel:DWORD
	v_or_b32_sdwa v0, v0, v2 dst_sel:DWORD dst_unused:UNUSED_PAD src0_sel:WORD_0 src1_sel:DWORD
	v_or_b32_sdwa v2, v5, v6 dst_sel:DWORD dst_unused:UNUSED_PAD src0_sel:BYTE_0 src1_sel:DWORD
	v_or_b32_sdwa v1, v7, v1 dst_sel:WORD_1 dst_unused:UNUSED_PAD src0_sel:BYTE_0 src1_sel:DWORD
	v_or_b32_sdwa v1, v2, v1 dst_sel:DWORD dst_unused:UNUSED_PAD src0_sel:WORD_0 src1_sel:DWORD
.LBB96_98:
	s_waitcnt lgkmcnt(0)
	s_barrier
	ds_write_b64 v49, v[0:1]
	s_waitcnt lgkmcnt(0)
	s_barrier
	ds_read_u8 v8, v42 offset:256
	ds_read_u8 v7, v43 offset:512
	;; [unrolled: 1-line block ×7, first 2 shown]
	v_pk_mov_b32 v[0:1], s[22:23], s[22:23] op_sel:[0,1]
	v_mad_u64_u32 v[0:1], s[4:5], v34, s18, v[0:1]
	v_mov_b32_e32 v10, v1
	v_mad_u64_u32 v[10:11], s[4:5], v34, s19, v[10:11]
	v_mov_b32_e32 v1, v10
	s_and_saveexec_b64 s[4:5], s[0:1]
	s_cbranch_execnz .LBB96_117
; %bb.99:
	s_or_b64 exec, exec, s[4:5]
	s_and_saveexec_b64 s[4:5], s[2:3]
	s_cbranch_execnz .LBB96_118
.LBB96_100:
	s_or_b64 exec, exec, s[4:5]
	s_and_saveexec_b64 s[4:5], s[16:17]
	s_cbranch_execnz .LBB96_119
.LBB96_101:
	s_or_b64 exec, exec, s[4:5]
	s_and_saveexec_b64 s[4:5], s[6:7]
	s_cbranch_execnz .LBB96_120
.LBB96_102:
	s_or_b64 exec, exec, s[4:5]
	s_and_saveexec_b64 s[4:5], s[8:9]
	s_cbranch_execnz .LBB96_121
.LBB96_103:
	s_or_b64 exec, exec, s[4:5]
	s_and_saveexec_b64 s[4:5], s[10:11]
	s_cbranch_execnz .LBB96_122
.LBB96_104:
	s_or_b64 exec, exec, s[4:5]
	s_and_saveexec_b64 s[4:5], s[12:13]
	s_cbranch_execnz .LBB96_123
.LBB96_105:
	s_or_b64 exec, exec, s[4:5]
	s_and_saveexec_b64 s[4:5], s[14:15]
	s_cbranch_execz .LBB96_107
.LBB96_106:
	s_waitcnt lgkmcnt(1)
	v_mov_b32_e32 v3, 0x700
	v_mad_u64_u32 v[0:1], s[22:23], s18, v3, v[0:1]
	s_mul_i32 s18, s19, 0x700
	v_add_u32_e32 v1, s18, v1
	s_waitcnt lgkmcnt(0)
	global_store_byte v[0:1], v2, off
.LBB96_107:
	s_or_b64 exec, exec, s[4:5]
	s_waitcnt lgkmcnt(0)
	s_barrier
	ds_write2_b64 v58, v[18:19], v[20:21] offset1:1
	ds_write2_b64 v58, v[22:23], v[24:25] offset0:2 offset1:3
	ds_write2_b64 v58, v[26:27], v[28:29] offset0:4 offset1:5
	;; [unrolled: 1-line block ×3, first 2 shown]
	s_waitcnt lgkmcnt(0)
	s_barrier
	ds_read_b64 v[14:15], v51 offset:2048
	ds_read_b64 v[12:13], v52 offset:4096
	;; [unrolled: 1-line block ×7, first 2 shown]
	v_mad_u64_u32 v[4:5], s[4:5], v34, s20, 0
	v_mov_b32_e32 v16, v5
	v_mad_u64_u32 v[16:17], s[4:5], v34, s21, v[16:17]
	v_mov_b32_e32 v5, v16
	v_lshlrev_b64 v[4:5], 3, v[4:5]
	v_mov_b32_e32 v16, s29
	v_add_co_u32_e32 v4, vcc, s28, v4
	v_addc_co_u32_e32 v5, vcc, v16, v5, vcc
	s_and_saveexec_b64 s[4:5], s[0:1]
	s_cbranch_execnz .LBB96_124
; %bb.108:
	s_or_b64 exec, exec, s[4:5]
	s_and_saveexec_b64 s[0:1], s[2:3]
	s_cbranch_execnz .LBB96_125
.LBB96_109:
	s_or_b64 exec, exec, s[0:1]
	s_and_saveexec_b64 s[0:1], s[16:17]
	s_cbranch_execnz .LBB96_126
.LBB96_110:
	s_or_b64 exec, exec, s[0:1]
	s_and_saveexec_b64 s[0:1], s[6:7]
	s_cbranch_execnz .LBB96_127
.LBB96_111:
	s_or_b64 exec, exec, s[0:1]
	s_and_saveexec_b64 s[0:1], s[8:9]
	s_cbranch_execnz .LBB96_128
.LBB96_112:
	s_or_b64 exec, exec, s[0:1]
	s_and_saveexec_b64 s[0:1], s[10:11]
	s_cbranch_execnz .LBB96_129
.LBB96_113:
	s_or_b64 exec, exec, s[0:1]
	s_and_saveexec_b64 s[0:1], s[12:13]
	s_cbranch_execnz .LBB96_130
.LBB96_114:
	s_or_b64 exec, exec, s[0:1]
	s_and_saveexec_b64 s[0:1], s[14:15]
	s_cbranch_execz .LBB96_116
.LBB96_115:
	s_waitcnt lgkmcnt(1)
	v_mov_b32_e32 v2, 0x3800
	v_mad_u64_u32 v[2:3], s[0:1], s20, v2, v[4:5]
	s_mul_i32 s0, s21, 0x3800
	v_add_u32_e32 v3, s0, v3
	s_waitcnt lgkmcnt(0)
	global_store_dwordx2 v[2:3], v[0:1], off
.LBB96_116:
	s_endpgm
.LBB96_117:
	ds_read_u8 v9, v35
	s_waitcnt lgkmcnt(0)
	global_store_byte v[0:1], v9, off
	s_or_b64 exec, exec, s[4:5]
	s_and_saveexec_b64 s[4:5], s[2:3]
	s_cbranch_execz .LBB96_100
.LBB96_118:
	s_lshl_b64 s[22:23], s[18:19], 8
	v_mov_b32_e32 v9, s23
	v_add_co_u32_e32 v10, vcc, s22, v0
	v_addc_co_u32_e32 v11, vcc, v1, v9, vcc
	s_waitcnt lgkmcnt(6)
	global_store_byte v[10:11], v8, off
	s_or_b64 exec, exec, s[4:5]
	s_and_saveexec_b64 s[4:5], s[16:17]
	s_cbranch_execz .LBB96_101
.LBB96_119:
	s_lshl_b64 s[22:23], s[18:19], 9
	v_mov_b32_e32 v9, s23
	s_waitcnt lgkmcnt(6)
	v_add_co_u32_e32 v8, vcc, s22, v0
	v_addc_co_u32_e32 v9, vcc, v1, v9, vcc
	s_waitcnt lgkmcnt(5)
	global_store_byte v[8:9], v7, off
	s_or_b64 exec, exec, s[4:5]
	s_and_saveexec_b64 s[4:5], s[6:7]
	s_cbranch_execz .LBB96_102
.LBB96_120:
	s_waitcnt lgkmcnt(5)
	v_mov_b32_e32 v7, 0x300
	v_mad_u64_u32 v[8:9], s[22:23], s18, v7, v[0:1]
	s_mul_i32 s22, s19, 0x300
	v_add_u32_e32 v9, s22, v9
	s_waitcnt lgkmcnt(4)
	global_store_byte v[8:9], v6, off
	s_or_b64 exec, exec, s[4:5]
	s_and_saveexec_b64 s[4:5], s[8:9]
	s_cbranch_execz .LBB96_103
.LBB96_121:
	s_lshl_b64 s[22:23], s[18:19], 10
	s_waitcnt lgkmcnt(5)
	v_mov_b32_e32 v7, s23
	s_waitcnt lgkmcnt(4)
	v_add_co_u32_e32 v6, vcc, s22, v0
	v_addc_co_u32_e32 v7, vcc, v1, v7, vcc
	s_waitcnt lgkmcnt(3)
	global_store_byte v[6:7], v5, off
	s_or_b64 exec, exec, s[4:5]
	s_and_saveexec_b64 s[4:5], s[10:11]
	s_cbranch_execz .LBB96_104
.LBB96_122:
	s_waitcnt lgkmcnt(3)
	v_mov_b32_e32 v5, 0x500
	v_mad_u64_u32 v[6:7], s[22:23], s18, v5, v[0:1]
	s_mul_i32 s22, s19, 0x500
	v_add_u32_e32 v7, s22, v7
	s_waitcnt lgkmcnt(2)
	global_store_byte v[6:7], v4, off
	s_or_b64 exec, exec, s[4:5]
	s_and_saveexec_b64 s[4:5], s[12:13]
	s_cbranch_execz .LBB96_105
.LBB96_123:
	s_waitcnt lgkmcnt(2)
	v_mov_b32_e32 v4, 0x600
	v_mad_u64_u32 v[4:5], s[22:23], s18, v4, v[0:1]
	s_mul_i32 s22, s19, 0x600
	v_add_u32_e32 v5, s22, v5
	s_waitcnt lgkmcnt(1)
	global_store_byte v[4:5], v3, off
	s_or_b64 exec, exec, s[4:5]
	s_and_saveexec_b64 s[4:5], s[14:15]
	s_cbranch_execnz .LBB96_106
	s_branch .LBB96_107
.LBB96_124:
	ds_read_b64 v[16:17], v39
	s_waitcnt lgkmcnt(0)
	global_store_dwordx2 v[4:5], v[16:17], off
	s_or_b64 exec, exec, s[4:5]
	s_and_saveexec_b64 s[0:1], s[2:3]
	s_cbranch_execz .LBB96_109
.LBB96_125:
	s_lshl_b64 s[2:3], s[20:21], 11
	v_mov_b32_e32 v17, s3
	v_add_co_u32_e32 v16, vcc, s2, v4
	v_addc_co_u32_e32 v17, vcc, v5, v17, vcc
	s_waitcnt lgkmcnt(6)
	global_store_dwordx2 v[16:17], v[14:15], off
	s_or_b64 exec, exec, s[0:1]
	s_and_saveexec_b64 s[0:1], s[16:17]
	s_cbranch_execz .LBB96_110
.LBB96_126:
	s_lshl_b64 s[2:3], s[20:21], 12
	s_waitcnt lgkmcnt(6)
	v_mov_b32_e32 v15, s3
	v_add_co_u32_e32 v14, vcc, s2, v4
	v_addc_co_u32_e32 v15, vcc, v5, v15, vcc
	s_waitcnt lgkmcnt(5)
	global_store_dwordx2 v[14:15], v[12:13], off
	s_or_b64 exec, exec, s[0:1]
	s_and_saveexec_b64 s[0:1], s[6:7]
	s_cbranch_execz .LBB96_111
.LBB96_127:
	s_waitcnt lgkmcnt(5)
	v_mov_b32_e32 v12, 0x1800
	v_mad_u64_u32 v[12:13], s[2:3], s20, v12, v[4:5]
	s_mul_i32 s2, s21, 0x1800
	v_add_u32_e32 v13, s2, v13
	s_waitcnt lgkmcnt(4)
	global_store_dwordx2 v[12:13], v[10:11], off
	s_or_b64 exec, exec, s[0:1]
	s_and_saveexec_b64 s[0:1], s[8:9]
	s_cbranch_execz .LBB96_112
.LBB96_128:
	s_lshl_b64 s[2:3], s[20:21], 13
	s_waitcnt lgkmcnt(4)
	v_mov_b32_e32 v11, s3
	v_add_co_u32_e32 v10, vcc, s2, v4
	v_addc_co_u32_e32 v11, vcc, v5, v11, vcc
	s_waitcnt lgkmcnt(3)
	global_store_dwordx2 v[10:11], v[8:9], off
	s_or_b64 exec, exec, s[0:1]
	s_and_saveexec_b64 s[0:1], s[10:11]
	s_cbranch_execz .LBB96_113
.LBB96_129:
	s_waitcnt lgkmcnt(3)
	v_mov_b32_e32 v8, 0x2800
	v_mad_u64_u32 v[8:9], s[2:3], s20, v8, v[4:5]
	s_mul_i32 s2, s21, 0x2800
	v_add_u32_e32 v9, s2, v9
	s_waitcnt lgkmcnt(2)
	global_store_dwordx2 v[8:9], v[6:7], off
	s_or_b64 exec, exec, s[0:1]
	s_and_saveexec_b64 s[0:1], s[12:13]
	s_cbranch_execz .LBB96_114
.LBB96_130:
	s_waitcnt lgkmcnt(2)
	v_mov_b32_e32 v6, 0x3000
	v_mad_u64_u32 v[6:7], s[2:3], s20, v6, v[4:5]
	s_mul_i32 s2, s21, 0x3000
	v_add_u32_e32 v7, s2, v7
	s_waitcnt lgkmcnt(1)
	global_store_dwordx2 v[6:7], v[2:3], off
	s_or_b64 exec, exec, s[0:1]
	s_and_saveexec_b64 s[0:1], s[14:15]
	s_cbranch_execnz .LBB96_115
	s_branch .LBB96_116
	.section	.rodata,"a",@progbits
	.p2align	6, 0x0
	.amdhsa_kernel _ZN2at6native18radixSortKVInPlaceILin1ELin1ELi256ELi8EhlmEEvNS_4cuda6detail10TensorInfoIT3_T5_EES6_S6_S6_NS4_IT4_S6_EES6_b
		.amdhsa_group_segment_fixed_size 16896
		.amdhsa_private_segment_fixed_size 0
		.amdhsa_kernarg_size 1128
		.amdhsa_user_sgpr_count 6
		.amdhsa_user_sgpr_private_segment_buffer 1
		.amdhsa_user_sgpr_dispatch_ptr 0
		.amdhsa_user_sgpr_queue_ptr 0
		.amdhsa_user_sgpr_kernarg_segment_ptr 1
		.amdhsa_user_sgpr_dispatch_id 0
		.amdhsa_user_sgpr_flat_scratch_init 0
		.amdhsa_user_sgpr_kernarg_preload_length 0
		.amdhsa_user_sgpr_kernarg_preload_offset 0
		.amdhsa_user_sgpr_private_segment_size 0
		.amdhsa_uses_dynamic_stack 0
		.amdhsa_system_sgpr_private_segment_wavefront_offset 0
		.amdhsa_system_sgpr_workgroup_id_x 1
		.amdhsa_system_sgpr_workgroup_id_y 1
		.amdhsa_system_sgpr_workgroup_id_z 1
		.amdhsa_system_sgpr_workgroup_info 0
		.amdhsa_system_vgpr_workitem_id 2
		.amdhsa_next_free_vgpr 103
		.amdhsa_next_free_sgpr 52
		.amdhsa_accum_offset 104
		.amdhsa_reserve_vcc 1
		.amdhsa_reserve_flat_scratch 0
		.amdhsa_float_round_mode_32 0
		.amdhsa_float_round_mode_16_64 0
		.amdhsa_float_denorm_mode_32 3
		.amdhsa_float_denorm_mode_16_64 3
		.amdhsa_dx10_clamp 1
		.amdhsa_ieee_mode 1
		.amdhsa_fp16_overflow 0
		.amdhsa_tg_split 0
		.amdhsa_exception_fp_ieee_invalid_op 0
		.amdhsa_exception_fp_denorm_src 0
		.amdhsa_exception_fp_ieee_div_zero 0
		.amdhsa_exception_fp_ieee_overflow 0
		.amdhsa_exception_fp_ieee_underflow 0
		.amdhsa_exception_fp_ieee_inexact 0
		.amdhsa_exception_int_div_zero 0
	.end_amdhsa_kernel
	.section	.text._ZN2at6native18radixSortKVInPlaceILin1ELin1ELi256ELi8EhlmEEvNS_4cuda6detail10TensorInfoIT3_T5_EES6_S6_S6_NS4_IT4_S6_EES6_b,"axG",@progbits,_ZN2at6native18radixSortKVInPlaceILin1ELin1ELi256ELi8EhlmEEvNS_4cuda6detail10TensorInfoIT3_T5_EES6_S6_S6_NS4_IT4_S6_EES6_b,comdat
.Lfunc_end96:
	.size	_ZN2at6native18radixSortKVInPlaceILin1ELin1ELi256ELi8EhlmEEvNS_4cuda6detail10TensorInfoIT3_T5_EES6_S6_S6_NS4_IT4_S6_EES6_b, .Lfunc_end96-_ZN2at6native18radixSortKVInPlaceILin1ELin1ELi256ELi8EhlmEEvNS_4cuda6detail10TensorInfoIT3_T5_EES6_S6_S6_NS4_IT4_S6_EES6_b
                                        ; -- End function
	.section	.AMDGPU.csdata,"",@progbits
; Kernel info:
; codeLenInByte = 13572
; NumSgprs: 56
; NumVgprs: 103
; NumAgprs: 0
; TotalNumVgprs: 103
; ScratchSize: 0
; MemoryBound: 0
; FloatMode: 240
; IeeeMode: 1
; LDSByteSize: 16896 bytes/workgroup (compile time only)
; SGPRBlocks: 6
; VGPRBlocks: 12
; NumSGPRsForWavesPerEU: 56
; NumVGPRsForWavesPerEU: 103
; AccumOffset: 104
; Occupancy: 3
; WaveLimiterHint : 1
; COMPUTE_PGM_RSRC2:SCRATCH_EN: 0
; COMPUTE_PGM_RSRC2:USER_SGPR: 6
; COMPUTE_PGM_RSRC2:TRAP_HANDLER: 0
; COMPUTE_PGM_RSRC2:TGID_X_EN: 1
; COMPUTE_PGM_RSRC2:TGID_Y_EN: 1
; COMPUTE_PGM_RSRC2:TGID_Z_EN: 1
; COMPUTE_PGM_RSRC2:TIDIG_COMP_CNT: 2
; COMPUTE_PGM_RSRC3_GFX90A:ACCUM_OFFSET: 25
; COMPUTE_PGM_RSRC3_GFX90A:TG_SPLIT: 0
	.section	.text._ZN2at6native18radixSortKVInPlaceILin1ELin1ELi128ELi8EhlmEEvNS_4cuda6detail10TensorInfoIT3_T5_EES6_S6_S6_NS4_IT4_S6_EES6_b,"axG",@progbits,_ZN2at6native18radixSortKVInPlaceILin1ELin1ELi128ELi8EhlmEEvNS_4cuda6detail10TensorInfoIT3_T5_EES6_S6_S6_NS4_IT4_S6_EES6_b,comdat
	.protected	_ZN2at6native18radixSortKVInPlaceILin1ELin1ELi128ELi8EhlmEEvNS_4cuda6detail10TensorInfoIT3_T5_EES6_S6_S6_NS4_IT4_S6_EES6_b ; -- Begin function _ZN2at6native18radixSortKVInPlaceILin1ELin1ELi128ELi8EhlmEEvNS_4cuda6detail10TensorInfoIT3_T5_EES6_S6_S6_NS4_IT4_S6_EES6_b
	.globl	_ZN2at6native18radixSortKVInPlaceILin1ELin1ELi128ELi8EhlmEEvNS_4cuda6detail10TensorInfoIT3_T5_EES6_S6_S6_NS4_IT4_S6_EES6_b
	.p2align	8
	.type	_ZN2at6native18radixSortKVInPlaceILin1ELin1ELi128ELi8EhlmEEvNS_4cuda6detail10TensorInfoIT3_T5_EES6_S6_S6_NS4_IT4_S6_EES6_b,@function
_ZN2at6native18radixSortKVInPlaceILin1ELin1ELi128ELi8EhlmEEvNS_4cuda6detail10TensorInfoIT3_T5_EES6_S6_S6_NS4_IT4_S6_EES6_b: ; @_ZN2at6native18radixSortKVInPlaceILin1ELin1ELi128ELi8EhlmEEvNS_4cuda6detail10TensorInfoIT3_T5_EES6_S6_S6_NS4_IT4_S6_EES6_b
; %bb.0:
	s_load_dwordx4 s[12:15], s[4:5], 0x1a0
	s_load_dwordx2 s[0:1], s[4:5], 0x368
	s_add_u32 s24, s4, 0x368
	s_addc_u32 s25, s5, 0
	s_waitcnt lgkmcnt(0)
	v_mov_b32_e32 v2, s12
	s_mul_i32 s1, s1, s8
	s_add_i32 s1, s1, s7
	s_mul_i32 s0, s1, s0
	v_mov_b32_e32 v3, s13
	s_add_i32 s6, s0, s6
	s_mov_b32 s7, 0
	v_cmp_ge_u64_e32 vcc, s[6:7], v[2:3]
	s_cbranch_vccnz .LBB97_116
; %bb.1:
	s_load_dword s0, s[4:5], 0x198
	s_load_dwordx2 s[18:19], s[4:5], 0x1b0
	s_mov_b64 s[2:3], 0
	s_mov_b64 s[8:9], s[6:7]
	s_waitcnt lgkmcnt(0)
	s_cmp_lt_i32 s0, 2
	s_cbranch_scc1 .LBB97_9
; %bb.2:
	s_mov_b32 s10, 0
	s_add_i32 s15, s0, 1
	s_add_i32 s0, s0, -1
	s_mov_b32 s1, s10
	s_lshl_b64 s[0:1], s[0:1], 3
	s_add_u32 s0, s0, s4
	s_addc_u32 s1, s1, s5
	s_add_u32 s12, s0, 8
	s_addc_u32 s13, s1, 0
	s_mov_b64 s[16:17], s[6:7]
.LBB97_3:                               ; =>This Inner Loop Header: Depth=1
	s_load_dwordx2 s[20:21], s[12:13], 0x0
	s_waitcnt lgkmcnt(0)
	s_or_b64 s[0:1], s[16:17], s[20:21]
	s_mov_b32 s11, s1
	s_cmp_lg_u64 s[10:11], 0
	s_cbranch_scc0 .LBB97_8
; %bb.4:                                ;   in Loop: Header=BB97_3 Depth=1
	v_cvt_f32_u32_e32 v1, s20
	v_cvt_f32_u32_e32 v2, s21
	s_sub_u32 s0, 0, s20
	s_subb_u32 s1, 0, s21
	v_mac_f32_e32 v1, 0x4f800000, v2
	v_rcp_f32_e32 v1, v1
	v_mul_f32_e32 v1, 0x5f7ffffc, v1
	v_mul_f32_e32 v2, 0x2f800000, v1
	v_trunc_f32_e32 v2, v2
	v_mac_f32_e32 v1, 0xcf800000, v2
	v_cvt_u32_f32_e32 v2, v2
	v_cvt_u32_f32_e32 v1, v1
	v_readfirstlane_b32 s8, v2
	v_readfirstlane_b32 s9, v1
	s_mul_i32 s11, s0, s8
	s_mul_hi_u32 s23, s0, s9
	s_mul_i32 s22, s1, s9
	s_add_i32 s11, s23, s11
	s_mul_i32 s26, s0, s9
	s_add_i32 s11, s11, s22
	s_mul_hi_u32 s22, s9, s11
	s_mul_i32 s23, s9, s11
	s_mul_hi_u32 s9, s9, s26
	s_add_u32 s9, s9, s23
	s_addc_u32 s22, 0, s22
	s_mul_hi_u32 s27, s8, s26
	s_mul_i32 s26, s8, s26
	s_add_u32 s9, s9, s26
	s_mul_hi_u32 s23, s8, s11
	s_addc_u32 s9, s22, s27
	s_addc_u32 s22, s23, 0
	s_mul_i32 s11, s8, s11
	s_add_u32 s9, s9, s11
	s_addc_u32 s11, 0, s22
	v_add_co_u32_e32 v1, vcc, s9, v1
	s_cmp_lg_u64 vcc, 0
	s_addc_u32 s8, s8, s11
	v_readfirstlane_b32 s11, v1
	s_mul_i32 s9, s0, s8
	s_mul_hi_u32 s22, s0, s11
	s_add_i32 s9, s22, s9
	s_mul_i32 s1, s1, s11
	s_add_i32 s9, s9, s1
	s_mul_i32 s0, s0, s11
	s_mul_hi_u32 s22, s8, s0
	s_mul_i32 s23, s8, s0
	s_mul_i32 s27, s11, s9
	s_mul_hi_u32 s0, s11, s0
	s_mul_hi_u32 s26, s11, s9
	s_add_u32 s0, s0, s27
	s_addc_u32 s11, 0, s26
	s_add_u32 s0, s0, s23
	s_mul_hi_u32 s1, s8, s9
	s_addc_u32 s0, s11, s22
	s_addc_u32 s1, s1, 0
	s_mul_i32 s9, s8, s9
	s_add_u32 s0, s0, s9
	s_addc_u32 s1, 0, s1
	v_add_co_u32_e32 v1, vcc, s0, v1
	s_cmp_lg_u64 vcc, 0
	s_addc_u32 s0, s8, s1
	v_readfirstlane_b32 s9, v1
	s_mul_i32 s8, s16, s0
	s_mul_hi_u32 s11, s16, s9
	s_mul_hi_u32 s1, s16, s0
	s_add_u32 s8, s11, s8
	s_addc_u32 s1, 0, s1
	s_mul_hi_u32 s22, s17, s9
	s_mul_i32 s9, s17, s9
	s_add_u32 s8, s8, s9
	s_mul_hi_u32 s11, s17, s0
	s_addc_u32 s1, s1, s22
	s_addc_u32 s8, s11, 0
	s_mul_i32 s0, s17, s0
	s_add_u32 s11, s1, s0
	s_addc_u32 s8, 0, s8
	s_mul_i32 s0, s20, s8
	s_mul_hi_u32 s1, s20, s11
	s_add_i32 s0, s1, s0
	s_mul_i32 s1, s21, s11
	s_add_i32 s9, s0, s1
	s_mul_i32 s1, s20, s11
	v_mov_b32_e32 v1, s1
	s_sub_i32 s0, s17, s9
	v_sub_co_u32_e32 v1, vcc, s16, v1
	s_cmp_lg_u64 vcc, 0
	s_subb_u32 s22, s0, s21
	v_subrev_co_u32_e64 v2, s[0:1], s20, v1
	s_cmp_lg_u64 s[0:1], 0
	s_subb_u32 s0, s22, 0
	s_cmp_ge_u32 s0, s21
	v_readfirstlane_b32 s22, v2
	s_cselect_b32 s1, -1, 0
	s_cmp_ge_u32 s22, s20
	s_cselect_b32 s22, -1, 0
	s_cmp_eq_u32 s0, s21
	s_cselect_b32 s0, s22, s1
	s_add_u32 s1, s11, 1
	s_addc_u32 s22, s8, 0
	s_add_u32 s23, s11, 2
	s_addc_u32 s26, s8, 0
	s_cmp_lg_u32 s0, 0
	s_cselect_b32 s0, s23, s1
	s_cselect_b32 s1, s26, s22
	s_cmp_lg_u64 vcc, 0
	s_subb_u32 s9, s17, s9
	s_cmp_ge_u32 s9, s21
	v_readfirstlane_b32 s23, v1
	s_cselect_b32 s22, -1, 0
	s_cmp_ge_u32 s23, s20
	s_cselect_b32 s23, -1, 0
	s_cmp_eq_u32 s9, s21
	s_cselect_b32 s9, s23, s22
	s_cmp_lg_u32 s9, 0
	s_cselect_b32 s9, s1, s8
	s_cselect_b32 s8, s0, s11
	s_cbranch_execnz .LBB97_6
.LBB97_5:                               ;   in Loop: Header=BB97_3 Depth=1
	v_cvt_f32_u32_e32 v1, s20
	s_sub_i32 s0, 0, s20
	v_rcp_iflag_f32_e32 v1, v1
	v_mul_f32_e32 v1, 0x4f7ffffe, v1
	v_cvt_u32_f32_e32 v1, v1
	v_readfirstlane_b32 s1, v1
	s_mul_i32 s0, s0, s1
	s_mul_hi_u32 s0, s1, s0
	s_add_i32 s1, s1, s0
	s_mul_hi_u32 s0, s16, s1
	s_mul_i32 s8, s0, s20
	s_sub_i32 s8, s16, s8
	s_add_i32 s1, s0, 1
	s_sub_i32 s9, s8, s20
	s_cmp_ge_u32 s8, s20
	s_cselect_b32 s0, s1, s0
	s_cselect_b32 s8, s9, s8
	s_add_i32 s1, s0, 1
	s_cmp_ge_u32 s8, s20
	s_cselect_b32 s8, s1, s0
	s_mov_b32 s9, s10
.LBB97_6:                               ;   in Loop: Header=BB97_3 Depth=1
	s_mul_i32 s0, s8, s21
	s_mul_hi_u32 s1, s8, s20
	s_add_i32 s11, s1, s0
	s_load_dwordx2 s[0:1], s[12:13], 0xc8
	s_mul_i32 s21, s9, s20
	s_add_i32 s11, s11, s21
	s_mul_i32 s20, s8, s20
	s_sub_u32 s16, s16, s20
	s_subb_u32 s11, s17, s11
	s_waitcnt lgkmcnt(0)
	s_mul_i32 s11, s0, s11
	s_mul_hi_u32 s17, s0, s16
	s_add_i32 s11, s17, s11
	s_mul_i32 s1, s1, s16
	s_add_i32 s11, s11, s1
	s_mul_i32 s0, s0, s16
	s_add_u32 s2, s0, s2
	s_addc_u32 s3, s11, s3
	s_add_i32 s15, s15, -1
	s_add_u32 s12, s12, -8
	s_addc_u32 s13, s13, -1
	s_cmp_gt_u32 s15, 2
	s_cbranch_scc0 .LBB97_9
; %bb.7:                                ;   in Loop: Header=BB97_3 Depth=1
	s_mov_b64 s[16:17], s[8:9]
	s_branch .LBB97_3
.LBB97_8:                               ;   in Loop: Header=BB97_3 Depth=1
                                        ; implicit-def: $sgpr8_sgpr9
	s_branch .LBB97_5
.LBB97_9:
	s_load_dword s0, s[4:5], 0x350
	s_load_dwordx2 s[10:11], s[4:5], 0xd0
	s_mov_b64 s[20:21], 0
	s_waitcnt lgkmcnt(0)
	s_cmp_lt_i32 s0, 2
	s_cbranch_scc1 .LBB97_17
; %bb.10:
	s_mov_b32 s12, 0
	s_add_i32 s15, s0, 1
	s_add_i32 s0, s0, -1
	s_mov_b32 s1, s12
	s_lshl_b64 s[0:1], s[0:1], 3
	s_add_u32 s0, s0, s4
	s_addc_u32 s1, s1, s5
	s_add_u32 s16, s0, 0x1c0
	s_addc_u32 s17, s1, 0
.LBB97_11:                              ; =>This Inner Loop Header: Depth=1
	s_load_dwordx2 s[22:23], s[16:17], 0x0
	s_waitcnt lgkmcnt(0)
	s_or_b64 s[0:1], s[6:7], s[22:23]
	s_mov_b32 s13, s1
	s_cmp_lg_u64 s[12:13], 0
	s_cbranch_scc0 .LBB97_16
; %bb.12:                               ;   in Loop: Header=BB97_11 Depth=1
	v_cvt_f32_u32_e32 v1, s22
	v_cvt_f32_u32_e32 v2, s23
	s_sub_u32 s0, 0, s22
	s_subb_u32 s1, 0, s23
	v_mac_f32_e32 v1, 0x4f800000, v2
	v_rcp_f32_e32 v1, v1
	v_mul_f32_e32 v1, 0x5f7ffffc, v1
	v_mul_f32_e32 v2, 0x2f800000, v1
	v_trunc_f32_e32 v2, v2
	v_mac_f32_e32 v1, 0xcf800000, v2
	v_cvt_u32_f32_e32 v2, v2
	v_cvt_u32_f32_e32 v1, v1
	v_readfirstlane_b32 s13, v2
	v_readfirstlane_b32 s26, v1
	s_mul_i32 s27, s0, s13
	s_mul_hi_u32 s29, s0, s26
	s_mul_i32 s28, s1, s26
	s_add_i32 s27, s29, s27
	s_mul_i32 s30, s0, s26
	s_add_i32 s27, s27, s28
	s_mul_hi_u32 s28, s26, s27
	s_mul_i32 s29, s26, s27
	s_mul_hi_u32 s26, s26, s30
	s_add_u32 s26, s26, s29
	s_addc_u32 s28, 0, s28
	s_mul_hi_u32 s31, s13, s30
	s_mul_i32 s30, s13, s30
	s_add_u32 s26, s26, s30
	s_mul_hi_u32 s29, s13, s27
	s_addc_u32 s26, s28, s31
	s_addc_u32 s28, s29, 0
	s_mul_i32 s27, s13, s27
	s_add_u32 s26, s26, s27
	s_addc_u32 s27, 0, s28
	v_add_co_u32_e32 v1, vcc, s26, v1
	s_cmp_lg_u64 vcc, 0
	s_addc_u32 s13, s13, s27
	v_readfirstlane_b32 s27, v1
	s_mul_i32 s26, s0, s13
	s_mul_hi_u32 s28, s0, s27
	s_add_i32 s26, s28, s26
	s_mul_i32 s1, s1, s27
	s_add_i32 s26, s26, s1
	s_mul_i32 s0, s0, s27
	s_mul_hi_u32 s28, s13, s0
	s_mul_i32 s29, s13, s0
	s_mul_i32 s31, s27, s26
	s_mul_hi_u32 s0, s27, s0
	s_mul_hi_u32 s30, s27, s26
	s_add_u32 s0, s0, s31
	s_addc_u32 s27, 0, s30
	s_add_u32 s0, s0, s29
	s_mul_hi_u32 s1, s13, s26
	s_addc_u32 s0, s27, s28
	s_addc_u32 s1, s1, 0
	s_mul_i32 s26, s13, s26
	s_add_u32 s0, s0, s26
	s_addc_u32 s1, 0, s1
	v_add_co_u32_e32 v1, vcc, s0, v1
	s_cmp_lg_u64 vcc, 0
	s_addc_u32 s0, s13, s1
	v_readfirstlane_b32 s26, v1
	s_mul_i32 s13, s6, s0
	s_mul_hi_u32 s27, s6, s26
	s_mul_hi_u32 s1, s6, s0
	s_add_u32 s13, s27, s13
	s_addc_u32 s1, 0, s1
	s_mul_hi_u32 s28, s7, s26
	s_mul_i32 s26, s7, s26
	s_add_u32 s13, s13, s26
	s_mul_hi_u32 s27, s7, s0
	s_addc_u32 s1, s1, s28
	s_addc_u32 s13, s27, 0
	s_mul_i32 s0, s7, s0
	s_add_u32 s26, s1, s0
	s_addc_u32 s13, 0, s13
	s_mul_i32 s0, s22, s13
	s_mul_hi_u32 s1, s22, s26
	s_add_i32 s0, s1, s0
	s_mul_i32 s1, s23, s26
	s_add_i32 s27, s0, s1
	s_mul_i32 s1, s22, s26
	v_mov_b32_e32 v1, s1
	s_sub_i32 s0, s7, s27
	v_sub_co_u32_e32 v1, vcc, s6, v1
	s_cmp_lg_u64 vcc, 0
	s_subb_u32 s28, s0, s23
	v_subrev_co_u32_e64 v2, s[0:1], s22, v1
	s_cmp_lg_u64 s[0:1], 0
	s_subb_u32 s0, s28, 0
	s_cmp_ge_u32 s0, s23
	v_readfirstlane_b32 s28, v2
	s_cselect_b32 s1, -1, 0
	s_cmp_ge_u32 s28, s22
	s_cselect_b32 s28, -1, 0
	s_cmp_eq_u32 s0, s23
	s_cselect_b32 s0, s28, s1
	s_add_u32 s1, s26, 1
	s_addc_u32 s28, s13, 0
	s_add_u32 s29, s26, 2
	s_addc_u32 s30, s13, 0
	s_cmp_lg_u32 s0, 0
	s_cselect_b32 s0, s29, s1
	s_cselect_b32 s1, s30, s28
	s_cmp_lg_u64 vcc, 0
	s_subb_u32 s27, s7, s27
	s_cmp_ge_u32 s27, s23
	v_readfirstlane_b32 s29, v1
	s_cselect_b32 s28, -1, 0
	s_cmp_ge_u32 s29, s22
	s_cselect_b32 s29, -1, 0
	s_cmp_eq_u32 s27, s23
	s_cselect_b32 s27, s29, s28
	s_cmp_lg_u32 s27, 0
	s_cselect_b32 s29, s1, s13
	s_cselect_b32 s28, s0, s26
	s_cbranch_execnz .LBB97_14
.LBB97_13:                              ;   in Loop: Header=BB97_11 Depth=1
	v_cvt_f32_u32_e32 v1, s22
	s_sub_i32 s0, 0, s22
	s_mov_b32 s29, s12
	v_rcp_iflag_f32_e32 v1, v1
	v_mul_f32_e32 v1, 0x4f7ffffe, v1
	v_cvt_u32_f32_e32 v1, v1
	v_readfirstlane_b32 s1, v1
	s_mul_i32 s0, s0, s1
	s_mul_hi_u32 s0, s1, s0
	s_add_i32 s1, s1, s0
	s_mul_hi_u32 s0, s6, s1
	s_mul_i32 s13, s0, s22
	s_sub_i32 s13, s6, s13
	s_add_i32 s1, s0, 1
	s_sub_i32 s26, s13, s22
	s_cmp_ge_u32 s13, s22
	s_cselect_b32 s0, s1, s0
	s_cselect_b32 s13, s26, s13
	s_add_i32 s1, s0, 1
	s_cmp_ge_u32 s13, s22
	s_cselect_b32 s28, s1, s0
.LBB97_14:                              ;   in Loop: Header=BB97_11 Depth=1
	s_mul_i32 s0, s28, s23
	s_mul_hi_u32 s1, s28, s22
	s_add_i32 s13, s1, s0
	s_load_dwordx2 s[0:1], s[16:17], 0xc8
	s_mul_i32 s23, s29, s22
	s_add_i32 s13, s13, s23
	s_mul_i32 s22, s28, s22
	s_sub_u32 s6, s6, s22
	s_subb_u32 s7, s7, s13
	s_waitcnt lgkmcnt(0)
	s_mul_i32 s7, s0, s7
	s_mul_hi_u32 s13, s0, s6
	s_add_i32 s7, s13, s7
	s_mul_i32 s1, s1, s6
	s_add_i32 s7, s7, s1
	s_mul_i32 s0, s0, s6
	s_add_u32 s20, s0, s20
	s_addc_u32 s21, s7, s21
	s_add_i32 s15, s15, -1
	s_add_u32 s16, s16, -8
	s_addc_u32 s17, s17, -1
	s_cmp_gt_u32 s15, 2
	s_cbranch_scc0 .LBB97_18
; %bb.15:                               ;   in Loop: Header=BB97_11 Depth=1
	s_mov_b64 s[6:7], s[28:29]
	s_branch .LBB97_11
.LBB97_16:                              ;   in Loop: Header=BB97_11 Depth=1
                                        ; implicit-def: $sgpr28_sgpr29
	s_branch .LBB97_13
.LBB97_17:
	s_mov_b64 s[28:29], s[6:7]
.LBB97_18:
	s_mul_i32 s0, s10, s9
	s_mul_hi_u32 s1, s10, s8
	s_load_dword s7, s[4:5], 0x360
	s_add_i32 s6, s1, s0
	s_load_dwordx2 s[0:1], s[4:5], 0x0
	s_mul_i32 s9, s11, s8
	s_add_i32 s9, s6, s9
	s_mul_i32 s8, s10, s8
	s_waitcnt lgkmcnt(0)
	s_bitcmp1_b32 s7, 0
	s_cselect_b64 s[6:7], -1, 0
	s_add_u32 s0, s0, s8
	s_addc_u32 s1, s1, s9
	s_add_u32 s22, s0, s2
	s_addc_u32 s23, s1, s3
	s_xor_b64 s[26:27], s[6:7], -1
	v_cndmask_b32_e64 v4, 0, -1, s[26:27]
	v_lshlrev_b16_e32 v1, 8, v4
	v_or_b32_sdwa v1, v4, v1 dst_sel:DWORD dst_unused:UNUSED_PAD src0_sel:BYTE_0 src1_sel:DWORD
	v_lshlrev_b32_e32 v2, 16, v1
	v_and_b32_e32 v34, 0x3ff, v0
	v_or_b32_sdwa v2, v1, v2 dst_sel:DWORD dst_unused:UNUSED_PAD src0_sel:WORD_0 src1_sel:DWORD
	v_mov_b32_e32 v3, v2
	v_cmp_gt_u32_e64 s[0:1], s14, v34
	s_and_saveexec_b64 s[2:3], s[0:1]
	s_cbranch_execz .LBB97_20
; %bb.19:
	v_pk_mov_b32 v[4:5], s[22:23], s[22:23] op_sel:[0,1]
	v_mad_u64_u32 v[4:5], s[6:7], v34, s18, v[4:5]
	v_mov_b32_e32 v6, v5
	v_mad_u64_u32 v[6:7], s[6:7], v34, s19, v[6:7]
	v_mov_b32_e32 v5, v6
	global_load_ubyte v4, v[4:5], off
	s_mov_b32 s6, 0x3020104
	v_mov_b32_e32 v7, v2
	s_waitcnt vmcnt(0)
	v_perm_b32 v6, v4, v2, s6
	v_pk_mov_b32 v[2:3], v[6:7], v[6:7] op_sel:[0,1]
.LBB97_20:
	s_or_b64 exec, exec, s[2:3]
	v_add_u32_e32 v26, 0x80, v34
	v_cmp_gt_u32_e64 s[2:3], s14, v26
	s_and_saveexec_b64 s[6:7], s[2:3]
	s_cbranch_execz .LBB97_22
; %bb.21:
	v_pk_mov_b32 v[6:7], s[22:23], s[22:23] op_sel:[0,1]
	v_mad_u64_u32 v[6:7], s[8:9], v26, s18, v[6:7]
	v_mov_b32_e32 v8, v7
	v_mad_u64_u32 v[8:9], s[8:9], v26, s19, v[8:9]
	v_mov_b32_e32 v7, v8
	global_load_ubyte v1, v[6:7], off
	s_mov_b32 s8, 0x7060004
	s_waitcnt vmcnt(0)
	v_perm_b32 v2, v2, v1, s8
.LBB97_22:
	s_or_b64 exec, exec, s[6:7]
	v_add_u32_e32 v20, 0x100, v34
	v_cmp_gt_u32_e64 s[16:17], s14, v20
	s_and_saveexec_b64 s[6:7], s[16:17]
	s_cbranch_execz .LBB97_24
; %bb.23:
	v_pk_mov_b32 v[6:7], s[22:23], s[22:23] op_sel:[0,1]
	v_mad_u64_u32 v[6:7], s[8:9], v20, s18, v[6:7]
	v_mov_b32_e32 v8, v7
	v_mad_u64_u32 v[8:9], s[8:9], v20, s19, v[8:9]
	v_mov_b32_e32 v7, v8
	global_load_ubyte v1, v[6:7], off
	s_movk_i32 s8, 0xff00
	v_and_b32_sdwa v5, v2, s8 dst_sel:DWORD dst_unused:UNUSED_PAD src0_sel:WORD_1 src1_sel:DWORD
	s_mov_b32 s8, 0xffff
	s_waitcnt vmcnt(0)
	v_or_b32_sdwa v1, v1, v5 dst_sel:WORD_1 dst_unused:UNUSED_PAD src0_sel:DWORD src1_sel:DWORD
	v_and_or_b32 v2, v2, s8, v1
.LBB97_24:
	s_or_b64 exec, exec, s[6:7]
	v_add_u32_e32 v21, 0x180, v34
	v_cmp_gt_u32_e64 s[6:7], s14, v21
	s_and_saveexec_b64 s[8:9], s[6:7]
	s_cbranch_execz .LBB97_26
; %bb.25:
	v_pk_mov_b32 v[6:7], s[22:23], s[22:23] op_sel:[0,1]
	v_mad_u64_u32 v[6:7], s[10:11], v21, s18, v[6:7]
	v_mov_b32_e32 v8, v7
	v_mad_u64_u32 v[8:9], s[10:11], v21, s19, v[8:9]
	v_mov_b32_e32 v7, v8
	global_load_ubyte v1, v[6:7], off
	s_movk_i32 s10, 0xff
	v_and_b32_sdwa v5, v2, s10 dst_sel:DWORD dst_unused:UNUSED_PAD src0_sel:WORD_1 src1_sel:DWORD
	s_mov_b32 s10, 0xffff
	s_waitcnt vmcnt(0)
	v_lshlrev_b16_e32 v1, 8, v1
	v_or_b32_sdwa v1, v5, v1 dst_sel:WORD_1 dst_unused:UNUSED_PAD src0_sel:DWORD src1_sel:DWORD
	v_and_or_b32 v2, v2, s10, v1
.LBB97_26:
	s_or_b64 exec, exec, s[8:9]
	v_add_u32_e32 v22, 0x200, v34
	v_cmp_gt_u32_e64 s[8:9], s14, v22
	s_and_saveexec_b64 s[10:11], s[8:9]
	s_cbranch_execz .LBB97_28
; %bb.27:
	v_pk_mov_b32 v[6:7], s[22:23], s[22:23] op_sel:[0,1]
	v_mad_u64_u32 v[6:7], s[12:13], v22, s18, v[6:7]
	v_mov_b32_e32 v8, v7
	v_mad_u64_u32 v[8:9], s[12:13], v22, s19, v[8:9]
	v_mov_b32_e32 v7, v8
	global_load_ubyte v1, v[6:7], off
	s_mov_b32 s12, 0x3020104
	s_waitcnt vmcnt(0)
	v_perm_b32 v3, v1, v3, s12
.LBB97_28:
	s_or_b64 exec, exec, s[10:11]
	v_add_u32_e32 v19, 0x280, v34
	v_cmp_gt_u32_e64 s[10:11], s14, v19
	s_and_saveexec_b64 s[12:13], s[10:11]
	s_cbranch_execz .LBB97_30
; %bb.29:
	v_pk_mov_b32 v[6:7], s[22:23], s[22:23] op_sel:[0,1]
	v_mad_u64_u32 v[6:7], s[30:31], v19, s18, v[6:7]
	v_mov_b32_e32 v8, v7
	v_mad_u64_u32 v[8:9], s[30:31], v19, s19, v[8:9]
	v_mov_b32_e32 v7, v8
	global_load_ubyte v1, v[6:7], off
	s_mov_b32 s15, 0x7060004
	s_waitcnt vmcnt(0)
	v_perm_b32 v3, v3, v1, s15
.LBB97_30:
	s_or_b64 exec, exec, s[12:13]
	s_load_dwordx2 s[34:35], s[4:5], 0x288
	s_load_dwordx2 s[30:31], s[4:5], 0x1b8
	v_add_u32_e32 v18, 0x300, v34
	v_cmp_gt_u32_e64 s[12:13], s14, v18
	s_and_saveexec_b64 s[36:37], s[12:13]
	s_cbranch_execz .LBB97_32
; %bb.31:
	v_pk_mov_b32 v[6:7], s[22:23], s[22:23] op_sel:[0,1]
	v_mad_u64_u32 v[6:7], s[38:39], v18, s18, v[6:7]
	v_mov_b32_e32 v8, v7
	v_mad_u64_u32 v[8:9], s[38:39], v18, s19, v[8:9]
	v_mov_b32_e32 v7, v8
	global_load_ubyte v1, v[6:7], off
	s_mov_b32 s15, 0x7000504
	s_waitcnt vmcnt(0)
	v_perm_b32 v3, v3, v1, s15
.LBB97_32:
	s_or_b64 exec, exec, s[36:37]
	v_add_u32_e32 v1, 0x380, v34
	v_cmp_gt_u32_e64 s[14:15], s14, v1
	s_and_saveexec_b64 s[36:37], s[14:15]
	s_cbranch_execz .LBB97_34
; %bb.33:
	v_pk_mov_b32 v[6:7], s[22:23], s[22:23] op_sel:[0,1]
	v_mad_u64_u32 v[6:7], s[38:39], v1, s18, v[6:7]
	v_mov_b32_e32 v8, v7
	v_mad_u64_u32 v[8:9], s[38:39], v1, s19, v[8:9]
	v_mov_b32_e32 v7, v8
	global_load_ubyte v5, v[6:7], off
	s_mov_b32 s33, 0x60504
	s_waitcnt vmcnt(0)
	v_perm_b32 v3, v3, v5, s33
.LBB97_34:
	s_or_b64 exec, exec, s[36:37]
	v_lshrrev_b32_e32 v32, 5, v34
	v_and_b32_e32 v5, 28, v32
	v_add_u32_e32 v35, v5, v34
	v_lshrrev_b32_e32 v31, 5, v26
	ds_write_b8 v35, v4
	v_and_b32_e32 v4, 60, v31
	v_lshrrev_b32_e32 v30, 5, v20
	v_add_u32_e32 v42, v4, v34
	v_and_b32_e32 v4, 60, v30
	v_lshrrev_b32_e32 v29, 5, v21
	v_lshrrev_b32_e32 v5, 8, v2
	v_add_u32_e32 v43, v4, v34
	v_and_b32_e32 v4, 60, v29
	s_waitcnt lgkmcnt(0)
	s_mul_i32 s29, s34, s29
	s_mul_hi_u32 s33, s34, s28
	ds_write_b8 v42, v5 offset:128
	ds_write_b8_d16_hi v43, v2 offset:256
	v_lshrrev_b32_e32 v2, 24, v2
	v_add_u32_e32 v44, v4, v34
	v_lshrrev_b32_e32 v28, 5, v22
	s_add_i32 s29, s33, s29
	s_mul_i32 s33, s35, s28
	ds_write_b8 v44, v2 offset:384
	v_and_b32_e32 v2, 60, v28
	v_lshrrev_b32_e32 v25, 5, v19
	s_add_i32 s29, s29, s33
	s_mul_i32 s28, s34, s28
	v_add_u32_e32 v45, v2, v34
	v_and_b32_e32 v2, 60, v25
	v_lshrrev_b32_e32 v24, 5, v18
	s_lshl_b64 s[28:29], s[28:29], 3
	v_add_u32_e32 v46, v2, v34
	v_and_b32_e32 v2, 60, v24
	v_lshrrev_b32_e32 v23, 5, v1
	s_add_u32 s28, s30, s28
	v_add_u32_e32 v47, v2, v34
	v_and_b32_e32 v2, 60, v23
	v_lshrrev_b32_e32 v27, 2, v34
	s_addc_u32 s29, s31, s29
	s_lshl_b64 s[20:21], s[20:21], 3
	v_lshrrev_b32_e32 v4, 8, v3
	v_add_u32_e32 v48, v2, v34
	v_lshlrev_b32_e32 v50, 3, v34
	v_and_b32_e32 v2, 0xfc, v27
	s_add_u32 s28, s28, s20
	ds_write_b8 v45, v3 offset:512
	ds_write_b8 v46, v4 offset:640
	ds_write_b8_d16_hi v47, v3 offset:768
	v_lshrrev_b32_e32 v3, 24, v3
	v_add_u32_e32 v49, v2, v50
	s_addc_u32 s29, s29, s21
	s_load_dwordx2 s[20:21], s[4:5], 0x358
	ds_write_b8 v48, v3 offset:896
	s_waitcnt lgkmcnt(0)
	s_barrier
	ds_read_b64 v[36:37], v49
	s_mov_b32 s36, 0
	s_mov_b32 s37, s36
	;; [unrolled: 1-line block ×16, first 2 shown]
	v_pk_mov_b32 v[2:3], s[36:37], s[36:37] op_sel:[0,1]
	v_pk_mov_b32 v[4:5], s[38:39], s[38:39] op_sel:[0,1]
	;; [unrolled: 1-line block ×8, first 2 shown]
	v_pk_mov_b32 v[2:3], 0, 0
	s_waitcnt lgkmcnt(0)
	s_barrier
	s_and_saveexec_b64 s[4:5], s[0:1]
	s_cbranch_execnz .LBB97_67
; %bb.35:
	s_or_b64 exec, exec, s[4:5]
	s_and_saveexec_b64 s[4:5], s[2:3]
	s_cbranch_execnz .LBB97_68
.LBB97_36:
	s_or_b64 exec, exec, s[4:5]
	s_and_saveexec_b64 s[4:5], s[16:17]
	s_cbranch_execnz .LBB97_69
.LBB97_37:
	s_or_b64 exec, exec, s[4:5]
	s_and_saveexec_b64 s[4:5], s[6:7]
	s_cbranch_execnz .LBB97_70
.LBB97_38:
	s_or_b64 exec, exec, s[4:5]
	s_and_saveexec_b64 s[4:5], s[8:9]
	s_cbranch_execnz .LBB97_71
.LBB97_39:
	s_or_b64 exec, exec, s[4:5]
	s_and_saveexec_b64 s[4:5], s[10:11]
	s_cbranch_execnz .LBB97_72
.LBB97_40:
	s_or_b64 exec, exec, s[4:5]
	s_and_saveexec_b64 s[4:5], s[12:13]
	s_cbranch_execnz .LBB97_73
.LBB97_41:
	s_or_b64 exec, exec, s[4:5]
	s_and_saveexec_b64 s[4:5], s[14:15]
	s_cbranch_execz .LBB97_43
.LBB97_42:
	v_mad_u64_u32 v[16:17], s[30:31], v1, s20, 0
	v_mov_b32_e32 v18, v17
	v_mad_u64_u32 v[18:19], s[30:31], v1, s21, v[18:19]
	v_mov_b32_e32 v17, v18
	v_lshlrev_b64 v[16:17], 3, v[16:17]
	v_mov_b32_e32 v1, s29
	v_add_co_u32_e32 v16, vcc, s28, v16
	v_addc_co_u32_e32 v17, vcc, v1, v17, vcc
	global_load_dwordx2 v[16:17], v[16:17], off
.LBB97_43:
	s_or_b64 exec, exec, s[4:5]
	v_lshrrev_b64 v[38:39], 24, v[36:37]
	v_add_lshl_u32 v39, v32, v34, 3
	v_add_lshl_u32 v51, v31, v34, 3
	;; [unrolled: 1-line block ×9, first 2 shown]
	s_waitcnt vmcnt(0)
	ds_write_b64 v39, v[2:3]
	ds_write_b64 v51, v[4:5] offset:1024
	ds_write_b64 v52, v[6:7] offset:2048
	;; [unrolled: 1-line block ×7, first 2 shown]
	s_waitcnt lgkmcnt(0)
	s_barrier
	ds_read2_b64 v[14:17], v58 offset1:1
	ds_read2_b64 v[10:13], v58 offset0:2 offset1:3
	ds_read2_b64 v[6:9], v58 offset0:4 offset1:5
	;; [unrolled: 1-line block ×3, first 2 shown]
	v_lshrrev_b32_e32 v62, 8, v36
	v_lshrrev_b32_e32 v63, 8, v37
	s_and_b64 vcc, exec, s[26:27]
	v_bfe_u32 v60, v0, 10, 10
	v_bfe_u32 v61, v0, 20, 10
	v_mbcnt_lo_u32_b32 v64, -1, 0
	v_lshlrev_b32_e32 v59, 4, v34
	s_waitcnt lgkmcnt(0)
	s_barrier
	s_cbranch_vccz .LBB97_74
; %bb.44:
	s_movk_i32 s4, 0xff
	v_mov_b32_e32 v1, 8
	v_lshlrev_b16_e32 v0, 8, v63
	v_lshlrev_b16_sdwa v1, v1, v37 dst_sel:DWORD dst_unused:UNUSED_PAD src0_sel:DWORD src1_sel:BYTE_3
	v_and_b32_sdwa v20, v37, s4 dst_sel:DWORD dst_unused:UNUSED_PAD src0_sel:WORD_1 src1_sel:DWORD
	v_or_b32_sdwa v0, v37, v0 dst_sel:DWORD dst_unused:UNUSED_PAD src0_sel:BYTE_0 src1_sel:DWORD
	v_or_b32_sdwa v1, v20, v1 dst_sel:WORD_1 dst_unused:UNUSED_PAD src0_sel:DWORD src1_sel:DWORD
	v_mbcnt_hi_u32_b32 v73, -1, v64
	v_and_b32_e32 v74, 0x3c0, v34
	v_or_b32_sdwa v1, v0, v1 dst_sel:DWORD dst_unused:UNUSED_PAD src0_sel:WORD_0 src1_sel:DWORD
	v_lshlrev_b16_e32 v0, 8, v62
	v_lshlrev_b16_e32 v20, 8, v38
	v_and_b32_sdwa v21, v36, s4 dst_sel:DWORD dst_unused:UNUSED_PAD src0_sel:WORD_1 src1_sel:DWORD
	v_add_u32_e32 v18, v73, v74
	v_or_b32_sdwa v0, v36, v0 dst_sel:DWORD dst_unused:UNUSED_PAD src0_sel:BYTE_0 src1_sel:DWORD
	v_or_b32_sdwa v20, v21, v20 dst_sel:WORD_1 dst_unused:UNUSED_PAD src0_sel:DWORD src1_sel:DWORD
	v_lshlrev_b32_e32 v19, 3, v18
	v_or_b32_sdwa v0, v0, v20 dst_sel:DWORD dst_unused:UNUSED_PAD src0_sel:WORD_0 src1_sel:DWORD
	s_movk_i32 s4, 0x1e00
	ds_write_b64 v19, v[0:1]
	v_and_or_b32 v0, v50, s4, v73
	; wave barrier
	ds_read_u8 v65, v0
	ds_read_u8 v66, v0 offset:64
	ds_read_u8 v67, v0 offset:128
	;; [unrolled: 1-line block ×7, first 2 shown]
	v_lshlrev_b32_e32 v1, 6, v18
	v_lshlrev_b32_e32 v0, 3, v0
	s_getpc_b64 s[4:5]
	s_add_u32 s4, s4, _ZN7rocprim17ROCPRIM_400000_NS16block_radix_sortIhLj128ELj8ElLj1ELj1ELj0ELNS0_26block_radix_rank_algorithmE1ELNS0_18block_padding_hintE2ELNS0_4arch9wavefront6targetE1EE19radix_bits_per_passE@rel32@lo+4
	s_addc_u32 s5, s5, _ZN7rocprim17ROCPRIM_400000_NS16block_radix_sortIhLj128ELj8ElLj1ELj1ELj0ELNS0_26block_radix_rank_algorithmE1ELNS0_18block_padding_hintE2ELNS0_4arch9wavefront6targetE1EE19radix_bits_per_passE@rel32@hi+12
	s_waitcnt lgkmcnt(0)
	s_barrier
	ds_write2_b64 v1, v[14:15], v[16:17] offset1:1
	ds_write2_b64 v1, v[10:11], v[12:13] offset0:2 offset1:3
	ds_write2_b64 v1, v[6:7], v[8:9] offset0:4 offset1:5
	;; [unrolled: 1-line block ×3, first 2 shown]
	; wave barrier
	ds_read2st64_b64 v[30:33], v0 offset1:1
	ds_read2st64_b64 v[26:29], v0 offset0:2 offset1:3
	ds_read2st64_b64 v[22:25], v0 offset0:4 offset1:5
	;; [unrolled: 1-line block ×3, first 2 shown]
	s_waitcnt lgkmcnt(0)
	s_barrier
	s_load_dword s26, s[4:5], 0x0
	s_load_dword s27, s[24:25], 0xc
	v_mov_b32_e32 v77, 1
	v_mov_b32_e32 v0, 0
	ds_write2_b32 v59, v0, v0 offset0:2 offset1:3
	ds_write2_b32 v59, v0, v0 offset0:4 offset1:5
	s_waitcnt lgkmcnt(0)
	s_min_u32 s26, s26, 8
	s_lshr_b32 s4, s27, 16
	s_and_b32 s5, s27, 0xffff
	v_mad_u32_u24 v1, v61, s4, v60
	v_mad_u64_u32 v[40:41], s[4:5], v1, s5, v[34:35]
	s_lshl_b32 s4, -1, s26
	s_not_b32 s26, s4
	v_lshrrev_b32_e32 v80, 6, v40
	v_and_b32_e32 v40, s26, v65
	v_lshlrev_b32_sdwa v1, v77, v40 dst_sel:DWORD dst_unused:UNUSED_PAD src0_sel:DWORD src1_sel:BYTE_0
	v_add_lshl_u32 v75, v80, v1, 2
	v_and_b32_e32 v1, 1, v40
	v_add_co_u32_e32 v41, vcc, -1, v1
	v_addc_co_u32_e64 v76, s[4:5], 0, -1, vcc
	v_cmp_ne_u32_e32 vcc, 0, v1
	v_xor_b32_e32 v1, vcc_hi, v76
	v_and_b32_e32 v76, exec_hi, v1
	v_lshlrev_b32_e32 v1, 30, v40
	v_xor_b32_e32 v41, vcc_lo, v41
	v_cmp_gt_i64_e32 vcc, 0, v[0:1]
	v_not_b32_e32 v1, v1
	v_ashrrev_i32_e32 v1, 31, v1
	v_and_b32_e32 v41, exec_lo, v41
	v_xor_b32_e32 v78, vcc_hi, v1
	v_xor_b32_e32 v1, vcc_lo, v1
	v_and_b32_e32 v41, v41, v1
	v_lshlrev_b32_e32 v1, 29, v40
	v_cmp_gt_i64_e32 vcc, 0, v[0:1]
	v_not_b32_e32 v1, v1
	v_ashrrev_i32_e32 v1, 31, v1
	v_and_b32_e32 v76, v76, v78
	v_xor_b32_e32 v78, vcc_hi, v1
	v_xor_b32_e32 v1, vcc_lo, v1
	v_and_b32_e32 v41, v41, v1
	v_lshlrev_b32_e32 v1, 28, v40
	v_cmp_gt_i64_e32 vcc, 0, v[0:1]
	v_not_b32_e32 v1, v1
	v_ashrrev_i32_e32 v1, 31, v1
	v_and_b32_e32 v76, v76, v78
	;; [unrolled: 8-line block ×5, first 2 shown]
	v_xor_b32_e32 v78, vcc_hi, v1
	v_xor_b32_e32 v1, vcc_lo, v1
	v_and_b32_e32 v76, v76, v78
	v_and_b32_e32 v78, v41, v1
	v_lshlrev_b32_e32 v1, 24, v40
	v_cmp_gt_i64_e32 vcc, 0, v[0:1]
	v_not_b32_e32 v1, v1
	v_ashrrev_i32_e32 v1, 31, v1
	v_xor_b32_e32 v40, vcc_hi, v1
	v_xor_b32_e32 v1, vcc_lo, v1
	v_and_b32_e32 v41, v76, v40
	v_and_b32_e32 v40, v78, v1
	v_mbcnt_lo_u32_b32 v1, v40, 0
	v_mbcnt_hi_u32_b32 v76, v41, v1
	v_cmp_eq_u32_e32 vcc, 0, v76
	v_cmp_ne_u64_e64 s[4:5], 0, v[40:41]
	s_and_b64 s[30:31], s[4:5], vcc
	s_barrier
	s_waitcnt lgkmcnt(0)
	; wave barrier
	s_and_saveexec_b64 s[4:5], s[30:31]
	s_cbranch_execz .LBB97_46
; %bb.45:
	v_bcnt_u32_b32 v1, v40, 0
	v_bcnt_u32_b32 v1, v41, v1
	ds_write_b32 v75, v1 offset:8
.LBB97_46:
	s_or_b64 exec, exec, s[4:5]
	v_and_b32_e32 v40, s26, v66
	v_lshlrev_b32_sdwa v1, v77, v40 dst_sel:DWORD dst_unused:UNUSED_PAD src0_sel:DWORD src1_sel:BYTE_0
	v_add_lshl_u32 v78, v80, v1, 2
	v_and_b32_e32 v1, 1, v40
	v_add_co_u32_e32 v41, vcc, -1, v1
	v_addc_co_u32_e64 v79, s[4:5], 0, -1, vcc
	v_cmp_ne_u32_e32 vcc, 0, v1
	v_xor_b32_e32 v1, vcc_hi, v79
	v_and_b32_e32 v79, exec_hi, v1
	v_lshlrev_b32_e32 v1, 30, v40
	v_xor_b32_e32 v41, vcc_lo, v41
	v_cmp_gt_i64_e32 vcc, 0, v[0:1]
	v_not_b32_e32 v1, v1
	v_ashrrev_i32_e32 v1, 31, v1
	v_and_b32_e32 v41, exec_lo, v41
	v_xor_b32_e32 v81, vcc_hi, v1
	v_xor_b32_e32 v1, vcc_lo, v1
	v_and_b32_e32 v41, v41, v1
	v_lshlrev_b32_e32 v1, 29, v40
	v_cmp_gt_i64_e32 vcc, 0, v[0:1]
	v_not_b32_e32 v1, v1
	v_ashrrev_i32_e32 v1, 31, v1
	v_and_b32_e32 v79, v79, v81
	v_xor_b32_e32 v81, vcc_hi, v1
	v_xor_b32_e32 v1, vcc_lo, v1
	v_and_b32_e32 v41, v41, v1
	v_lshlrev_b32_e32 v1, 28, v40
	v_cmp_gt_i64_e32 vcc, 0, v[0:1]
	v_not_b32_e32 v1, v1
	v_ashrrev_i32_e32 v1, 31, v1
	v_and_b32_e32 v79, v79, v81
	;; [unrolled: 8-line block ×5, first 2 shown]
	v_xor_b32_e32 v81, vcc_hi, v1
	v_xor_b32_e32 v1, vcc_lo, v1
	v_and_b32_e32 v41, v41, v1
	v_lshlrev_b32_e32 v1, 24, v40
	v_cmp_gt_i64_e32 vcc, 0, v[0:1]
	v_not_b32_e32 v0, v1
	v_ashrrev_i32_e32 v0, 31, v0
	v_xor_b32_e32 v1, vcc_hi, v0
	v_xor_b32_e32 v0, vcc_lo, v0
	; wave barrier
	ds_read_b32 v77, v78 offset:8
	v_and_b32_e32 v79, v79, v81
	v_and_b32_e32 v0, v41, v0
	;; [unrolled: 1-line block ×3, first 2 shown]
	v_mbcnt_lo_u32_b32 v40, v0, 0
	v_mbcnt_hi_u32_b32 v79, v1, v40
	v_cmp_eq_u32_e32 vcc, 0, v79
	v_cmp_ne_u64_e64 s[4:5], 0, v[0:1]
	s_and_b64 s[30:31], s[4:5], vcc
	; wave barrier
	s_and_saveexec_b64 s[4:5], s[30:31]
	s_cbranch_execz .LBB97_48
; %bb.47:
	v_bcnt_u32_b32 v0, v0, 0
	v_bcnt_u32_b32 v0, v1, v0
	s_waitcnt lgkmcnt(0)
	v_add_u32_e32 v0, v77, v0
	ds_write_b32 v78, v0 offset:8
.LBB97_48:
	s_or_b64 exec, exec, s[4:5]
	v_and_b32_e32 v40, s26, v67
	v_and_b32_e32 v1, 1, v40
	v_add_co_u32_e32 v41, vcc, -1, v1
	v_mov_b32_e32 v84, 1
	v_addc_co_u32_e64 v83, s[4:5], 0, -1, vcc
	v_cmp_ne_u32_e32 vcc, 0, v1
	v_lshlrev_b32_sdwa v0, v84, v40 dst_sel:DWORD dst_unused:UNUSED_PAD src0_sel:DWORD src1_sel:BYTE_0
	v_xor_b32_e32 v1, vcc_hi, v83
	v_add_lshl_u32 v82, v80, v0, 2
	v_mov_b32_e32 v0, 0
	v_and_b32_e32 v83, exec_hi, v1
	v_lshlrev_b32_e32 v1, 30, v40
	v_xor_b32_e32 v41, vcc_lo, v41
	v_cmp_gt_i64_e32 vcc, 0, v[0:1]
	v_not_b32_e32 v1, v1
	v_ashrrev_i32_e32 v1, 31, v1
	v_and_b32_e32 v41, exec_lo, v41
	v_xor_b32_e32 v85, vcc_hi, v1
	v_xor_b32_e32 v1, vcc_lo, v1
	v_and_b32_e32 v41, v41, v1
	v_lshlrev_b32_e32 v1, 29, v40
	v_cmp_gt_i64_e32 vcc, 0, v[0:1]
	v_not_b32_e32 v1, v1
	v_ashrrev_i32_e32 v1, 31, v1
	v_and_b32_e32 v83, v83, v85
	v_xor_b32_e32 v85, vcc_hi, v1
	v_xor_b32_e32 v1, vcc_lo, v1
	v_and_b32_e32 v41, v41, v1
	v_lshlrev_b32_e32 v1, 28, v40
	v_cmp_gt_i64_e32 vcc, 0, v[0:1]
	v_not_b32_e32 v1, v1
	v_ashrrev_i32_e32 v1, 31, v1
	v_and_b32_e32 v83, v83, v85
	v_xor_b32_e32 v85, vcc_hi, v1
	v_xor_b32_e32 v1, vcc_lo, v1
	v_and_b32_e32 v41, v41, v1
	v_lshlrev_b32_e32 v1, 27, v40
	v_cmp_gt_i64_e32 vcc, 0, v[0:1]
	v_not_b32_e32 v1, v1
	v_ashrrev_i32_e32 v1, 31, v1
	v_and_b32_e32 v83, v83, v85
	v_xor_b32_e32 v85, vcc_hi, v1
	v_xor_b32_e32 v1, vcc_lo, v1
	v_and_b32_e32 v41, v41, v1
	v_lshlrev_b32_e32 v1, 26, v40
	v_cmp_gt_i64_e32 vcc, 0, v[0:1]
	v_not_b32_e32 v1, v1
	v_ashrrev_i32_e32 v1, 31, v1
	v_and_b32_e32 v83, v83, v85
	v_xor_b32_e32 v85, vcc_hi, v1
	v_xor_b32_e32 v1, vcc_lo, v1
	v_and_b32_e32 v41, v41, v1
	v_lshlrev_b32_e32 v1, 25, v40
	v_cmp_gt_i64_e32 vcc, 0, v[0:1]
	v_not_b32_e32 v1, v1
	v_ashrrev_i32_e32 v1, 31, v1
	v_and_b32_e32 v83, v83, v85
	v_xor_b32_e32 v85, vcc_hi, v1
	v_xor_b32_e32 v1, vcc_lo, v1
	v_and_b32_e32 v83, v83, v85
	v_and_b32_e32 v85, v41, v1
	v_lshlrev_b32_e32 v1, 24, v40
	v_cmp_gt_i64_e32 vcc, 0, v[0:1]
	v_not_b32_e32 v1, v1
	v_ashrrev_i32_e32 v1, 31, v1
	v_xor_b32_e32 v40, vcc_hi, v1
	v_xor_b32_e32 v1, vcc_lo, v1
	; wave barrier
	ds_read_b32 v81, v82 offset:8
	v_and_b32_e32 v41, v83, v40
	v_and_b32_e32 v40, v85, v1
	v_mbcnt_lo_u32_b32 v1, v40, 0
	v_mbcnt_hi_u32_b32 v83, v41, v1
	v_cmp_eq_u32_e32 vcc, 0, v83
	v_cmp_ne_u64_e64 s[4:5], 0, v[40:41]
	s_and_b64 s[30:31], s[4:5], vcc
	; wave barrier
	s_and_saveexec_b64 s[4:5], s[30:31]
	s_cbranch_execz .LBB97_50
; %bb.49:
	v_bcnt_u32_b32 v1, v40, 0
	v_bcnt_u32_b32 v1, v41, v1
	s_waitcnt lgkmcnt(0)
	v_add_u32_e32 v1, v81, v1
	ds_write_b32 v82, v1 offset:8
.LBB97_50:
	s_or_b64 exec, exec, s[4:5]
	v_and_b32_e32 v40, s26, v68
	v_lshlrev_b32_sdwa v1, v84, v40 dst_sel:DWORD dst_unused:UNUSED_PAD src0_sel:DWORD src1_sel:BYTE_0
	v_add_lshl_u32 v85, v80, v1, 2
	v_and_b32_e32 v1, 1, v40
	v_add_co_u32_e32 v41, vcc, -1, v1
	v_addc_co_u32_e64 v86, s[4:5], 0, -1, vcc
	v_cmp_ne_u32_e32 vcc, 0, v1
	v_xor_b32_e32 v1, vcc_hi, v86
	v_and_b32_e32 v86, exec_hi, v1
	v_lshlrev_b32_e32 v1, 30, v40
	v_xor_b32_e32 v41, vcc_lo, v41
	v_cmp_gt_i64_e32 vcc, 0, v[0:1]
	v_not_b32_e32 v1, v1
	v_ashrrev_i32_e32 v1, 31, v1
	v_and_b32_e32 v41, exec_lo, v41
	v_xor_b32_e32 v87, vcc_hi, v1
	v_xor_b32_e32 v1, vcc_lo, v1
	v_and_b32_e32 v41, v41, v1
	v_lshlrev_b32_e32 v1, 29, v40
	v_cmp_gt_i64_e32 vcc, 0, v[0:1]
	v_not_b32_e32 v1, v1
	v_ashrrev_i32_e32 v1, 31, v1
	v_and_b32_e32 v86, v86, v87
	v_xor_b32_e32 v87, vcc_hi, v1
	v_xor_b32_e32 v1, vcc_lo, v1
	v_and_b32_e32 v41, v41, v1
	v_lshlrev_b32_e32 v1, 28, v40
	v_cmp_gt_i64_e32 vcc, 0, v[0:1]
	v_not_b32_e32 v1, v1
	v_ashrrev_i32_e32 v1, 31, v1
	v_and_b32_e32 v86, v86, v87
	;; [unrolled: 8-line block ×5, first 2 shown]
	v_xor_b32_e32 v87, vcc_hi, v1
	v_xor_b32_e32 v1, vcc_lo, v1
	v_and_b32_e32 v41, v41, v1
	v_lshlrev_b32_e32 v1, 24, v40
	v_cmp_gt_i64_e32 vcc, 0, v[0:1]
	v_not_b32_e32 v0, v1
	v_ashrrev_i32_e32 v0, 31, v0
	v_xor_b32_e32 v1, vcc_hi, v0
	v_xor_b32_e32 v0, vcc_lo, v0
	; wave barrier
	ds_read_b32 v84, v85 offset:8
	v_and_b32_e32 v86, v86, v87
	v_and_b32_e32 v0, v41, v0
	;; [unrolled: 1-line block ×3, first 2 shown]
	v_mbcnt_lo_u32_b32 v40, v0, 0
	v_mbcnt_hi_u32_b32 v86, v1, v40
	v_cmp_eq_u32_e32 vcc, 0, v86
	v_cmp_ne_u64_e64 s[4:5], 0, v[0:1]
	s_and_b64 s[30:31], s[4:5], vcc
	; wave barrier
	s_and_saveexec_b64 s[4:5], s[30:31]
	s_cbranch_execz .LBB97_52
; %bb.51:
	v_bcnt_u32_b32 v0, v0, 0
	v_bcnt_u32_b32 v0, v1, v0
	s_waitcnt lgkmcnt(0)
	v_add_u32_e32 v0, v84, v0
	ds_write_b32 v85, v0 offset:8
.LBB97_52:
	s_or_b64 exec, exec, s[4:5]
	v_and_b32_e32 v40, s26, v69
	v_and_b32_e32 v1, 1, v40
	v_add_co_u32_e32 v41, vcc, -1, v1
	v_mov_b32_e32 v90, 1
	v_addc_co_u32_e64 v89, s[4:5], 0, -1, vcc
	v_cmp_ne_u32_e32 vcc, 0, v1
	v_lshlrev_b32_sdwa v0, v90, v40 dst_sel:DWORD dst_unused:UNUSED_PAD src0_sel:DWORD src1_sel:BYTE_0
	v_xor_b32_e32 v1, vcc_hi, v89
	v_add_lshl_u32 v88, v80, v0, 2
	v_mov_b32_e32 v0, 0
	v_and_b32_e32 v89, exec_hi, v1
	v_lshlrev_b32_e32 v1, 30, v40
	v_xor_b32_e32 v41, vcc_lo, v41
	v_cmp_gt_i64_e32 vcc, 0, v[0:1]
	v_not_b32_e32 v1, v1
	v_ashrrev_i32_e32 v1, 31, v1
	v_and_b32_e32 v41, exec_lo, v41
	v_xor_b32_e32 v91, vcc_hi, v1
	v_xor_b32_e32 v1, vcc_lo, v1
	v_and_b32_e32 v41, v41, v1
	v_lshlrev_b32_e32 v1, 29, v40
	v_cmp_gt_i64_e32 vcc, 0, v[0:1]
	v_not_b32_e32 v1, v1
	v_ashrrev_i32_e32 v1, 31, v1
	v_and_b32_e32 v89, v89, v91
	v_xor_b32_e32 v91, vcc_hi, v1
	v_xor_b32_e32 v1, vcc_lo, v1
	v_and_b32_e32 v41, v41, v1
	v_lshlrev_b32_e32 v1, 28, v40
	v_cmp_gt_i64_e32 vcc, 0, v[0:1]
	v_not_b32_e32 v1, v1
	v_ashrrev_i32_e32 v1, 31, v1
	v_and_b32_e32 v89, v89, v91
	v_xor_b32_e32 v91, vcc_hi, v1
	v_xor_b32_e32 v1, vcc_lo, v1
	v_and_b32_e32 v41, v41, v1
	v_lshlrev_b32_e32 v1, 27, v40
	v_cmp_gt_i64_e32 vcc, 0, v[0:1]
	v_not_b32_e32 v1, v1
	v_ashrrev_i32_e32 v1, 31, v1
	v_and_b32_e32 v89, v89, v91
	v_xor_b32_e32 v91, vcc_hi, v1
	v_xor_b32_e32 v1, vcc_lo, v1
	v_and_b32_e32 v41, v41, v1
	v_lshlrev_b32_e32 v1, 26, v40
	v_cmp_gt_i64_e32 vcc, 0, v[0:1]
	v_not_b32_e32 v1, v1
	v_ashrrev_i32_e32 v1, 31, v1
	v_and_b32_e32 v89, v89, v91
	v_xor_b32_e32 v91, vcc_hi, v1
	v_xor_b32_e32 v1, vcc_lo, v1
	v_and_b32_e32 v41, v41, v1
	v_lshlrev_b32_e32 v1, 25, v40
	v_cmp_gt_i64_e32 vcc, 0, v[0:1]
	v_not_b32_e32 v1, v1
	v_ashrrev_i32_e32 v1, 31, v1
	v_and_b32_e32 v89, v89, v91
	v_xor_b32_e32 v91, vcc_hi, v1
	v_xor_b32_e32 v1, vcc_lo, v1
	v_and_b32_e32 v89, v89, v91
	v_and_b32_e32 v91, v41, v1
	v_lshlrev_b32_e32 v1, 24, v40
	v_cmp_gt_i64_e32 vcc, 0, v[0:1]
	v_not_b32_e32 v1, v1
	v_ashrrev_i32_e32 v1, 31, v1
	v_xor_b32_e32 v40, vcc_hi, v1
	v_xor_b32_e32 v1, vcc_lo, v1
	; wave barrier
	ds_read_b32 v87, v88 offset:8
	v_and_b32_e32 v41, v89, v40
	v_and_b32_e32 v40, v91, v1
	v_mbcnt_lo_u32_b32 v1, v40, 0
	v_mbcnt_hi_u32_b32 v89, v41, v1
	v_cmp_eq_u32_e32 vcc, 0, v89
	v_cmp_ne_u64_e64 s[4:5], 0, v[40:41]
	s_and_b64 s[30:31], s[4:5], vcc
	; wave barrier
	s_and_saveexec_b64 s[4:5], s[30:31]
	s_cbranch_execz .LBB97_54
; %bb.53:
	v_bcnt_u32_b32 v1, v40, 0
	v_bcnt_u32_b32 v1, v41, v1
	s_waitcnt lgkmcnt(0)
	v_add_u32_e32 v1, v87, v1
	ds_write_b32 v88, v1 offset:8
.LBB97_54:
	s_or_b64 exec, exec, s[4:5]
	v_and_b32_e32 v40, s26, v70
	v_lshlrev_b32_sdwa v1, v90, v40 dst_sel:DWORD dst_unused:UNUSED_PAD src0_sel:DWORD src1_sel:BYTE_0
	v_add_lshl_u32 v91, v80, v1, 2
	v_and_b32_e32 v1, 1, v40
	v_add_co_u32_e32 v41, vcc, -1, v1
	v_addc_co_u32_e64 v92, s[4:5], 0, -1, vcc
	v_cmp_ne_u32_e32 vcc, 0, v1
	v_xor_b32_e32 v1, vcc_hi, v92
	v_and_b32_e32 v92, exec_hi, v1
	v_lshlrev_b32_e32 v1, 30, v40
	v_xor_b32_e32 v41, vcc_lo, v41
	v_cmp_gt_i64_e32 vcc, 0, v[0:1]
	v_not_b32_e32 v1, v1
	v_ashrrev_i32_e32 v1, 31, v1
	v_and_b32_e32 v41, exec_lo, v41
	v_xor_b32_e32 v93, vcc_hi, v1
	v_xor_b32_e32 v1, vcc_lo, v1
	v_and_b32_e32 v41, v41, v1
	v_lshlrev_b32_e32 v1, 29, v40
	v_cmp_gt_i64_e32 vcc, 0, v[0:1]
	v_not_b32_e32 v1, v1
	v_ashrrev_i32_e32 v1, 31, v1
	v_and_b32_e32 v92, v92, v93
	v_xor_b32_e32 v93, vcc_hi, v1
	v_xor_b32_e32 v1, vcc_lo, v1
	v_and_b32_e32 v41, v41, v1
	v_lshlrev_b32_e32 v1, 28, v40
	v_cmp_gt_i64_e32 vcc, 0, v[0:1]
	v_not_b32_e32 v1, v1
	v_ashrrev_i32_e32 v1, 31, v1
	v_and_b32_e32 v92, v92, v93
	;; [unrolled: 8-line block ×5, first 2 shown]
	v_xor_b32_e32 v93, vcc_hi, v1
	v_xor_b32_e32 v1, vcc_lo, v1
	v_and_b32_e32 v41, v41, v1
	v_lshlrev_b32_e32 v1, 24, v40
	v_cmp_gt_i64_e32 vcc, 0, v[0:1]
	v_not_b32_e32 v0, v1
	v_ashrrev_i32_e32 v0, 31, v0
	v_xor_b32_e32 v1, vcc_hi, v0
	v_xor_b32_e32 v0, vcc_lo, v0
	; wave barrier
	ds_read_b32 v90, v91 offset:8
	v_and_b32_e32 v92, v92, v93
	v_and_b32_e32 v0, v41, v0
	;; [unrolled: 1-line block ×3, first 2 shown]
	v_mbcnt_lo_u32_b32 v40, v0, 0
	v_mbcnt_hi_u32_b32 v92, v1, v40
	v_cmp_eq_u32_e32 vcc, 0, v92
	v_cmp_ne_u64_e64 s[4:5], 0, v[0:1]
	s_and_b64 s[30:31], s[4:5], vcc
	; wave barrier
	s_and_saveexec_b64 s[4:5], s[30:31]
	s_cbranch_execz .LBB97_56
; %bb.55:
	v_bcnt_u32_b32 v0, v0, 0
	v_bcnt_u32_b32 v0, v1, v0
	s_waitcnt lgkmcnt(0)
	v_add_u32_e32 v0, v90, v0
	ds_write_b32 v91, v0 offset:8
.LBB97_56:
	s_or_b64 exec, exec, s[4:5]
	v_and_b32_e32 v40, s26, v71
	v_and_b32_e32 v1, 1, v40
	v_add_co_u32_e32 v41, vcc, -1, v1
	v_mov_b32_e32 v96, 1
	v_addc_co_u32_e64 v95, s[4:5], 0, -1, vcc
	v_cmp_ne_u32_e32 vcc, 0, v1
	v_lshlrev_b32_sdwa v0, v96, v40 dst_sel:DWORD dst_unused:UNUSED_PAD src0_sel:DWORD src1_sel:BYTE_0
	v_xor_b32_e32 v1, vcc_hi, v95
	v_add_lshl_u32 v94, v80, v0, 2
	v_mov_b32_e32 v0, 0
	v_and_b32_e32 v95, exec_hi, v1
	v_lshlrev_b32_e32 v1, 30, v40
	v_xor_b32_e32 v41, vcc_lo, v41
	v_cmp_gt_i64_e32 vcc, 0, v[0:1]
	v_not_b32_e32 v1, v1
	v_ashrrev_i32_e32 v1, 31, v1
	v_and_b32_e32 v41, exec_lo, v41
	v_xor_b32_e32 v97, vcc_hi, v1
	v_xor_b32_e32 v1, vcc_lo, v1
	v_and_b32_e32 v41, v41, v1
	v_lshlrev_b32_e32 v1, 29, v40
	v_cmp_gt_i64_e32 vcc, 0, v[0:1]
	v_not_b32_e32 v1, v1
	v_ashrrev_i32_e32 v1, 31, v1
	v_and_b32_e32 v95, v95, v97
	v_xor_b32_e32 v97, vcc_hi, v1
	v_xor_b32_e32 v1, vcc_lo, v1
	v_and_b32_e32 v41, v41, v1
	v_lshlrev_b32_e32 v1, 28, v40
	v_cmp_gt_i64_e32 vcc, 0, v[0:1]
	v_not_b32_e32 v1, v1
	v_ashrrev_i32_e32 v1, 31, v1
	v_and_b32_e32 v95, v95, v97
	;; [unrolled: 8-line block ×5, first 2 shown]
	v_xor_b32_e32 v97, vcc_hi, v1
	v_xor_b32_e32 v1, vcc_lo, v1
	v_and_b32_e32 v95, v95, v97
	v_and_b32_e32 v97, v41, v1
	v_lshlrev_b32_e32 v1, 24, v40
	v_cmp_gt_i64_e32 vcc, 0, v[0:1]
	v_not_b32_e32 v1, v1
	v_ashrrev_i32_e32 v1, 31, v1
	v_xor_b32_e32 v40, vcc_hi, v1
	v_xor_b32_e32 v1, vcc_lo, v1
	; wave barrier
	ds_read_b32 v93, v94 offset:8
	v_and_b32_e32 v41, v95, v40
	v_and_b32_e32 v40, v97, v1
	v_mbcnt_lo_u32_b32 v1, v40, 0
	v_mbcnt_hi_u32_b32 v95, v41, v1
	v_cmp_eq_u32_e32 vcc, 0, v95
	v_cmp_ne_u64_e64 s[4:5], 0, v[40:41]
	s_and_b64 s[30:31], s[4:5], vcc
	; wave barrier
	s_and_saveexec_b64 s[4:5], s[30:31]
	s_cbranch_execz .LBB97_58
; %bb.57:
	v_bcnt_u32_b32 v1, v40, 0
	v_bcnt_u32_b32 v1, v41, v1
	s_waitcnt lgkmcnt(0)
	v_add_u32_e32 v1, v93, v1
	ds_write_b32 v94, v1 offset:8
.LBB97_58:
	s_or_b64 exec, exec, s[4:5]
	v_and_b32_e32 v40, s26, v72
	v_lshlrev_b32_sdwa v1, v96, v40 dst_sel:DWORD dst_unused:UNUSED_PAD src0_sel:DWORD src1_sel:BYTE_0
	v_add_lshl_u32 v96, v80, v1, 2
	v_and_b32_e32 v1, 1, v40
	v_add_co_u32_e32 v41, vcc, -1, v1
	v_addc_co_u32_e64 v98, s[4:5], 0, -1, vcc
	v_cmp_ne_u32_e32 vcc, 0, v1
	v_xor_b32_e32 v1, vcc_hi, v98
	v_and_b32_e32 v98, exec_hi, v1
	v_lshlrev_b32_e32 v1, 30, v40
	v_xor_b32_e32 v41, vcc_lo, v41
	v_cmp_gt_i64_e32 vcc, 0, v[0:1]
	v_not_b32_e32 v1, v1
	v_ashrrev_i32_e32 v1, 31, v1
	v_and_b32_e32 v41, exec_lo, v41
	v_xor_b32_e32 v99, vcc_hi, v1
	v_xor_b32_e32 v1, vcc_lo, v1
	v_and_b32_e32 v41, v41, v1
	v_lshlrev_b32_e32 v1, 29, v40
	v_cmp_gt_i64_e32 vcc, 0, v[0:1]
	v_not_b32_e32 v1, v1
	v_ashrrev_i32_e32 v1, 31, v1
	v_and_b32_e32 v98, v98, v99
	v_xor_b32_e32 v99, vcc_hi, v1
	v_xor_b32_e32 v1, vcc_lo, v1
	v_and_b32_e32 v41, v41, v1
	v_lshlrev_b32_e32 v1, 28, v40
	v_cmp_gt_i64_e32 vcc, 0, v[0:1]
	v_not_b32_e32 v1, v1
	v_ashrrev_i32_e32 v1, 31, v1
	v_and_b32_e32 v98, v98, v99
	;; [unrolled: 8-line block ×5, first 2 shown]
	v_xor_b32_e32 v99, vcc_hi, v1
	v_xor_b32_e32 v1, vcc_lo, v1
	v_and_b32_e32 v41, v41, v1
	v_lshlrev_b32_e32 v1, 24, v40
	v_cmp_gt_i64_e32 vcc, 0, v[0:1]
	v_not_b32_e32 v0, v1
	v_ashrrev_i32_e32 v0, 31, v0
	v_xor_b32_e32 v1, vcc_hi, v0
	v_xor_b32_e32 v0, vcc_lo, v0
	; wave barrier
	ds_read_b32 v80, v96 offset:8
	v_and_b32_e32 v98, v98, v99
	v_and_b32_e32 v0, v41, v0
	;; [unrolled: 1-line block ×3, first 2 shown]
	v_mbcnt_lo_u32_b32 v40, v0, 0
	v_mbcnt_hi_u32_b32 v98, v1, v40
	v_cmp_eq_u32_e32 vcc, 0, v98
	v_cmp_ne_u64_e64 s[4:5], 0, v[0:1]
	v_or_b32_e32 v97, 8, v59
	s_and_b64 s[26:27], s[4:5], vcc
	; wave barrier
	s_and_saveexec_b64 s[4:5], s[26:27]
	s_cbranch_execz .LBB97_60
; %bb.59:
	v_bcnt_u32_b32 v0, v0, 0
	v_bcnt_u32_b32 v0, v1, v0
	s_waitcnt lgkmcnt(0)
	v_add_u32_e32 v0, v80, v0
	ds_write_b32 v96, v0 offset:8
.LBB97_60:
	s_or_b64 exec, exec, s[4:5]
	; wave barrier
	s_waitcnt lgkmcnt(0)
	s_barrier
	ds_read2_b32 v[0:1], v59 offset0:2 offset1:3
	ds_read2_b32 v[40:41], v97 offset0:2 offset1:3
	v_min_u32_e32 v74, 64, v74
	v_or_b32_e32 v74, 63, v74
	s_waitcnt lgkmcnt(1)
	v_add_u32_e32 v99, v1, v0
	s_waitcnt lgkmcnt(0)
	v_add3_u32 v41, v99, v40, v41
	v_and_b32_e32 v99, 15, v73
	v_cmp_ne_u32_e32 vcc, 0, v99
	v_mov_b32_dpp v100, v41 row_shr:1 row_mask:0xf bank_mask:0xf
	v_cndmask_b32_e32 v100, 0, v100, vcc
	v_add_u32_e32 v41, v100, v41
	v_cmp_lt_u32_e32 vcc, 1, v99
	s_nop 0
	v_mov_b32_dpp v100, v41 row_shr:2 row_mask:0xf bank_mask:0xf
	v_cndmask_b32_e32 v100, 0, v100, vcc
	v_add_u32_e32 v41, v41, v100
	v_cmp_lt_u32_e32 vcc, 3, v99
	s_nop 0
	;; [unrolled: 5-line block ×3, first 2 shown]
	v_mov_b32_dpp v100, v41 row_shr:8 row_mask:0xf bank_mask:0xf
	v_cndmask_b32_e32 v99, 0, v100, vcc
	v_add_u32_e32 v41, v41, v99
	v_bfe_i32 v100, v73, 4, 1
	v_cmp_lt_u32_e32 vcc, 31, v73
	v_mov_b32_dpp v99, v41 row_bcast:15 row_mask:0xf bank_mask:0xf
	v_and_b32_e32 v99, v100, v99
	v_add_u32_e32 v41, v41, v99
	s_nop 1
	v_mov_b32_dpp v99, v41 row_bcast:31 row_mask:0xf bank_mask:0xf
	v_cndmask_b32_e32 v99, 0, v99, vcc
	v_add_u32_e32 v41, v41, v99
	v_lshrrev_b32_e32 v99, 6, v34
	v_cmp_eq_u32_e32 vcc, v74, v34
	s_and_saveexec_b64 s[4:5], vcc
	s_cbranch_execz .LBB97_62
; %bb.61:
	v_lshlrev_b32_e32 v74, 2, v99
	ds_write_b32 v74, v41
.LBB97_62:
	s_or_b64 exec, exec, s[4:5]
	v_cmp_gt_u32_e32 vcc, 2, v34
	s_waitcnt lgkmcnt(0)
	s_barrier
	s_and_saveexec_b64 s[4:5], vcc
	s_cbranch_execz .LBB97_64
; %bb.63:
	v_lshlrev_b32_e32 v74, 2, v34
	ds_read_b32 v100, v74
	v_bfe_i32 v101, v73, 0, 1
	s_waitcnt lgkmcnt(0)
	v_mov_b32_dpp v102, v100 row_shr:1 row_mask:0xf bank_mask:0xf
	v_and_b32_e32 v101, v101, v102
	v_add_u32_e32 v100, v101, v100
	ds_write_b32 v74, v100
.LBB97_64:
	s_or_b64 exec, exec, s[4:5]
	v_cmp_lt_u32_e32 vcc, 63, v34
	v_mov_b32_e32 v74, 0
	s_waitcnt lgkmcnt(0)
	s_barrier
	s_and_saveexec_b64 s[4:5], vcc
	s_cbranch_execz .LBB97_66
; %bb.65:
	v_lshl_add_u32 v74, v99, 2, -4
	ds_read_b32 v74, v74
.LBB97_66:
	s_or_b64 exec, exec, s[4:5]
	v_add_u32_e32 v99, -1, v73
	v_and_b32_e32 v100, 64, v73
	v_cmp_lt_i32_e32 vcc, v99, v100
	v_cndmask_b32_e32 v99, v99, v73, vcc
	s_waitcnt lgkmcnt(0)
	v_add_u32_e32 v41, v74, v41
	v_lshlrev_b32_e32 v99, 2, v99
	ds_bpermute_b32 v41, v99, v41
	v_cmp_eq_u32_e32 vcc, 0, v73
	s_waitcnt lgkmcnt(0)
	v_cndmask_b32_e32 v41, v41, v74, vcc
	v_cmp_ne_u32_e32 vcc, 0, v34
	v_cndmask_b32_e32 v41, 0, v41, vcc
	v_add_u32_e32 v0, v41, v0
	v_add_u32_e32 v1, v0, v1
	;; [unrolled: 1-line block ×3, first 2 shown]
	ds_write2_b32 v59, v41, v0 offset0:2 offset1:3
	ds_write2_b32 v97, v1, v40 offset0:2 offset1:3
	s_waitcnt lgkmcnt(0)
	s_barrier
	ds_read_b32 v0, v75 offset:8
	ds_read_b32 v1, v78 offset:8
	;; [unrolled: 1-line block ×8, first 2 shown]
	s_waitcnt lgkmcnt(7)
	v_add_u32_e32 v76, v0, v76
	s_waitcnt lgkmcnt(6)
	v_add3_u32 v77, v79, v77, v1
	s_waitcnt lgkmcnt(5)
	v_add3_u32 v40, v83, v81, v40
	;; [unrolled: 2-line block ×7, first 2 shown]
	s_barrier
	ds_write_b8 v76, v65
	ds_write_b8 v77, v66
	;; [unrolled: 1-line block ×8, first 2 shown]
	v_lshlrev_b32_e32 v65, 3, v76
	s_waitcnt lgkmcnt(0)
	s_barrier
	ds_read_b64 v[0:1], v50
	s_waitcnt lgkmcnt(0)
	s_barrier
	ds_write_b64 v65, v[30:31]
	v_lshlrev_b32_e32 v30, 3, v77
	ds_write_b64 v30, v[32:33]
	v_lshlrev_b32_e32 v30, 3, v40
	ds_write_b64 v30, v[26:27]
	v_lshlrev_b32_e32 v26, 3, v41
	ds_write_b64 v26, v[28:29]
	v_lshlrev_b32_e32 v26, 3, v73
	ds_write_b64 v26, v[22:23]
	v_lshlrev_b32_e32 v22, 3, v74
	ds_write_b64 v22, v[24:25]
	v_lshlrev_b32_e32 v22, 3, v75
	ds_write_b64 v22, v[18:19]
	v_lshlrev_b32_e32 v18, 3, v78
	v_lshlrev_b32_e32 v30, 3, v50
	ds_write_b64 v18, v[20:21]
	s_waitcnt lgkmcnt(0)
	s_barrier
	ds_read2_b64 v[18:21], v30 offset1:1
	ds_read2_b64 v[22:25], v30 offset0:2 offset1:3
	ds_read2_b64 v[26:29], v30 offset0:4 offset1:5
	;; [unrolled: 1-line block ×3, first 2 shown]
	s_branch .LBB97_98
.LBB97_67:
	v_mad_u64_u32 v[2:3], s[30:31], v34, s20, 0
	v_mov_b32_e32 v4, v3
	v_mad_u64_u32 v[4:5], s[30:31], v34, s21, v[4:5]
	v_mov_b32_e32 v3, v4
	v_lshlrev_b64 v[2:3], 3, v[2:3]
	v_mov_b32_e32 v4, s29
	v_add_co_u32_e32 v2, vcc, s28, v2
	v_addc_co_u32_e32 v3, vcc, v4, v3, vcc
	global_load_dwordx2 v[2:3], v[2:3], off
	v_mov_b32_e32 v4, 0
	v_mov_b32_e32 v5, v4
	;; [unrolled: 1-line block ×14, first 2 shown]
	s_or_b64 exec, exec, s[4:5]
	s_and_saveexec_b64 s[4:5], s[2:3]
	s_cbranch_execz .LBB97_36
.LBB97_68:
	v_mad_u64_u32 v[4:5], s[30:31], v26, s20, 0
	v_mov_b32_e32 v38, v5
	v_mad_u64_u32 v[38:39], s[30:31], v26, s21, v[38:39]
	v_mov_b32_e32 v5, v38
	v_lshlrev_b64 v[4:5], 3, v[4:5]
	v_mov_b32_e32 v26, s29
	v_add_co_u32_e32 v4, vcc, s28, v4
	v_addc_co_u32_e32 v5, vcc, v26, v5, vcc
	global_load_dwordx2 v[4:5], v[4:5], off
	s_or_b64 exec, exec, s[4:5]
	s_and_saveexec_b64 s[4:5], s[16:17]
	s_cbranch_execz .LBB97_37
.LBB97_69:
	v_mad_u64_u32 v[6:7], s[30:31], v20, s20, 0
	v_mov_b32_e32 v26, v7
	v_mad_u64_u32 v[38:39], s[30:31], v20, s21, v[26:27]
	v_mov_b32_e32 v7, v38
	v_lshlrev_b64 v[6:7], 3, v[6:7]
	v_mov_b32_e32 v20, s29
	v_add_co_u32_e32 v6, vcc, s28, v6
	v_addc_co_u32_e32 v7, vcc, v20, v7, vcc
	global_load_dwordx2 v[6:7], v[6:7], off
	s_or_b64 exec, exec, s[4:5]
	s_and_saveexec_b64 s[4:5], s[6:7]
	s_cbranch_execz .LBB97_38
.LBB97_70:
	v_mad_u64_u32 v[8:9], s[30:31], v21, s20, 0
	v_mov_b32_e32 v20, v9
	v_mad_u64_u32 v[20:21], s[30:31], v21, s21, v[20:21]
	v_mov_b32_e32 v9, v20
	v_lshlrev_b64 v[8:9], 3, v[8:9]
	v_mov_b32_e32 v20, s29
	v_add_co_u32_e32 v8, vcc, s28, v8
	v_addc_co_u32_e32 v9, vcc, v20, v9, vcc
	global_load_dwordx2 v[8:9], v[8:9], off
	s_or_b64 exec, exec, s[4:5]
	s_and_saveexec_b64 s[4:5], s[8:9]
	s_cbranch_execz .LBB97_39
.LBB97_71:
	v_mad_u64_u32 v[10:11], s[30:31], v22, s20, 0
	v_mov_b32_e32 v20, v11
	v_mad_u64_u32 v[20:21], s[30:31], v22, s21, v[20:21]
	v_mov_b32_e32 v11, v20
	v_lshlrev_b64 v[10:11], 3, v[10:11]
	v_mov_b32_e32 v20, s29
	v_add_co_u32_e32 v10, vcc, s28, v10
	v_addc_co_u32_e32 v11, vcc, v20, v11, vcc
	global_load_dwordx2 v[10:11], v[10:11], off
	s_or_b64 exec, exec, s[4:5]
	s_and_saveexec_b64 s[4:5], s[10:11]
	s_cbranch_execz .LBB97_40
.LBB97_72:
	v_mad_u64_u32 v[12:13], s[30:31], v19, s20, 0
	v_mov_b32_e32 v20, v13
	v_mad_u64_u32 v[20:21], s[30:31], v19, s21, v[20:21]
	v_mov_b32_e32 v13, v20
	v_lshlrev_b64 v[12:13], 3, v[12:13]
	v_mov_b32_e32 v19, s29
	v_add_co_u32_e32 v12, vcc, s28, v12
	v_addc_co_u32_e32 v13, vcc, v19, v13, vcc
	global_load_dwordx2 v[12:13], v[12:13], off
	s_or_b64 exec, exec, s[4:5]
	s_and_saveexec_b64 s[4:5], s[12:13]
	s_cbranch_execz .LBB97_41
.LBB97_73:
	v_mad_u64_u32 v[14:15], s[30:31], v18, s20, 0
	v_mov_b32_e32 v20, v15
	v_mad_u64_u32 v[18:19], s[30:31], v18, s21, v[20:21]
	v_mov_b32_e32 v15, v18
	v_lshlrev_b64 v[14:15], 3, v[14:15]
	v_mov_b32_e32 v18, s29
	v_add_co_u32_e32 v14, vcc, s28, v14
	v_addc_co_u32_e32 v15, vcc, v18, v15, vcc
	global_load_dwordx2 v[14:15], v[14:15], off
	s_or_b64 exec, exec, s[4:5]
	s_and_saveexec_b64 s[4:5], s[14:15]
	s_cbranch_execnz .LBB97_42
	s_branch .LBB97_43
.LBB97_74:
                                        ; implicit-def: $vgpr1
                                        ; implicit-def: $vgpr32_vgpr33
                                        ; implicit-def: $vgpr28_vgpr29
                                        ; implicit-def: $vgpr24_vgpr25
                                        ; implicit-def: $vgpr20_vgpr21
	s_cbranch_execz .LBB97_98
; %bb.75:
	v_mov_b32_e32 v0, -1
	v_xor_b32_sdwa v1, v63, v0 dst_sel:BYTE_1 dst_unused:UNUSED_PAD src0_sel:DWORD src1_sel:DWORD
	s_waitcnt lgkmcnt(3)
	v_xor_b32_e32 v18, -1, v37
	v_or_b32_sdwa v1, v18, v1 dst_sel:DWORD dst_unused:UNUSED_PAD src0_sel:BYTE_0 src1_sel:DWORD
	v_xor_b32_sdwa v18, v37, v0 dst_sel:DWORD dst_unused:UNUSED_PAD src0_sel:BYTE_3 src1_sel:DWORD
	v_lshlrev_b16_e32 v18, 8, v18
	v_xor_b32_sdwa v19, v37, v0 dst_sel:DWORD dst_unused:UNUSED_PAD src0_sel:WORD_1 src1_sel:DWORD
	v_or_b32_sdwa v18, v19, v18 dst_sel:WORD_1 dst_unused:UNUSED_PAD src0_sel:BYTE_0 src1_sel:DWORD
	v_or_b32_sdwa v1, v1, v18 dst_sel:DWORD dst_unused:UNUSED_PAD src0_sel:WORD_0 src1_sel:DWORD
	v_xor_b32_sdwa v18, v62, v0 dst_sel:BYTE_1 dst_unused:UNUSED_PAD src0_sel:DWORD src1_sel:DWORD
	v_xor_b32_e32 v19, -1, v36
	v_or_b32_sdwa v18, v19, v18 dst_sel:DWORD dst_unused:UNUSED_PAD src0_sel:BYTE_0 src1_sel:DWORD
	v_xor_b32_sdwa v19, v38, v0 dst_sel:BYTE_1 dst_unused:UNUSED_PAD src0_sel:DWORD src1_sel:DWORD
	v_xor_b32_sdwa v0, v36, v0 dst_sel:DWORD dst_unused:UNUSED_PAD src0_sel:WORD_1 src1_sel:DWORD
	v_or_b32_sdwa v0, v0, v19 dst_sel:WORD_1 dst_unused:UNUSED_PAD src0_sel:BYTE_0 src1_sel:DWORD
	s_waitcnt lgkmcnt(1)
	v_mbcnt_hi_u32_b32 v28, -1, v64
	v_and_b32_e32 v29, 0x3c0, v34
	v_or_b32_sdwa v0, v18, v0 dst_sel:DWORD dst_unused:UNUSED_PAD src0_sel:WORD_0 src1_sel:DWORD
	v_add_u32_e32 v18, v28, v29
	v_lshlrev_b32_e32 v19, 3, v18
	s_movk_i32 s4, 0x1e00
	ds_write_b64 v19, v[0:1]
	v_and_or_b32 v0, v50, s4, v28
	; wave barrier
	ds_read_u8 v20, v0
	ds_read_u8 v21, v0 offset:64
	ds_read_u8 v22, v0 offset:128
	;; [unrolled: 1-line block ×7, first 2 shown]
	v_lshlrev_b32_e32 v1, 6, v18
	v_lshlrev_b32_e32 v0, 3, v0
	s_getpc_b64 s[4:5]
	s_add_u32 s4, s4, _ZN7rocprim17ROCPRIM_400000_NS16block_radix_sortIhLj128ELj8ElLj1ELj1ELj0ELNS0_26block_radix_rank_algorithmE1ELNS0_18block_padding_hintE2ELNS0_4arch9wavefront6targetE1EE19radix_bits_per_passE@rel32@lo+4
	s_addc_u32 s5, s5, _ZN7rocprim17ROCPRIM_400000_NS16block_radix_sortIhLj128ELj8ElLj1ELj1ELj0ELNS0_26block_radix_rank_algorithmE1ELNS0_18block_padding_hintE2ELNS0_4arch9wavefront6targetE1EE19radix_bits_per_passE@rel32@hi+12
	s_waitcnt lgkmcnt(0)
	s_barrier
	ds_write2_b64 v1, v[14:15], v[16:17] offset1:1
	ds_write2_b64 v1, v[10:11], v[12:13] offset0:2 offset1:3
	ds_write2_b64 v1, v[6:7], v[8:9] offset0:4 offset1:5
	;; [unrolled: 1-line block ×3, first 2 shown]
	; wave barrier
	ds_read2st64_b64 v[12:15], v0 offset1:1
	ds_read2st64_b64 v[8:11], v0 offset0:2 offset1:3
	ds_read2st64_b64 v[4:7], v0 offset0:4 offset1:5
	;; [unrolled: 1-line block ×3, first 2 shown]
	s_waitcnt lgkmcnt(0)
	s_barrier
	s_load_dword s26, s[4:5], 0x0
	s_load_dword s27, s[24:25], 0xc
	v_mov_b32_e32 v32, 1
	v_mov_b32_e32 v16, 0
	ds_write2_b32 v59, v16, v16 offset0:2 offset1:3
	ds_write2_b32 v59, v16, v16 offset0:4 offset1:5
	s_waitcnt lgkmcnt(0)
	s_min_u32 s24, s26, 8
	s_lshr_b32 s4, s27, 16
	s_and_b32 s5, s27, 0xffff
	v_mad_u32_u24 v17, v61, s4, v60
	v_mad_u64_u32 v[18:19], s[4:5], v17, s5, v[34:35]
	s_lshl_b32 s4, -1, s24
	s_not_b32 s24, s4
	v_lshrrev_b32_e32 v37, 6, v18
	v_and_b32_e32 v18, s24, v20
	v_lshlrev_b32_sdwa v17, v32, v18 dst_sel:DWORD dst_unused:UNUSED_PAD src0_sel:DWORD src1_sel:BYTE_0
	v_add_lshl_u32 v30, v37, v17, 2
	v_and_b32_e32 v17, 1, v18
	v_add_co_u32_e32 v19, vcc, -1, v17
	v_addc_co_u32_e64 v31, s[4:5], 0, -1, vcc
	v_cmp_ne_u32_e32 vcc, 0, v17
	v_xor_b32_e32 v17, vcc_hi, v31
	v_and_b32_e32 v31, exec_hi, v17
	v_lshlrev_b32_e32 v17, 30, v18
	v_xor_b32_e32 v19, vcc_lo, v19
	v_cmp_gt_i64_e32 vcc, 0, v[16:17]
	v_not_b32_e32 v17, v17
	v_ashrrev_i32_e32 v17, 31, v17
	v_and_b32_e32 v19, exec_lo, v19
	v_xor_b32_e32 v33, vcc_hi, v17
	v_xor_b32_e32 v17, vcc_lo, v17
	v_and_b32_e32 v19, v19, v17
	v_lshlrev_b32_e32 v17, 29, v18
	v_cmp_gt_i64_e32 vcc, 0, v[16:17]
	v_not_b32_e32 v17, v17
	v_ashrrev_i32_e32 v17, 31, v17
	v_and_b32_e32 v31, v31, v33
	v_xor_b32_e32 v33, vcc_hi, v17
	v_xor_b32_e32 v17, vcc_lo, v17
	v_and_b32_e32 v19, v19, v17
	v_lshlrev_b32_e32 v17, 28, v18
	v_cmp_gt_i64_e32 vcc, 0, v[16:17]
	v_not_b32_e32 v17, v17
	v_ashrrev_i32_e32 v17, 31, v17
	v_and_b32_e32 v31, v31, v33
	v_xor_b32_e32 v33, vcc_hi, v17
	v_xor_b32_e32 v17, vcc_lo, v17
	v_and_b32_e32 v19, v19, v17
	v_lshlrev_b32_e32 v17, 27, v18
	v_cmp_gt_i64_e32 vcc, 0, v[16:17]
	v_not_b32_e32 v17, v17
	v_ashrrev_i32_e32 v17, 31, v17
	v_and_b32_e32 v31, v31, v33
	v_xor_b32_e32 v33, vcc_hi, v17
	v_xor_b32_e32 v17, vcc_lo, v17
	v_and_b32_e32 v19, v19, v17
	v_lshlrev_b32_e32 v17, 26, v18
	v_cmp_gt_i64_e32 vcc, 0, v[16:17]
	v_not_b32_e32 v17, v17
	v_ashrrev_i32_e32 v17, 31, v17
	v_and_b32_e32 v31, v31, v33
	v_xor_b32_e32 v33, vcc_hi, v17
	v_xor_b32_e32 v17, vcc_lo, v17
	v_and_b32_e32 v19, v19, v17
	v_lshlrev_b32_e32 v17, 25, v18
	v_cmp_gt_i64_e32 vcc, 0, v[16:17]
	v_not_b32_e32 v17, v17
	v_ashrrev_i32_e32 v17, 31, v17
	v_and_b32_e32 v31, v31, v33
	v_xor_b32_e32 v33, vcc_hi, v17
	v_xor_b32_e32 v17, vcc_lo, v17
	v_and_b32_e32 v31, v31, v33
	v_and_b32_e32 v33, v19, v17
	v_lshlrev_b32_e32 v17, 24, v18
	v_cmp_gt_i64_e32 vcc, 0, v[16:17]
	v_not_b32_e32 v17, v17
	v_ashrrev_i32_e32 v17, 31, v17
	v_xor_b32_e32 v18, vcc_hi, v17
	v_xor_b32_e32 v17, vcc_lo, v17
	v_and_b32_e32 v19, v31, v18
	v_and_b32_e32 v18, v33, v17
	v_mbcnt_lo_u32_b32 v17, v18, 0
	v_mbcnt_hi_u32_b32 v31, v19, v17
	v_cmp_eq_u32_e32 vcc, 0, v31
	v_cmp_ne_u64_e64 s[4:5], 0, v[18:19]
	s_and_b64 s[26:27], s[4:5], vcc
	s_barrier
	s_waitcnt lgkmcnt(0)
	; wave barrier
	s_and_saveexec_b64 s[4:5], s[26:27]
	s_cbranch_execz .LBB97_77
; %bb.76:
	v_bcnt_u32_b32 v17, v18, 0
	v_bcnt_u32_b32 v17, v19, v17
	ds_write_b32 v30, v17 offset:8
.LBB97_77:
	s_or_b64 exec, exec, s[4:5]
	v_and_b32_e32 v18, s24, v21
	v_lshlrev_b32_sdwa v17, v32, v18 dst_sel:DWORD dst_unused:UNUSED_PAD src0_sel:DWORD src1_sel:BYTE_0
	v_add_lshl_u32 v33, v37, v17, 2
	v_and_b32_e32 v17, 1, v18
	v_add_co_u32_e32 v19, vcc, -1, v17
	v_addc_co_u32_e64 v36, s[4:5], 0, -1, vcc
	v_cmp_ne_u32_e32 vcc, 0, v17
	v_xor_b32_e32 v17, vcc_hi, v36
	v_and_b32_e32 v36, exec_hi, v17
	v_lshlrev_b32_e32 v17, 30, v18
	v_xor_b32_e32 v19, vcc_lo, v19
	v_cmp_gt_i64_e32 vcc, 0, v[16:17]
	v_not_b32_e32 v17, v17
	v_ashrrev_i32_e32 v17, 31, v17
	v_and_b32_e32 v19, exec_lo, v19
	v_xor_b32_e32 v38, vcc_hi, v17
	v_xor_b32_e32 v17, vcc_lo, v17
	v_and_b32_e32 v19, v19, v17
	v_lshlrev_b32_e32 v17, 29, v18
	v_cmp_gt_i64_e32 vcc, 0, v[16:17]
	v_not_b32_e32 v17, v17
	v_ashrrev_i32_e32 v17, 31, v17
	v_and_b32_e32 v36, v36, v38
	v_xor_b32_e32 v38, vcc_hi, v17
	v_xor_b32_e32 v17, vcc_lo, v17
	v_and_b32_e32 v19, v19, v17
	v_lshlrev_b32_e32 v17, 28, v18
	v_cmp_gt_i64_e32 vcc, 0, v[16:17]
	v_not_b32_e32 v17, v17
	v_ashrrev_i32_e32 v17, 31, v17
	v_and_b32_e32 v36, v36, v38
	;; [unrolled: 8-line block ×5, first 2 shown]
	v_xor_b32_e32 v38, vcc_hi, v17
	v_xor_b32_e32 v17, vcc_lo, v17
	v_and_b32_e32 v19, v19, v17
	v_lshlrev_b32_e32 v17, 24, v18
	v_cmp_gt_i64_e32 vcc, 0, v[16:17]
	v_not_b32_e32 v16, v17
	v_ashrrev_i32_e32 v16, 31, v16
	v_xor_b32_e32 v17, vcc_hi, v16
	v_xor_b32_e32 v16, vcc_lo, v16
	; wave barrier
	ds_read_b32 v32, v33 offset:8
	v_and_b32_e32 v36, v36, v38
	v_and_b32_e32 v16, v19, v16
	v_and_b32_e32 v17, v36, v17
	v_mbcnt_lo_u32_b32 v18, v16, 0
	v_mbcnt_hi_u32_b32 v36, v17, v18
	v_cmp_eq_u32_e32 vcc, 0, v36
	v_cmp_ne_u64_e64 s[4:5], 0, v[16:17]
	s_and_b64 s[26:27], s[4:5], vcc
	; wave barrier
	s_and_saveexec_b64 s[4:5], s[26:27]
	s_cbranch_execz .LBB97_79
; %bb.78:
	v_bcnt_u32_b32 v16, v16, 0
	v_bcnt_u32_b32 v16, v17, v16
	s_waitcnt lgkmcnt(0)
	v_add_u32_e32 v16, v32, v16
	ds_write_b32 v33, v16 offset:8
.LBB97_79:
	s_or_b64 exec, exec, s[4:5]
	v_and_b32_e32 v18, s24, v22
	v_and_b32_e32 v17, 1, v18
	v_add_co_u32_e32 v19, vcc, -1, v17
	v_mov_b32_e32 v60, 1
	v_addc_co_u32_e64 v41, s[4:5], 0, -1, vcc
	v_cmp_ne_u32_e32 vcc, 0, v17
	v_lshlrev_b32_sdwa v16, v60, v18 dst_sel:DWORD dst_unused:UNUSED_PAD src0_sel:DWORD src1_sel:BYTE_0
	v_xor_b32_e32 v17, vcc_hi, v41
	v_add_lshl_u32 v40, v37, v16, 2
	v_mov_b32_e32 v16, 0
	v_and_b32_e32 v41, exec_hi, v17
	v_lshlrev_b32_e32 v17, 30, v18
	v_xor_b32_e32 v19, vcc_lo, v19
	v_cmp_gt_i64_e32 vcc, 0, v[16:17]
	v_not_b32_e32 v17, v17
	v_ashrrev_i32_e32 v17, 31, v17
	v_and_b32_e32 v19, exec_lo, v19
	v_xor_b32_e32 v61, vcc_hi, v17
	v_xor_b32_e32 v17, vcc_lo, v17
	v_and_b32_e32 v19, v19, v17
	v_lshlrev_b32_e32 v17, 29, v18
	v_cmp_gt_i64_e32 vcc, 0, v[16:17]
	v_not_b32_e32 v17, v17
	v_ashrrev_i32_e32 v17, 31, v17
	v_and_b32_e32 v41, v41, v61
	v_xor_b32_e32 v61, vcc_hi, v17
	v_xor_b32_e32 v17, vcc_lo, v17
	v_and_b32_e32 v19, v19, v17
	v_lshlrev_b32_e32 v17, 28, v18
	v_cmp_gt_i64_e32 vcc, 0, v[16:17]
	v_not_b32_e32 v17, v17
	v_ashrrev_i32_e32 v17, 31, v17
	v_and_b32_e32 v41, v41, v61
	;; [unrolled: 8-line block ×5, first 2 shown]
	v_xor_b32_e32 v61, vcc_hi, v17
	v_xor_b32_e32 v17, vcc_lo, v17
	v_and_b32_e32 v41, v41, v61
	v_and_b32_e32 v61, v19, v17
	v_lshlrev_b32_e32 v17, 24, v18
	v_cmp_gt_i64_e32 vcc, 0, v[16:17]
	v_not_b32_e32 v17, v17
	v_ashrrev_i32_e32 v17, 31, v17
	v_xor_b32_e32 v18, vcc_hi, v17
	v_xor_b32_e32 v17, vcc_lo, v17
	; wave barrier
	ds_read_b32 v38, v40 offset:8
	v_and_b32_e32 v19, v41, v18
	v_and_b32_e32 v18, v61, v17
	v_mbcnt_lo_u32_b32 v17, v18, 0
	v_mbcnt_hi_u32_b32 v41, v19, v17
	v_cmp_eq_u32_e32 vcc, 0, v41
	v_cmp_ne_u64_e64 s[4:5], 0, v[18:19]
	s_and_b64 s[26:27], s[4:5], vcc
	; wave barrier
	s_and_saveexec_b64 s[4:5], s[26:27]
	s_cbranch_execz .LBB97_81
; %bb.80:
	v_bcnt_u32_b32 v17, v18, 0
	v_bcnt_u32_b32 v17, v19, v17
	s_waitcnt lgkmcnt(0)
	v_add_u32_e32 v17, v38, v17
	ds_write_b32 v40, v17 offset:8
.LBB97_81:
	s_or_b64 exec, exec, s[4:5]
	v_and_b32_e32 v18, s24, v23
	v_lshlrev_b32_sdwa v17, v60, v18 dst_sel:DWORD dst_unused:UNUSED_PAD src0_sel:DWORD src1_sel:BYTE_0
	v_add_lshl_u32 v61, v37, v17, 2
	v_and_b32_e32 v17, 1, v18
	v_add_co_u32_e32 v19, vcc, -1, v17
	v_addc_co_u32_e64 v62, s[4:5], 0, -1, vcc
	v_cmp_ne_u32_e32 vcc, 0, v17
	v_xor_b32_e32 v17, vcc_hi, v62
	v_and_b32_e32 v62, exec_hi, v17
	v_lshlrev_b32_e32 v17, 30, v18
	v_xor_b32_e32 v19, vcc_lo, v19
	v_cmp_gt_i64_e32 vcc, 0, v[16:17]
	v_not_b32_e32 v17, v17
	v_ashrrev_i32_e32 v17, 31, v17
	v_and_b32_e32 v19, exec_lo, v19
	v_xor_b32_e32 v63, vcc_hi, v17
	v_xor_b32_e32 v17, vcc_lo, v17
	v_and_b32_e32 v19, v19, v17
	v_lshlrev_b32_e32 v17, 29, v18
	v_cmp_gt_i64_e32 vcc, 0, v[16:17]
	v_not_b32_e32 v17, v17
	v_ashrrev_i32_e32 v17, 31, v17
	v_and_b32_e32 v62, v62, v63
	v_xor_b32_e32 v63, vcc_hi, v17
	v_xor_b32_e32 v17, vcc_lo, v17
	v_and_b32_e32 v19, v19, v17
	v_lshlrev_b32_e32 v17, 28, v18
	v_cmp_gt_i64_e32 vcc, 0, v[16:17]
	v_not_b32_e32 v17, v17
	v_ashrrev_i32_e32 v17, 31, v17
	v_and_b32_e32 v62, v62, v63
	;; [unrolled: 8-line block ×5, first 2 shown]
	v_xor_b32_e32 v63, vcc_hi, v17
	v_xor_b32_e32 v17, vcc_lo, v17
	v_and_b32_e32 v19, v19, v17
	v_lshlrev_b32_e32 v17, 24, v18
	v_cmp_gt_i64_e32 vcc, 0, v[16:17]
	v_not_b32_e32 v16, v17
	v_ashrrev_i32_e32 v16, 31, v16
	v_xor_b32_e32 v17, vcc_hi, v16
	v_xor_b32_e32 v16, vcc_lo, v16
	; wave barrier
	ds_read_b32 v60, v61 offset:8
	v_and_b32_e32 v62, v62, v63
	v_and_b32_e32 v16, v19, v16
	;; [unrolled: 1-line block ×3, first 2 shown]
	v_mbcnt_lo_u32_b32 v18, v16, 0
	v_mbcnt_hi_u32_b32 v62, v17, v18
	v_cmp_eq_u32_e32 vcc, 0, v62
	v_cmp_ne_u64_e64 s[4:5], 0, v[16:17]
	s_and_b64 s[26:27], s[4:5], vcc
	; wave barrier
	s_and_saveexec_b64 s[4:5], s[26:27]
	s_cbranch_execz .LBB97_83
; %bb.82:
	v_bcnt_u32_b32 v16, v16, 0
	v_bcnt_u32_b32 v16, v17, v16
	s_waitcnt lgkmcnt(0)
	v_add_u32_e32 v16, v60, v16
	ds_write_b32 v61, v16 offset:8
.LBB97_83:
	s_or_b64 exec, exec, s[4:5]
	v_and_b32_e32 v18, s24, v24
	v_and_b32_e32 v17, 1, v18
	v_add_co_u32_e32 v19, vcc, -1, v17
	v_mov_b32_e32 v66, 1
	v_addc_co_u32_e64 v65, s[4:5], 0, -1, vcc
	v_cmp_ne_u32_e32 vcc, 0, v17
	v_lshlrev_b32_sdwa v16, v66, v18 dst_sel:DWORD dst_unused:UNUSED_PAD src0_sel:DWORD src1_sel:BYTE_0
	v_xor_b32_e32 v17, vcc_hi, v65
	v_add_lshl_u32 v64, v37, v16, 2
	v_mov_b32_e32 v16, 0
	v_and_b32_e32 v65, exec_hi, v17
	v_lshlrev_b32_e32 v17, 30, v18
	v_xor_b32_e32 v19, vcc_lo, v19
	v_cmp_gt_i64_e32 vcc, 0, v[16:17]
	v_not_b32_e32 v17, v17
	v_ashrrev_i32_e32 v17, 31, v17
	v_and_b32_e32 v19, exec_lo, v19
	v_xor_b32_e32 v67, vcc_hi, v17
	v_xor_b32_e32 v17, vcc_lo, v17
	v_and_b32_e32 v19, v19, v17
	v_lshlrev_b32_e32 v17, 29, v18
	v_cmp_gt_i64_e32 vcc, 0, v[16:17]
	v_not_b32_e32 v17, v17
	v_ashrrev_i32_e32 v17, 31, v17
	v_and_b32_e32 v65, v65, v67
	v_xor_b32_e32 v67, vcc_hi, v17
	v_xor_b32_e32 v17, vcc_lo, v17
	v_and_b32_e32 v19, v19, v17
	v_lshlrev_b32_e32 v17, 28, v18
	v_cmp_gt_i64_e32 vcc, 0, v[16:17]
	v_not_b32_e32 v17, v17
	v_ashrrev_i32_e32 v17, 31, v17
	v_and_b32_e32 v65, v65, v67
	;; [unrolled: 8-line block ×5, first 2 shown]
	v_xor_b32_e32 v67, vcc_hi, v17
	v_xor_b32_e32 v17, vcc_lo, v17
	v_and_b32_e32 v65, v65, v67
	v_and_b32_e32 v67, v19, v17
	v_lshlrev_b32_e32 v17, 24, v18
	v_cmp_gt_i64_e32 vcc, 0, v[16:17]
	v_not_b32_e32 v17, v17
	v_ashrrev_i32_e32 v17, 31, v17
	v_xor_b32_e32 v18, vcc_hi, v17
	v_xor_b32_e32 v17, vcc_lo, v17
	; wave barrier
	ds_read_b32 v63, v64 offset:8
	v_and_b32_e32 v19, v65, v18
	v_and_b32_e32 v18, v67, v17
	v_mbcnt_lo_u32_b32 v17, v18, 0
	v_mbcnt_hi_u32_b32 v65, v19, v17
	v_cmp_eq_u32_e32 vcc, 0, v65
	v_cmp_ne_u64_e64 s[4:5], 0, v[18:19]
	s_and_b64 s[26:27], s[4:5], vcc
	; wave barrier
	s_and_saveexec_b64 s[4:5], s[26:27]
	s_cbranch_execz .LBB97_85
; %bb.84:
	v_bcnt_u32_b32 v17, v18, 0
	v_bcnt_u32_b32 v17, v19, v17
	s_waitcnt lgkmcnt(0)
	v_add_u32_e32 v17, v63, v17
	ds_write_b32 v64, v17 offset:8
.LBB97_85:
	s_or_b64 exec, exec, s[4:5]
	v_and_b32_e32 v18, s24, v25
	v_lshlrev_b32_sdwa v17, v66, v18 dst_sel:DWORD dst_unused:UNUSED_PAD src0_sel:DWORD src1_sel:BYTE_0
	v_add_lshl_u32 v67, v37, v17, 2
	v_and_b32_e32 v17, 1, v18
	v_add_co_u32_e32 v19, vcc, -1, v17
	v_addc_co_u32_e64 v68, s[4:5], 0, -1, vcc
	v_cmp_ne_u32_e32 vcc, 0, v17
	v_xor_b32_e32 v17, vcc_hi, v68
	v_and_b32_e32 v68, exec_hi, v17
	v_lshlrev_b32_e32 v17, 30, v18
	v_xor_b32_e32 v19, vcc_lo, v19
	v_cmp_gt_i64_e32 vcc, 0, v[16:17]
	v_not_b32_e32 v17, v17
	v_ashrrev_i32_e32 v17, 31, v17
	v_and_b32_e32 v19, exec_lo, v19
	v_xor_b32_e32 v69, vcc_hi, v17
	v_xor_b32_e32 v17, vcc_lo, v17
	v_and_b32_e32 v19, v19, v17
	v_lshlrev_b32_e32 v17, 29, v18
	v_cmp_gt_i64_e32 vcc, 0, v[16:17]
	v_not_b32_e32 v17, v17
	v_ashrrev_i32_e32 v17, 31, v17
	v_and_b32_e32 v68, v68, v69
	v_xor_b32_e32 v69, vcc_hi, v17
	v_xor_b32_e32 v17, vcc_lo, v17
	v_and_b32_e32 v19, v19, v17
	v_lshlrev_b32_e32 v17, 28, v18
	v_cmp_gt_i64_e32 vcc, 0, v[16:17]
	v_not_b32_e32 v17, v17
	v_ashrrev_i32_e32 v17, 31, v17
	v_and_b32_e32 v68, v68, v69
	;; [unrolled: 8-line block ×5, first 2 shown]
	v_xor_b32_e32 v69, vcc_hi, v17
	v_xor_b32_e32 v17, vcc_lo, v17
	v_and_b32_e32 v19, v19, v17
	v_lshlrev_b32_e32 v17, 24, v18
	v_cmp_gt_i64_e32 vcc, 0, v[16:17]
	v_not_b32_e32 v16, v17
	v_ashrrev_i32_e32 v16, 31, v16
	v_xor_b32_e32 v17, vcc_hi, v16
	v_xor_b32_e32 v16, vcc_lo, v16
	; wave barrier
	ds_read_b32 v66, v67 offset:8
	v_and_b32_e32 v68, v68, v69
	v_and_b32_e32 v16, v19, v16
	;; [unrolled: 1-line block ×3, first 2 shown]
	v_mbcnt_lo_u32_b32 v18, v16, 0
	v_mbcnt_hi_u32_b32 v68, v17, v18
	v_cmp_eq_u32_e32 vcc, 0, v68
	v_cmp_ne_u64_e64 s[4:5], 0, v[16:17]
	s_and_b64 s[26:27], s[4:5], vcc
	; wave barrier
	s_and_saveexec_b64 s[4:5], s[26:27]
	s_cbranch_execz .LBB97_87
; %bb.86:
	v_bcnt_u32_b32 v16, v16, 0
	v_bcnt_u32_b32 v16, v17, v16
	s_waitcnt lgkmcnt(0)
	v_add_u32_e32 v16, v66, v16
	ds_write_b32 v67, v16 offset:8
.LBB97_87:
	s_or_b64 exec, exec, s[4:5]
	v_and_b32_e32 v18, s24, v26
	v_and_b32_e32 v17, 1, v18
	v_add_co_u32_e32 v19, vcc, -1, v17
	v_mov_b32_e32 v72, 1
	v_addc_co_u32_e64 v71, s[4:5], 0, -1, vcc
	v_cmp_ne_u32_e32 vcc, 0, v17
	v_lshlrev_b32_sdwa v16, v72, v18 dst_sel:DWORD dst_unused:UNUSED_PAD src0_sel:DWORD src1_sel:BYTE_0
	v_xor_b32_e32 v17, vcc_hi, v71
	v_add_lshl_u32 v70, v37, v16, 2
	v_mov_b32_e32 v16, 0
	v_and_b32_e32 v71, exec_hi, v17
	v_lshlrev_b32_e32 v17, 30, v18
	v_xor_b32_e32 v19, vcc_lo, v19
	v_cmp_gt_i64_e32 vcc, 0, v[16:17]
	v_not_b32_e32 v17, v17
	v_ashrrev_i32_e32 v17, 31, v17
	v_and_b32_e32 v19, exec_lo, v19
	v_xor_b32_e32 v73, vcc_hi, v17
	v_xor_b32_e32 v17, vcc_lo, v17
	v_and_b32_e32 v19, v19, v17
	v_lshlrev_b32_e32 v17, 29, v18
	v_cmp_gt_i64_e32 vcc, 0, v[16:17]
	v_not_b32_e32 v17, v17
	v_ashrrev_i32_e32 v17, 31, v17
	v_and_b32_e32 v71, v71, v73
	v_xor_b32_e32 v73, vcc_hi, v17
	v_xor_b32_e32 v17, vcc_lo, v17
	v_and_b32_e32 v19, v19, v17
	v_lshlrev_b32_e32 v17, 28, v18
	v_cmp_gt_i64_e32 vcc, 0, v[16:17]
	v_not_b32_e32 v17, v17
	v_ashrrev_i32_e32 v17, 31, v17
	v_and_b32_e32 v71, v71, v73
	;; [unrolled: 8-line block ×5, first 2 shown]
	v_xor_b32_e32 v73, vcc_hi, v17
	v_xor_b32_e32 v17, vcc_lo, v17
	v_and_b32_e32 v71, v71, v73
	v_and_b32_e32 v73, v19, v17
	v_lshlrev_b32_e32 v17, 24, v18
	v_cmp_gt_i64_e32 vcc, 0, v[16:17]
	v_not_b32_e32 v17, v17
	v_ashrrev_i32_e32 v17, 31, v17
	v_xor_b32_e32 v18, vcc_hi, v17
	v_xor_b32_e32 v17, vcc_lo, v17
	; wave barrier
	ds_read_b32 v69, v70 offset:8
	v_and_b32_e32 v19, v71, v18
	v_and_b32_e32 v18, v73, v17
	v_mbcnt_lo_u32_b32 v17, v18, 0
	v_mbcnt_hi_u32_b32 v71, v19, v17
	v_cmp_eq_u32_e32 vcc, 0, v71
	v_cmp_ne_u64_e64 s[4:5], 0, v[18:19]
	s_and_b64 s[26:27], s[4:5], vcc
	; wave barrier
	s_and_saveexec_b64 s[4:5], s[26:27]
	s_cbranch_execz .LBB97_89
; %bb.88:
	v_bcnt_u32_b32 v17, v18, 0
	v_bcnt_u32_b32 v17, v19, v17
	s_waitcnt lgkmcnt(0)
	v_add_u32_e32 v17, v69, v17
	ds_write_b32 v70, v17 offset:8
.LBB97_89:
	s_or_b64 exec, exec, s[4:5]
	v_and_b32_e32 v18, s24, v27
	v_lshlrev_b32_sdwa v17, v72, v18 dst_sel:DWORD dst_unused:UNUSED_PAD src0_sel:DWORD src1_sel:BYTE_0
	v_add_lshl_u32 v72, v37, v17, 2
	v_and_b32_e32 v17, 1, v18
	v_add_co_u32_e32 v19, vcc, -1, v17
	v_addc_co_u32_e64 v74, s[4:5], 0, -1, vcc
	v_cmp_ne_u32_e32 vcc, 0, v17
	v_xor_b32_e32 v17, vcc_hi, v74
	v_and_b32_e32 v74, exec_hi, v17
	v_lshlrev_b32_e32 v17, 30, v18
	v_xor_b32_e32 v19, vcc_lo, v19
	v_cmp_gt_i64_e32 vcc, 0, v[16:17]
	v_not_b32_e32 v17, v17
	v_ashrrev_i32_e32 v17, 31, v17
	v_and_b32_e32 v19, exec_lo, v19
	v_xor_b32_e32 v75, vcc_hi, v17
	v_xor_b32_e32 v17, vcc_lo, v17
	v_and_b32_e32 v19, v19, v17
	v_lshlrev_b32_e32 v17, 29, v18
	v_cmp_gt_i64_e32 vcc, 0, v[16:17]
	v_not_b32_e32 v17, v17
	v_ashrrev_i32_e32 v17, 31, v17
	v_and_b32_e32 v74, v74, v75
	v_xor_b32_e32 v75, vcc_hi, v17
	v_xor_b32_e32 v17, vcc_lo, v17
	v_and_b32_e32 v19, v19, v17
	v_lshlrev_b32_e32 v17, 28, v18
	v_cmp_gt_i64_e32 vcc, 0, v[16:17]
	v_not_b32_e32 v17, v17
	v_ashrrev_i32_e32 v17, 31, v17
	v_and_b32_e32 v74, v74, v75
	;; [unrolled: 8-line block ×5, first 2 shown]
	v_xor_b32_e32 v75, vcc_hi, v17
	v_xor_b32_e32 v17, vcc_lo, v17
	v_and_b32_e32 v19, v19, v17
	v_lshlrev_b32_e32 v17, 24, v18
	v_cmp_gt_i64_e32 vcc, 0, v[16:17]
	v_not_b32_e32 v16, v17
	v_ashrrev_i32_e32 v16, 31, v16
	v_xor_b32_e32 v17, vcc_hi, v16
	v_xor_b32_e32 v16, vcc_lo, v16
	; wave barrier
	ds_read_b32 v37, v72 offset:8
	v_and_b32_e32 v74, v74, v75
	v_and_b32_e32 v16, v19, v16
	;; [unrolled: 1-line block ×3, first 2 shown]
	v_mbcnt_lo_u32_b32 v18, v16, 0
	v_mbcnt_hi_u32_b32 v74, v17, v18
	v_cmp_eq_u32_e32 vcc, 0, v74
	v_cmp_ne_u64_e64 s[4:5], 0, v[16:17]
	v_or_b32_e32 v73, 8, v59
	s_and_b64 s[24:25], s[4:5], vcc
	; wave barrier
	s_and_saveexec_b64 s[4:5], s[24:25]
	s_cbranch_execz .LBB97_91
; %bb.90:
	v_bcnt_u32_b32 v16, v16, 0
	v_bcnt_u32_b32 v16, v17, v16
	s_waitcnt lgkmcnt(0)
	v_add_u32_e32 v16, v37, v16
	ds_write_b32 v72, v16 offset:8
.LBB97_91:
	s_or_b64 exec, exec, s[4:5]
	; wave barrier
	s_waitcnt lgkmcnt(0)
	s_barrier
	ds_read2_b32 v[16:17], v59 offset0:2 offset1:3
	ds_read2_b32 v[18:19], v73 offset0:2 offset1:3
	v_min_u32_e32 v29, 64, v29
	v_or_b32_e32 v29, 63, v29
	s_waitcnt lgkmcnt(1)
	v_add_u32_e32 v75, v17, v16
	s_waitcnt lgkmcnt(0)
	v_add3_u32 v19, v75, v18, v19
	v_and_b32_e32 v75, 15, v28
	v_cmp_ne_u32_e32 vcc, 0, v75
	v_mov_b32_dpp v76, v19 row_shr:1 row_mask:0xf bank_mask:0xf
	v_cndmask_b32_e32 v76, 0, v76, vcc
	v_add_u32_e32 v19, v76, v19
	v_cmp_lt_u32_e32 vcc, 1, v75
	s_nop 0
	v_mov_b32_dpp v76, v19 row_shr:2 row_mask:0xf bank_mask:0xf
	v_cndmask_b32_e32 v76, 0, v76, vcc
	v_add_u32_e32 v19, v19, v76
	v_cmp_lt_u32_e32 vcc, 3, v75
	s_nop 0
	;; [unrolled: 5-line block ×3, first 2 shown]
	v_mov_b32_dpp v76, v19 row_shr:8 row_mask:0xf bank_mask:0xf
	v_cndmask_b32_e32 v75, 0, v76, vcc
	v_add_u32_e32 v19, v19, v75
	v_bfe_i32 v76, v28, 4, 1
	v_cmp_lt_u32_e32 vcc, 31, v28
	v_mov_b32_dpp v75, v19 row_bcast:15 row_mask:0xf bank_mask:0xf
	v_and_b32_e32 v75, v76, v75
	v_add_u32_e32 v19, v19, v75
	s_nop 1
	v_mov_b32_dpp v75, v19 row_bcast:31 row_mask:0xf bank_mask:0xf
	v_cndmask_b32_e32 v75, 0, v75, vcc
	v_add_u32_e32 v19, v19, v75
	v_lshrrev_b32_e32 v75, 6, v34
	v_cmp_eq_u32_e32 vcc, v29, v34
	s_and_saveexec_b64 s[4:5], vcc
	s_cbranch_execz .LBB97_93
; %bb.92:
	v_lshlrev_b32_e32 v29, 2, v75
	ds_write_b32 v29, v19
.LBB97_93:
	s_or_b64 exec, exec, s[4:5]
	v_cmp_gt_u32_e32 vcc, 2, v34
	s_waitcnt lgkmcnt(0)
	s_barrier
	s_and_saveexec_b64 s[4:5], vcc
	s_cbranch_execz .LBB97_95
; %bb.94:
	v_lshlrev_b32_e32 v29, 2, v34
	ds_read_b32 v76, v29
	v_bfe_i32 v77, v28, 0, 1
	s_waitcnt lgkmcnt(0)
	v_mov_b32_dpp v78, v76 row_shr:1 row_mask:0xf bank_mask:0xf
	v_and_b32_e32 v77, v77, v78
	v_add_u32_e32 v76, v77, v76
	ds_write_b32 v29, v76
.LBB97_95:
	s_or_b64 exec, exec, s[4:5]
	v_cmp_lt_u32_e32 vcc, 63, v34
	v_mov_b32_e32 v29, 0
	s_waitcnt lgkmcnt(0)
	s_barrier
	s_and_saveexec_b64 s[4:5], vcc
	s_cbranch_execz .LBB97_97
; %bb.96:
	v_lshl_add_u32 v29, v75, 2, -4
	ds_read_b32 v29, v29
.LBB97_97:
	s_or_b64 exec, exec, s[4:5]
	v_add_u32_e32 v75, -1, v28
	v_and_b32_e32 v76, 64, v28
	v_cmp_lt_i32_e32 vcc, v75, v76
	v_cndmask_b32_e32 v75, v75, v28, vcc
	s_waitcnt lgkmcnt(0)
	v_add_u32_e32 v19, v29, v19
	v_lshlrev_b32_e32 v75, 2, v75
	ds_bpermute_b32 v19, v75, v19
	v_cmp_eq_u32_e32 vcc, 0, v28
	s_waitcnt lgkmcnt(0)
	v_cndmask_b32_e32 v19, v19, v29, vcc
	v_cmp_ne_u32_e32 vcc, 0, v34
	v_cndmask_b32_e32 v19, 0, v19, vcc
	v_add_u32_e32 v16, v19, v16
	v_add_u32_e32 v17, v16, v17
	;; [unrolled: 1-line block ×3, first 2 shown]
	ds_write2_b32 v59, v19, v16 offset0:2 offset1:3
	ds_write2_b32 v73, v17, v18 offset0:2 offset1:3
	s_waitcnt lgkmcnt(0)
	s_barrier
	ds_read_b32 v16, v30 offset:8
	ds_read_b32 v17, v33 offset:8
	;; [unrolled: 1-line block ×8, first 2 shown]
	s_waitcnt lgkmcnt(7)
	v_add_u32_e32 v31, v16, v31
	s_waitcnt lgkmcnt(6)
	v_add3_u32 v32, v36, v32, v17
	s_waitcnt lgkmcnt(5)
	v_add3_u32 v18, v41, v38, v18
	;; [unrolled: 2-line block ×7, first 2 shown]
	s_barrier
	ds_write_b8 v31, v20
	ds_write_b8 v32, v21
	;; [unrolled: 1-line block ×8, first 2 shown]
	v_lshlrev_b32_e32 v20, 3, v31
	s_waitcnt lgkmcnt(0)
	s_barrier
	ds_read_b64 v[16:17], v50
	s_waitcnt lgkmcnt(0)
	s_barrier
	ds_write_b64 v20, v[12:13]
	v_lshlrev_b32_e32 v12, 3, v32
	ds_write_b64 v12, v[14:15]
	v_lshlrev_b32_e32 v12, 3, v18
	;; [unrolled: 2-line block ×8, first 2 shown]
	s_waitcnt lgkmcnt(0)
	s_barrier
	ds_read2_b64 v[18:21], v0 offset1:1
	ds_read2_b64 v[22:25], v0 offset0:2 offset1:3
	ds_read2_b64 v[26:29], v0 offset0:4 offset1:5
	;; [unrolled: 1-line block ×3, first 2 shown]
	v_lshrrev_b32_e32 v36, 8, v16
	v_mov_b32_e32 v1, -1
	v_lshrrev_b32_e32 v37, 8, v17
	v_xor_b32_e32 v0, -1, v16
	v_xor_b32_sdwa v2, v36, v1 dst_sel:BYTE_1 dst_unused:UNUSED_PAD src0_sel:DWORD src1_sel:DWORD
	v_xor_b32_sdwa v3, v16, v1 dst_sel:DWORD dst_unused:UNUSED_PAD src0_sel:WORD_1 src1_sel:DWORD
	v_xor_b32_sdwa v4, v16, v1 dst_sel:BYTE_1 dst_unused:UNUSED_PAD src0_sel:BYTE_3 src1_sel:DWORD
	v_xor_b32_e32 v5, -1, v17
	v_xor_b32_sdwa v6, v37, v1 dst_sel:BYTE_1 dst_unused:UNUSED_PAD src0_sel:DWORD src1_sel:DWORD
	v_xor_b32_sdwa v7, v17, v1 dst_sel:DWORD dst_unused:UNUSED_PAD src0_sel:WORD_1 src1_sel:DWORD
	v_xor_b32_sdwa v1, v17, v1 dst_sel:BYTE_1 dst_unused:UNUSED_PAD src0_sel:BYTE_3 src1_sel:DWORD
	v_or_b32_sdwa v0, v0, v2 dst_sel:DWORD dst_unused:UNUSED_PAD src0_sel:BYTE_0 src1_sel:DWORD
	v_or_b32_sdwa v2, v3, v4 dst_sel:WORD_1 dst_unused:UNUSED_PAD src0_sel:BYTE_0 src1_sel:DWORD
	v_or_b32_sdwa v0, v0, v2 dst_sel:DWORD dst_unused:UNUSED_PAD src0_sel:WORD_0 src1_sel:DWORD
	v_or_b32_sdwa v2, v5, v6 dst_sel:DWORD dst_unused:UNUSED_PAD src0_sel:BYTE_0 src1_sel:DWORD
	v_or_b32_sdwa v1, v7, v1 dst_sel:WORD_1 dst_unused:UNUSED_PAD src0_sel:BYTE_0 src1_sel:DWORD
	v_or_b32_sdwa v1, v2, v1 dst_sel:DWORD dst_unused:UNUSED_PAD src0_sel:WORD_0 src1_sel:DWORD
.LBB97_98:
	s_waitcnt lgkmcnt(0)
	s_barrier
	ds_write_b64 v49, v[0:1]
	s_waitcnt lgkmcnt(0)
	s_barrier
	ds_read_u8 v8, v42 offset:128
	ds_read_u8 v7, v43 offset:256
	;; [unrolled: 1-line block ×7, first 2 shown]
	v_pk_mov_b32 v[0:1], s[22:23], s[22:23] op_sel:[0,1]
	v_mad_u64_u32 v[0:1], s[4:5], v34, s18, v[0:1]
	v_mov_b32_e32 v10, v1
	v_mad_u64_u32 v[10:11], s[4:5], v34, s19, v[10:11]
	v_mov_b32_e32 v1, v10
	s_and_saveexec_b64 s[4:5], s[0:1]
	s_cbranch_execnz .LBB97_117
; %bb.99:
	s_or_b64 exec, exec, s[4:5]
	s_and_saveexec_b64 s[4:5], s[2:3]
	s_cbranch_execnz .LBB97_118
.LBB97_100:
	s_or_b64 exec, exec, s[4:5]
	s_and_saveexec_b64 s[4:5], s[16:17]
	s_cbranch_execnz .LBB97_119
.LBB97_101:
	s_or_b64 exec, exec, s[4:5]
	s_and_saveexec_b64 s[4:5], s[6:7]
	s_cbranch_execnz .LBB97_120
.LBB97_102:
	s_or_b64 exec, exec, s[4:5]
	s_and_saveexec_b64 s[4:5], s[8:9]
	s_cbranch_execnz .LBB97_121
.LBB97_103:
	s_or_b64 exec, exec, s[4:5]
	s_and_saveexec_b64 s[4:5], s[10:11]
	s_cbranch_execnz .LBB97_122
.LBB97_104:
	s_or_b64 exec, exec, s[4:5]
	s_and_saveexec_b64 s[4:5], s[12:13]
	s_cbranch_execnz .LBB97_123
.LBB97_105:
	s_or_b64 exec, exec, s[4:5]
	s_and_saveexec_b64 s[4:5], s[14:15]
	s_cbranch_execz .LBB97_107
.LBB97_106:
	s_waitcnt lgkmcnt(1)
	v_mov_b32_e32 v3, 0x380
	v_mad_u64_u32 v[0:1], s[22:23], s18, v3, v[0:1]
	s_mul_i32 s18, s19, 0x380
	v_add_u32_e32 v1, s18, v1
	s_waitcnt lgkmcnt(0)
	global_store_byte v[0:1], v2, off
.LBB97_107:
	s_or_b64 exec, exec, s[4:5]
	s_waitcnt lgkmcnt(0)
	s_barrier
	ds_write2_b64 v58, v[18:19], v[20:21] offset1:1
	ds_write2_b64 v58, v[22:23], v[24:25] offset0:2 offset1:3
	ds_write2_b64 v58, v[26:27], v[28:29] offset0:4 offset1:5
	;; [unrolled: 1-line block ×3, first 2 shown]
	s_waitcnt lgkmcnt(0)
	s_barrier
	ds_read_b64 v[14:15], v51 offset:1024
	ds_read_b64 v[12:13], v52 offset:2048
	;; [unrolled: 1-line block ×7, first 2 shown]
	v_mad_u64_u32 v[4:5], s[4:5], v34, s20, 0
	v_mov_b32_e32 v16, v5
	v_mad_u64_u32 v[16:17], s[4:5], v34, s21, v[16:17]
	v_mov_b32_e32 v5, v16
	v_lshlrev_b64 v[4:5], 3, v[4:5]
	v_mov_b32_e32 v16, s29
	v_add_co_u32_e32 v4, vcc, s28, v4
	v_addc_co_u32_e32 v5, vcc, v16, v5, vcc
	s_and_saveexec_b64 s[4:5], s[0:1]
	s_cbranch_execnz .LBB97_124
; %bb.108:
	s_or_b64 exec, exec, s[4:5]
	s_and_saveexec_b64 s[0:1], s[2:3]
	s_cbranch_execnz .LBB97_125
.LBB97_109:
	s_or_b64 exec, exec, s[0:1]
	s_and_saveexec_b64 s[0:1], s[16:17]
	s_cbranch_execnz .LBB97_126
.LBB97_110:
	s_or_b64 exec, exec, s[0:1]
	s_and_saveexec_b64 s[0:1], s[6:7]
	s_cbranch_execnz .LBB97_127
.LBB97_111:
	s_or_b64 exec, exec, s[0:1]
	s_and_saveexec_b64 s[0:1], s[8:9]
	s_cbranch_execnz .LBB97_128
.LBB97_112:
	s_or_b64 exec, exec, s[0:1]
	s_and_saveexec_b64 s[0:1], s[10:11]
	s_cbranch_execnz .LBB97_129
.LBB97_113:
	s_or_b64 exec, exec, s[0:1]
	s_and_saveexec_b64 s[0:1], s[12:13]
	s_cbranch_execnz .LBB97_130
.LBB97_114:
	s_or_b64 exec, exec, s[0:1]
	s_and_saveexec_b64 s[0:1], s[14:15]
	s_cbranch_execz .LBB97_116
.LBB97_115:
	s_waitcnt lgkmcnt(1)
	v_mov_b32_e32 v2, 0x1c00
	v_mad_u64_u32 v[2:3], s[0:1], s20, v2, v[4:5]
	s_mul_i32 s0, s21, 0x1c00
	v_add_u32_e32 v3, s0, v3
	s_waitcnt lgkmcnt(0)
	global_store_dwordx2 v[2:3], v[0:1], off
.LBB97_116:
	s_endpgm
.LBB97_117:
	ds_read_u8 v9, v35
	s_waitcnt lgkmcnt(0)
	global_store_byte v[0:1], v9, off
	s_or_b64 exec, exec, s[4:5]
	s_and_saveexec_b64 s[4:5], s[2:3]
	s_cbranch_execz .LBB97_100
.LBB97_118:
	s_lshl_b64 s[22:23], s[18:19], 7
	v_mov_b32_e32 v9, s23
	v_add_co_u32_e32 v10, vcc, s22, v0
	v_addc_co_u32_e32 v11, vcc, v1, v9, vcc
	s_waitcnt lgkmcnt(6)
	global_store_byte v[10:11], v8, off
	s_or_b64 exec, exec, s[4:5]
	s_and_saveexec_b64 s[4:5], s[16:17]
	s_cbranch_execz .LBB97_101
.LBB97_119:
	s_lshl_b64 s[22:23], s[18:19], 8
	v_mov_b32_e32 v9, s23
	s_waitcnt lgkmcnt(6)
	v_add_co_u32_e32 v8, vcc, s22, v0
	v_addc_co_u32_e32 v9, vcc, v1, v9, vcc
	s_waitcnt lgkmcnt(5)
	global_store_byte v[8:9], v7, off
	s_or_b64 exec, exec, s[4:5]
	s_and_saveexec_b64 s[4:5], s[6:7]
	s_cbranch_execz .LBB97_102
.LBB97_120:
	s_waitcnt lgkmcnt(5)
	v_mov_b32_e32 v7, 0x180
	v_mad_u64_u32 v[8:9], s[22:23], s18, v7, v[0:1]
	s_mul_i32 s22, s19, 0x180
	v_add_u32_e32 v9, s22, v9
	s_waitcnt lgkmcnt(4)
	global_store_byte v[8:9], v6, off
	s_or_b64 exec, exec, s[4:5]
	s_and_saveexec_b64 s[4:5], s[8:9]
	s_cbranch_execz .LBB97_103
.LBB97_121:
	s_lshl_b64 s[22:23], s[18:19], 9
	s_waitcnt lgkmcnt(5)
	v_mov_b32_e32 v7, s23
	s_waitcnt lgkmcnt(4)
	v_add_co_u32_e32 v6, vcc, s22, v0
	v_addc_co_u32_e32 v7, vcc, v1, v7, vcc
	s_waitcnt lgkmcnt(3)
	global_store_byte v[6:7], v5, off
	s_or_b64 exec, exec, s[4:5]
	s_and_saveexec_b64 s[4:5], s[10:11]
	s_cbranch_execz .LBB97_104
.LBB97_122:
	s_waitcnt lgkmcnt(3)
	v_mov_b32_e32 v5, 0x280
	v_mad_u64_u32 v[6:7], s[22:23], s18, v5, v[0:1]
	s_mul_i32 s22, s19, 0x280
	v_add_u32_e32 v7, s22, v7
	s_waitcnt lgkmcnt(2)
	global_store_byte v[6:7], v4, off
	s_or_b64 exec, exec, s[4:5]
	s_and_saveexec_b64 s[4:5], s[12:13]
	s_cbranch_execz .LBB97_105
.LBB97_123:
	s_waitcnt lgkmcnt(2)
	v_mov_b32_e32 v4, 0x300
	v_mad_u64_u32 v[4:5], s[22:23], s18, v4, v[0:1]
	s_mul_i32 s22, s19, 0x300
	v_add_u32_e32 v5, s22, v5
	s_waitcnt lgkmcnt(1)
	global_store_byte v[4:5], v3, off
	s_or_b64 exec, exec, s[4:5]
	s_and_saveexec_b64 s[4:5], s[14:15]
	s_cbranch_execnz .LBB97_106
	s_branch .LBB97_107
.LBB97_124:
	ds_read_b64 v[16:17], v39
	s_waitcnt lgkmcnt(0)
	global_store_dwordx2 v[4:5], v[16:17], off
	s_or_b64 exec, exec, s[4:5]
	s_and_saveexec_b64 s[0:1], s[2:3]
	s_cbranch_execz .LBB97_109
.LBB97_125:
	s_lshl_b64 s[2:3], s[20:21], 10
	v_mov_b32_e32 v17, s3
	v_add_co_u32_e32 v16, vcc, s2, v4
	v_addc_co_u32_e32 v17, vcc, v5, v17, vcc
	s_waitcnt lgkmcnt(6)
	global_store_dwordx2 v[16:17], v[14:15], off
	s_or_b64 exec, exec, s[0:1]
	s_and_saveexec_b64 s[0:1], s[16:17]
	s_cbranch_execz .LBB97_110
.LBB97_126:
	s_lshl_b64 s[2:3], s[20:21], 11
	s_waitcnt lgkmcnt(6)
	v_mov_b32_e32 v15, s3
	v_add_co_u32_e32 v14, vcc, s2, v4
	v_addc_co_u32_e32 v15, vcc, v5, v15, vcc
	s_waitcnt lgkmcnt(5)
	global_store_dwordx2 v[14:15], v[12:13], off
	s_or_b64 exec, exec, s[0:1]
	s_and_saveexec_b64 s[0:1], s[6:7]
	s_cbranch_execz .LBB97_111
.LBB97_127:
	s_waitcnt lgkmcnt(5)
	v_mov_b32_e32 v12, 0xc00
	v_mad_u64_u32 v[12:13], s[2:3], s20, v12, v[4:5]
	s_mul_i32 s2, s21, 0xc00
	v_add_u32_e32 v13, s2, v13
	s_waitcnt lgkmcnt(4)
	global_store_dwordx2 v[12:13], v[10:11], off
	s_or_b64 exec, exec, s[0:1]
	s_and_saveexec_b64 s[0:1], s[8:9]
	s_cbranch_execz .LBB97_112
.LBB97_128:
	s_lshl_b64 s[2:3], s[20:21], 12
	s_waitcnt lgkmcnt(4)
	v_mov_b32_e32 v11, s3
	v_add_co_u32_e32 v10, vcc, s2, v4
	v_addc_co_u32_e32 v11, vcc, v5, v11, vcc
	s_waitcnt lgkmcnt(3)
	global_store_dwordx2 v[10:11], v[8:9], off
	s_or_b64 exec, exec, s[0:1]
	s_and_saveexec_b64 s[0:1], s[10:11]
	s_cbranch_execz .LBB97_113
.LBB97_129:
	s_waitcnt lgkmcnt(3)
	v_mov_b32_e32 v8, 0x1400
	v_mad_u64_u32 v[8:9], s[2:3], s20, v8, v[4:5]
	s_mul_i32 s2, s21, 0x1400
	v_add_u32_e32 v9, s2, v9
	s_waitcnt lgkmcnt(2)
	global_store_dwordx2 v[8:9], v[6:7], off
	s_or_b64 exec, exec, s[0:1]
	s_and_saveexec_b64 s[0:1], s[12:13]
	s_cbranch_execz .LBB97_114
.LBB97_130:
	s_waitcnt lgkmcnt(2)
	v_mov_b32_e32 v6, 0x1800
	v_mad_u64_u32 v[6:7], s[2:3], s20, v6, v[4:5]
	s_mul_i32 s2, s21, 0x1800
	v_add_u32_e32 v7, s2, v7
	s_waitcnt lgkmcnt(1)
	global_store_dwordx2 v[6:7], v[2:3], off
	s_or_b64 exec, exec, s[0:1]
	s_and_saveexec_b64 s[0:1], s[14:15]
	s_cbranch_execnz .LBB97_115
	s_branch .LBB97_116
	.section	.rodata,"a",@progbits
	.p2align	6, 0x0
	.amdhsa_kernel _ZN2at6native18radixSortKVInPlaceILin1ELin1ELi128ELi8EhlmEEvNS_4cuda6detail10TensorInfoIT3_T5_EES6_S6_S6_NS4_IT4_S6_EES6_b
		.amdhsa_group_segment_fixed_size 8448
		.amdhsa_private_segment_fixed_size 0
		.amdhsa_kernarg_size 1128
		.amdhsa_user_sgpr_count 6
		.amdhsa_user_sgpr_private_segment_buffer 1
		.amdhsa_user_sgpr_dispatch_ptr 0
		.amdhsa_user_sgpr_queue_ptr 0
		.amdhsa_user_sgpr_kernarg_segment_ptr 1
		.amdhsa_user_sgpr_dispatch_id 0
		.amdhsa_user_sgpr_flat_scratch_init 0
		.amdhsa_user_sgpr_kernarg_preload_length 0
		.amdhsa_user_sgpr_kernarg_preload_offset 0
		.amdhsa_user_sgpr_private_segment_size 0
		.amdhsa_uses_dynamic_stack 0
		.amdhsa_system_sgpr_private_segment_wavefront_offset 0
		.amdhsa_system_sgpr_workgroup_id_x 1
		.amdhsa_system_sgpr_workgroup_id_y 1
		.amdhsa_system_sgpr_workgroup_id_z 1
		.amdhsa_system_sgpr_workgroup_info 0
		.amdhsa_system_vgpr_workitem_id 2
		.amdhsa_next_free_vgpr 103
		.amdhsa_next_free_sgpr 52
		.amdhsa_accum_offset 104
		.amdhsa_reserve_vcc 1
		.amdhsa_reserve_flat_scratch 0
		.amdhsa_float_round_mode_32 0
		.amdhsa_float_round_mode_16_64 0
		.amdhsa_float_denorm_mode_32 3
		.amdhsa_float_denorm_mode_16_64 3
		.amdhsa_dx10_clamp 1
		.amdhsa_ieee_mode 1
		.amdhsa_fp16_overflow 0
		.amdhsa_tg_split 0
		.amdhsa_exception_fp_ieee_invalid_op 0
		.amdhsa_exception_fp_denorm_src 0
		.amdhsa_exception_fp_ieee_div_zero 0
		.amdhsa_exception_fp_ieee_overflow 0
		.amdhsa_exception_fp_ieee_underflow 0
		.amdhsa_exception_fp_ieee_inexact 0
		.amdhsa_exception_int_div_zero 0
	.end_amdhsa_kernel
	.section	.text._ZN2at6native18radixSortKVInPlaceILin1ELin1ELi128ELi8EhlmEEvNS_4cuda6detail10TensorInfoIT3_T5_EES6_S6_S6_NS4_IT4_S6_EES6_b,"axG",@progbits,_ZN2at6native18radixSortKVInPlaceILin1ELin1ELi128ELi8EhlmEEvNS_4cuda6detail10TensorInfoIT3_T5_EES6_S6_S6_NS4_IT4_S6_EES6_b,comdat
.Lfunc_end97:
	.size	_ZN2at6native18radixSortKVInPlaceILin1ELin1ELi128ELi8EhlmEEvNS_4cuda6detail10TensorInfoIT3_T5_EES6_S6_S6_NS4_IT4_S6_EES6_b, .Lfunc_end97-_ZN2at6native18radixSortKVInPlaceILin1ELin1ELi128ELi8EhlmEEvNS_4cuda6detail10TensorInfoIT3_T5_EES6_S6_S6_NS4_IT4_S6_EES6_b
                                        ; -- End function
	.section	.AMDGPU.csdata,"",@progbits
; Kernel info:
; codeLenInByte = 13504
; NumSgprs: 56
; NumVgprs: 103
; NumAgprs: 0
; TotalNumVgprs: 103
; ScratchSize: 0
; MemoryBound: 0
; FloatMode: 240
; IeeeMode: 1
; LDSByteSize: 8448 bytes/workgroup (compile time only)
; SGPRBlocks: 6
; VGPRBlocks: 12
; NumSGPRsForWavesPerEU: 56
; NumVGPRsForWavesPerEU: 103
; AccumOffset: 104
; Occupancy: 4
; WaveLimiterHint : 1
; COMPUTE_PGM_RSRC2:SCRATCH_EN: 0
; COMPUTE_PGM_RSRC2:USER_SGPR: 6
; COMPUTE_PGM_RSRC2:TRAP_HANDLER: 0
; COMPUTE_PGM_RSRC2:TGID_X_EN: 1
; COMPUTE_PGM_RSRC2:TGID_Y_EN: 1
; COMPUTE_PGM_RSRC2:TGID_Z_EN: 1
; COMPUTE_PGM_RSRC2:TIDIG_COMP_CNT: 2
; COMPUTE_PGM_RSRC3_GFX90A:ACCUM_OFFSET: 25
; COMPUTE_PGM_RSRC3_GFX90A:TG_SPLIT: 0
	.section	.text._ZN2at6native18radixSortKVInPlaceILin1ELin1ELi32ELi4EhlmEEvNS_4cuda6detail10TensorInfoIT3_T5_EES6_S6_S6_NS4_IT4_S6_EES6_b,"axG",@progbits,_ZN2at6native18radixSortKVInPlaceILin1ELin1ELi32ELi4EhlmEEvNS_4cuda6detail10TensorInfoIT3_T5_EES6_S6_S6_NS4_IT4_S6_EES6_b,comdat
	.protected	_ZN2at6native18radixSortKVInPlaceILin1ELin1ELi32ELi4EhlmEEvNS_4cuda6detail10TensorInfoIT3_T5_EES6_S6_S6_NS4_IT4_S6_EES6_b ; -- Begin function _ZN2at6native18radixSortKVInPlaceILin1ELin1ELi32ELi4EhlmEEvNS_4cuda6detail10TensorInfoIT3_T5_EES6_S6_S6_NS4_IT4_S6_EES6_b
	.globl	_ZN2at6native18radixSortKVInPlaceILin1ELin1ELi32ELi4EhlmEEvNS_4cuda6detail10TensorInfoIT3_T5_EES6_S6_S6_NS4_IT4_S6_EES6_b
	.p2align	8
	.type	_ZN2at6native18radixSortKVInPlaceILin1ELin1ELi32ELi4EhlmEEvNS_4cuda6detail10TensorInfoIT3_T5_EES6_S6_S6_NS4_IT4_S6_EES6_b,@function
_ZN2at6native18radixSortKVInPlaceILin1ELin1ELi32ELi4EhlmEEvNS_4cuda6detail10TensorInfoIT3_T5_EES6_S6_S6_NS4_IT4_S6_EES6_b: ; @_ZN2at6native18radixSortKVInPlaceILin1ELin1ELi32ELi4EhlmEEvNS_4cuda6detail10TensorInfoIT3_T5_EES6_S6_S6_NS4_IT4_S6_EES6_b
; %bb.0:
	s_load_dwordx4 s[12:15], s[4:5], 0x1a0
	s_load_dwordx2 s[0:1], s[4:5], 0x368
	s_waitcnt lgkmcnt(0)
	v_mov_b32_e32 v2, s12
	s_mul_i32 s1, s1, s8
	s_add_i32 s1, s1, s7
	s_mul_i32 s0, s1, s0
	v_mov_b32_e32 v3, s13
	s_add_i32 s6, s0, s6
	s_mov_b32 s7, 0
	v_cmp_ge_u64_e32 vcc, s[6:7], v[2:3]
	s_cbranch_vccnz .LBB98_84
; %bb.1:
	s_load_dword s0, s[4:5], 0x198
	s_load_dwordx2 s[22:23], s[4:5], 0x1b0
	s_mov_b64 s[2:3], 0
	s_mov_b64 s[8:9], s[6:7]
	s_waitcnt lgkmcnt(0)
	s_cmp_lt_i32 s0, 2
	s_cbranch_scc1 .LBB98_9
; %bb.2:
	s_mov_b32 s10, 0
	s_add_i32 s15, s0, 1
	s_add_i32 s0, s0, -1
	s_mov_b32 s1, s10
	s_lshl_b64 s[0:1], s[0:1], 3
	s_add_u32 s0, s0, s4
	s_addc_u32 s1, s1, s5
	s_add_u32 s12, s0, 8
	s_addc_u32 s13, s1, 0
	s_mov_b64 s[16:17], s[6:7]
.LBB98_3:                               ; =>This Inner Loop Header: Depth=1
	s_load_dwordx2 s[18:19], s[12:13], 0x0
	s_waitcnt lgkmcnt(0)
	s_or_b64 s[0:1], s[16:17], s[18:19]
	s_mov_b32 s11, s1
	s_cmp_lg_u64 s[10:11], 0
	s_cbranch_scc0 .LBB98_8
; %bb.4:                                ;   in Loop: Header=BB98_3 Depth=1
	v_cvt_f32_u32_e32 v1, s18
	v_cvt_f32_u32_e32 v2, s19
	s_sub_u32 s0, 0, s18
	s_subb_u32 s1, 0, s19
	v_mac_f32_e32 v1, 0x4f800000, v2
	v_rcp_f32_e32 v1, v1
	v_mul_f32_e32 v1, 0x5f7ffffc, v1
	v_mul_f32_e32 v2, 0x2f800000, v1
	v_trunc_f32_e32 v2, v2
	v_mac_f32_e32 v1, 0xcf800000, v2
	v_cvt_u32_f32_e32 v2, v2
	v_cvt_u32_f32_e32 v1, v1
	v_readfirstlane_b32 s8, v2
	v_readfirstlane_b32 s9, v1
	s_mul_i32 s11, s0, s8
	s_mul_hi_u32 s21, s0, s9
	s_mul_i32 s20, s1, s9
	s_add_i32 s11, s21, s11
	s_mul_i32 s24, s0, s9
	s_add_i32 s11, s11, s20
	s_mul_hi_u32 s20, s9, s11
	s_mul_i32 s21, s9, s11
	s_mul_hi_u32 s9, s9, s24
	s_add_u32 s9, s9, s21
	s_addc_u32 s20, 0, s20
	s_mul_hi_u32 s25, s8, s24
	s_mul_i32 s24, s8, s24
	s_add_u32 s9, s9, s24
	s_mul_hi_u32 s21, s8, s11
	s_addc_u32 s9, s20, s25
	s_addc_u32 s20, s21, 0
	s_mul_i32 s11, s8, s11
	s_add_u32 s9, s9, s11
	s_addc_u32 s11, 0, s20
	v_add_co_u32_e32 v1, vcc, s9, v1
	s_cmp_lg_u64 vcc, 0
	s_addc_u32 s8, s8, s11
	v_readfirstlane_b32 s11, v1
	s_mul_i32 s9, s0, s8
	s_mul_hi_u32 s20, s0, s11
	s_add_i32 s9, s20, s9
	s_mul_i32 s1, s1, s11
	s_add_i32 s9, s9, s1
	s_mul_i32 s0, s0, s11
	s_mul_hi_u32 s20, s8, s0
	s_mul_i32 s21, s8, s0
	s_mul_i32 s25, s11, s9
	s_mul_hi_u32 s0, s11, s0
	s_mul_hi_u32 s24, s11, s9
	s_add_u32 s0, s0, s25
	s_addc_u32 s11, 0, s24
	s_add_u32 s0, s0, s21
	s_mul_hi_u32 s1, s8, s9
	s_addc_u32 s0, s11, s20
	s_addc_u32 s1, s1, 0
	s_mul_i32 s9, s8, s9
	s_add_u32 s0, s0, s9
	s_addc_u32 s1, 0, s1
	v_add_co_u32_e32 v1, vcc, s0, v1
	s_cmp_lg_u64 vcc, 0
	s_addc_u32 s0, s8, s1
	v_readfirstlane_b32 s9, v1
	s_mul_i32 s8, s16, s0
	s_mul_hi_u32 s11, s16, s9
	s_mul_hi_u32 s1, s16, s0
	s_add_u32 s8, s11, s8
	s_addc_u32 s1, 0, s1
	s_mul_hi_u32 s20, s17, s9
	s_mul_i32 s9, s17, s9
	s_add_u32 s8, s8, s9
	s_mul_hi_u32 s11, s17, s0
	s_addc_u32 s1, s1, s20
	s_addc_u32 s8, s11, 0
	s_mul_i32 s0, s17, s0
	s_add_u32 s11, s1, s0
	s_addc_u32 s8, 0, s8
	s_mul_i32 s0, s18, s8
	s_mul_hi_u32 s1, s18, s11
	s_add_i32 s0, s1, s0
	s_mul_i32 s1, s19, s11
	s_add_i32 s9, s0, s1
	s_mul_i32 s1, s18, s11
	v_mov_b32_e32 v1, s1
	s_sub_i32 s0, s17, s9
	v_sub_co_u32_e32 v1, vcc, s16, v1
	s_cmp_lg_u64 vcc, 0
	s_subb_u32 s20, s0, s19
	v_subrev_co_u32_e64 v2, s[0:1], s18, v1
	s_cmp_lg_u64 s[0:1], 0
	s_subb_u32 s0, s20, 0
	s_cmp_ge_u32 s0, s19
	v_readfirstlane_b32 s20, v2
	s_cselect_b32 s1, -1, 0
	s_cmp_ge_u32 s20, s18
	s_cselect_b32 s20, -1, 0
	s_cmp_eq_u32 s0, s19
	s_cselect_b32 s0, s20, s1
	s_add_u32 s1, s11, 1
	s_addc_u32 s20, s8, 0
	s_add_u32 s21, s11, 2
	s_addc_u32 s24, s8, 0
	s_cmp_lg_u32 s0, 0
	s_cselect_b32 s0, s21, s1
	s_cselect_b32 s1, s24, s20
	s_cmp_lg_u64 vcc, 0
	s_subb_u32 s9, s17, s9
	s_cmp_ge_u32 s9, s19
	v_readfirstlane_b32 s21, v1
	s_cselect_b32 s20, -1, 0
	s_cmp_ge_u32 s21, s18
	s_cselect_b32 s21, -1, 0
	s_cmp_eq_u32 s9, s19
	s_cselect_b32 s9, s21, s20
	s_cmp_lg_u32 s9, 0
	s_cselect_b32 s9, s1, s8
	s_cselect_b32 s8, s0, s11
	s_cbranch_execnz .LBB98_6
.LBB98_5:                               ;   in Loop: Header=BB98_3 Depth=1
	v_cvt_f32_u32_e32 v1, s18
	s_sub_i32 s0, 0, s18
	v_rcp_iflag_f32_e32 v1, v1
	v_mul_f32_e32 v1, 0x4f7ffffe, v1
	v_cvt_u32_f32_e32 v1, v1
	v_readfirstlane_b32 s1, v1
	s_mul_i32 s0, s0, s1
	s_mul_hi_u32 s0, s1, s0
	s_add_i32 s1, s1, s0
	s_mul_hi_u32 s0, s16, s1
	s_mul_i32 s8, s0, s18
	s_sub_i32 s8, s16, s8
	s_add_i32 s1, s0, 1
	s_sub_i32 s9, s8, s18
	s_cmp_ge_u32 s8, s18
	s_cselect_b32 s0, s1, s0
	s_cselect_b32 s8, s9, s8
	s_add_i32 s1, s0, 1
	s_cmp_ge_u32 s8, s18
	s_cselect_b32 s8, s1, s0
	s_mov_b32 s9, s10
.LBB98_6:                               ;   in Loop: Header=BB98_3 Depth=1
	s_mul_i32 s0, s8, s19
	s_mul_hi_u32 s1, s8, s18
	s_add_i32 s11, s1, s0
	s_load_dwordx2 s[0:1], s[12:13], 0xc8
	s_mul_i32 s19, s9, s18
	s_add_i32 s11, s11, s19
	s_mul_i32 s18, s8, s18
	s_sub_u32 s16, s16, s18
	s_subb_u32 s11, s17, s11
	s_waitcnt lgkmcnt(0)
	s_mul_i32 s11, s0, s11
	s_mul_hi_u32 s17, s0, s16
	s_add_i32 s11, s17, s11
	s_mul_i32 s1, s1, s16
	s_add_i32 s11, s11, s1
	s_mul_i32 s0, s0, s16
	s_add_u32 s2, s0, s2
	s_addc_u32 s3, s11, s3
	s_add_i32 s15, s15, -1
	s_add_u32 s12, s12, -8
	s_addc_u32 s13, s13, -1
	s_cmp_gt_u32 s15, 2
	s_cbranch_scc0 .LBB98_9
; %bb.7:                                ;   in Loop: Header=BB98_3 Depth=1
	s_mov_b64 s[16:17], s[8:9]
	s_branch .LBB98_3
.LBB98_8:                               ;   in Loop: Header=BB98_3 Depth=1
                                        ; implicit-def: $sgpr8_sgpr9
	s_branch .LBB98_5
.LBB98_9:
	s_load_dword s0, s[4:5], 0x350
	s_load_dwordx2 s[12:13], s[4:5], 0xd0
	s_mov_b64 s[10:11], 0
	s_waitcnt lgkmcnt(0)
	s_cmp_lt_i32 s0, 2
	s_cbranch_scc1 .LBB98_17
; %bb.10:
	s_mov_b32 s16, 0
	s_add_i32 s15, s0, 1
	s_add_i32 s0, s0, -1
	s_mov_b32 s1, s16
	s_lshl_b64 s[0:1], s[0:1], 3
	s_add_u32 s0, s0, s4
	s_addc_u32 s1, s1, s5
	s_add_u32 s18, s0, 0x1c0
	s_addc_u32 s19, s1, 0
.LBB98_11:                              ; =>This Inner Loop Header: Depth=1
	s_load_dwordx2 s[24:25], s[18:19], 0x0
	s_waitcnt lgkmcnt(0)
	s_or_b64 s[0:1], s[6:7], s[24:25]
	s_mov_b32 s17, s1
	s_cmp_lg_u64 s[16:17], 0
	s_cbranch_scc0 .LBB98_16
; %bb.12:                               ;   in Loop: Header=BB98_11 Depth=1
	v_cvt_f32_u32_e32 v1, s24
	v_cvt_f32_u32_e32 v2, s25
	s_sub_u32 s0, 0, s24
	s_subb_u32 s1, 0, s25
	v_mac_f32_e32 v1, 0x4f800000, v2
	v_rcp_f32_e32 v1, v1
	v_mul_f32_e32 v1, 0x5f7ffffc, v1
	v_mul_f32_e32 v2, 0x2f800000, v1
	v_trunc_f32_e32 v2, v2
	v_mac_f32_e32 v1, 0xcf800000, v2
	v_cvt_u32_f32_e32 v2, v2
	v_cvt_u32_f32_e32 v1, v1
	v_readfirstlane_b32 s17, v2
	v_readfirstlane_b32 s20, v1
	s_mul_i32 s21, s0, s17
	s_mul_hi_u32 s27, s0, s20
	s_mul_i32 s26, s1, s20
	s_add_i32 s21, s27, s21
	s_mul_i32 s28, s0, s20
	s_add_i32 s21, s21, s26
	s_mul_hi_u32 s26, s20, s21
	s_mul_i32 s27, s20, s21
	s_mul_hi_u32 s20, s20, s28
	s_add_u32 s20, s20, s27
	s_addc_u32 s26, 0, s26
	s_mul_hi_u32 s29, s17, s28
	s_mul_i32 s28, s17, s28
	s_add_u32 s20, s20, s28
	s_mul_hi_u32 s27, s17, s21
	s_addc_u32 s20, s26, s29
	s_addc_u32 s26, s27, 0
	s_mul_i32 s21, s17, s21
	s_add_u32 s20, s20, s21
	s_addc_u32 s21, 0, s26
	v_add_co_u32_e32 v1, vcc, s20, v1
	s_cmp_lg_u64 vcc, 0
	s_addc_u32 s17, s17, s21
	v_readfirstlane_b32 s21, v1
	s_mul_i32 s20, s0, s17
	s_mul_hi_u32 s26, s0, s21
	s_add_i32 s20, s26, s20
	s_mul_i32 s1, s1, s21
	s_add_i32 s20, s20, s1
	s_mul_i32 s0, s0, s21
	s_mul_hi_u32 s26, s17, s0
	s_mul_i32 s27, s17, s0
	s_mul_i32 s29, s21, s20
	s_mul_hi_u32 s0, s21, s0
	s_mul_hi_u32 s28, s21, s20
	s_add_u32 s0, s0, s29
	s_addc_u32 s21, 0, s28
	s_add_u32 s0, s0, s27
	s_mul_hi_u32 s1, s17, s20
	s_addc_u32 s0, s21, s26
	s_addc_u32 s1, s1, 0
	s_mul_i32 s20, s17, s20
	s_add_u32 s0, s0, s20
	s_addc_u32 s1, 0, s1
	v_add_co_u32_e32 v1, vcc, s0, v1
	s_cmp_lg_u64 vcc, 0
	s_addc_u32 s0, s17, s1
	v_readfirstlane_b32 s20, v1
	s_mul_i32 s17, s6, s0
	s_mul_hi_u32 s21, s6, s20
	s_mul_hi_u32 s1, s6, s0
	s_add_u32 s17, s21, s17
	s_addc_u32 s1, 0, s1
	s_mul_hi_u32 s26, s7, s20
	s_mul_i32 s20, s7, s20
	s_add_u32 s17, s17, s20
	s_mul_hi_u32 s21, s7, s0
	s_addc_u32 s1, s1, s26
	s_addc_u32 s17, s21, 0
	s_mul_i32 s0, s7, s0
	s_add_u32 s20, s1, s0
	s_addc_u32 s17, 0, s17
	s_mul_i32 s0, s24, s17
	s_mul_hi_u32 s1, s24, s20
	s_add_i32 s0, s1, s0
	s_mul_i32 s1, s25, s20
	s_add_i32 s21, s0, s1
	s_mul_i32 s1, s24, s20
	v_mov_b32_e32 v1, s1
	s_sub_i32 s0, s7, s21
	v_sub_co_u32_e32 v1, vcc, s6, v1
	s_cmp_lg_u64 vcc, 0
	s_subb_u32 s26, s0, s25
	v_subrev_co_u32_e64 v2, s[0:1], s24, v1
	s_cmp_lg_u64 s[0:1], 0
	s_subb_u32 s0, s26, 0
	s_cmp_ge_u32 s0, s25
	v_readfirstlane_b32 s26, v2
	s_cselect_b32 s1, -1, 0
	s_cmp_ge_u32 s26, s24
	s_cselect_b32 s26, -1, 0
	s_cmp_eq_u32 s0, s25
	s_cselect_b32 s0, s26, s1
	s_add_u32 s1, s20, 1
	s_addc_u32 s26, s17, 0
	s_add_u32 s27, s20, 2
	s_addc_u32 s28, s17, 0
	s_cmp_lg_u32 s0, 0
	s_cselect_b32 s0, s27, s1
	s_cselect_b32 s1, s28, s26
	s_cmp_lg_u64 vcc, 0
	s_subb_u32 s21, s7, s21
	s_cmp_ge_u32 s21, s25
	v_readfirstlane_b32 s27, v1
	s_cselect_b32 s26, -1, 0
	s_cmp_ge_u32 s27, s24
	s_cselect_b32 s27, -1, 0
	s_cmp_eq_u32 s21, s25
	s_cselect_b32 s21, s27, s26
	s_cmp_lg_u32 s21, 0
	s_cselect_b32 s21, s1, s17
	s_cselect_b32 s20, s0, s20
	s_cbranch_execnz .LBB98_14
.LBB98_13:                              ;   in Loop: Header=BB98_11 Depth=1
	v_cvt_f32_u32_e32 v1, s24
	s_sub_i32 s0, 0, s24
	s_mov_b32 s21, s16
	v_rcp_iflag_f32_e32 v1, v1
	v_mul_f32_e32 v1, 0x4f7ffffe, v1
	v_cvt_u32_f32_e32 v1, v1
	v_readfirstlane_b32 s1, v1
	s_mul_i32 s0, s0, s1
	s_mul_hi_u32 s0, s1, s0
	s_add_i32 s1, s1, s0
	s_mul_hi_u32 s0, s6, s1
	s_mul_i32 s17, s0, s24
	s_sub_i32 s17, s6, s17
	s_add_i32 s1, s0, 1
	s_sub_i32 s20, s17, s24
	s_cmp_ge_u32 s17, s24
	s_cselect_b32 s0, s1, s0
	s_cselect_b32 s17, s20, s17
	s_add_i32 s1, s0, 1
	s_cmp_ge_u32 s17, s24
	s_cselect_b32 s20, s1, s0
.LBB98_14:                              ;   in Loop: Header=BB98_11 Depth=1
	s_mul_i32 s0, s20, s25
	s_mul_hi_u32 s1, s20, s24
	s_add_i32 s17, s1, s0
	s_load_dwordx2 s[0:1], s[18:19], 0xc8
	s_mul_i32 s25, s21, s24
	s_add_i32 s17, s17, s25
	s_mul_i32 s24, s20, s24
	s_sub_u32 s6, s6, s24
	s_subb_u32 s7, s7, s17
	s_waitcnt lgkmcnt(0)
	s_mul_i32 s7, s0, s7
	s_mul_hi_u32 s17, s0, s6
	s_add_i32 s7, s17, s7
	s_mul_i32 s1, s1, s6
	s_add_i32 s7, s7, s1
	s_mul_i32 s0, s0, s6
	s_add_u32 s10, s0, s10
	s_addc_u32 s11, s7, s11
	s_add_i32 s15, s15, -1
	s_add_u32 s18, s18, -8
	s_addc_u32 s19, s19, -1
	s_cmp_gt_u32 s15, 2
	s_cbranch_scc0 .LBB98_18
; %bb.15:                               ;   in Loop: Header=BB98_11 Depth=1
	s_mov_b64 s[6:7], s[20:21]
	s_branch .LBB98_11
.LBB98_16:                              ;   in Loop: Header=BB98_11 Depth=1
                                        ; implicit-def: $sgpr20_sgpr21
	s_branch .LBB98_13
.LBB98_17:
	s_mov_b64 s[20:21], s[6:7]
.LBB98_18:
	s_mul_i32 s0, s12, s9
	s_mul_hi_u32 s1, s12, s8
	s_load_dword s7, s[4:5], 0x360
	s_add_i32 s6, s1, s0
	s_load_dwordx2 s[0:1], s[4:5], 0x0
	s_mul_i32 s9, s13, s8
	s_add_i32 s9, s6, s9
	s_mul_i32 s8, s12, s8
	s_waitcnt lgkmcnt(0)
	s_bitcmp1_b32 s7, 0
	s_cselect_b64 s[6:7], -1, 0
	s_add_u32 s0, s0, s8
	s_addc_u32 s1, s1, s9
	s_add_u32 s26, s0, s2
	s_addc_u32 s27, s1, s3
	s_xor_b64 s[12:13], s[6:7], -1
	v_cndmask_b32_e64 v3, 0, -1, s[12:13]
	v_lshlrev_b16_e32 v1, 8, v3
	v_or_b32_sdwa v1, v3, v1 dst_sel:DWORD dst_unused:UNUSED_PAD src0_sel:BYTE_0 src1_sel:DWORD
	v_lshlrev_b32_e32 v2, 16, v1
	v_or_b32_sdwa v2, v1, v2 dst_sel:DWORD dst_unused:UNUSED_PAD src0_sel:WORD_0 src1_sel:DWORD
	v_cmp_gt_u32_e64 s[0:1], s14, v0
	s_and_saveexec_b64 s[2:3], s[0:1]
	s_cbranch_execz .LBB98_20
; %bb.19:
	v_pk_mov_b32 v[4:5], s[26:27], s[26:27] op_sel:[0,1]
	v_mad_u64_u32 v[4:5], s[6:7], v0, s22, v[4:5]
	v_mov_b32_e32 v6, v5
	v_mad_u64_u32 v[6:7], s[6:7], v0, s23, v[6:7]
	v_mov_b32_e32 v5, v6
	global_load_ubyte v3, v[4:5], off
	s_mov_b32 s6, 0x3020104
	s_waitcnt vmcnt(0)
	v_perm_b32 v2, v3, v2, s6
.LBB98_20:
	s_or_b64 exec, exec, s[2:3]
	v_or_b32_e32 v1, 32, v0
	v_cmp_gt_u32_e64 s[2:3], s14, v1
	s_and_saveexec_b64 s[6:7], s[2:3]
	s_cbranch_execz .LBB98_22
; %bb.21:
	v_pk_mov_b32 v[4:5], s[26:27], s[26:27] op_sel:[0,1]
	v_mad_u64_u32 v[4:5], s[8:9], v1, s22, v[4:5]
	v_mov_b32_e32 v6, v5
	v_mad_u64_u32 v[6:7], s[8:9], v1, s23, v[6:7]
	v_mov_b32_e32 v5, v6
	global_load_ubyte v4, v[4:5], off
	s_mov_b32 s8, 0x7060004
	s_waitcnt vmcnt(0)
	v_perm_b32 v2, v2, v4, s8
.LBB98_22:
	s_or_b64 exec, exec, s[6:7]
	s_load_dwordx2 s[18:19], s[4:5], 0x288
	s_load_dwordx2 s[16:17], s[4:5], 0x1b8
	v_or_b32_e32 v10, 64, v0
	v_cmp_gt_u32_e64 s[8:9], s14, v10
	s_and_saveexec_b64 s[6:7], s[8:9]
	s_cbranch_execz .LBB98_24
; %bb.23:
	v_pk_mov_b32 v[4:5], s[26:27], s[26:27] op_sel:[0,1]
	v_mad_u64_u32 v[4:5], s[24:25], v10, s22, v[4:5]
	v_mov_b32_e32 v6, v5
	v_mad_u64_u32 v[6:7], s[24:25], v10, s23, v[6:7]
	v_mov_b32_e32 v5, v6
	global_load_ubyte v4, v[4:5], off
	s_mov_b32 s15, 0x7000504
	s_waitcnt vmcnt(0)
	v_perm_b32 v2, v2, v4, s15
.LBB98_24:
	s_or_b64 exec, exec, s[6:7]
	v_or_b32_e32 v11, 0x60, v0
	v_cmp_gt_u32_e64 s[6:7], s14, v11
	s_and_saveexec_b64 s[14:15], s[6:7]
	s_cbranch_execz .LBB98_26
; %bb.25:
	v_pk_mov_b32 v[4:5], s[26:27], s[26:27] op_sel:[0,1]
	v_mad_u64_u32 v[4:5], s[24:25], v11, s22, v[4:5]
	v_mov_b32_e32 v6, v5
	v_mad_u64_u32 v[6:7], s[24:25], v11, s23, v[6:7]
	v_mov_b32_e32 v5, v6
	global_load_ubyte v4, v[4:5], off
	s_mov_b32 s24, 0x60504
	s_waitcnt vmcnt(0)
	v_perm_b32 v2, v2, v4, s24
.LBB98_26:
	s_or_b64 exec, exec, s[14:15]
	ds_write_b8 v0, v3
	v_lshrrev_b32_e32 v3, 8, v2
	s_waitcnt lgkmcnt(0)
	s_mul_i32 s14, s18, s21
	s_mul_hi_u32 s15, s18, s20
	ds_write_b8 v0, v3 offset:32
	ds_write_b8_d16_hi v0, v2 offset:64
	v_lshrrev_b32_e32 v2, 24, v2
	v_lshlrev_b32_e32 v26, 2, v0
	s_add_i32 s14, s15, s14
	s_mul_i32 s15, s19, s20
	ds_write_b8 v0, v2 offset:96
	s_waitcnt lgkmcnt(0)
	; wave barrier
	s_waitcnt lgkmcnt(0)
	ds_read_u8 v35, v26
	ds_read_u8 v34, v26 offset:1
	ds_read_u8 v33, v26 offset:2
	;; [unrolled: 1-line block ×3, first 2 shown]
	s_add_i32 s15, s14, s15
	s_mul_i32 s14, s18, s20
	s_lshl_b64 s[14:15], s[14:15], 3
	s_load_dwordx2 s[24:25], s[4:5], 0x358
	s_add_u32 s14, s16, s14
	s_mov_b32 s40, 0
	s_addc_u32 s15, s17, s15
	s_lshl_b64 s[10:11], s[10:11], 3
	s_mov_b32 s41, s40
	s_add_u32 s33, s14, s10
	s_mov_b32 s42, s40
	s_mov_b32 s43, s40
	;; [unrolled: 1-line block ×6, first 2 shown]
	v_pk_mov_b32 v[2:3], s[40:41], s[40:41] op_sel:[0,1]
	s_addc_u32 s36, s15, s11
	v_pk_mov_b32 v[4:5], s[42:43], s[42:43] op_sel:[0,1]
	v_pk_mov_b32 v[6:7], s[44:45], s[44:45] op_sel:[0,1]
	;; [unrolled: 1-line block ×3, first 2 shown]
	v_pk_mov_b32 v[2:3], 0, 0
	s_waitcnt lgkmcnt(0)
	; wave barrier
	s_waitcnt lgkmcnt(0)
	s_and_saveexec_b64 s[4:5], s[0:1]
	s_cbranch_execnz .LBB98_40
; %bb.27:
	s_or_b64 exec, exec, s[4:5]
	s_and_saveexec_b64 s[4:5], s[2:3]
	s_cbranch_execnz .LBB98_41
.LBB98_28:
	s_or_b64 exec, exec, s[4:5]
	s_and_saveexec_b64 s[4:5], s[8:9]
	s_cbranch_execz .LBB98_30
.LBB98_29:
	v_mad_u64_u32 v[6:7], s[10:11], v10, s24, 0
	v_mov_b32_e32 v12, v7
	v_mad_u64_u32 v[12:13], s[10:11], v10, s25, v[12:13]
	v_mov_b32_e32 v7, v12
	v_lshlrev_b64 v[6:7], 3, v[6:7]
	v_mov_b32_e32 v12, s36
	v_add_co_u32_e32 v6, vcc, s33, v6
	v_addc_co_u32_e32 v7, vcc, v12, v7, vcc
	global_load_dwordx2 v[6:7], v[6:7], off
.LBB98_30:
	s_or_b64 exec, exec, s[4:5]
	v_lshrrev_b32_e32 v14, 5, v1
	v_lshrrev_b32_e32 v13, 5, v10
	v_lshrrev_b32_e32 v12, 5, v11
	v_lshrrev_b32_e32 v10, 3, v0
	s_and_saveexec_b64 s[4:5], s[6:7]
	s_cbranch_execz .LBB98_32
; %bb.31:
	v_mad_u64_u32 v[8:9], s[10:11], v11, s24, 0
	v_mov_b32_e32 v16, v9
	v_mad_u64_u32 v[16:17], s[10:11], v11, s25, v[16:17]
	v_mov_b32_e32 v9, v16
	v_lshlrev_b64 v[8:9], 3, v[8:9]
	v_mov_b32_e32 v11, s36
	v_add_co_u32_e32 v8, vcc, s33, v8
	v_addc_co_u32_e32 v9, vcc, v11, v9, vcc
	global_load_dwordx2 v[8:9], v[8:9], off
.LBB98_32:
	s_or_b64 exec, exec, s[4:5]
	v_lshlrev_b32_e32 v27, 3, v0
	v_add_lshl_u32 v28, v14, v0, 3
	v_add_lshl_u32 v29, v13, v0, 3
	;; [unrolled: 1-line block ×4, first 2 shown]
	s_waitcnt vmcnt(0)
	ds_write_b64 v27, v[2:3]
	ds_write_b64 v28, v[4:5] offset:256
	ds_write_b64 v29, v[6:7] offset:512
	;; [unrolled: 1-line block ×3, first 2 shown]
	s_waitcnt lgkmcnt(0)
	; wave barrier
	s_waitcnt lgkmcnt(0)
	ds_read2_b64 v[2:5], v31 offset1:1
	ds_read2_b64 v[6:9], v31 offset0:2 offset1:3
	s_and_b64 vcc, exec, s[12:13]
	s_waitcnt lgkmcnt(0)
	; wave barrier
	s_waitcnt lgkmcnt(0)
	s_cbranch_vccz .LBB98_42
; %bb.33:
	s_movk_i32 s4, 0x100
	v_cmp_gt_u32_e64 s[4:5], s4, v0
	s_getpc_b64 s[10:11]
	s_add_u32 s10, s10, _ZN7rocprim17ROCPRIM_400000_NS16block_radix_sortIhLj32ELj4ElLj1ELj1ELj0ELNS0_26block_radix_rank_algorithmE1ELNS0_18block_padding_hintE2ELNS0_4arch9wavefront6targetE1EE19radix_bits_per_passE@rel32@lo+4
	s_addc_u32 s11, s11, _ZN7rocprim17ROCPRIM_400000_NS16block_radix_sortIhLj32ELj4ElLj1ELj1ELj0ELNS0_26block_radix_rank_algorithmE1ELNS0_18block_padding_hintE2ELNS0_4arch9wavefront6targetE1EE19radix_bits_per_passE@rel32@hi+12
	s_and_saveexec_b64 s[12:13], s[4:5]
	s_cbranch_execz .LBB98_43
; %bb.34:
	s_mov_b32 s20, 0
	s_mov_b64 s[14:15], 0
	v_mov_b32_e32 v12, 0
	v_pk_mov_b32 v[10:11], v[0:1], v[0:1] op_sel:[0,1]
	s_branch .LBB98_36
.LBB98_35:                              ;   in Loop: Header=BB98_36 Depth=1
	s_or_b64 exec, exec, s[18:19]
	s_add_i32 s20, s20, 2
	v_cmp_eq_u32_e64 s[16:17], 8, s20
	v_add_u32_e32 v11, 64, v11
	s_or_b64 s[14:15], s[16:17], s[14:15]
	v_add_u32_e32 v10, 64, v10
	s_andn2_b64 exec, exec, s[14:15]
	s_cbranch_execz .LBB98_43
.LBB98_36:                              ; =>This Inner Loop Header: Depth=1
	s_or_b32 s16, s20, 1
	v_cmp_le_u32_e64 s[16:17], s16, 7
	v_cmp_le_u32_e64 s[28:29], s20, 7
	s_and_saveexec_b64 s[18:19], s[28:29]
	s_cbranch_execz .LBB98_38
; %bb.37:                               ;   in Loop: Header=BB98_36 Depth=1
	v_lshlrev_b32_e32 v13, 2, v10
	ds_write_b32 v13, v12
.LBB98_38:                              ;   in Loop: Header=BB98_36 Depth=1
	s_or_b64 exec, exec, s[18:19]
	s_and_saveexec_b64 s[18:19], s[16:17]
	s_cbranch_execz .LBB98_35
; %bb.39:                               ;   in Loop: Header=BB98_36 Depth=1
	v_lshlrev_b32_e32 v13, 2, v11
	ds_write_b32 v13, v12
	s_branch .LBB98_35
.LBB98_40:
	v_mad_u64_u32 v[2:3], s[10:11], v0, s24, 0
	v_mov_b32_e32 v4, v3
	v_mad_u64_u32 v[4:5], s[10:11], v0, s25, v[4:5]
	v_mov_b32_e32 v3, v4
	v_lshlrev_b64 v[2:3], 3, v[2:3]
	v_mov_b32_e32 v4, s36
	v_add_co_u32_e32 v2, vcc, s33, v2
	v_addc_co_u32_e32 v3, vcc, v4, v3, vcc
	global_load_dwordx2 v[2:3], v[2:3], off
	v_mov_b32_e32 v4, 0
	v_mov_b32_e32 v5, v4
	;; [unrolled: 1-line block ×6, first 2 shown]
	s_or_b64 exec, exec, s[4:5]
	s_and_saveexec_b64 s[4:5], s[2:3]
	s_cbranch_execz .LBB98_28
.LBB98_41:
	v_mad_u64_u32 v[4:5], s[10:11], v1, s24, 0
	v_mov_b32_e32 v12, v5
	v_mad_u64_u32 v[12:13], s[10:11], v1, s25, v[12:13]
	v_mov_b32_e32 v5, v12
	v_lshlrev_b64 v[4:5], 3, v[4:5]
	v_mov_b32_e32 v12, s36
	v_add_co_u32_e32 v4, vcc, s33, v4
	v_addc_co_u32_e32 v5, vcc, v12, v5, vcc
	global_load_dwordx2 v[4:5], v[4:5], off
	s_or_b64 exec, exec, s[4:5]
	s_and_saveexec_b64 s[4:5], s[8:9]
	s_cbranch_execnz .LBB98_29
	s_branch .LBB98_30
.LBB98_42:
                                        ; implicit-def: $vgpr16_vgpr17
                                        ; implicit-def: $vgpr12_vgpr13
                                        ; implicit-def: $vgpr18
	s_cbranch_execnz .LBB98_55
	s_branch .LBB98_74
.LBB98_43:
	s_or_b64 exec, exec, s[12:13]
	s_load_dword s37, s[10:11], 0x0
	s_movk_i32 s11, 0xe0
	v_lshlrev_b32_e32 v36, 5, v0
	s_waitcnt lgkmcnt(0)
	s_min_u32 s10, s37, 8
	s_lshl_b32 s10, -1, s10
	s_not_b32 s10, s10
	v_and_b32_e32 v10, s10, v35
	v_bfe_u32 v11, v10, 3, 5
	v_lshlrev_b32_e32 v10, 5, v10
	v_and_or_b32 v10, v10, s11, v0
	v_lshlrev_b32_e32 v10, 1, v10
	v_add_lshl_u32 v19, v10, v11, 1
	ds_read_u16 v18, v19
	v_and_b32_e32 v10, s10, v34
	v_bfe_u32 v11, v10, 3, 5
	v_lshlrev_b32_e32 v10, 5, v10
	v_and_or_b32 v10, v10, s11, v0
	s_waitcnt lgkmcnt(0)
	v_add_u16_e32 v12, 1, v18
	v_lshlrev_b32_e32 v10, 1, v10
	ds_write_b16 v19, v12
	v_add_lshl_u32 v22, v10, v11, 1
	ds_read_u16 v21, v22
	v_and_b32_e32 v10, s10, v33
	s_waitcnt lgkmcnt(0)
	v_add_u16_e32 v11, 1, v21
	ds_write_b16 v22, v11
	v_bfe_u32 v11, v10, 3, 5
	v_lshlrev_b32_e32 v10, 5, v10
	v_and_or_b32 v10, v10, s11, v0
	v_lshlrev_b32_e32 v10, 1, v10
	v_add_lshl_u32 v24, v10, v11, 1
	ds_read_u16 v23, v24
	v_mbcnt_lo_u32_b32 v10, -1, 0
	v_mbcnt_hi_u32_b32 v39, -1, v10
	v_and_b32_e32 v10, s10, v32
	v_and_b32_e32 v20, 15, v39
	s_waitcnt lgkmcnt(0)
	v_add_u16_e32 v11, 1, v23
	ds_write_b16 v24, v11
	v_bfe_u32 v11, v10, 3, 5
	v_lshlrev_b32_e32 v10, 5, v10
	v_and_or_b32 v10, v10, s11, v0
	v_lshlrev_b32_e32 v10, 1, v10
	v_add_lshl_u32 v37, v10, v11, 1
	ds_read_u16 v25, v37
	v_and_b32_e32 v10, 16, v39
	v_cmp_eq_u32_e32 vcc, 0, v10
	v_cmp_eq_u32_e64 s[14:15], 0, v20
	v_cmp_lt_u32_e64 s[16:17], 1, v20
	s_waitcnt lgkmcnt(0)
	v_add_u16_e32 v10, 1, v25
	ds_write_b16 v37, v10
	s_waitcnt lgkmcnt(0)
	; wave barrier
	s_waitcnt lgkmcnt(0)
	ds_read2_b32 v[16:17], v36 offset1:1
	ds_read2_b32 v[14:15], v36 offset0:2 offset1:3
	ds_read2_b32 v[10:11], v36 offset0:4 offset1:5
	;; [unrolled: 1-line block ×3, first 2 shown]
	v_cmp_lt_u32_e64 s[18:19], 3, v20
	s_waitcnt lgkmcnt(3)
	v_add_u32_e32 v40, v17, v16
	s_waitcnt lgkmcnt(2)
	v_add3_u32 v40, v40, v14, v15
	s_waitcnt lgkmcnt(1)
	v_add3_u32 v40, v40, v10, v11
	;; [unrolled: 2-line block ×3, first 2 shown]
	v_cmp_lt_u32_e64 s[20:21], 7, v20
	v_bfe_i32 v38, v39, 4, 1
	v_mov_b32_dpp v40, v13 row_shr:1 row_mask:0xf bank_mask:0xf
	v_cndmask_b32_e64 v40, v40, 0, s[14:15]
	v_add_u32_e32 v13, v40, v13
	v_cmp_eq_u32_e64 s[10:11], 31, v0
	s_nop 0
	v_mov_b32_dpp v40, v13 row_shr:2 row_mask:0xf bank_mask:0xf
	v_cndmask_b32_e64 v40, 0, v40, s[16:17]
	v_add_u32_e32 v13, v13, v40
	s_nop 1
	v_mov_b32_dpp v40, v13 row_shr:4 row_mask:0xf bank_mask:0xf
	v_cndmask_b32_e64 v40, 0, v40, s[18:19]
	v_add_u32_e32 v13, v13, v40
	;; [unrolled: 4-line block ×3, first 2 shown]
	s_nop 1
	v_mov_b32_dpp v20, v13 row_bcast:15 row_mask:0xf bank_mask:0xf
	v_and_b32_e32 v20, v38, v20
	v_add_u32_e32 v13, v13, v20
	s_and_saveexec_b64 s[12:13], s[10:11]
	s_cbranch_execz .LBB98_45
; %bb.44:
	v_mov_b32_e32 v20, 0
	ds_write_b32 v20, v13 offset:1024
.LBB98_45:
	s_or_b64 exec, exec, s[12:13]
	v_add_u32_e32 v20, -1, v39
	v_and_b32_e32 v38, 0x60, v39
	v_cmp_lt_i32_e64 s[12:13], v20, v38
	v_cndmask_b32_e64 v20, v20, v39, s[12:13]
	v_lshlrev_b32_e32 v38, 2, v20
	ds_bpermute_b32 v13, v38, v13
	v_mov_b32_e32 v20, 0
	s_waitcnt lgkmcnt(0)
	; wave barrier
	s_waitcnt lgkmcnt(0)
	ds_read_b32 v40, v20 offset:1024
	v_cmp_eq_u32_e64 s[12:13], 0, v39
	v_cndmask_b32_e64 v13, v13, 0, s[12:13]
	s_waitcnt lgkmcnt(0)
	v_lshl_add_u32 v13, v40, 16, v13
	v_add_u32_e32 v16, v13, v16
	v_add_u32_e32 v17, v16, v17
	;; [unrolled: 1-line block ×7, first 2 shown]
	ds_write2_b32 v36, v13, v16 offset1:1
	ds_write2_b32 v36, v17, v14 offset0:2 offset1:3
	ds_write2_b32 v36, v15, v10 offset0:4 offset1:5
	;; [unrolled: 1-line block ×3, first 2 shown]
	s_waitcnt lgkmcnt(0)
	; wave barrier
	s_waitcnt lgkmcnt(0)
	ds_read_u16 v10, v19
	ds_read_u16 v11, v22
	;; [unrolled: 1-line block ×4, first 2 shown]
	s_waitcnt lgkmcnt(0)
	v_add_u32_sdwa v10, v10, v18 dst_sel:DWORD dst_unused:UNUSED_PAD src0_sel:DWORD src1_sel:WORD_0
	v_add_u32_sdwa v11, v11, v21 dst_sel:DWORD dst_unused:UNUSED_PAD src0_sel:DWORD src1_sel:WORD_0
	;; [unrolled: 1-line block ×4, first 2 shown]
	; wave barrier
	ds_write_b8 v10, v35
	ds_write_b8 v11, v34
	;; [unrolled: 1-line block ×4, first 2 shown]
	v_lshlrev_b32_e32 v10, 3, v10
	s_waitcnt lgkmcnt(0)
	; wave barrier
	s_waitcnt lgkmcnt(0)
	ds_read_u8 v39, v26
	ds_read_u8 v40, v26 offset:1
	ds_read_u8 v41, v26 offset:2
	;; [unrolled: 1-line block ×3, first 2 shown]
	s_waitcnt lgkmcnt(0)
	; wave barrier
	s_waitcnt lgkmcnt(0)
	ds_write_b64 v10, v[2:3]
	v_lshlrev_b32_e32 v10, 3, v11
	ds_write_b64 v10, v[4:5]
	v_lshlrev_b32_e32 v10, 3, v12
	v_lshlrev_b32_e32 v37, 3, v26
	ds_write_b64 v10, v[6:7]
	v_lshlrev_b32_e32 v10, 3, v13
	ds_write_b64 v10, v[8:9]
	s_waitcnt lgkmcnt(0)
	; wave barrier
	s_waitcnt lgkmcnt(0)
	ds_read2_b64 v[14:17], v37 offset1:1
	ds_read2_b64 v[10:13], v37 offset0:2 offset1:3
	s_waitcnt lgkmcnt(0)
	; wave barrier
	s_waitcnt lgkmcnt(0)
	s_and_saveexec_b64 s[28:29], s[4:5]
	s_cbranch_execz .LBB98_52
; %bb.46:
	s_mov_b32 s38, 0
	s_mov_b64 s[4:5], 0
	v_pk_mov_b32 v[18:19], v[0:1], v[0:1] op_sel:[0,1]
	s_branch .LBB98_48
.LBB98_47:                              ;   in Loop: Header=BB98_48 Depth=1
	s_or_b64 exec, exec, s[34:35]
	s_add_i32 s38, s38, 2
	v_cmp_eq_u32_e64 s[30:31], 8, s38
	v_add_u32_e32 v19, 64, v19
	s_or_b64 s[4:5], s[30:31], s[4:5]
	v_add_u32_e32 v18, 64, v18
	s_andn2_b64 exec, exec, s[4:5]
	s_cbranch_execz .LBB98_52
.LBB98_48:                              ; =>This Inner Loop Header: Depth=1
	s_or_b32 s30, s38, 1
	v_cmp_le_u32_e64 s[30:31], s30, 7
	v_cmp_le_u32_e64 s[40:41], s38, 7
	s_and_saveexec_b64 s[34:35], s[40:41]
	s_cbranch_execz .LBB98_50
; %bb.49:                               ;   in Loop: Header=BB98_48 Depth=1
	v_lshlrev_b32_e32 v21, 2, v18
	ds_write_b32 v21, v20
.LBB98_50:                              ;   in Loop: Header=BB98_48 Depth=1
	s_or_b64 exec, exec, s[34:35]
	s_and_saveexec_b64 s[34:35], s[30:31]
	s_cbranch_execz .LBB98_47
; %bb.51:                               ;   in Loop: Header=BB98_48 Depth=1
	v_lshlrev_b32_e32 v21, 2, v19
	ds_write_b32 v21, v20
	s_branch .LBB98_47
.LBB98_52:
	s_or_b64 exec, exec, s[28:29]
	s_min_u32 s4, s37, 4
	s_lshl_b32 s4, -1, s4
	v_lshrrev_b16_e32 v18, 4, v39
	s_not_b32 s4, s4
	v_and_b32_e32 v18, 15, v18
	v_and_b32_sdwa v18, v18, s4 dst_sel:DWORD dst_unused:UNUSED_PAD src0_sel:WORD_0 src1_sel:DWORD
	v_lshlrev_b32_e32 v19, 5, v18
	s_movk_i32 s5, 0xe0
	v_lshrrev_b32_e32 v18, 2, v18
	v_and_or_b32 v19, v19, s5, v0
	v_and_b32_e32 v18, 2, v18
	v_lshl_or_b32 v44, v19, 2, v18
	ds_read_u16 v43, v44
	s_waitcnt lgkmcnt(0)
	v_add_u16_e32 v18, 1, v43
	ds_write_b16 v44, v18
	v_lshrrev_b16_e32 v18, 4, v40
	v_and_b32_e32 v18, 15, v18
	v_and_b32_sdwa v18, v18, s4 dst_sel:DWORD dst_unused:UNUSED_PAD src0_sel:WORD_0 src1_sel:DWORD
	v_lshlrev_b32_e32 v19, 5, v18
	v_lshrrev_b32_e32 v18, 2, v18
	v_and_or_b32 v19, v19, s5, v0
	v_and_b32_e32 v18, 2, v18
	v_lshl_or_b32 v46, v19, 2, v18
	ds_read_u16 v45, v46
	s_waitcnt lgkmcnt(0)
	v_add_u16_e32 v18, 1, v45
	ds_write_b16 v46, v18
	v_lshrrev_b16_e32 v18, 4, v41
	v_and_b32_e32 v18, 15, v18
	v_and_b32_sdwa v18, v18, s4 dst_sel:DWORD dst_unused:UNUSED_PAD src0_sel:WORD_0 src1_sel:DWORD
	v_lshlrev_b32_e32 v19, 5, v18
	;; [unrolled: 12-line block ×3, first 2 shown]
	v_lshrrev_b32_e32 v18, 2, v18
	v_and_or_b32 v19, v19, s5, v0
	v_and_b32_e32 v18, 2, v18
	v_lshl_or_b32 v50, v19, 2, v18
	ds_read_u16 v49, v50
	s_waitcnt lgkmcnt(0)
	v_add_u16_e32 v18, 1, v49
	ds_write_b16 v50, v18
	s_waitcnt lgkmcnt(0)
	; wave barrier
	s_waitcnt lgkmcnt(0)
	ds_read2_b32 v[24:25], v36 offset1:1
	ds_read2_b32 v[22:23], v36 offset0:2 offset1:3
	ds_read2_b32 v[18:19], v36 offset0:4 offset1:5
	;; [unrolled: 1-line block ×3, first 2 shown]
	s_waitcnt lgkmcnt(3)
	v_add_u32_e32 v51, v25, v24
	s_waitcnt lgkmcnt(2)
	v_add3_u32 v51, v51, v22, v23
	s_waitcnt lgkmcnt(1)
	v_add3_u32 v51, v51, v18, v19
	;; [unrolled: 2-line block ×3, first 2 shown]
	s_nop 1
	v_mov_b32_dpp v51, v21 row_shr:1 row_mask:0xf bank_mask:0xf
	v_cndmask_b32_e64 v51, v51, 0, s[14:15]
	v_add_u32_e32 v21, v51, v21
	s_nop 1
	v_mov_b32_dpp v51, v21 row_shr:2 row_mask:0xf bank_mask:0xf
	v_cndmask_b32_e64 v51, 0, v51, s[16:17]
	v_add_u32_e32 v21, v21, v51
	;; [unrolled: 4-line block ×4, first 2 shown]
	s_nop 1
	v_mov_b32_dpp v51, v21 row_bcast:15 row_mask:0xf bank_mask:0xf
	v_cndmask_b32_e64 v51, v51, 0, vcc
	v_add_u32_e32 v21, v21, v51
	s_and_saveexec_b64 s[4:5], s[10:11]
	s_cbranch_execz .LBB98_54
; %bb.53:
	v_mov_b32_e32 v51, 0
	ds_write_b32 v51, v21 offset:1024
.LBB98_54:
	s_or_b64 exec, exec, s[4:5]
	ds_bpermute_b32 v21, v38, v21
	v_mov_b32_e32 v38, 0
	s_waitcnt lgkmcnt(0)
	; wave barrier
	s_waitcnt lgkmcnt(0)
	ds_read_b32 v38, v38 offset:1024
	v_cndmask_b32_e64 v21, v21, 0, s[12:13]
	s_waitcnt lgkmcnt(0)
	v_lshl_add_u32 v21, v38, 16, v21
	v_add_u32_e32 v24, v21, v24
	v_add_u32_e32 v25, v24, v25
	;; [unrolled: 1-line block ×7, first 2 shown]
	ds_write2_b32 v36, v21, v24 offset1:1
	ds_write2_b32 v36, v25, v22 offset0:2 offset1:3
	ds_write2_b32 v36, v23, v18 offset0:4 offset1:5
	;; [unrolled: 1-line block ×3, first 2 shown]
	s_waitcnt lgkmcnt(0)
	; wave barrier
	s_waitcnt lgkmcnt(0)
	ds_read_u16 v18, v50
	ds_read_u16 v19, v48
	;; [unrolled: 1-line block ×4, first 2 shown]
	s_waitcnt lgkmcnt(0)
	v_add_u32_sdwa v18, v18, v49 dst_sel:DWORD dst_unused:UNUSED_PAD src0_sel:DWORD src1_sel:WORD_0
	v_add_u32_sdwa v19, v19, v47 dst_sel:DWORD dst_unused:UNUSED_PAD src0_sel:DWORD src1_sel:WORD_0
	;; [unrolled: 1-line block ×4, first 2 shown]
	; wave barrier
	ds_write_b8 v21, v39
	ds_write_b8 v20, v40
	;; [unrolled: 1-line block ×4, first 2 shown]
	v_lshlrev_b32_e32 v21, 3, v21
	s_waitcnt lgkmcnt(0)
	; wave barrier
	s_waitcnt lgkmcnt(0)
	ds_read_u8 v22, v26 offset:1
	ds_read_u8 v23, v26
	ds_read_u8 v24, v26 offset:2
	ds_read_u8 v25, v26 offset:3
	s_waitcnt lgkmcnt(0)
	; wave barrier
	s_waitcnt lgkmcnt(0)
	ds_write_b64 v21, v[14:15]
	v_lshlrev_b32_e32 v14, 3, v20
	ds_write_b64 v14, v[16:17]
	v_lshlrev_b32_e32 v14, 3, v19
	;; [unrolled: 2-line block ×3, first 2 shown]
	ds_write_b64 v10, v[12:13]
	s_waitcnt lgkmcnt(0)
	; wave barrier
	s_waitcnt lgkmcnt(0)
	ds_read2_b64 v[10:13], v37 offset1:1
	ds_read2_b64 v[14:17], v37 offset0:2 offset1:3
	v_lshlrev_b16_e32 v22, 8, v22
	v_lshlrev_b16_e32 v18, 8, v25
	v_or_b32_e32 v22, v23, v22
	v_or_b32_sdwa v18, v24, v18 dst_sel:WORD_1 dst_unused:UNUSED_PAD src0_sel:DWORD src1_sel:DWORD
	v_or_b32_sdwa v18, v22, v18 dst_sel:DWORD dst_unused:UNUSED_PAD src0_sel:WORD_0 src1_sel:DWORD
	s_branch .LBB98_74
.LBB98_55:
	s_movk_i32 s4, 0x100
	v_cmp_gt_u32_e64 s[4:5], s4, v0
	s_getpc_b64 s[10:11]
	s_add_u32 s10, s10, _ZN7rocprim17ROCPRIM_400000_NS16block_radix_sortIhLj32ELj4ElLj1ELj1ELj0ELNS0_26block_radix_rank_algorithmE1ELNS0_18block_padding_hintE2ELNS0_4arch9wavefront6targetE1EE19radix_bits_per_passE@rel32@lo+4
	s_addc_u32 s11, s11, _ZN7rocprim17ROCPRIM_400000_NS16block_radix_sortIhLj32ELj4ElLj1ELj1ELj0ELNS0_26block_radix_rank_algorithmE1ELNS0_18block_padding_hintE2ELNS0_4arch9wavefront6targetE1EE19radix_bits_per_passE@rel32@hi+12
	s_and_saveexec_b64 s[12:13], s[4:5]
	s_cbranch_execz .LBB98_62
; %bb.56:
	s_mov_b32 s20, 0
	s_mov_b64 s[14:15], 0
	s_waitcnt lgkmcnt(1)
	v_mov_b32_e32 v12, 0
	v_pk_mov_b32 v[10:11], v[0:1], v[0:1] op_sel:[0,1]
	s_branch .LBB98_58
.LBB98_57:                              ;   in Loop: Header=BB98_58 Depth=1
	s_or_b64 exec, exec, s[18:19]
	s_add_i32 s20, s20, 2
	v_cmp_eq_u32_e64 s[16:17], 8, s20
	v_add_u32_e32 v11, 64, v11
	s_or_b64 s[14:15], s[16:17], s[14:15]
	v_add_u32_e32 v10, 64, v10
	s_andn2_b64 exec, exec, s[14:15]
	s_cbranch_execz .LBB98_62
.LBB98_58:                              ; =>This Inner Loop Header: Depth=1
	s_or_b32 s16, s20, 1
	v_cmp_le_u32_e64 s[16:17], s16, 7
	v_cmp_le_u32_e64 s[28:29], s20, 7
	s_and_saveexec_b64 s[18:19], s[28:29]
	s_cbranch_execz .LBB98_60
; %bb.59:                               ;   in Loop: Header=BB98_58 Depth=1
	v_lshlrev_b32_e32 v13, 2, v10
	ds_write_b32 v13, v12
.LBB98_60:                              ;   in Loop: Header=BB98_58 Depth=1
	s_or_b64 exec, exec, s[18:19]
	s_and_saveexec_b64 s[18:19], s[16:17]
	s_cbranch_execz .LBB98_57
; %bb.61:                               ;   in Loop: Header=BB98_58 Depth=1
	v_lshlrev_b32_e32 v13, 2, v11
	ds_write_b32 v13, v12
	s_branch .LBB98_57
.LBB98_62:
	s_or_b64 exec, exec, s[12:13]
	s_load_dword s37, s[10:11], 0x0
	v_xor_b32_e32 v21, -1, v35
	s_movk_i32 s11, 0xe0
	v_xor_b32_e32 v22, -1, v34
	v_xor_b32_e32 v24, -1, v33
	s_waitcnt lgkmcnt(0)
	s_min_u32 s10, s37, 8
	s_lshl_b32 s10, -1, s10
	s_not_b32 s10, s10
	v_and_b32_e32 v10, s10, v21
	v_bfe_u32 v11, v10, 3, 5
	v_lshlrev_b32_e32 v10, 5, v10
	v_and_or_b32 v10, v10, s11, v0
	v_lshlrev_b32_e32 v10, 1, v10
	v_add_lshl_u32 v19, v10, v11, 1
	ds_read_u16 v23, v19
	v_xor_b32_e32 v32, -1, v32
	v_lshlrev_b32_e32 v18, 5, v0
	s_waitcnt lgkmcnt(0)
	v_add_u16_e32 v10, 1, v23
	ds_write_b16 v19, v10
	v_and_b32_e32 v10, s10, v22
	v_bfe_u32 v11, v10, 3, 5
	v_lshlrev_b32_e32 v10, 5, v10
	v_and_or_b32 v10, v10, s11, v0
	v_lshlrev_b32_e32 v10, 1, v10
	v_add_lshl_u32 v34, v10, v11, 1
	ds_read_u16 v25, v34
	s_waitcnt lgkmcnt(0)
	v_add_u16_e32 v10, 1, v25
	ds_write_b16 v34, v10
	v_and_b32_e32 v10, s10, v24
	v_bfe_u32 v11, v10, 3, 5
	v_lshlrev_b32_e32 v10, 5, v10
	v_and_or_b32 v10, v10, s11, v0
	v_lshlrev_b32_e32 v10, 1, v10
	v_add_lshl_u32 v35, v10, v11, 1
	ds_read_u16 v33, v35
	v_mbcnt_lo_u32_b32 v10, -1, 0
	v_mbcnt_hi_u32_b32 v38, -1, v10
	v_and_b32_e32 v20, 15, v38
	v_cmp_eq_u32_e64 s[14:15], 0, v20
	s_waitcnt lgkmcnt(0)
	v_add_u16_e32 v10, 1, v33
	ds_write_b16 v35, v10
	v_and_b32_e32 v10, s10, v32
	v_bfe_u32 v11, v10, 3, 5
	v_lshlrev_b32_e32 v10, 5, v10
	v_and_or_b32 v10, v10, s11, v0
	v_lshlrev_b32_e32 v10, 1, v10
	v_add_lshl_u32 v37, v10, v11, 1
	ds_read_u16 v36, v37
	v_and_b32_e32 v10, 16, v38
	v_cmp_eq_u32_e32 vcc, 0, v10
	v_cmp_lt_u32_e64 s[16:17], 1, v20
	v_cmp_lt_u32_e64 s[18:19], 3, v20
	s_waitcnt lgkmcnt(0)
	v_add_u16_e32 v10, 1, v36
	ds_write_b16 v37, v10
	s_waitcnt lgkmcnt(0)
	; wave barrier
	s_waitcnt lgkmcnt(0)
	ds_read2_b32 v[16:17], v18 offset1:1
	ds_read2_b32 v[14:15], v18 offset0:2 offset1:3
	ds_read2_b32 v[10:11], v18 offset0:4 offset1:5
	;; [unrolled: 1-line block ×3, first 2 shown]
	v_cmp_lt_u32_e64 s[20:21], 7, v20
	s_waitcnt lgkmcnt(3)
	v_add_u32_e32 v40, v17, v16
	s_waitcnt lgkmcnt(2)
	v_add3_u32 v40, v40, v14, v15
	s_waitcnt lgkmcnt(1)
	v_add3_u32 v40, v40, v10, v11
	;; [unrolled: 2-line block ×3, first 2 shown]
	v_bfe_i32 v39, v38, 4, 1
	v_cmp_eq_u32_e64 s[10:11], 31, v0
	v_mov_b32_dpp v40, v13 row_shr:1 row_mask:0xf bank_mask:0xf
	v_cndmask_b32_e64 v40, v40, 0, s[14:15]
	v_add_u32_e32 v13, v40, v13
	s_nop 1
	v_mov_b32_dpp v40, v13 row_shr:2 row_mask:0xf bank_mask:0xf
	v_cndmask_b32_e64 v40, 0, v40, s[16:17]
	v_add_u32_e32 v13, v13, v40
	s_nop 1
	;; [unrolled: 4-line block ×4, first 2 shown]
	v_mov_b32_dpp v20, v13 row_bcast:15 row_mask:0xf bank_mask:0xf
	v_and_b32_e32 v20, v39, v20
	v_add_u32_e32 v13, v13, v20
	s_and_saveexec_b64 s[12:13], s[10:11]
	s_cbranch_execz .LBB98_64
; %bb.63:
	v_mov_b32_e32 v20, 0
	ds_write_b32 v20, v13 offset:1024
.LBB98_64:
	s_or_b64 exec, exec, s[12:13]
	v_add_u32_e32 v20, -1, v38
	v_and_b32_e32 v39, 0x60, v38
	v_cmp_lt_i32_e64 s[12:13], v20, v39
	v_cndmask_b32_e64 v20, v20, v38, s[12:13]
	v_lshlrev_b32_e32 v20, 2, v20
	ds_bpermute_b32 v39, v20, v13
	v_mov_b32_e32 v13, 0
	s_waitcnt lgkmcnt(0)
	; wave barrier
	s_waitcnt lgkmcnt(0)
	ds_read_b32 v40, v13 offset:1024
	v_cmp_eq_u32_e64 s[12:13], 0, v38
	v_cndmask_b32_e64 v38, v39, 0, s[12:13]
	s_waitcnt lgkmcnt(0)
	v_lshl_add_u32 v38, v40, 16, v38
	v_add_u32_e32 v16, v38, v16
	v_add_u32_e32 v17, v16, v17
	;; [unrolled: 1-line block ×7, first 2 shown]
	ds_write2_b32 v18, v38, v16 offset1:1
	ds_write2_b32 v18, v17, v14 offset0:2 offset1:3
	ds_write2_b32 v18, v15, v10 offset0:4 offset1:5
	;; [unrolled: 1-line block ×3, first 2 shown]
	s_waitcnt lgkmcnt(0)
	; wave barrier
	s_waitcnt lgkmcnt(0)
	ds_read_u16 v10, v19
	ds_read_u16 v11, v34
	;; [unrolled: 1-line block ×4, first 2 shown]
	s_waitcnt lgkmcnt(0)
	v_add_u32_sdwa v10, v10, v23 dst_sel:DWORD dst_unused:UNUSED_PAD src0_sel:DWORD src1_sel:WORD_0
	v_add_u32_sdwa v11, v11, v25 dst_sel:DWORD dst_unused:UNUSED_PAD src0_sel:DWORD src1_sel:WORD_0
	;; [unrolled: 1-line block ×4, first 2 shown]
	; wave barrier
	ds_write_b8 v10, v21
	ds_write_b8 v11, v22
	;; [unrolled: 1-line block ×4, first 2 shown]
	v_lshlrev_b32_e32 v10, 3, v10
	s_waitcnt lgkmcnt(0)
	; wave barrier
	s_waitcnt lgkmcnt(0)
	ds_read_u8 v21, v26
	ds_read_u8 v22, v26 offset:1
	ds_read_u8 v23, v26 offset:2
	;; [unrolled: 1-line block ×3, first 2 shown]
	s_waitcnt lgkmcnt(0)
	; wave barrier
	s_waitcnt lgkmcnt(0)
	ds_write_b64 v10, v[2:3]
	v_lshlrev_b32_e32 v2, 3, v11
	ds_write_b64 v2, v[4:5]
	v_lshlrev_b32_e32 v2, 3, v12
	v_lshlrev_b32_e32 v19, 3, v26
	ds_write_b64 v2, v[6:7]
	v_lshlrev_b32_e32 v2, 3, v14
	ds_write_b64 v2, v[8:9]
	s_waitcnt lgkmcnt(0)
	; wave barrier
	s_waitcnt lgkmcnt(0)
	ds_read2_b64 v[6:9], v19 offset1:1
	ds_read2_b64 v[2:5], v19 offset0:2 offset1:3
	s_waitcnt lgkmcnt(0)
	; wave barrier
	s_waitcnt lgkmcnt(0)
	s_and_saveexec_b64 s[28:29], s[4:5]
	s_cbranch_execz .LBB98_71
; %bb.65:
	s_mov_b32 s38, 0
	s_mov_b64 s[4:5], 0
	v_pk_mov_b32 v[10:11], v[0:1], v[0:1] op_sel:[0,1]
	s_branch .LBB98_67
.LBB98_66:                              ;   in Loop: Header=BB98_67 Depth=1
	s_or_b64 exec, exec, s[34:35]
	s_add_i32 s38, s38, 2
	v_cmp_eq_u32_e64 s[30:31], 8, s38
	v_add_u32_e32 v11, 64, v11
	s_or_b64 s[4:5], s[30:31], s[4:5]
	v_add_u32_e32 v10, 64, v10
	s_andn2_b64 exec, exec, s[4:5]
	s_cbranch_execz .LBB98_71
.LBB98_67:                              ; =>This Inner Loop Header: Depth=1
	s_or_b32 s30, s38, 1
	v_cmp_le_u32_e64 s[30:31], s30, 7
	v_cmp_le_u32_e64 s[40:41], s38, 7
	s_and_saveexec_b64 s[34:35], s[40:41]
	s_cbranch_execz .LBB98_69
; %bb.68:                               ;   in Loop: Header=BB98_67 Depth=1
	v_lshlrev_b32_e32 v1, 2, v10
	ds_write_b32 v1, v13
.LBB98_69:                              ;   in Loop: Header=BB98_67 Depth=1
	s_or_b64 exec, exec, s[34:35]
	s_and_saveexec_b64 s[34:35], s[30:31]
	s_cbranch_execz .LBB98_66
; %bb.70:                               ;   in Loop: Header=BB98_67 Depth=1
	v_lshlrev_b32_e32 v1, 2, v11
	ds_write_b32 v1, v13
	s_branch .LBB98_66
.LBB98_71:
	s_or_b64 exec, exec, s[28:29]
	s_min_u32 s4, s37, 4
	s_lshl_b32 s4, -1, s4
	v_lshrrev_b16_e32 v1, 4, v21
	s_not_b32 s4, s4
	v_and_b32_e32 v1, 15, v1
	v_and_b32_sdwa v1, v1, s4 dst_sel:DWORD dst_unused:UNUSED_PAD src0_sel:WORD_0 src1_sel:DWORD
	v_lshlrev_b32_e32 v10, 5, v1
	s_movk_i32 s5, 0xe0
	v_lshrrev_b32_e32 v1, 2, v1
	v_and_or_b32 v10, v10, s5, v0
	v_and_b32_e32 v1, 2, v1
	v_lshl_or_b32 v25, v10, 2, v1
	ds_read_u16 v1, v25
	s_waitcnt lgkmcnt(0)
	v_add_u16_e32 v10, 1, v1
	ds_write_b16 v25, v10
	v_lshrrev_b16_e32 v10, 4, v22
	v_and_b32_e32 v10, 15, v10
	v_and_b32_sdwa v10, v10, s4 dst_sel:DWORD dst_unused:UNUSED_PAD src0_sel:WORD_0 src1_sel:DWORD
	v_lshlrev_b32_e32 v11, 5, v10
	v_lshrrev_b32_e32 v10, 2, v10
	v_and_or_b32 v11, v11, s5, v0
	v_and_b32_e32 v10, 2, v10
	v_lshl_or_b32 v33, v11, 2, v10
	ds_read_u16 v32, v33
	s_waitcnt lgkmcnt(0)
	v_add_u16_e32 v10, 1, v32
	ds_write_b16 v33, v10
	v_lshrrev_b16_e32 v10, 4, v23
	v_and_b32_e32 v10, 15, v10
	v_and_b32_sdwa v10, v10, s4 dst_sel:DWORD dst_unused:UNUSED_PAD src0_sel:WORD_0 src1_sel:DWORD
	v_lshlrev_b32_e32 v11, 5, v10
	;; [unrolled: 12-line block ×3, first 2 shown]
	v_lshrrev_b32_e32 v10, 2, v10
	v_and_or_b32 v11, v11, s5, v0
	v_and_b32_e32 v10, 2, v10
	v_lshl_or_b32 v37, v11, 2, v10
	ds_read_u16 v36, v37
	s_waitcnt lgkmcnt(0)
	v_add_u16_e32 v10, 1, v36
	ds_write_b16 v37, v10
	s_waitcnt lgkmcnt(0)
	; wave barrier
	s_waitcnt lgkmcnt(0)
	ds_read2_b32 v[16:17], v18 offset1:1
	ds_read2_b32 v[14:15], v18 offset0:2 offset1:3
	ds_read2_b32 v[10:11], v18 offset0:4 offset1:5
	;; [unrolled: 1-line block ×3, first 2 shown]
	s_waitcnt lgkmcnt(3)
	v_add_u32_e32 v38, v17, v16
	s_waitcnt lgkmcnt(2)
	v_add3_u32 v38, v38, v14, v15
	s_waitcnt lgkmcnt(1)
	v_add3_u32 v38, v38, v10, v11
	;; [unrolled: 2-line block ×3, first 2 shown]
	s_nop 1
	v_mov_b32_dpp v38, v13 row_shr:1 row_mask:0xf bank_mask:0xf
	v_cndmask_b32_e64 v38, v38, 0, s[14:15]
	v_add_u32_e32 v13, v38, v13
	s_nop 1
	v_mov_b32_dpp v38, v13 row_shr:2 row_mask:0xf bank_mask:0xf
	v_cndmask_b32_e64 v38, 0, v38, s[16:17]
	v_add_u32_e32 v13, v13, v38
	;; [unrolled: 4-line block ×4, first 2 shown]
	s_nop 1
	v_mov_b32_dpp v38, v13 row_bcast:15 row_mask:0xf bank_mask:0xf
	v_cndmask_b32_e64 v38, v38, 0, vcc
	v_add_u32_e32 v13, v13, v38
	s_and_saveexec_b64 s[4:5], s[10:11]
	s_cbranch_execz .LBB98_73
; %bb.72:
	v_mov_b32_e32 v38, 0
	ds_write_b32 v38, v13 offset:1024
.LBB98_73:
	s_or_b64 exec, exec, s[4:5]
	ds_bpermute_b32 v13, v20, v13
	v_mov_b32_e32 v20, 0
	s_waitcnt lgkmcnt(0)
	; wave barrier
	s_waitcnt lgkmcnt(0)
	ds_read_b32 v20, v20 offset:1024
	v_cndmask_b32_e64 v13, v13, 0, s[12:13]
	s_waitcnt lgkmcnt(0)
	v_lshl_add_u32 v13, v20, 16, v13
	v_add_u32_e32 v16, v13, v16
	v_add_u32_e32 v17, v16, v17
	;; [unrolled: 1-line block ×7, first 2 shown]
	ds_write2_b32 v18, v13, v16 offset1:1
	ds_write2_b32 v18, v17, v14 offset0:2 offset1:3
	ds_write2_b32 v18, v15, v10 offset0:4 offset1:5
	ds_write2_b32 v18, v11, v12 offset0:6 offset1:7
	s_waitcnt lgkmcnt(0)
	; wave barrier
	s_waitcnt lgkmcnt(0)
	ds_read_u16 v10, v37
	ds_read_u16 v11, v35
	;; [unrolled: 1-line block ×4, first 2 shown]
	s_waitcnt lgkmcnt(0)
	v_add_u32_sdwa v10, v10, v36 dst_sel:DWORD dst_unused:UNUSED_PAD src0_sel:DWORD src1_sel:WORD_0
	v_add_u32_sdwa v11, v11, v34 dst_sel:DWORD dst_unused:UNUSED_PAD src0_sel:DWORD src1_sel:WORD_0
	;; [unrolled: 1-line block ×4, first 2 shown]
	; wave barrier
	ds_write_b8 v1, v21
	ds_write_b8 v12, v22
	;; [unrolled: 1-line block ×4, first 2 shown]
	v_lshlrev_b32_e32 v1, 3, v1
	s_waitcnt lgkmcnt(0)
	; wave barrier
	s_waitcnt lgkmcnt(0)
	ds_read_u8 v18, v26
	ds_read_u8 v20, v26 offset:1
	ds_read_u8 v21, v26 offset:2
	;; [unrolled: 1-line block ×3, first 2 shown]
	s_waitcnt lgkmcnt(0)
	; wave barrier
	s_waitcnt lgkmcnt(0)
	ds_write_b64 v1, v[6:7]
	v_lshlrev_b32_e32 v1, 3, v12
	ds_write_b64 v1, v[8:9]
	v_lshlrev_b32_e32 v1, 3, v11
	;; [unrolled: 2-line block ×3, first 2 shown]
	ds_write_b64 v1, v[4:5]
	s_waitcnt lgkmcnt(0)
	; wave barrier
	s_waitcnt lgkmcnt(0)
	ds_read2_b64 v[10:13], v19 offset1:1
	ds_read2_b64 v[14:17], v19 offset0:2 offset1:3
	v_mov_b32_e32 v2, -1
	v_xor_b32_e32 v1, 0xff, v18
	v_xor_b32_sdwa v3, v20, v2 dst_sel:BYTE_1 dst_unused:UNUSED_PAD src0_sel:DWORD src1_sel:DWORD
	v_xor_b32_e32 v4, 0xff, v21
	v_xor_b32_sdwa v2, v22, v2 dst_sel:BYTE_1 dst_unused:UNUSED_PAD src0_sel:DWORD src1_sel:DWORD
	v_or_b32_e32 v1, v1, v3
	v_or_b32_sdwa v2, v4, v2 dst_sel:WORD_1 dst_unused:UNUSED_PAD src0_sel:DWORD src1_sel:DWORD
	v_or_b32_sdwa v18, v1, v2 dst_sel:DWORD dst_unused:UNUSED_PAD src0_sel:WORD_0 src1_sel:DWORD
.LBB98_74:
	s_waitcnt lgkmcnt(0)
	; wave barrier
	s_waitcnt lgkmcnt(0)
	ds_write_b32 v26, v18
	s_waitcnt lgkmcnt(0)
	; wave barrier
	s_waitcnt lgkmcnt(0)
	ds_read_u8 v5, v0 offset:32
	ds_read_u8 v4, v0 offset:64
	;; [unrolled: 1-line block ×3, first 2 shown]
	v_pk_mov_b32 v[2:3], s[26:27], s[26:27] op_sel:[0,1]
	v_mad_u64_u32 v[2:3], s[4:5], v0, s22, v[2:3]
	v_mov_b32_e32 v6, v3
	v_mad_u64_u32 v[6:7], s[4:5], v0, s23, v[6:7]
	v_mov_b32_e32 v3, v6
	s_and_saveexec_b64 s[4:5], s[0:1]
	s_cbranch_execnz .LBB98_85
; %bb.75:
	s_or_b64 exec, exec, s[4:5]
	s_and_saveexec_b64 s[4:5], s[2:3]
	s_cbranch_execnz .LBB98_86
.LBB98_76:
	s_or_b64 exec, exec, s[4:5]
	s_and_saveexec_b64 s[4:5], s[8:9]
	s_cbranch_execnz .LBB98_87
.LBB98_77:
	s_or_b64 exec, exec, s[4:5]
	s_and_saveexec_b64 s[4:5], s[6:7]
	s_cbranch_execz .LBB98_79
.LBB98_78:
	s_waitcnt lgkmcnt(1)
	v_mov_b32_e32 v4, 0x60
	v_mad_u64_u32 v[2:3], s[10:11], s22, v4, v[2:3]
	s_mul_i32 s10, s23, 0x60
	v_add_u32_e32 v3, s10, v3
	s_waitcnt lgkmcnt(0)
	global_store_byte v[2:3], v1, off
.LBB98_79:
	s_or_b64 exec, exec, s[4:5]
	v_mad_u64_u32 v[8:9], s[4:5], v0, s24, 0
	s_waitcnt lgkmcnt(0)
	; wave barrier
	s_waitcnt lgkmcnt(0)
	ds_write2_b64 v31, v[10:11], v[12:13] offset1:1
	ds_write2_b64 v31, v[14:15], v[16:17] offset0:2 offset1:3
	s_waitcnt lgkmcnt(0)
	; wave barrier
	s_waitcnt lgkmcnt(0)
	ds_read_b64 v[6:7], v28 offset:256
	ds_read_b64 v[4:5], v29 offset:512
	;; [unrolled: 1-line block ×3, first 2 shown]
	v_mov_b32_e32 v10, v9
	v_mad_u64_u32 v[0:1], s[4:5], v0, s25, v[10:11]
	v_mov_b32_e32 v9, v0
	v_lshlrev_b64 v[0:1], 3, v[8:9]
	v_mov_b32_e32 v8, s36
	v_add_co_u32_e32 v0, vcc, s33, v0
	v_addc_co_u32_e32 v1, vcc, v8, v1, vcc
	s_and_saveexec_b64 s[4:5], s[0:1]
	s_cbranch_execnz .LBB98_88
; %bb.80:
	s_or_b64 exec, exec, s[4:5]
	s_and_saveexec_b64 s[0:1], s[2:3]
	s_cbranch_execnz .LBB98_89
.LBB98_81:
	s_or_b64 exec, exec, s[0:1]
	s_and_saveexec_b64 s[0:1], s[8:9]
	s_cbranch_execnz .LBB98_90
.LBB98_82:
	s_or_b64 exec, exec, s[0:1]
	s_and_saveexec_b64 s[0:1], s[6:7]
	s_cbranch_execz .LBB98_84
.LBB98_83:
	s_waitcnt lgkmcnt(1)
	v_mov_b32_e32 v4, 0x300
	v_mad_u64_u32 v[0:1], s[0:1], s24, v4, v[0:1]
	s_mul_i32 s0, s25, 0x300
	v_add_u32_e32 v1, s0, v1
	s_waitcnt lgkmcnt(0)
	global_store_dwordx2 v[0:1], v[2:3], off
.LBB98_84:
	s_endpgm
.LBB98_85:
	ds_read_u8 v6, v0
	s_waitcnt lgkmcnt(0)
	global_store_byte v[2:3], v6, off
	s_or_b64 exec, exec, s[4:5]
	s_and_saveexec_b64 s[4:5], s[2:3]
	s_cbranch_execz .LBB98_76
.LBB98_86:
	s_lshl_b64 s[10:11], s[22:23], 5
	v_mov_b32_e32 v7, s11
	v_add_co_u32_e32 v6, vcc, s10, v2
	v_addc_co_u32_e32 v7, vcc, v3, v7, vcc
	s_waitcnt lgkmcnt(2)
	global_store_byte v[6:7], v5, off
	s_or_b64 exec, exec, s[4:5]
	s_and_saveexec_b64 s[4:5], s[8:9]
	s_cbranch_execz .LBB98_77
.LBB98_87:
	s_lshl_b64 s[10:11], s[22:23], 6
	s_waitcnt lgkmcnt(2)
	v_mov_b32_e32 v5, s11
	v_add_co_u32_e32 v6, vcc, s10, v2
	v_addc_co_u32_e32 v7, vcc, v3, v5, vcc
	s_waitcnt lgkmcnt(1)
	global_store_byte v[6:7], v4, off
	s_or_b64 exec, exec, s[4:5]
	s_and_saveexec_b64 s[4:5], s[6:7]
	s_cbranch_execnz .LBB98_78
	s_branch .LBB98_79
.LBB98_88:
	ds_read_b64 v[8:9], v27
	s_waitcnt lgkmcnt(0)
	global_store_dwordx2 v[0:1], v[8:9], off
	s_or_b64 exec, exec, s[4:5]
	s_and_saveexec_b64 s[0:1], s[2:3]
	s_cbranch_execz .LBB98_81
.LBB98_89:
	s_lshl_b64 s[2:3], s[24:25], 8
	v_mov_b32_e32 v9, s3
	v_add_co_u32_e32 v8, vcc, s2, v0
	v_addc_co_u32_e32 v9, vcc, v1, v9, vcc
	s_waitcnt lgkmcnt(2)
	global_store_dwordx2 v[8:9], v[6:7], off
	s_or_b64 exec, exec, s[0:1]
	s_and_saveexec_b64 s[0:1], s[8:9]
	s_cbranch_execz .LBB98_82
.LBB98_90:
	s_lshl_b64 s[2:3], s[24:25], 9
	s_waitcnt lgkmcnt(2)
	v_mov_b32_e32 v7, s3
	v_add_co_u32_e32 v6, vcc, s2, v0
	v_addc_co_u32_e32 v7, vcc, v1, v7, vcc
	s_waitcnt lgkmcnt(1)
	global_store_dwordx2 v[6:7], v[4:5], off
	s_or_b64 exec, exec, s[0:1]
	s_and_saveexec_b64 s[0:1], s[6:7]
	s_cbranch_execnz .LBB98_83
	s_branch .LBB98_84
	.section	.rodata,"a",@progbits
	.p2align	6, 0x0
	.amdhsa_kernel _ZN2at6native18radixSortKVInPlaceILin1ELin1ELi32ELi4EhlmEEvNS_4cuda6detail10TensorInfoIT3_T5_EES6_S6_S6_NS4_IT4_S6_EES6_b
		.amdhsa_group_segment_fixed_size 1056
		.amdhsa_private_segment_fixed_size 0
		.amdhsa_kernarg_size 1128
		.amdhsa_user_sgpr_count 6
		.amdhsa_user_sgpr_private_segment_buffer 1
		.amdhsa_user_sgpr_dispatch_ptr 0
		.amdhsa_user_sgpr_queue_ptr 0
		.amdhsa_user_sgpr_kernarg_segment_ptr 1
		.amdhsa_user_sgpr_dispatch_id 0
		.amdhsa_user_sgpr_flat_scratch_init 0
		.amdhsa_user_sgpr_kernarg_preload_length 0
		.amdhsa_user_sgpr_kernarg_preload_offset 0
		.amdhsa_user_sgpr_private_segment_size 0
		.amdhsa_uses_dynamic_stack 0
		.amdhsa_system_sgpr_private_segment_wavefront_offset 0
		.amdhsa_system_sgpr_workgroup_id_x 1
		.amdhsa_system_sgpr_workgroup_id_y 1
		.amdhsa_system_sgpr_workgroup_id_z 1
		.amdhsa_system_sgpr_workgroup_info 0
		.amdhsa_system_vgpr_workitem_id 0
		.amdhsa_next_free_vgpr 52
		.amdhsa_next_free_sgpr 48
		.amdhsa_accum_offset 52
		.amdhsa_reserve_vcc 1
		.amdhsa_reserve_flat_scratch 0
		.amdhsa_float_round_mode_32 0
		.amdhsa_float_round_mode_16_64 0
		.amdhsa_float_denorm_mode_32 3
		.amdhsa_float_denorm_mode_16_64 3
		.amdhsa_dx10_clamp 1
		.amdhsa_ieee_mode 1
		.amdhsa_fp16_overflow 0
		.amdhsa_tg_split 0
		.amdhsa_exception_fp_ieee_invalid_op 0
		.amdhsa_exception_fp_denorm_src 0
		.amdhsa_exception_fp_ieee_div_zero 0
		.amdhsa_exception_fp_ieee_overflow 0
		.amdhsa_exception_fp_ieee_underflow 0
		.amdhsa_exception_fp_ieee_inexact 0
		.amdhsa_exception_int_div_zero 0
	.end_amdhsa_kernel
	.section	.text._ZN2at6native18radixSortKVInPlaceILin1ELin1ELi32ELi4EhlmEEvNS_4cuda6detail10TensorInfoIT3_T5_EES6_S6_S6_NS4_IT4_S6_EES6_b,"axG",@progbits,_ZN2at6native18radixSortKVInPlaceILin1ELin1ELi32ELi4EhlmEEvNS_4cuda6detail10TensorInfoIT3_T5_EES6_S6_S6_NS4_IT4_S6_EES6_b,comdat
.Lfunc_end98:
	.size	_ZN2at6native18radixSortKVInPlaceILin1ELin1ELi32ELi4EhlmEEvNS_4cuda6detail10TensorInfoIT3_T5_EES6_S6_S6_NS4_IT4_S6_EES6_b, .Lfunc_end98-_ZN2at6native18radixSortKVInPlaceILin1ELin1ELi32ELi4EhlmEEvNS_4cuda6detail10TensorInfoIT3_T5_EES6_S6_S6_NS4_IT4_S6_EES6_b
                                        ; -- End function
	.section	.AMDGPU.csdata,"",@progbits
; Kernel info:
; codeLenInByte = 7700
; NumSgprs: 52
; NumVgprs: 52
; NumAgprs: 0
; TotalNumVgprs: 52
; ScratchSize: 0
; MemoryBound: 0
; FloatMode: 240
; IeeeMode: 1
; LDSByteSize: 1056 bytes/workgroup (compile time only)
; SGPRBlocks: 6
; VGPRBlocks: 6
; NumSGPRsForWavesPerEU: 52
; NumVGPRsForWavesPerEU: 52
; AccumOffset: 52
; Occupancy: 8
; WaveLimiterHint : 1
; COMPUTE_PGM_RSRC2:SCRATCH_EN: 0
; COMPUTE_PGM_RSRC2:USER_SGPR: 6
; COMPUTE_PGM_RSRC2:TRAP_HANDLER: 0
; COMPUTE_PGM_RSRC2:TGID_X_EN: 1
; COMPUTE_PGM_RSRC2:TGID_Y_EN: 1
; COMPUTE_PGM_RSRC2:TGID_Z_EN: 1
; COMPUTE_PGM_RSRC2:TIDIG_COMP_CNT: 0
; COMPUTE_PGM_RSRC3_GFX90A:ACCUM_OFFSET: 12
; COMPUTE_PGM_RSRC3_GFX90A:TG_SPLIT: 0
	.section	.text._ZN2at6native18radixSortKVInPlaceILin1ELin1ELi16ELi2EhlmEEvNS_4cuda6detail10TensorInfoIT3_T5_EES6_S6_S6_NS4_IT4_S6_EES6_b,"axG",@progbits,_ZN2at6native18radixSortKVInPlaceILin1ELin1ELi16ELi2EhlmEEvNS_4cuda6detail10TensorInfoIT3_T5_EES6_S6_S6_NS4_IT4_S6_EES6_b,comdat
	.protected	_ZN2at6native18radixSortKVInPlaceILin1ELin1ELi16ELi2EhlmEEvNS_4cuda6detail10TensorInfoIT3_T5_EES6_S6_S6_NS4_IT4_S6_EES6_b ; -- Begin function _ZN2at6native18radixSortKVInPlaceILin1ELin1ELi16ELi2EhlmEEvNS_4cuda6detail10TensorInfoIT3_T5_EES6_S6_S6_NS4_IT4_S6_EES6_b
	.globl	_ZN2at6native18radixSortKVInPlaceILin1ELin1ELi16ELi2EhlmEEvNS_4cuda6detail10TensorInfoIT3_T5_EES6_S6_S6_NS4_IT4_S6_EES6_b
	.p2align	8
	.type	_ZN2at6native18radixSortKVInPlaceILin1ELin1ELi16ELi2EhlmEEvNS_4cuda6detail10TensorInfoIT3_T5_EES6_S6_S6_NS4_IT4_S6_EES6_b,@function
_ZN2at6native18radixSortKVInPlaceILin1ELin1ELi16ELi2EhlmEEvNS_4cuda6detail10TensorInfoIT3_T5_EES6_S6_S6_NS4_IT4_S6_EES6_b: ; @_ZN2at6native18radixSortKVInPlaceILin1ELin1ELi16ELi2EhlmEEvNS_4cuda6detail10TensorInfoIT3_T5_EES6_S6_S6_NS4_IT4_S6_EES6_b
; %bb.0:
	s_load_dwordx4 s[0:3], s[4:5], 0x1a0
	s_load_dwordx2 s[10:11], s[4:5], 0x368
	s_mov_b32 s9, 0
	s_waitcnt lgkmcnt(0)
	v_mov_b32_e32 v2, s0
	s_mul_i32 s0, s11, s8
	s_add_i32 s0, s0, s7
	s_mul_i32 s0, s0, s10
	v_mov_b32_e32 v3, s1
	s_add_i32 s8, s0, s6
	v_cmp_ge_u64_e32 vcc, s[8:9], v[2:3]
	s_cbranch_vccnz .LBB99_74
; %bb.1:
	s_load_dword s0, s[4:5], 0x198
	s_load_dwordx2 s[16:17], s[4:5], 0x1b0
	s_mov_b64 s[6:7], 0
	s_mov_b64 s[10:11], s[8:9]
	s_waitcnt lgkmcnt(0)
	s_cmp_lt_i32 s0, 2
	s_cbranch_scc1 .LBB99_9
; %bb.2:
	s_mov_b32 s12, 0
	s_add_i32 s3, s0, 1
	s_add_i32 s0, s0, -1
	s_mov_b32 s1, s12
	s_lshl_b64 s[0:1], s[0:1], 3
	s_add_u32 s0, s0, s4
	s_addc_u32 s1, s1, s5
	s_add_u32 s14, s0, 8
	s_addc_u32 s15, s1, 0
	s_mov_b64 s[18:19], s[8:9]
.LBB99_3:                               ; =>This Inner Loop Header: Depth=1
	s_load_dwordx2 s[20:21], s[14:15], 0x0
	s_waitcnt lgkmcnt(0)
	s_or_b64 s[0:1], s[18:19], s[20:21]
	s_mov_b32 s13, s1
	s_cmp_lg_u64 s[12:13], 0
	s_cbranch_scc0 .LBB99_8
; %bb.4:                                ;   in Loop: Header=BB99_3 Depth=1
	v_cvt_f32_u32_e32 v1, s20
	v_cvt_f32_u32_e32 v2, s21
	s_sub_u32 s0, 0, s20
	s_subb_u32 s1, 0, s21
	v_mac_f32_e32 v1, 0x4f800000, v2
	v_rcp_f32_e32 v1, v1
	v_mul_f32_e32 v1, 0x5f7ffffc, v1
	v_mul_f32_e32 v2, 0x2f800000, v1
	v_trunc_f32_e32 v2, v2
	v_mac_f32_e32 v1, 0xcf800000, v2
	v_cvt_u32_f32_e32 v2, v2
	v_cvt_u32_f32_e32 v1, v1
	v_readfirstlane_b32 s10, v2
	v_readfirstlane_b32 s11, v1
	s_mul_i32 s13, s0, s10
	s_mul_hi_u32 s23, s0, s11
	s_mul_i32 s22, s1, s11
	s_add_i32 s13, s23, s13
	s_mul_i32 s24, s0, s11
	s_add_i32 s13, s13, s22
	s_mul_hi_u32 s22, s11, s13
	s_mul_i32 s23, s11, s13
	s_mul_hi_u32 s11, s11, s24
	s_add_u32 s11, s11, s23
	s_addc_u32 s22, 0, s22
	s_mul_hi_u32 s25, s10, s24
	s_mul_i32 s24, s10, s24
	s_add_u32 s11, s11, s24
	s_mul_hi_u32 s23, s10, s13
	s_addc_u32 s11, s22, s25
	s_addc_u32 s22, s23, 0
	s_mul_i32 s13, s10, s13
	s_add_u32 s11, s11, s13
	s_addc_u32 s13, 0, s22
	v_add_co_u32_e32 v1, vcc, s11, v1
	s_cmp_lg_u64 vcc, 0
	s_addc_u32 s10, s10, s13
	v_readfirstlane_b32 s13, v1
	s_mul_i32 s11, s0, s10
	s_mul_hi_u32 s22, s0, s13
	s_add_i32 s11, s22, s11
	s_mul_i32 s1, s1, s13
	s_add_i32 s11, s11, s1
	s_mul_i32 s0, s0, s13
	s_mul_hi_u32 s22, s10, s0
	s_mul_i32 s23, s10, s0
	s_mul_i32 s25, s13, s11
	s_mul_hi_u32 s0, s13, s0
	s_mul_hi_u32 s24, s13, s11
	s_add_u32 s0, s0, s25
	s_addc_u32 s13, 0, s24
	s_add_u32 s0, s0, s23
	s_mul_hi_u32 s1, s10, s11
	s_addc_u32 s0, s13, s22
	s_addc_u32 s1, s1, 0
	s_mul_i32 s11, s10, s11
	s_add_u32 s0, s0, s11
	s_addc_u32 s1, 0, s1
	v_add_co_u32_e32 v1, vcc, s0, v1
	s_cmp_lg_u64 vcc, 0
	s_addc_u32 s0, s10, s1
	v_readfirstlane_b32 s11, v1
	s_mul_i32 s10, s18, s0
	s_mul_hi_u32 s13, s18, s11
	s_mul_hi_u32 s1, s18, s0
	s_add_u32 s10, s13, s10
	s_addc_u32 s1, 0, s1
	s_mul_hi_u32 s22, s19, s11
	s_mul_i32 s11, s19, s11
	s_add_u32 s10, s10, s11
	s_mul_hi_u32 s13, s19, s0
	s_addc_u32 s1, s1, s22
	s_addc_u32 s10, s13, 0
	s_mul_i32 s0, s19, s0
	s_add_u32 s13, s1, s0
	s_addc_u32 s10, 0, s10
	s_mul_i32 s0, s20, s10
	s_mul_hi_u32 s1, s20, s13
	s_add_i32 s0, s1, s0
	s_mul_i32 s1, s21, s13
	s_add_i32 s11, s0, s1
	s_mul_i32 s1, s20, s13
	v_mov_b32_e32 v1, s1
	s_sub_i32 s0, s19, s11
	v_sub_co_u32_e32 v1, vcc, s18, v1
	s_cmp_lg_u64 vcc, 0
	s_subb_u32 s22, s0, s21
	v_subrev_co_u32_e64 v2, s[0:1], s20, v1
	s_cmp_lg_u64 s[0:1], 0
	s_subb_u32 s0, s22, 0
	s_cmp_ge_u32 s0, s21
	v_readfirstlane_b32 s22, v2
	s_cselect_b32 s1, -1, 0
	s_cmp_ge_u32 s22, s20
	s_cselect_b32 s22, -1, 0
	s_cmp_eq_u32 s0, s21
	s_cselect_b32 s0, s22, s1
	s_add_u32 s1, s13, 1
	s_addc_u32 s22, s10, 0
	s_add_u32 s23, s13, 2
	s_addc_u32 s24, s10, 0
	s_cmp_lg_u32 s0, 0
	s_cselect_b32 s0, s23, s1
	s_cselect_b32 s1, s24, s22
	s_cmp_lg_u64 vcc, 0
	s_subb_u32 s11, s19, s11
	s_cmp_ge_u32 s11, s21
	v_readfirstlane_b32 s23, v1
	s_cselect_b32 s22, -1, 0
	s_cmp_ge_u32 s23, s20
	s_cselect_b32 s23, -1, 0
	s_cmp_eq_u32 s11, s21
	s_cselect_b32 s11, s23, s22
	s_cmp_lg_u32 s11, 0
	s_cselect_b32 s11, s1, s10
	s_cselect_b32 s10, s0, s13
	s_cbranch_execnz .LBB99_6
.LBB99_5:                               ;   in Loop: Header=BB99_3 Depth=1
	v_cvt_f32_u32_e32 v1, s20
	s_sub_i32 s0, 0, s20
	v_rcp_iflag_f32_e32 v1, v1
	v_mul_f32_e32 v1, 0x4f7ffffe, v1
	v_cvt_u32_f32_e32 v1, v1
	v_readfirstlane_b32 s1, v1
	s_mul_i32 s0, s0, s1
	s_mul_hi_u32 s0, s1, s0
	s_add_i32 s1, s1, s0
	s_mul_hi_u32 s0, s18, s1
	s_mul_i32 s10, s0, s20
	s_sub_i32 s10, s18, s10
	s_add_i32 s1, s0, 1
	s_sub_i32 s11, s10, s20
	s_cmp_ge_u32 s10, s20
	s_cselect_b32 s0, s1, s0
	s_cselect_b32 s10, s11, s10
	s_add_i32 s1, s0, 1
	s_cmp_ge_u32 s10, s20
	s_cselect_b32 s10, s1, s0
	s_mov_b32 s11, s12
.LBB99_6:                               ;   in Loop: Header=BB99_3 Depth=1
	s_mul_i32 s0, s10, s21
	s_mul_hi_u32 s1, s10, s20
	s_add_i32 s13, s1, s0
	s_load_dwordx2 s[0:1], s[14:15], 0xc8
	s_mul_i32 s21, s11, s20
	s_add_i32 s13, s13, s21
	s_mul_i32 s20, s10, s20
	s_sub_u32 s18, s18, s20
	s_subb_u32 s13, s19, s13
	s_waitcnt lgkmcnt(0)
	s_mul_i32 s13, s0, s13
	s_mul_hi_u32 s19, s0, s18
	s_add_i32 s13, s19, s13
	s_mul_i32 s1, s1, s18
	s_add_i32 s13, s13, s1
	s_mul_i32 s0, s0, s18
	s_add_u32 s6, s0, s6
	s_addc_u32 s7, s13, s7
	s_add_i32 s3, s3, -1
	s_add_u32 s14, s14, -8
	s_addc_u32 s15, s15, -1
	s_cmp_gt_u32 s3, 2
	s_cbranch_scc0 .LBB99_9
; %bb.7:                                ;   in Loop: Header=BB99_3 Depth=1
	s_mov_b64 s[18:19], s[10:11]
	s_branch .LBB99_3
.LBB99_8:                               ;   in Loop: Header=BB99_3 Depth=1
                                        ; implicit-def: $sgpr10_sgpr11
	s_branch .LBB99_5
.LBB99_9:
	s_load_dword s0, s[4:5], 0x350
	s_load_dwordx2 s[14:15], s[4:5], 0xd0
	s_mov_b64 s[12:13], 0
	s_waitcnt lgkmcnt(0)
	s_cmp_lt_i32 s0, 2
	s_cbranch_scc1 .LBB99_17
; %bb.10:
	s_mov_b32 s18, 0
	s_add_i32 s3, s0, 1
	s_add_i32 s0, s0, -1
	s_mov_b32 s1, s18
	s_lshl_b64 s[0:1], s[0:1], 3
	s_add_u32 s0, s0, s4
	s_addc_u32 s1, s1, s5
	s_add_u32 s20, s0, 0x1c0
	s_addc_u32 s21, s1, 0
.LBB99_11:                              ; =>This Inner Loop Header: Depth=1
	s_load_dwordx2 s[22:23], s[20:21], 0x0
	s_waitcnt lgkmcnt(0)
	s_or_b64 s[0:1], s[8:9], s[22:23]
	s_mov_b32 s19, s1
	s_cmp_lg_u64 s[18:19], 0
	s_cbranch_scc0 .LBB99_16
; %bb.12:                               ;   in Loop: Header=BB99_11 Depth=1
	v_cvt_f32_u32_e32 v1, s22
	v_cvt_f32_u32_e32 v2, s23
	s_sub_u32 s0, 0, s22
	s_subb_u32 s1, 0, s23
	v_mac_f32_e32 v1, 0x4f800000, v2
	v_rcp_f32_e32 v1, v1
	v_mul_f32_e32 v1, 0x5f7ffffc, v1
	v_mul_f32_e32 v2, 0x2f800000, v1
	v_trunc_f32_e32 v2, v2
	v_mac_f32_e32 v1, 0xcf800000, v2
	v_cvt_u32_f32_e32 v2, v2
	v_cvt_u32_f32_e32 v1, v1
	v_readfirstlane_b32 s19, v2
	v_readfirstlane_b32 s24, v1
	s_mul_i32 s25, s0, s19
	s_mul_hi_u32 s27, s0, s24
	s_mul_i32 s26, s1, s24
	s_add_i32 s25, s27, s25
	s_mul_i32 s28, s0, s24
	s_add_i32 s25, s25, s26
	s_mul_hi_u32 s26, s24, s25
	s_mul_i32 s27, s24, s25
	s_mul_hi_u32 s24, s24, s28
	s_add_u32 s24, s24, s27
	s_addc_u32 s26, 0, s26
	s_mul_hi_u32 s29, s19, s28
	s_mul_i32 s28, s19, s28
	s_add_u32 s24, s24, s28
	s_mul_hi_u32 s27, s19, s25
	s_addc_u32 s24, s26, s29
	s_addc_u32 s26, s27, 0
	s_mul_i32 s25, s19, s25
	s_add_u32 s24, s24, s25
	s_addc_u32 s25, 0, s26
	v_add_co_u32_e32 v1, vcc, s24, v1
	s_cmp_lg_u64 vcc, 0
	s_addc_u32 s19, s19, s25
	v_readfirstlane_b32 s25, v1
	s_mul_i32 s24, s0, s19
	s_mul_hi_u32 s26, s0, s25
	s_add_i32 s24, s26, s24
	s_mul_i32 s1, s1, s25
	s_add_i32 s24, s24, s1
	s_mul_i32 s0, s0, s25
	s_mul_hi_u32 s26, s19, s0
	s_mul_i32 s27, s19, s0
	s_mul_i32 s29, s25, s24
	s_mul_hi_u32 s0, s25, s0
	s_mul_hi_u32 s28, s25, s24
	s_add_u32 s0, s0, s29
	s_addc_u32 s25, 0, s28
	s_add_u32 s0, s0, s27
	s_mul_hi_u32 s1, s19, s24
	s_addc_u32 s0, s25, s26
	s_addc_u32 s1, s1, 0
	s_mul_i32 s24, s19, s24
	s_add_u32 s0, s0, s24
	s_addc_u32 s1, 0, s1
	v_add_co_u32_e32 v1, vcc, s0, v1
	s_cmp_lg_u64 vcc, 0
	s_addc_u32 s0, s19, s1
	v_readfirstlane_b32 s24, v1
	s_mul_i32 s19, s8, s0
	s_mul_hi_u32 s25, s8, s24
	s_mul_hi_u32 s1, s8, s0
	s_add_u32 s19, s25, s19
	s_addc_u32 s1, 0, s1
	s_mul_hi_u32 s26, s9, s24
	s_mul_i32 s24, s9, s24
	s_add_u32 s19, s19, s24
	s_mul_hi_u32 s25, s9, s0
	s_addc_u32 s1, s1, s26
	s_addc_u32 s19, s25, 0
	s_mul_i32 s0, s9, s0
	s_add_u32 s24, s1, s0
	s_addc_u32 s19, 0, s19
	s_mul_i32 s0, s22, s19
	s_mul_hi_u32 s1, s22, s24
	s_add_i32 s0, s1, s0
	s_mul_i32 s1, s23, s24
	s_add_i32 s25, s0, s1
	s_mul_i32 s1, s22, s24
	v_mov_b32_e32 v1, s1
	s_sub_i32 s0, s9, s25
	v_sub_co_u32_e32 v1, vcc, s8, v1
	s_cmp_lg_u64 vcc, 0
	s_subb_u32 s26, s0, s23
	v_subrev_co_u32_e64 v2, s[0:1], s22, v1
	s_cmp_lg_u64 s[0:1], 0
	s_subb_u32 s0, s26, 0
	s_cmp_ge_u32 s0, s23
	v_readfirstlane_b32 s26, v2
	s_cselect_b32 s1, -1, 0
	s_cmp_ge_u32 s26, s22
	s_cselect_b32 s26, -1, 0
	s_cmp_eq_u32 s0, s23
	s_cselect_b32 s0, s26, s1
	s_add_u32 s1, s24, 1
	s_addc_u32 s26, s19, 0
	s_add_u32 s27, s24, 2
	s_addc_u32 s28, s19, 0
	s_cmp_lg_u32 s0, 0
	s_cselect_b32 s0, s27, s1
	s_cselect_b32 s1, s28, s26
	s_cmp_lg_u64 vcc, 0
	s_subb_u32 s25, s9, s25
	s_cmp_ge_u32 s25, s23
	v_readfirstlane_b32 s27, v1
	s_cselect_b32 s26, -1, 0
	s_cmp_ge_u32 s27, s22
	s_cselect_b32 s27, -1, 0
	s_cmp_eq_u32 s25, s23
	s_cselect_b32 s25, s27, s26
	s_cmp_lg_u32 s25, 0
	s_cselect_b32 s25, s1, s19
	s_cselect_b32 s24, s0, s24
	s_cbranch_execnz .LBB99_14
.LBB99_13:                              ;   in Loop: Header=BB99_11 Depth=1
	v_cvt_f32_u32_e32 v1, s22
	s_sub_i32 s0, 0, s22
	s_mov_b32 s25, s18
	v_rcp_iflag_f32_e32 v1, v1
	v_mul_f32_e32 v1, 0x4f7ffffe, v1
	v_cvt_u32_f32_e32 v1, v1
	v_readfirstlane_b32 s1, v1
	s_mul_i32 s0, s0, s1
	s_mul_hi_u32 s0, s1, s0
	s_add_i32 s1, s1, s0
	s_mul_hi_u32 s0, s8, s1
	s_mul_i32 s19, s0, s22
	s_sub_i32 s19, s8, s19
	s_add_i32 s1, s0, 1
	s_sub_i32 s24, s19, s22
	s_cmp_ge_u32 s19, s22
	s_cselect_b32 s0, s1, s0
	s_cselect_b32 s19, s24, s19
	s_add_i32 s1, s0, 1
	s_cmp_ge_u32 s19, s22
	s_cselect_b32 s24, s1, s0
.LBB99_14:                              ;   in Loop: Header=BB99_11 Depth=1
	s_mul_i32 s0, s24, s23
	s_mul_hi_u32 s1, s24, s22
	s_add_i32 s19, s1, s0
	s_load_dwordx2 s[0:1], s[20:21], 0xc8
	s_mul_i32 s23, s25, s22
	s_add_i32 s19, s19, s23
	s_mul_i32 s22, s24, s22
	s_sub_u32 s8, s8, s22
	s_subb_u32 s9, s9, s19
	s_waitcnt lgkmcnt(0)
	s_mul_i32 s9, s0, s9
	s_mul_hi_u32 s19, s0, s8
	s_add_i32 s9, s19, s9
	s_mul_i32 s1, s1, s8
	s_add_i32 s9, s9, s1
	s_mul_i32 s0, s0, s8
	s_add_u32 s12, s0, s12
	s_addc_u32 s13, s9, s13
	s_add_i32 s3, s3, -1
	s_add_u32 s20, s20, -8
	s_addc_u32 s21, s21, -1
	s_cmp_gt_u32 s3, 2
	s_cbranch_scc0 .LBB99_18
; %bb.15:                               ;   in Loop: Header=BB99_11 Depth=1
	s_mov_b64 s[8:9], s[24:25]
	s_branch .LBB99_11
.LBB99_16:                              ;   in Loop: Header=BB99_11 Depth=1
                                        ; implicit-def: $sgpr24_sgpr25
	s_branch .LBB99_13
.LBB99_17:
	s_mov_b64 s[24:25], s[8:9]
.LBB99_18:
	s_mul_i32 s0, s14, s11
	s_mul_hi_u32 s1, s14, s10
	s_load_dword s3, s[4:5], 0x360
	s_add_i32 s0, s1, s0
	s_mul_i32 s1, s15, s10
	s_add_i32 s18, s0, s1
	s_load_dwordx2 s[0:1], s[4:5], 0x0
	s_load_dwordx2 s[8:9], s[4:5], 0x288
	s_mul_i32 s19, s14, s10
	s_load_dwordx2 s[10:11], s[4:5], 0x1b8
	s_waitcnt lgkmcnt(0)
	s_bitcmp1_b32 s3, 0
	s_cselect_b64 s[14:15], -1, 0
	s_add_u32 s0, s0, s19
	s_addc_u32 s1, s1, s18
	s_add_u32 s20, s0, s6
	s_addc_u32 s21, s1, s7
	s_xor_b64 s[6:7], s[14:15], -1
	v_cndmask_b32_e64 v3, 0, -1, s[6:7]
	v_lshlrev_b16_e32 v1, 8, v3
	v_or_b32_sdwa v1, v3, v1 dst_sel:DWORD dst_unused:UNUSED_PAD src0_sel:BYTE_0 src1_sel:DWORD
	v_and_b32_e32 v2, 0xffff, v1
	v_cmp_gt_u32_e64 s[0:1], s2, v0
	s_and_saveexec_b64 s[14:15], s[0:1]
	s_cbranch_execz .LBB99_20
; %bb.19:
	v_pk_mov_b32 v[4:5], s[20:21], s[20:21] op_sel:[0,1]
	v_mad_u64_u32 v[4:5], s[18:19], v0, s16, v[4:5]
	v_mov_b32_e32 v6, v5
	v_mad_u64_u32 v[6:7], s[18:19], v0, s17, v[6:7]
	v_mov_b32_e32 v5, v6
	global_load_ubyte v3, v[4:5], off
	v_and_b32_e32 v1, 0xffffff00, v2
	s_waitcnt vmcnt(0)
	v_or_b32_e32 v1, v3, v1
	v_and_b32_e32 v2, 0xffff, v1
.LBB99_20:
	s_or_b64 exec, exec, s[14:15]
	v_or_b32_e32 v1, 16, v0
	v_cmp_gt_u32_e64 s[2:3], s2, v1
	s_and_saveexec_b64 s[14:15], s[2:3]
	s_cbranch_execz .LBB99_22
; %bb.21:
	v_pk_mov_b32 v[4:5], s[20:21], s[20:21] op_sel:[0,1]
	v_mad_u64_u32 v[4:5], s[18:19], v1, s16, v[4:5]
	v_mov_b32_e32 v6, v5
	v_mad_u64_u32 v[6:7], s[18:19], v1, s17, v[6:7]
	v_mov_b32_e32 v5, v6
	global_load_ubyte v4, v[4:5], off
	s_waitcnt vmcnt(0)
	v_lshlrev_b16_e32 v4, 8, v4
	v_or_b32_sdwa v2, v2, v4 dst_sel:DWORD dst_unused:UNUSED_PAD src0_sel:BYTE_0 src1_sel:DWORD
	v_and_b32_e32 v2, 0xffff, v2
.LBB99_22:
	s_or_b64 exec, exec, s[14:15]
	s_mul_i32 s14, s8, s25
	s_mul_hi_u32 s15, s8, s24
	s_add_i32 s14, s15, s14
	s_mul_i32 s9, s9, s24
	s_add_i32 s9, s14, s9
	s_mul_i32 s8, s8, s24
	s_lshl_b64 s[8:9], s[8:9], 3
	s_add_u32 s10, s10, s8
	v_lshrrev_b16_e32 v2, 8, v2
	v_lshlrev_b32_e32 v18, 1, v0
	s_addc_u32 s11, s11, s9
	s_lshl_b64 s[8:9], s[12:13], 3
	s_load_dwordx2 s[18:19], s[4:5], 0x358
	ds_write_b8 v0, v3
	ds_write_b8 v0, v2 offset:16
	s_waitcnt lgkmcnt(0)
	; wave barrier
	s_waitcnt lgkmcnt(0)
	ds_read_u8 v22, v18
	ds_read_u8 v21, v18 offset:1
	s_add_u32 s28, s10, s8
	s_mov_b32 s8, 0
	s_addc_u32 s29, s11, s9
	s_mov_b32 s9, s8
	s_mov_b32 s10, s8
	;; [unrolled: 1-line block ×3, first 2 shown]
	v_pk_mov_b32 v[2:3], s[8:9], s[8:9] op_sel:[0,1]
	v_pk_mov_b32 v[4:5], s[10:11], s[10:11] op_sel:[0,1]
	v_pk_mov_b32 v[2:3], 0, 0
	s_waitcnt lgkmcnt(0)
	; wave barrier
	s_waitcnt lgkmcnt(0)
	s_and_saveexec_b64 s[4:5], s[0:1]
	s_cbranch_execz .LBB99_24
; %bb.23:
	v_mad_u64_u32 v[2:3], s[8:9], v0, s18, 0
	v_mov_b32_e32 v4, v3
	v_mad_u64_u32 v[4:5], s[8:9], v0, s19, v[4:5]
	v_mov_b32_e32 v3, v4
	v_lshlrev_b64 v[2:3], 3, v[2:3]
	v_mov_b32_e32 v4, s29
	v_add_co_u32_e32 v2, vcc, s28, v2
	v_addc_co_u32_e32 v3, vcc, v4, v3, vcc
	global_load_dwordx2 v[2:3], v[2:3], off
	v_mov_b32_e32 v4, 0
	v_mov_b32_e32 v5, v4
.LBB99_24:
	s_or_b64 exec, exec, s[4:5]
	s_and_saveexec_b64 s[4:5], s[2:3]
	s_cbranch_execz .LBB99_26
; %bb.25:
	v_mad_u64_u32 v[4:5], s[8:9], v1, s18, 0
	v_mov_b32_e32 v6, v5
	v_mad_u64_u32 v[6:7], s[8:9], v1, s19, v[6:7]
	v_mov_b32_e32 v5, v6
	v_lshlrev_b64 v[4:5], 3, v[4:5]
	v_mov_b32_e32 v6, s29
	v_add_co_u32_e32 v4, vcc, s28, v4
	v_addc_co_u32_e32 v5, vcc, v6, v5, vcc
	global_load_dwordx2 v[4:5], v[4:5], off
.LBB99_26:
	s_or_b64 exec, exec, s[4:5]
	v_lshlrev_b32_e32 v19, 3, v0
	v_lshlrev_b32_e32 v20, 3, v18
	s_waitcnt vmcnt(0)
	ds_write2_b64 v19, v[2:3], v[4:5] offset1:16
	s_waitcnt lgkmcnt(0)
	; wave barrier
	s_waitcnt lgkmcnt(0)
	ds_read2_b64 v[2:5], v20 offset1:1
	s_and_b64 vcc, exec, s[6:7]
	s_waitcnt lgkmcnt(0)
	; wave barrier
	s_waitcnt lgkmcnt(0)
	s_cbranch_vccz .LBB99_34
; %bb.27:
	s_movk_i32 s4, 0x80
	v_cmp_gt_u32_e64 s[4:5], s4, v0
	s_getpc_b64 s[6:7]
	s_add_u32 s6, s6, _ZN7rocprim17ROCPRIM_400000_NS16block_radix_sortIhLj16ELj2ElLj1ELj1ELj0ELNS0_26block_radix_rank_algorithmE1ELNS0_18block_padding_hintE2ELNS0_4arch9wavefront6targetE1EE19radix_bits_per_passE@rel32@lo+4
	s_addc_u32 s7, s7, _ZN7rocprim17ROCPRIM_400000_NS16block_radix_sortIhLj16ELj2ElLj1ELj1ELj0ELNS0_26block_radix_rank_algorithmE1ELNS0_18block_padding_hintE2ELNS0_4arch9wavefront6targetE1EE19radix_bits_per_passE@rel32@hi+12
	s_and_saveexec_b64 s[8:9], s[4:5]
	s_cbranch_execz .LBB99_35
; %bb.28:
	s_mov_b32 s22, 0
	s_mov_b64 s[10:11], 0
	v_mov_b32_e32 v8, 0
	v_pk_mov_b32 v[6:7], v[0:1], v[0:1] op_sel:[0,1]
	s_branch .LBB99_30
.LBB99_29:                              ;   in Loop: Header=BB99_30 Depth=1
	s_or_b64 exec, exec, s[14:15]
	s_add_i32 s22, s22, 2
	v_cmp_eq_u32_e64 s[12:13], 8, s22
	v_add_u32_e32 v7, 32, v7
	s_or_b64 s[10:11], s[12:13], s[10:11]
	v_add_u32_e32 v6, 32, v6
	s_andn2_b64 exec, exec, s[10:11]
	s_cbranch_execz .LBB99_35
.LBB99_30:                              ; =>This Inner Loop Header: Depth=1
	s_or_b32 s12, s22, 1
	v_cmp_le_u32_e64 s[12:13], s12, 7
	v_cmp_le_u32_e64 s[24:25], s22, 7
	s_and_saveexec_b64 s[14:15], s[24:25]
	s_cbranch_execz .LBB99_32
; %bb.31:                               ;   in Loop: Header=BB99_30 Depth=1
	v_lshlrev_b32_e32 v9, 2, v6
	ds_write_b32 v9, v8
.LBB99_32:                              ;   in Loop: Header=BB99_30 Depth=1
	s_or_b64 exec, exec, s[14:15]
	s_and_saveexec_b64 s[14:15], s[12:13]
	s_cbranch_execz .LBB99_29
; %bb.33:                               ;   in Loop: Header=BB99_30 Depth=1
	v_lshlrev_b32_e32 v9, 2, v7
	ds_write_b32 v9, v8
	s_branch .LBB99_29
.LBB99_34:
                                        ; implicit-def: $vgpr8_vgpr9
                                        ; implicit-def: $vgpr10
	s_cbranch_execnz .LBB99_47
	s_branch .LBB99_66
.LBB99_35:
	s_or_b64 exec, exec, s[8:9]
	s_load_dword s30, s[6:7], 0x0
	s_movk_i32 s7, 0x70
	v_lshlrev_b32_e32 v23, 5, v0
	v_cmp_eq_u32_e32 vcc, 15, v0
	s_waitcnt lgkmcnt(0)
	s_min_u32 s6, s30, 8
	s_lshl_b32 s6, -1, s6
	s_not_b32 s6, s6
	v_and_b32_e32 v6, s6, v22
	v_bfe_u32 v7, v6, 3, 5
	v_lshlrev_b32_e32 v6, 4, v6
	v_and_or_b32 v6, v6, s7, v0
	v_lshlrev_b32_e32 v6, 1, v6
	v_add_lshl_u32 v16, v6, v7, 1
	ds_read_u16 v15, v16
	v_and_b32_e32 v6, s6, v21
	v_bfe_u32 v7, v6, 3, 5
	v_lshlrev_b32_e32 v6, 4, v6
	v_and_or_b32 v6, v6, s7, v0
	s_waitcnt lgkmcnt(0)
	v_add_u16_e32 v8, 1, v15
	v_lshlrev_b32_e32 v6, 1, v6
	ds_write_b16 v16, v8
	v_add_lshl_u32 v25, v6, v7, 1
	ds_read_u16 v17, v25
	v_mbcnt_lo_u32_b32 v6, -1, 0
	v_mbcnt_hi_u32_b32 v26, -1, v6
	v_and_b32_e32 v14, 15, v26
	v_cmp_eq_u32_e64 s[6:7], 0, v14
	s_waitcnt lgkmcnt(0)
	v_add_u16_e32 v6, 1, v17
	ds_write_b16 v25, v6
	s_waitcnt lgkmcnt(0)
	; wave barrier
	s_waitcnt lgkmcnt(0)
	ds_read2_b32 v[12:13], v23 offset1:1
	ds_read2_b32 v[10:11], v23 offset0:2 offset1:3
	ds_read2_b32 v[6:7], v23 offset0:4 offset1:5
	;; [unrolled: 1-line block ×3, first 2 shown]
	v_cmp_lt_u32_e64 s[8:9], 1, v14
	s_waitcnt lgkmcnt(3)
	v_add_u32_e32 v24, v13, v12
	s_waitcnt lgkmcnt(2)
	v_add3_u32 v24, v24, v10, v11
	s_waitcnt lgkmcnt(1)
	v_add3_u32 v24, v24, v6, v7
	;; [unrolled: 2-line block ×3, first 2 shown]
	v_cmp_lt_u32_e64 s[10:11], 3, v14
	v_cmp_lt_u32_e64 s[14:15], 7, v14
	v_mov_b32_dpp v24, v9 row_shr:1 row_mask:0xf bank_mask:0xf
	v_cndmask_b32_e64 v24, v24, 0, s[6:7]
	v_add_u32_e32 v9, v24, v9
	s_nop 1
	v_mov_b32_dpp v24, v9 row_shr:2 row_mask:0xf bank_mask:0xf
	v_cndmask_b32_e64 v24, 0, v24, s[8:9]
	v_add_u32_e32 v9, v9, v24
	s_nop 1
	;; [unrolled: 4-line block ×3, first 2 shown]
	v_mov_b32_dpp v24, v9 row_shr:8 row_mask:0xf bank_mask:0xf
	v_cndmask_b32_e64 v14, 0, v24, s[14:15]
	v_add_u32_e32 v9, v9, v14
	s_and_saveexec_b64 s[12:13], vcc
	s_cbranch_execz .LBB99_37
; %bb.36:
	v_mov_b32_e32 v14, 0
	ds_write_b32 v14, v9 offset:512
.LBB99_37:
	s_or_b64 exec, exec, s[12:13]
	v_add_u32_e32 v14, -1, v26
	v_and_b32_e32 v24, 0x70, v26
	v_cmp_lt_i32_e64 s[12:13], v14, v24
	v_cndmask_b32_e64 v14, v14, v26, s[12:13]
	v_lshlrev_b32_e32 v24, 2, v14
	ds_bpermute_b32 v9, v24, v9
	v_mov_b32_e32 v14, 0
	s_waitcnt lgkmcnt(0)
	; wave barrier
	s_waitcnt lgkmcnt(0)
	ds_read_b32 v27, v14 offset:512
	v_cmp_eq_u32_e64 s[12:13], 0, v26
	v_cndmask_b32_e64 v9, v9, 0, s[12:13]
	s_waitcnt lgkmcnt(0)
	v_lshl_add_u32 v9, v27, 16, v9
	v_add_u32_e32 v12, v9, v12
	v_add_u32_e32 v13, v12, v13
	;; [unrolled: 1-line block ×7, first 2 shown]
	ds_write2_b32 v23, v9, v12 offset1:1
	ds_write2_b32 v23, v13, v10 offset0:2 offset1:3
	ds_write2_b32 v23, v11, v6 offset0:4 offset1:5
	;; [unrolled: 1-line block ×3, first 2 shown]
	s_waitcnt lgkmcnt(0)
	; wave barrier
	s_waitcnt lgkmcnt(0)
	ds_read_u16 v6, v16
	ds_read_u16 v7, v25
	s_waitcnt lgkmcnt(0)
	; wave barrier
	s_waitcnt lgkmcnt(0)
	v_add_u32_sdwa v6, v6, v15 dst_sel:DWORD dst_unused:UNUSED_PAD src0_sel:DWORD src1_sel:WORD_0
	v_add_u32_sdwa v7, v7, v17 dst_sel:DWORD dst_unused:UNUSED_PAD src0_sel:DWORD src1_sel:WORD_0
	ds_write_b8 v6, v22
	ds_write_b8 v7, v21
	v_lshlrev_b32_e32 v6, 3, v6
	s_waitcnt lgkmcnt(0)
	; wave barrier
	s_waitcnt lgkmcnt(0)
	ds_read_u8 v25, v18
	ds_read_u8 v26, v18 offset:1
	s_waitcnt lgkmcnt(0)
	; wave barrier
	s_waitcnt lgkmcnt(0)
	ds_write_b64 v6, v[2:3]
	v_lshlrev_b32_e32 v6, 3, v7
	ds_write_b64 v6, v[4:5]
	s_waitcnt lgkmcnt(0)
	; wave barrier
	s_waitcnt lgkmcnt(0)
	ds_read2_b64 v[6:9], v20 offset1:1
	s_waitcnt lgkmcnt(0)
	; wave barrier
	s_waitcnt lgkmcnt(0)
	s_and_saveexec_b64 s[22:23], s[4:5]
	s_cbranch_execz .LBB99_44
; %bb.38:
	s_mov_b32 s31, 0
	s_mov_b64 s[4:5], 0
	v_pk_mov_b32 v[10:11], v[0:1], v[0:1] op_sel:[0,1]
	s_branch .LBB99_40
.LBB99_39:                              ;   in Loop: Header=BB99_40 Depth=1
	s_or_b64 exec, exec, s[26:27]
	s_add_i32 s31, s31, 2
	v_cmp_eq_u32_e64 s[24:25], 8, s31
	v_add_u32_e32 v11, 32, v11
	s_or_b64 s[4:5], s[24:25], s[4:5]
	v_add_u32_e32 v10, 32, v10
	s_andn2_b64 exec, exec, s[4:5]
	s_cbranch_execz .LBB99_44
.LBB99_40:                              ; =>This Inner Loop Header: Depth=1
	s_or_b32 s24, s31, 1
	v_cmp_le_u32_e64 s[24:25], s24, 7
	v_cmp_le_u32_e64 s[34:35], s31, 7
	s_and_saveexec_b64 s[26:27], s[34:35]
	s_cbranch_execz .LBB99_42
; %bb.41:                               ;   in Loop: Header=BB99_40 Depth=1
	v_lshlrev_b32_e32 v12, 2, v10
	ds_write_b32 v12, v14
.LBB99_42:                              ;   in Loop: Header=BB99_40 Depth=1
	s_or_b64 exec, exec, s[26:27]
	s_and_saveexec_b64 s[26:27], s[24:25]
	s_cbranch_execz .LBB99_39
; %bb.43:                               ;   in Loop: Header=BB99_40 Depth=1
	v_lshlrev_b32_e32 v12, 2, v11
	ds_write_b32 v12, v14
	s_branch .LBB99_39
.LBB99_44:
	s_or_b64 exec, exec, s[22:23]
	s_min_u32 s4, s30, 4
	s_lshl_b32 s4, -1, s4
	v_lshrrev_b16_e32 v10, 4, v25
	s_not_b32 s4, s4
	v_and_b32_e32 v10, 15, v10
	v_and_b32_sdwa v10, v10, s4 dst_sel:DWORD dst_unused:UNUSED_PAD src0_sel:WORD_0 src1_sel:DWORD
	v_lshlrev_b32_e32 v11, 4, v10
	s_movk_i32 s5, 0x70
	v_lshrrev_b32_e32 v10, 2, v10
	v_and_or_b32 v11, v11, s5, v0
	v_and_b32_e32 v10, 2, v10
	v_lshl_or_b32 v28, v11, 2, v10
	ds_read_u16 v27, v28
	s_waitcnt lgkmcnt(0)
	v_add_u16_e32 v10, 1, v27
	ds_write_b16 v28, v10
	v_lshrrev_b16_e32 v10, 4, v26
	v_and_b32_e32 v10, 15, v10
	v_and_b32_sdwa v10, v10, s4 dst_sel:DWORD dst_unused:UNUSED_PAD src0_sel:WORD_0 src1_sel:DWORD
	v_lshlrev_b32_e32 v11, 4, v10
	v_lshrrev_b32_e32 v10, 2, v10
	v_and_or_b32 v11, v11, s5, v0
	v_and_b32_e32 v10, 2, v10
	v_lshl_or_b32 v30, v11, 2, v10
	ds_read_u16 v29, v30
	s_waitcnt lgkmcnt(0)
	v_add_u16_e32 v10, 1, v29
	ds_write_b16 v30, v10
	s_waitcnt lgkmcnt(0)
	; wave barrier
	s_waitcnt lgkmcnt(0)
	ds_read2_b32 v[16:17], v23 offset1:1
	ds_read2_b32 v[14:15], v23 offset0:2 offset1:3
	ds_read2_b32 v[10:11], v23 offset0:4 offset1:5
	;; [unrolled: 1-line block ×3, first 2 shown]
	s_waitcnt lgkmcnt(3)
	v_add_u32_e32 v31, v17, v16
	s_waitcnt lgkmcnt(2)
	v_add3_u32 v31, v31, v14, v15
	s_waitcnt lgkmcnt(1)
	v_add3_u32 v31, v31, v10, v11
	s_waitcnt lgkmcnt(0)
	v_add3_u32 v13, v31, v12, v13
	s_nop 1
	v_mov_b32_dpp v31, v13 row_shr:1 row_mask:0xf bank_mask:0xf
	v_cndmask_b32_e64 v31, v31, 0, s[6:7]
	v_add_u32_e32 v13, v31, v13
	s_nop 1
	v_mov_b32_dpp v31, v13 row_shr:2 row_mask:0xf bank_mask:0xf
	v_cndmask_b32_e64 v31, 0, v31, s[8:9]
	v_add_u32_e32 v13, v13, v31
	;; [unrolled: 4-line block ×4, first 2 shown]
	s_and_saveexec_b64 s[4:5], vcc
	s_cbranch_execz .LBB99_46
; %bb.45:
	v_mov_b32_e32 v31, 0
	ds_write_b32 v31, v13 offset:512
.LBB99_46:
	s_or_b64 exec, exec, s[4:5]
	ds_bpermute_b32 v13, v24, v13
	v_mov_b32_e32 v24, 0
	s_waitcnt lgkmcnt(0)
	; wave barrier
	s_waitcnt lgkmcnt(0)
	ds_read_b32 v24, v24 offset:512
	v_cndmask_b32_e64 v13, v13, 0, s[12:13]
	s_waitcnt lgkmcnt(0)
	v_lshl_add_u32 v13, v24, 16, v13
	v_add_u32_e32 v16, v13, v16
	v_add_u32_e32 v17, v16, v17
	;; [unrolled: 1-line block ×7, first 2 shown]
	ds_write2_b32 v23, v13, v16 offset1:1
	ds_write2_b32 v23, v17, v14 offset0:2 offset1:3
	ds_write2_b32 v23, v15, v10 offset0:4 offset1:5
	;; [unrolled: 1-line block ×3, first 2 shown]
	s_waitcnt lgkmcnt(0)
	; wave barrier
	s_waitcnt lgkmcnt(0)
	ds_read_u16 v10, v30
	ds_read_u16 v11, v28
	s_waitcnt lgkmcnt(0)
	; wave barrier
	s_waitcnt lgkmcnt(0)
	v_add_u32_sdwa v10, v10, v29 dst_sel:DWORD dst_unused:UNUSED_PAD src0_sel:DWORD src1_sel:WORD_0
	v_add_u32_sdwa v11, v11, v27 dst_sel:DWORD dst_unused:UNUSED_PAD src0_sel:DWORD src1_sel:WORD_0
	ds_write_b8 v11, v25
	ds_write_b8 v10, v26
	s_waitcnt lgkmcnt(0)
	; wave barrier
	s_waitcnt lgkmcnt(0)
	ds_read_u8 v12, v18
	ds_read_u8 v13, v18 offset:1
	v_lshlrev_b32_e32 v11, 3, v11
	s_waitcnt lgkmcnt(0)
	; wave barrier
	s_waitcnt lgkmcnt(0)
	ds_write_b64 v11, v[6:7]
	v_lshlrev_b32_e32 v6, 3, v10
	ds_write_b64 v6, v[8:9]
	s_waitcnt lgkmcnt(0)
	; wave barrier
	s_waitcnt lgkmcnt(0)
	ds_read2_b64 v[6:9], v20 offset1:1
	v_lshlrev_b16_e32 v10, 8, v13
	v_or_b32_e32 v10, v12, v10
	v_and_b32_e32 v10, 0xffff, v10
	s_branch .LBB99_66
.LBB99_47:
	s_movk_i32 s4, 0x80
	v_cmp_gt_u32_e64 s[4:5], s4, v0
	s_getpc_b64 s[6:7]
	s_add_u32 s6, s6, _ZN7rocprim17ROCPRIM_400000_NS16block_radix_sortIhLj16ELj2ElLj1ELj1ELj0ELNS0_26block_radix_rank_algorithmE1ELNS0_18block_padding_hintE2ELNS0_4arch9wavefront6targetE1EE19radix_bits_per_passE@rel32@lo+4
	s_addc_u32 s7, s7, _ZN7rocprim17ROCPRIM_400000_NS16block_radix_sortIhLj16ELj2ElLj1ELj1ELj0ELNS0_26block_radix_rank_algorithmE1ELNS0_18block_padding_hintE2ELNS0_4arch9wavefront6targetE1EE19radix_bits_per_passE@rel32@hi+12
	s_and_saveexec_b64 s[8:9], s[4:5]
	s_cbranch_execz .LBB99_54
; %bb.48:
	s_mov_b32 s22, 0
	s_mov_b64 s[10:11], 0
	s_waitcnt lgkmcnt(0)
	v_mov_b32_e32 v8, 0
	v_pk_mov_b32 v[6:7], v[0:1], v[0:1] op_sel:[0,1]
	s_branch .LBB99_50
.LBB99_49:                              ;   in Loop: Header=BB99_50 Depth=1
	s_or_b64 exec, exec, s[14:15]
	s_add_i32 s22, s22, 2
	v_cmp_eq_u32_e64 s[12:13], 8, s22
	v_add_u32_e32 v7, 32, v7
	s_or_b64 s[10:11], s[12:13], s[10:11]
	v_add_u32_e32 v6, 32, v6
	s_andn2_b64 exec, exec, s[10:11]
	s_cbranch_execz .LBB99_54
.LBB99_50:                              ; =>This Inner Loop Header: Depth=1
	s_or_b32 s12, s22, 1
	v_cmp_le_u32_e64 s[12:13], s12, 7
	v_cmp_le_u32_e64 s[24:25], s22, 7
	s_and_saveexec_b64 s[14:15], s[24:25]
	s_cbranch_execz .LBB99_52
; %bb.51:                               ;   in Loop: Header=BB99_50 Depth=1
	v_lshlrev_b32_e32 v9, 2, v6
	ds_write_b32 v9, v8
.LBB99_52:                              ;   in Loop: Header=BB99_50 Depth=1
	s_or_b64 exec, exec, s[14:15]
	s_and_saveexec_b64 s[14:15], s[12:13]
	s_cbranch_execz .LBB99_49
; %bb.53:                               ;   in Loop: Header=BB99_50 Depth=1
	v_lshlrev_b32_e32 v9, 2, v7
	ds_write_b32 v9, v8
	s_branch .LBB99_49
.LBB99_54:
	s_or_b64 exec, exec, s[8:9]
	s_load_dword s30, s[6:7], 0x0
	v_xor_b32_e32 v16, -1, v22
	s_movk_i32 s7, 0x70
	v_xor_b32_e32 v17, -1, v21
	v_lshlrev_b32_e32 v14, 5, v0
	s_waitcnt lgkmcnt(0)
	s_min_u32 s6, s30, 8
	s_lshl_b32 s6, -1, s6
	s_not_b32 s6, s6
	v_and_b32_e32 v6, s6, v16
	v_bfe_u32 v7, v6, 3, 5
	v_lshlrev_b32_e32 v6, 4, v6
	v_and_or_b32 v6, v6, s7, v0
	v_lshlrev_b32_e32 v6, 1, v6
	v_add_lshl_u32 v23, v6, v7, 1
	ds_read_u16 v22, v23
	v_cmp_eq_u32_e32 vcc, 15, v0
	s_waitcnt lgkmcnt(0)
	v_add_u16_e32 v6, 1, v22
	ds_write_b16 v23, v6
	v_and_b32_e32 v6, s6, v17
	v_bfe_u32 v7, v6, 3, 5
	v_lshlrev_b32_e32 v6, 4, v6
	v_and_or_b32 v6, v6, s7, v0
	v_lshlrev_b32_e32 v6, 1, v6
	v_add_lshl_u32 v24, v6, v7, 1
	ds_read_u16 v21, v24
	v_mbcnt_lo_u32_b32 v6, -1, 0
	v_mbcnt_hi_u32_b32 v25, -1, v6
	v_and_b32_e32 v15, 15, v25
	v_cmp_eq_u32_e64 s[6:7], 0, v15
	s_waitcnt lgkmcnt(0)
	v_add_u16_e32 v6, 1, v21
	ds_write_b16 v24, v6
	s_waitcnt lgkmcnt(0)
	; wave barrier
	s_waitcnt lgkmcnt(0)
	ds_read2_b32 v[12:13], v14 offset1:1
	ds_read2_b32 v[10:11], v14 offset0:2 offset1:3
	ds_read2_b32 v[6:7], v14 offset0:4 offset1:5
	;; [unrolled: 1-line block ×3, first 2 shown]
	v_cmp_lt_u32_e64 s[8:9], 1, v15
	s_waitcnt lgkmcnt(3)
	v_add_u32_e32 v26, v13, v12
	s_waitcnt lgkmcnt(2)
	v_add3_u32 v26, v26, v10, v11
	s_waitcnt lgkmcnt(1)
	v_add3_u32 v26, v26, v6, v7
	;; [unrolled: 2-line block ×3, first 2 shown]
	v_cmp_lt_u32_e64 s[10:11], 3, v15
	v_cmp_lt_u32_e64 s[14:15], 7, v15
	v_mov_b32_dpp v26, v9 row_shr:1 row_mask:0xf bank_mask:0xf
	v_cndmask_b32_e64 v26, v26, 0, s[6:7]
	v_add_u32_e32 v9, v26, v9
	s_nop 1
	v_mov_b32_dpp v26, v9 row_shr:2 row_mask:0xf bank_mask:0xf
	v_cndmask_b32_e64 v26, 0, v26, s[8:9]
	v_add_u32_e32 v9, v9, v26
	s_nop 1
	;; [unrolled: 4-line block ×3, first 2 shown]
	v_mov_b32_dpp v26, v9 row_shr:8 row_mask:0xf bank_mask:0xf
	v_cndmask_b32_e64 v15, 0, v26, s[14:15]
	v_add_u32_e32 v9, v9, v15
	s_and_saveexec_b64 s[12:13], vcc
	s_cbranch_execz .LBB99_56
; %bb.55:
	v_mov_b32_e32 v15, 0
	ds_write_b32 v15, v9 offset:512
.LBB99_56:
	s_or_b64 exec, exec, s[12:13]
	v_add_u32_e32 v15, -1, v25
	v_and_b32_e32 v26, 0x70, v25
	v_cmp_lt_i32_e64 s[12:13], v15, v26
	v_cndmask_b32_e64 v15, v15, v25, s[12:13]
	v_lshlrev_b32_e32 v15, 2, v15
	ds_bpermute_b32 v26, v15, v9
	v_mov_b32_e32 v9, 0
	s_waitcnt lgkmcnt(0)
	; wave barrier
	s_waitcnt lgkmcnt(0)
	ds_read_b32 v27, v9 offset:512
	v_cmp_eq_u32_e64 s[12:13], 0, v25
	v_cndmask_b32_e64 v25, v26, 0, s[12:13]
	s_waitcnt lgkmcnt(0)
	v_lshl_add_u32 v25, v27, 16, v25
	v_add_u32_e32 v12, v25, v12
	v_add_u32_e32 v13, v12, v13
	;; [unrolled: 1-line block ×7, first 2 shown]
	ds_write2_b32 v14, v25, v12 offset1:1
	ds_write2_b32 v14, v13, v10 offset0:2 offset1:3
	ds_write2_b32 v14, v11, v6 offset0:4 offset1:5
	;; [unrolled: 1-line block ×3, first 2 shown]
	s_waitcnt lgkmcnt(0)
	; wave barrier
	s_waitcnt lgkmcnt(0)
	ds_read_u16 v6, v23
	ds_read_u16 v7, v24
	s_waitcnt lgkmcnt(0)
	; wave barrier
	s_waitcnt lgkmcnt(0)
	v_add_u32_sdwa v6, v6, v22 dst_sel:DWORD dst_unused:UNUSED_PAD src0_sel:DWORD src1_sel:WORD_0
	v_add_u32_sdwa v7, v7, v21 dst_sel:DWORD dst_unused:UNUSED_PAD src0_sel:DWORD src1_sel:WORD_0
	ds_write_b8 v6, v16
	ds_write_b8 v7, v17
	v_lshlrev_b32_e32 v6, 3, v6
	s_waitcnt lgkmcnt(0)
	; wave barrier
	s_waitcnt lgkmcnt(0)
	ds_read_u8 v16, v18
	ds_read_u8 v17, v18 offset:1
	s_waitcnt lgkmcnt(0)
	; wave barrier
	s_waitcnt lgkmcnt(0)
	ds_write_b64 v6, v[2:3]
	v_lshlrev_b32_e32 v2, 3, v7
	ds_write_b64 v2, v[4:5]
	s_waitcnt lgkmcnt(0)
	; wave barrier
	s_waitcnt lgkmcnt(0)
	ds_read2_b64 v[2:5], v20 offset1:1
	s_waitcnt lgkmcnt(0)
	; wave barrier
	s_waitcnt lgkmcnt(0)
	s_and_saveexec_b64 s[22:23], s[4:5]
	s_cbranch_execz .LBB99_63
; %bb.57:
	s_mov_b32 s31, 0
	s_mov_b64 s[4:5], 0
	v_pk_mov_b32 v[6:7], v[0:1], v[0:1] op_sel:[0,1]
	s_branch .LBB99_59
.LBB99_58:                              ;   in Loop: Header=BB99_59 Depth=1
	s_or_b64 exec, exec, s[26:27]
	s_add_i32 s31, s31, 2
	v_cmp_eq_u32_e64 s[24:25], 8, s31
	v_add_u32_e32 v7, 32, v7
	s_or_b64 s[4:5], s[24:25], s[4:5]
	v_add_u32_e32 v6, 32, v6
	s_andn2_b64 exec, exec, s[4:5]
	s_cbranch_execz .LBB99_63
.LBB99_59:                              ; =>This Inner Loop Header: Depth=1
	s_or_b32 s24, s31, 1
	v_cmp_le_u32_e64 s[24:25], s24, 7
	v_cmp_le_u32_e64 s[34:35], s31, 7
	s_and_saveexec_b64 s[26:27], s[34:35]
	s_cbranch_execz .LBB99_61
; %bb.60:                               ;   in Loop: Header=BB99_59 Depth=1
	v_lshlrev_b32_e32 v1, 2, v6
	ds_write_b32 v1, v9
.LBB99_61:                              ;   in Loop: Header=BB99_59 Depth=1
	s_or_b64 exec, exec, s[26:27]
	s_and_saveexec_b64 s[26:27], s[24:25]
	s_cbranch_execz .LBB99_58
; %bb.62:                               ;   in Loop: Header=BB99_59 Depth=1
	v_lshlrev_b32_e32 v1, 2, v7
	ds_write_b32 v1, v9
	s_branch .LBB99_58
.LBB99_63:
	s_or_b64 exec, exec, s[22:23]
	s_min_u32 s4, s30, 4
	s_lshl_b32 s4, -1, s4
	v_lshrrev_b16_e32 v1, 4, v16
	s_not_b32 s4, s4
	v_and_b32_e32 v1, 15, v1
	v_and_b32_sdwa v1, v1, s4 dst_sel:DWORD dst_unused:UNUSED_PAD src0_sel:WORD_0 src1_sel:DWORD
	v_lshlrev_b32_e32 v6, 4, v1
	s_movk_i32 s5, 0x70
	v_lshrrev_b32_e32 v1, 2, v1
	v_and_or_b32 v6, v6, s5, v0
	v_and_b32_e32 v1, 2, v1
	v_lshl_or_b32 v21, v6, 2, v1
	ds_read_u16 v1, v21
	s_waitcnt lgkmcnt(0)
	v_add_u16_e32 v6, 1, v1
	ds_write_b16 v21, v6
	v_lshrrev_b16_e32 v6, 4, v17
	v_and_b32_e32 v6, 15, v6
	v_and_b32_sdwa v6, v6, s4 dst_sel:DWORD dst_unused:UNUSED_PAD src0_sel:WORD_0 src1_sel:DWORD
	v_lshlrev_b32_e32 v7, 4, v6
	v_lshrrev_b32_e32 v6, 2, v6
	v_and_or_b32 v7, v7, s5, v0
	v_and_b32_e32 v6, 2, v6
	v_lshl_or_b32 v23, v7, 2, v6
	ds_read_u16 v22, v23
	s_waitcnt lgkmcnt(0)
	v_add_u16_e32 v6, 1, v22
	ds_write_b16 v23, v6
	s_waitcnt lgkmcnt(0)
	; wave barrier
	s_waitcnt lgkmcnt(0)
	ds_read2_b32 v[12:13], v14 offset1:1
	ds_read2_b32 v[10:11], v14 offset0:2 offset1:3
	ds_read2_b32 v[6:7], v14 offset0:4 offset1:5
	;; [unrolled: 1-line block ×3, first 2 shown]
	s_waitcnt lgkmcnt(3)
	v_add_u32_e32 v24, v13, v12
	s_waitcnt lgkmcnt(2)
	v_add3_u32 v24, v24, v10, v11
	s_waitcnt lgkmcnt(1)
	v_add3_u32 v24, v24, v6, v7
	;; [unrolled: 2-line block ×3, first 2 shown]
	s_nop 1
	v_mov_b32_dpp v24, v9 row_shr:1 row_mask:0xf bank_mask:0xf
	v_cndmask_b32_e64 v24, v24, 0, s[6:7]
	v_add_u32_e32 v9, v24, v9
	s_nop 1
	v_mov_b32_dpp v24, v9 row_shr:2 row_mask:0xf bank_mask:0xf
	v_cndmask_b32_e64 v24, 0, v24, s[8:9]
	v_add_u32_e32 v9, v9, v24
	;; [unrolled: 4-line block ×4, first 2 shown]
	s_and_saveexec_b64 s[4:5], vcc
	s_cbranch_execz .LBB99_65
; %bb.64:
	v_mov_b32_e32 v24, 0
	ds_write_b32 v24, v9 offset:512
.LBB99_65:
	s_or_b64 exec, exec, s[4:5]
	ds_bpermute_b32 v9, v15, v9
	v_mov_b32_e32 v15, 0
	s_waitcnt lgkmcnt(0)
	; wave barrier
	s_waitcnt lgkmcnt(0)
	ds_read_b32 v15, v15 offset:512
	v_cndmask_b32_e64 v9, v9, 0, s[12:13]
	s_waitcnt lgkmcnt(0)
	v_lshl_add_u32 v9, v15, 16, v9
	v_add_u32_e32 v12, v9, v12
	v_add_u32_e32 v13, v12, v13
	;; [unrolled: 1-line block ×7, first 2 shown]
	ds_write2_b32 v14, v9, v12 offset1:1
	ds_write2_b32 v14, v13, v10 offset0:2 offset1:3
	ds_write2_b32 v14, v11, v6 offset0:4 offset1:5
	;; [unrolled: 1-line block ×3, first 2 shown]
	s_waitcnt lgkmcnt(0)
	; wave barrier
	s_waitcnt lgkmcnt(0)
	ds_read_u16 v6, v23
	ds_read_u16 v7, v21
	s_waitcnt lgkmcnt(0)
	; wave barrier
	s_waitcnt lgkmcnt(0)
	v_add_u32_sdwa v6, v6, v22 dst_sel:DWORD dst_unused:UNUSED_PAD src0_sel:DWORD src1_sel:WORD_0
	v_add_u32_sdwa v1, v7, v1 dst_sel:DWORD dst_unused:UNUSED_PAD src0_sel:DWORD src1_sel:WORD_0
	ds_write_b8 v1, v16
	ds_write_b8 v6, v17
	s_waitcnt lgkmcnt(0)
	; wave barrier
	s_waitcnt lgkmcnt(0)
	ds_read_u8 v10, v18
	ds_read_u8 v11, v18 offset:1
	v_lshlrev_b32_e32 v1, 3, v1
	s_waitcnt lgkmcnt(0)
	; wave barrier
	s_waitcnt lgkmcnt(0)
	ds_write_b64 v1, v[2:3]
	v_lshlrev_b32_e32 v1, 3, v6
	ds_write_b64 v1, v[4:5]
	s_waitcnt lgkmcnt(0)
	; wave barrier
	s_waitcnt lgkmcnt(0)
	ds_read2_b64 v[6:9], v20 offset1:1
	v_mov_b32_e32 v2, -1
	v_xor_b32_e32 v1, 0xff, v10
	v_xor_b32_sdwa v2, v11, v2 dst_sel:BYTE_1 dst_unused:UNUSED_PAD src0_sel:DWORD src1_sel:DWORD
	v_or_b32_e32 v1, v1, v2
	v_and_b32_e32 v10, 0xffff, v1
.LBB99_66:
	v_lshrrev_b16_e32 v1, 8, v10
	s_waitcnt lgkmcnt(0)
	; wave barrier
	s_waitcnt lgkmcnt(0)
	ds_write_b8 v18, v10
	ds_write_b8 v18, v1 offset:1
	s_waitcnt lgkmcnt(0)
	; wave barrier
	s_waitcnt lgkmcnt(0)
	ds_read_u8 v1, v0 offset:16
	v_pk_mov_b32 v[2:3], s[20:21], s[20:21] op_sel:[0,1]
	v_mad_u64_u32 v[2:3], s[4:5], v0, s16, v[2:3]
	v_mov_b32_e32 v4, v3
	v_mad_u64_u32 v[4:5], s[4:5], v0, s17, v[4:5]
	v_mov_b32_e32 v3, v4
	s_and_saveexec_b64 s[4:5], s[0:1]
	s_cbranch_execz .LBB99_68
; %bb.67:
	ds_read_u8 v4, v0
	s_waitcnt lgkmcnt(0)
	global_store_byte v[2:3], v4, off
.LBB99_68:
	s_or_b64 exec, exec, s[4:5]
	s_and_saveexec_b64 s[4:5], s[2:3]
	s_cbranch_execz .LBB99_70
; %bb.69:
	s_lshl_b64 s[6:7], s[16:17], 4
	v_mov_b32_e32 v4, s7
	v_add_co_u32_e32 v2, vcc, s6, v2
	v_addc_co_u32_e32 v3, vcc, v3, v4, vcc
	s_waitcnt lgkmcnt(0)
	global_store_byte v[2:3], v1, off
.LBB99_70:
	s_or_b64 exec, exec, s[4:5]
	v_mad_u64_u32 v[4:5], s[4:5], v0, s18, 0
	s_waitcnt lgkmcnt(0)
	; wave barrier
	s_waitcnt lgkmcnt(0)
	ds_write2_b64 v20, v[6:7], v[8:9] offset1:1
	v_mov_b32_e32 v6, v5
	s_waitcnt lgkmcnt(0)
	; wave barrier
	s_waitcnt lgkmcnt(0)
	ds_read_b64 v[2:3], v19 offset:128
	v_mad_u64_u32 v[0:1], s[4:5], v0, s19, v[6:7]
	v_mov_b32_e32 v5, v0
	v_lshlrev_b64 v[0:1], 3, v[4:5]
	v_mov_b32_e32 v4, s29
	v_add_co_u32_e32 v0, vcc, s28, v0
	v_addc_co_u32_e32 v1, vcc, v4, v1, vcc
	s_and_saveexec_b64 s[4:5], s[0:1]
	s_cbranch_execz .LBB99_72
; %bb.71:
	ds_read_b64 v[4:5], v19
	s_waitcnt lgkmcnt(0)
	global_store_dwordx2 v[0:1], v[4:5], off
.LBB99_72:
	s_or_b64 exec, exec, s[4:5]
	s_and_saveexec_b64 s[0:1], s[2:3]
	s_cbranch_execz .LBB99_74
; %bb.73:
	s_lshl_b64 s[0:1], s[18:19], 7
	v_mov_b32_e32 v4, s1
	v_add_co_u32_e32 v0, vcc, s0, v0
	v_addc_co_u32_e32 v1, vcc, v1, v4, vcc
	s_waitcnt lgkmcnt(0)
	global_store_dwordx2 v[0:1], v[2:3], off
.LBB99_74:
	s_endpgm
	.section	.rodata,"a",@progbits
	.p2align	6, 0x0
	.amdhsa_kernel _ZN2at6native18radixSortKVInPlaceILin1ELin1ELi16ELi2EhlmEEvNS_4cuda6detail10TensorInfoIT3_T5_EES6_S6_S6_NS4_IT4_S6_EES6_b
		.amdhsa_group_segment_fixed_size 528
		.amdhsa_private_segment_fixed_size 0
		.amdhsa_kernarg_size 1128
		.amdhsa_user_sgpr_count 6
		.amdhsa_user_sgpr_private_segment_buffer 1
		.amdhsa_user_sgpr_dispatch_ptr 0
		.amdhsa_user_sgpr_queue_ptr 0
		.amdhsa_user_sgpr_kernarg_segment_ptr 1
		.amdhsa_user_sgpr_dispatch_id 0
		.amdhsa_user_sgpr_flat_scratch_init 0
		.amdhsa_user_sgpr_kernarg_preload_length 0
		.amdhsa_user_sgpr_kernarg_preload_offset 0
		.amdhsa_user_sgpr_private_segment_size 0
		.amdhsa_uses_dynamic_stack 0
		.amdhsa_system_sgpr_private_segment_wavefront_offset 0
		.amdhsa_system_sgpr_workgroup_id_x 1
		.amdhsa_system_sgpr_workgroup_id_y 1
		.amdhsa_system_sgpr_workgroup_id_z 1
		.amdhsa_system_sgpr_workgroup_info 0
		.amdhsa_system_vgpr_workitem_id 0
		.amdhsa_next_free_vgpr 32
		.amdhsa_next_free_sgpr 36
		.amdhsa_accum_offset 32
		.amdhsa_reserve_vcc 1
		.amdhsa_reserve_flat_scratch 0
		.amdhsa_float_round_mode_32 0
		.amdhsa_float_round_mode_16_64 0
		.amdhsa_float_denorm_mode_32 3
		.amdhsa_float_denorm_mode_16_64 3
		.amdhsa_dx10_clamp 1
		.amdhsa_ieee_mode 1
		.amdhsa_fp16_overflow 0
		.amdhsa_tg_split 0
		.amdhsa_exception_fp_ieee_invalid_op 0
		.amdhsa_exception_fp_denorm_src 0
		.amdhsa_exception_fp_ieee_div_zero 0
		.amdhsa_exception_fp_ieee_overflow 0
		.amdhsa_exception_fp_ieee_underflow 0
		.amdhsa_exception_fp_ieee_inexact 0
		.amdhsa_exception_int_div_zero 0
	.end_amdhsa_kernel
	.section	.text._ZN2at6native18radixSortKVInPlaceILin1ELin1ELi16ELi2EhlmEEvNS_4cuda6detail10TensorInfoIT3_T5_EES6_S6_S6_NS4_IT4_S6_EES6_b,"axG",@progbits,_ZN2at6native18radixSortKVInPlaceILin1ELin1ELi16ELi2EhlmEEvNS_4cuda6detail10TensorInfoIT3_T5_EES6_S6_S6_NS4_IT4_S6_EES6_b,comdat
.Lfunc_end99:
	.size	_ZN2at6native18radixSortKVInPlaceILin1ELin1ELi16ELi2EhlmEEvNS_4cuda6detail10TensorInfoIT3_T5_EES6_S6_S6_NS4_IT4_S6_EES6_b, .Lfunc_end99-_ZN2at6native18radixSortKVInPlaceILin1ELin1ELi16ELi2EhlmEEvNS_4cuda6detail10TensorInfoIT3_T5_EES6_S6_S6_NS4_IT4_S6_EES6_b
                                        ; -- End function
	.section	.AMDGPU.csdata,"",@progbits
; Kernel info:
; codeLenInByte = 5844
; NumSgprs: 40
; NumVgprs: 32
; NumAgprs: 0
; TotalNumVgprs: 32
; ScratchSize: 0
; MemoryBound: 0
; FloatMode: 240
; IeeeMode: 1
; LDSByteSize: 528 bytes/workgroup (compile time only)
; SGPRBlocks: 4
; VGPRBlocks: 3
; NumSGPRsForWavesPerEU: 40
; NumVGPRsForWavesPerEU: 32
; AccumOffset: 32
; Occupancy: 8
; WaveLimiterHint : 1
; COMPUTE_PGM_RSRC2:SCRATCH_EN: 0
; COMPUTE_PGM_RSRC2:USER_SGPR: 6
; COMPUTE_PGM_RSRC2:TRAP_HANDLER: 0
; COMPUTE_PGM_RSRC2:TGID_X_EN: 1
; COMPUTE_PGM_RSRC2:TGID_Y_EN: 1
; COMPUTE_PGM_RSRC2:TGID_Z_EN: 1
; COMPUTE_PGM_RSRC2:TIDIG_COMP_CNT: 0
; COMPUTE_PGM_RSRC3_GFX90A:ACCUM_OFFSET: 7
; COMPUTE_PGM_RSRC3_GFX90A:TG_SPLIT: 0
	.section	.text._ZN2at6native18radixSortKVInPlaceILin2ELin1ELi512ELi8EaljEEvNS_4cuda6detail10TensorInfoIT3_T5_EES6_S6_S6_NS4_IT4_S6_EES6_b,"axG",@progbits,_ZN2at6native18radixSortKVInPlaceILin2ELin1ELi512ELi8EaljEEvNS_4cuda6detail10TensorInfoIT3_T5_EES6_S6_S6_NS4_IT4_S6_EES6_b,comdat
	.protected	_ZN2at6native18radixSortKVInPlaceILin2ELin1ELi512ELi8EaljEEvNS_4cuda6detail10TensorInfoIT3_T5_EES6_S6_S6_NS4_IT4_S6_EES6_b ; -- Begin function _ZN2at6native18radixSortKVInPlaceILin2ELin1ELi512ELi8EaljEEvNS_4cuda6detail10TensorInfoIT3_T5_EES6_S6_S6_NS4_IT4_S6_EES6_b
	.globl	_ZN2at6native18radixSortKVInPlaceILin2ELin1ELi512ELi8EaljEEvNS_4cuda6detail10TensorInfoIT3_T5_EES6_S6_S6_NS4_IT4_S6_EES6_b
	.p2align	8
	.type	_ZN2at6native18radixSortKVInPlaceILin2ELin1ELi512ELi8EaljEEvNS_4cuda6detail10TensorInfoIT3_T5_EES6_S6_S6_NS4_IT4_S6_EES6_b,@function
_ZN2at6native18radixSortKVInPlaceILin2ELin1ELi512ELi8EaljEEvNS_4cuda6detail10TensorInfoIT3_T5_EES6_S6_S6_NS4_IT4_S6_EES6_b: ; @_ZN2at6native18radixSortKVInPlaceILin2ELin1ELi512ELi8EaljEEvNS_4cuda6detail10TensorInfoIT3_T5_EES6_S6_S6_NS4_IT4_S6_EES6_b
; %bb.0:
	s_load_dwordx2 s[0:1], s[4:5], 0x1c8
	s_load_dwordx4 s[36:39], s[4:5], 0xd8
	s_add_u32 s42, s4, 0x1c8
	s_addc_u32 s43, s5, 0
	s_waitcnt lgkmcnt(0)
	s_mul_i32 s1, s1, s8
	s_add_i32 s1, s1, s7
	s_mul_i32 s0, s1, s0
	s_add_i32 s6, s0, s6
	s_cmp_ge_u32 s6, s36
	s_cbranch_scc1 .LBB100_102
; %bb.1:
	s_load_dword s2, s[4:5], 0x1b8
	s_load_dwordx2 s[0:1], s[4:5], 0x0
	s_add_u32 s14, s4, 0xe8
	s_addc_u32 s15, s5, 0
	s_mov_b32 s17, 0
	s_waitcnt lgkmcnt(0)
	s_cmp_lt_i32 s2, 2
	s_mov_b32 s16, s6
	s_cbranch_scc1 .LBB100_4
; %bb.2:
	s_add_i32 s16, s2, -1
	s_add_i32 s7, s2, 1
	s_lshl_b64 s[2:3], s[16:17], 2
	s_add_u32 s2, s2, s14
	s_addc_u32 s3, s3, s15
	s_add_u32 s2, s2, 8
	s_addc_u32 s3, s3, 0
	s_mov_b32 s16, s6
.LBB100_3:                              ; =>This Inner Loop Header: Depth=1
	s_load_dword s8, s[2:3], 0x0
	s_load_dword s10, s[2:3], 0x64
	s_mov_b32 s9, s16
	s_waitcnt lgkmcnt(0)
	v_cvt_f32_u32_e32 v1, s8
	s_sub_i32 s11, 0, s8
	v_rcp_iflag_f32_e32 v1, v1
	v_mul_f32_e32 v1, 0x4f7ffffe, v1
	v_cvt_u32_f32_e32 v1, v1
	v_readfirstlane_b32 s12, v1
	s_mul_i32 s11, s11, s12
	s_mul_hi_u32 s11, s12, s11
	s_add_i32 s12, s12, s11
	s_mul_hi_u32 s11, s16, s12
	s_mul_i32 s12, s11, s8
	s_sub_i32 s12, s16, s12
	s_add_i32 s13, s11, 1
	s_sub_i32 s16, s12, s8
	s_cmp_ge_u32 s12, s8
	s_cselect_b32 s11, s13, s11
	s_cselect_b32 s12, s16, s12
	s_add_i32 s13, s11, 1
	s_cmp_ge_u32 s12, s8
	s_cselect_b32 s16, s13, s11
	s_mul_i32 s8, s16, s8
	s_sub_i32 s8, s9, s8
	s_mul_i32 s8, s10, s8
	s_add_i32 s7, s7, -1
	s_add_i32 s17, s8, s17
	s_add_u32 s2, s2, -4
	s_addc_u32 s3, s3, -1
	s_cmp_gt_u32 s7, 2
	s_cbranch_scc1 .LBB100_3
.LBB100_4:
	s_load_dword s2, s[4:5], 0x6c
	s_load_dwordx2 s[34:35], s[4:5], 0x1c0
	s_movk_i32 s5, 0x80
	v_and_b32_e32 v36, 0x3ff, v0
	v_mul_lo_u32 v37, v36, s38
	s_waitcnt lgkmcnt(0)
	s_mul_i32 s4, s2, s6
	s_bitcmp1_b32 s35, 0
	s_cselect_b64 s[44:45], -1, 0
	s_and_b64 s[2:3], s[44:45], exec
	s_cselect_b32 s2, s5, 0x7f
	v_lshlrev_b16_e64 v2, 8, s2
	v_or_b32_e32 v2, s2, v2
	v_lshlrev_b32_e32 v3, 16, v2
	s_add_u32 s40, s0, s4
	v_or_b32_sdwa v2, v2, v3 dst_sel:DWORD dst_unused:UNUSED_PAD src0_sel:WORD_0 src1_sel:DWORD
	s_addc_u32 s41, s1, 0
	v_mov_b32_e32 v1, s2
	v_mov_b32_e32 v3, v2
	v_cmp_gt_u32_e64 s[0:1], s37, v36
	s_and_saveexec_b64 s[2:3], s[0:1]
	s_cbranch_execz .LBB100_6
; %bb.5:
	global_load_ubyte v1, v37, s[40:41]
	s_mov_b32 s4, 0x3020104
	v_mov_b32_e32 v5, v2
	s_waitcnt vmcnt(0)
	v_perm_b32 v4, v1, v2, s4
	v_pk_mov_b32 v[2:3], v[4:5], v[4:5] op_sel:[0,1]
.LBB100_6:
	s_or_b64 exec, exec, s[2:3]
	v_add_u32_e32 v32, 0x200, v36
	v_cmp_gt_u32_e64 s[2:3], s37, v32
	s_and_saveexec_b64 s[4:5], s[2:3]
	s_cbranch_execz .LBB100_8
; %bb.7:
	v_mul_lo_u32 v4, v32, s38
	global_load_ubyte v4, v4, s[40:41]
	s_mov_b32 s6, 0x7060004
	s_waitcnt vmcnt(0)
	v_perm_b32 v2, v2, v4, s6
.LBB100_8:
	s_or_b64 exec, exec, s[4:5]
	v_or_b32_e32 v31, 0x400, v36
	v_cmp_gt_u32_e64 s[4:5], s37, v31
	s_and_saveexec_b64 s[6:7], s[4:5]
	s_cbranch_execz .LBB100_10
; %bb.9:
	v_mul_lo_u32 v4, v31, s38
	global_load_ubyte v4, v4, s[40:41]
	s_movk_i32 s8, 0xff00
	v_and_b32_sdwa v5, v2, s8 dst_sel:DWORD dst_unused:UNUSED_PAD src0_sel:WORD_1 src1_sel:DWORD
	s_mov_b32 s8, 0xffff
	s_waitcnt vmcnt(0)
	v_or_b32_sdwa v4, v4, v5 dst_sel:WORD_1 dst_unused:UNUSED_PAD src0_sel:DWORD src1_sel:DWORD
	v_and_or_b32 v2, v2, s8, v4
.LBB100_10:
	s_or_b64 exec, exec, s[6:7]
	v_add_u32_e32 v30, 0x600, v36
	v_cmp_gt_u32_e64 s[6:7], s37, v30
	s_and_saveexec_b64 s[8:9], s[6:7]
	s_cbranch_execz .LBB100_12
; %bb.11:
	v_mul_lo_u32 v4, v30, s38
	global_load_ubyte v4, v4, s[40:41]
	s_movk_i32 s10, 0xff
	v_and_b32_sdwa v5, v2, s10 dst_sel:DWORD dst_unused:UNUSED_PAD src0_sel:WORD_1 src1_sel:DWORD
	s_mov_b32 s10, 0xffff
	s_waitcnt vmcnt(0)
	v_lshlrev_b16_e32 v4, 8, v4
	v_or_b32_sdwa v4, v5, v4 dst_sel:WORD_1 dst_unused:UNUSED_PAD src0_sel:DWORD src1_sel:DWORD
	v_and_or_b32 v2, v2, s10, v4
.LBB100_12:
	s_or_b64 exec, exec, s[8:9]
	v_or_b32_e32 v29, 0x800, v36
	v_cmp_gt_u32_e64 s[8:9], s37, v29
	s_and_saveexec_b64 s[10:11], s[8:9]
	s_cbranch_execz .LBB100_14
; %bb.13:
	v_mul_lo_u32 v4, v29, s38
	global_load_ubyte v4, v4, s[40:41]
	s_mov_b32 s12, 0x3020104
	s_waitcnt vmcnt(0)
	v_perm_b32 v3, v4, v3, s12
.LBB100_14:
	s_or_b64 exec, exec, s[10:11]
	v_add_u32_e32 v28, 0xa00, v36
	v_cmp_gt_u32_e64 s[10:11], s37, v28
	s_and_saveexec_b64 s[12:13], s[10:11]
	s_cbranch_execz .LBB100_16
; %bb.15:
	v_mul_lo_u32 v4, v28, s38
	global_load_ubyte v4, v4, s[40:41]
	s_mov_b32 s18, 0x7060004
	s_waitcnt vmcnt(0)
	v_perm_b32 v3, v3, v4, s18
.LBB100_16:
	s_or_b64 exec, exec, s[12:13]
	s_load_dwordx2 s[18:19], s[14:15], 0x0
	v_or_b32_e32 v27, 0xc00, v36
	v_cmp_gt_u32_e64 s[12:13], s37, v27
	s_and_saveexec_b64 s[20:21], s[12:13]
	s_cbranch_execz .LBB100_18
; %bb.17:
	v_mul_lo_u32 v4, v27, s38
	global_load_ubyte v4, v4, s[40:41]
	s_mov_b32 s22, 0x7000504
	s_waitcnt vmcnt(0)
	v_perm_b32 v3, v3, v4, s22
.LBB100_18:
	s_or_b64 exec, exec, s[20:21]
	s_load_dword s22, s[14:15], 0x6c
	v_add_u32_e32 v22, 0xe00, v36
	v_cmp_gt_u32_e64 s[14:15], s37, v22
	s_and_saveexec_b64 s[20:21], s[14:15]
	s_cbranch_execz .LBB100_20
; %bb.19:
	v_mul_lo_u32 v4, v22, s38
	global_load_ubyte v4, v4, s[40:41]
	s_mov_b32 s23, 0x60504
	s_waitcnt vmcnt(0)
	v_perm_b32 v3, v3, v4, s23
.LBB100_20:
	s_or_b64 exec, exec, s[20:21]
	v_lshrrev_b32_e32 v26, 5, v36
	v_and_b32_e32 v4, 28, v26
	v_add_u32_e32 v44, v4, v36
	v_lshrrev_b32_e32 v25, 5, v32
	ds_write_b8 v44, v1
	v_and_b32_e32 v1, 60, v25
	v_lshrrev_b32_e32 v24, 5, v31
	v_add_u32_e32 v45, v1, v36
	v_and_b32_e32 v1, 60, v24
	v_lshrrev_b32_e32 v23, 5, v30
	v_add_u32_e32 v46, v1, v36
	;; [unrolled: 3-line block ×3, first 2 shown]
	v_and_b32_e32 v1, 0x5c, v21
	v_lshrrev_b32_e32 v19, 5, v28
	v_lshrrev_b32_e32 v4, 8, v2
	v_add_u32_e32 v48, v1, v36
	v_and_b32_e32 v1, 0x7c, v19
	v_lshrrev_b32_e32 v18, 5, v27
	ds_write_b8 v45, v4 offset:512
	ds_write_b8_d16_hi v46, v2 offset:1024
	v_lshrrev_b32_e32 v2, 24, v2
	v_add_u32_e32 v49, v1, v36
	v_and_b32_e32 v1, 0x7c, v18
	ds_write_b8 v47, v2 offset:1536
	v_lshrrev_b32_e32 v2, 8, v3
	v_add_u32_e32 v50, v1, v36
	v_lshrrev_b32_e32 v1, 5, v22
	ds_write_b8 v48, v3 offset:2048
	ds_write_b8 v49, v2 offset:2560
	v_and_b32_e32 v2, 0xfc, v1
	v_lshrrev_b32_e32 v20, 2, v36
	v_add_u32_e32 v51, v2, v36
	v_lshlrev_b32_e32 v53, 3, v36
	v_and_b32_e32 v2, 0xfc, v20
	s_waitcnt lgkmcnt(0)
	s_mul_i32 s16, s22, s16
	ds_write_b8_d16_hi v50, v3 offset:3072
	v_lshrrev_b32_e32 v3, 24, v3
	v_add_u32_e32 v52, v2, v53
	s_add_i32 s16, s16, s17
	s_mov_b32 s17, 0
	ds_write_b8 v51, v3 offset:3584
	s_waitcnt lgkmcnt(0)
	s_barrier
	ds_read_b64 v[38:39], v52
	s_lshl_b64 s[20:21], s[16:17], 3
	s_add_u32 s33, s18, s20
	s_mov_b32 s16, s17
	s_addc_u32 s35, s19, s21
	s_mov_b32 s18, s17
	s_mov_b32 s19, s17
	;; [unrolled: 1-line block ×14, first 2 shown]
	v_pk_mov_b32 v[2:3], s[16:17], s[16:17] op_sel:[0,1]
	v_pk_mov_b32 v[4:5], s[18:19], s[18:19] op_sel:[0,1]
	;; [unrolled: 1-line block ×8, first 2 shown]
	v_pk_mov_b32 v[2:3], 0, 0
	v_mul_lo_u32 v34, v36, s34
	s_waitcnt lgkmcnt(0)
	s_barrier
	s_and_saveexec_b64 s[16:17], s[0:1]
	s_cbranch_execnz .LBB100_53
; %bb.21:
	s_or_b64 exec, exec, s[16:17]
	s_and_saveexec_b64 s[16:17], s[2:3]
	s_cbranch_execnz .LBB100_54
.LBB100_22:
	s_or_b64 exec, exec, s[16:17]
	s_and_saveexec_b64 s[16:17], s[4:5]
	s_cbranch_execnz .LBB100_55
.LBB100_23:
	s_or_b64 exec, exec, s[16:17]
	s_and_saveexec_b64 s[16:17], s[6:7]
	s_cbranch_execnz .LBB100_56
.LBB100_24:
	s_or_b64 exec, exec, s[16:17]
	s_and_saveexec_b64 s[16:17], s[8:9]
	s_cbranch_execnz .LBB100_57
.LBB100_25:
	s_or_b64 exec, exec, s[16:17]
	s_and_saveexec_b64 s[16:17], s[10:11]
	s_cbranch_execnz .LBB100_58
.LBB100_26:
	s_or_b64 exec, exec, s[16:17]
	s_and_saveexec_b64 s[16:17], s[12:13]
	s_cbranch_execnz .LBB100_59
.LBB100_27:
	s_or_b64 exec, exec, s[16:17]
	s_xor_b64 s[16:17], s[44:45], -1
	s_and_saveexec_b64 s[18:19], s[14:15]
	s_cbranch_execz .LBB100_29
.LBB100_28:
	v_mul_lo_u32 v16, v22, s34
	v_mov_b32_e32 v17, 0
	v_lshlrev_b64 v[16:17], 3, v[16:17]
	v_mov_b32_e32 v22, s35
	v_add_co_u32_e32 v16, vcc, s33, v16
	v_addc_co_u32_e32 v17, vcc, v22, v17, vcc
	global_load_dwordx2 v[16:17], v[16:17], off
.LBB100_29:
	s_or_b64 exec, exec, s[18:19]
	v_lshrrev_b64 v[40:41], 24, v[38:39]
	v_add_lshl_u32 v41, v26, v36, 3
	v_add_lshl_u32 v35, v25, v36, 3
	;; [unrolled: 1-line block ×9, first 2 shown]
	s_waitcnt vmcnt(0)
	ds_write_b64 v41, v[2:3]
	ds_write_b64 v35, v[4:5] offset:4096
	ds_write_b64 v54, v[6:7] offset:8192
	;; [unrolled: 1-line block ×7, first 2 shown]
	s_waitcnt lgkmcnt(0)
	s_barrier
	ds_read2_b64 v[14:17], v60 offset1:1
	ds_read2_b64 v[10:13], v60 offset0:2 offset1:3
	ds_read2_b64 v[6:9], v60 offset0:4 offset1:5
	;; [unrolled: 1-line block ×3, first 2 shown]
	v_mbcnt_lo_u32_b32 v1, -1, 0
	v_mbcnt_hi_u32_b32 v61, -1, v1
	v_and_b32_e32 v63, 0x3c0, v36
	s_movk_i32 s18, 0x1e00
	v_add_lshl_u32 v71, v61, v63, 3
	v_and_or_b32 v70, v53, s18, v61
	v_lshrrev_b32_e32 v64, 8, v38
	v_lshrrev_b32_e32 v67, 8, v39
	s_and_b64 vcc, exec, s[16:17]
	v_bfe_u32 v65, v0, 10, 10
	v_bfe_u32 v66, v0, 20, 10
	v_lshlrev_b32_e32 v69, 3, v71
	v_lshlrev_b32_e32 v68, 3, v70
	;; [unrolled: 1-line block ×3, first 2 shown]
	s_waitcnt lgkmcnt(0)
	s_barrier
	s_cbranch_vccz .LBB100_60
; %bb.30:
	s_movk_i32 s16, 0x80
	v_xor_b32_sdwa v0, v67, s16 dst_sel:BYTE_1 dst_unused:UNUSED_PAD src0_sel:DWORD src1_sel:DWORD
	v_xor_b32_e32 v1, 0x80, v39
	v_or_b32_sdwa v0, v1, v0 dst_sel:DWORD dst_unused:UNUSED_PAD src0_sel:BYTE_0 src1_sel:DWORD
	v_xor_b32_sdwa v1, v39, s16 dst_sel:DWORD dst_unused:UNUSED_PAD src0_sel:BYTE_3 src1_sel:DWORD
	v_lshlrev_b16_e32 v1, 8, v1
	v_xor_b32_sdwa v18, v39, s16 dst_sel:DWORD dst_unused:UNUSED_PAD src0_sel:WORD_1 src1_sel:DWORD
	v_or_b32_sdwa v1, v18, v1 dst_sel:WORD_1 dst_unused:UNUSED_PAD src0_sel:BYTE_0 src1_sel:DWORD
	v_or_b32_sdwa v1, v0, v1 dst_sel:DWORD dst_unused:UNUSED_PAD src0_sel:WORD_0 src1_sel:DWORD
	v_xor_b32_sdwa v0, v64, s16 dst_sel:BYTE_1 dst_unused:UNUSED_PAD src0_sel:DWORD src1_sel:DWORD
	v_xor_b32_e32 v18, 0x80, v38
	v_or_b32_sdwa v0, v18, v0 dst_sel:DWORD dst_unused:UNUSED_PAD src0_sel:BYTE_0 src1_sel:DWORD
	v_xor_b32_sdwa v18, v40, s16 dst_sel:BYTE_1 dst_unused:UNUSED_PAD src0_sel:DWORD src1_sel:DWORD
	v_xor_b32_sdwa v19, v38, s16 dst_sel:DWORD dst_unused:UNUSED_PAD src0_sel:WORD_1 src1_sel:DWORD
	v_or_b32_sdwa v18, v19, v18 dst_sel:WORD_1 dst_unused:UNUSED_PAD src0_sel:BYTE_0 src1_sel:DWORD
	v_or_b32_sdwa v0, v0, v18 dst_sel:DWORD dst_unused:UNUSED_PAD src0_sel:WORD_0 src1_sel:DWORD
	s_getpc_b64 s[16:17]
	s_add_u32 s16, s16, _ZN7rocprim17ROCPRIM_400000_NS16block_radix_sortIaLj512ELj8ElLj1ELj1ELj0ELNS0_26block_radix_rank_algorithmE1ELNS0_18block_padding_hintE2ELNS0_4arch9wavefront6targetE1EE19radix_bits_per_passE@rel32@lo+4
	s_addc_u32 s17, s17, _ZN7rocprim17ROCPRIM_400000_NS16block_radix_sortIaLj512ELj8ElLj1ELj1ELj0ELNS0_26block_radix_rank_algorithmE1ELNS0_18block_padding_hintE2ELNS0_4arch9wavefront6targetE1EE19radix_bits_per_passE@rel32@hi+12
	ds_write_b64 v71, v[0:1]
	; wave barrier
	ds_read_u8 v72, v70
	ds_read_u8 v73, v70 offset:64
	ds_read_u8 v74, v70 offset:128
	;; [unrolled: 1-line block ×7, first 2 shown]
	s_waitcnt lgkmcnt(0)
	s_barrier
	ds_write2_b64 v69, v[14:15], v[16:17] offset1:1
	ds_write2_b64 v69, v[10:11], v[12:13] offset0:2 offset1:3
	ds_write2_b64 v69, v[6:7], v[8:9] offset0:4 offset1:5
	;; [unrolled: 1-line block ×3, first 2 shown]
	; wave barrier
	ds_read2st64_b64 v[30:33], v68 offset1:1
	ds_read2st64_b64 v[26:29], v68 offset0:2 offset1:3
	ds_read2st64_b64 v[22:25], v68 offset0:4 offset1:5
	;; [unrolled: 1-line block ×3, first 2 shown]
	s_waitcnt lgkmcnt(0)
	s_barrier
	s_load_dword s18, s[16:17], 0x0
	s_load_dword s19, s[42:43], 0xc
	v_mov_b32_e32 v82, 3
	s_waitcnt lgkmcnt(0)
	s_min_u32 s18, s18, 8
	s_lshr_b32 s16, s19, 16
	s_and_b32 s17, s19, 0xffff
	v_mad_u32_u24 v0, v66, s16, v65
	v_mad_u64_u32 v[42:43], s[16:17], v0, s17, v[36:37]
	s_lshl_b32 s16, -1, s18
	s_not_b32 s18, s16
	v_lshrrev_b32_e32 v86, 6, v42
	v_and_b32_e32 v42, s18, v72
	v_lshlrev_b32_sdwa v1, v82, v42 dst_sel:DWORD dst_unused:UNUSED_PAD src0_sel:DWORD src1_sel:BYTE_0
	v_add_lshl_u32 v80, v86, v1, 2
	v_and_b32_e32 v1, 1, v42
	v_add_co_u32_e32 v43, vcc, -1, v1
	v_addc_co_u32_e64 v81, s[16:17], 0, -1, vcc
	v_cmp_ne_u32_e32 vcc, 0, v1
	v_xor_b32_e32 v1, vcc_hi, v81
	v_mov_b32_e32 v0, 0
	v_and_b32_e32 v81, exec_hi, v1
	v_lshlrev_b32_e32 v1, 30, v42
	v_xor_b32_e32 v43, vcc_lo, v43
	v_cmp_gt_i64_e32 vcc, 0, v[0:1]
	v_not_b32_e32 v1, v1
	v_ashrrev_i32_e32 v1, 31, v1
	v_and_b32_e32 v43, exec_lo, v43
	v_xor_b32_e32 v83, vcc_hi, v1
	v_xor_b32_e32 v1, vcc_lo, v1
	v_and_b32_e32 v43, v43, v1
	v_lshlrev_b32_e32 v1, 29, v42
	v_cmp_gt_i64_e32 vcc, 0, v[0:1]
	v_not_b32_e32 v1, v1
	v_ashrrev_i32_e32 v1, 31, v1
	v_and_b32_e32 v81, v81, v83
	v_xor_b32_e32 v83, vcc_hi, v1
	v_xor_b32_e32 v1, vcc_lo, v1
	v_and_b32_e32 v43, v43, v1
	v_lshlrev_b32_e32 v1, 28, v42
	v_cmp_gt_i64_e32 vcc, 0, v[0:1]
	v_not_b32_e32 v1, v1
	v_ashrrev_i32_e32 v1, 31, v1
	v_and_b32_e32 v81, v81, v83
	;; [unrolled: 8-line block ×5, first 2 shown]
	v_xor_b32_e32 v83, vcc_hi, v1
	v_xor_b32_e32 v1, vcc_lo, v1
	v_and_b32_e32 v81, v81, v83
	v_and_b32_e32 v83, v43, v1
	v_lshlrev_b32_e32 v1, 24, v42
	v_cmp_gt_i64_e32 vcc, 0, v[0:1]
	v_not_b32_e32 v1, v1
	v_ashrrev_i32_e32 v1, 31, v1
	v_xor_b32_e32 v42, vcc_hi, v1
	v_xor_b32_e32 v1, vcc_lo, v1
	v_and_b32_e32 v43, v81, v42
	v_and_b32_e32 v42, v83, v1
	v_mbcnt_lo_u32_b32 v1, v42, 0
	v_mbcnt_hi_u32_b32 v81, v43, v1
	v_cmp_eq_u32_e32 vcc, 0, v81
	v_cmp_ne_u64_e64 s[16:17], 0, v[42:43]
	s_and_b64 s[20:21], s[16:17], vcc
	ds_write2_b32 v62, v0, v0 offset0:8 offset1:9
	ds_write2_b32 v62, v0, v0 offset0:10 offset1:11
	s_waitcnt lgkmcnt(0)
	s_barrier
	s_waitcnt lgkmcnt(0)
	; wave barrier
	s_and_saveexec_b64 s[16:17], s[20:21]
	s_cbranch_execz .LBB100_32
; %bb.31:
	v_bcnt_u32_b32 v1, v42, 0
	v_bcnt_u32_b32 v1, v43, v1
	ds_write_b32 v80, v1 offset:32
.LBB100_32:
	s_or_b64 exec, exec, s[16:17]
	v_and_b32_e32 v42, s18, v73
	v_lshlrev_b32_sdwa v1, v82, v42 dst_sel:DWORD dst_unused:UNUSED_PAD src0_sel:DWORD src1_sel:BYTE_0
	v_add_lshl_u32 v83, v86, v1, 2
	v_and_b32_e32 v1, 1, v42
	v_add_co_u32_e32 v43, vcc, -1, v1
	v_addc_co_u32_e64 v84, s[16:17], 0, -1, vcc
	v_cmp_ne_u32_e32 vcc, 0, v1
	v_xor_b32_e32 v1, vcc_hi, v84
	v_and_b32_e32 v84, exec_hi, v1
	v_lshlrev_b32_e32 v1, 30, v42
	v_xor_b32_e32 v43, vcc_lo, v43
	v_cmp_gt_i64_e32 vcc, 0, v[0:1]
	v_not_b32_e32 v1, v1
	v_ashrrev_i32_e32 v1, 31, v1
	v_and_b32_e32 v43, exec_lo, v43
	v_xor_b32_e32 v85, vcc_hi, v1
	v_xor_b32_e32 v1, vcc_lo, v1
	v_and_b32_e32 v43, v43, v1
	v_lshlrev_b32_e32 v1, 29, v42
	v_cmp_gt_i64_e32 vcc, 0, v[0:1]
	v_not_b32_e32 v1, v1
	v_ashrrev_i32_e32 v1, 31, v1
	v_and_b32_e32 v84, v84, v85
	v_xor_b32_e32 v85, vcc_hi, v1
	v_xor_b32_e32 v1, vcc_lo, v1
	v_and_b32_e32 v43, v43, v1
	v_lshlrev_b32_e32 v1, 28, v42
	v_cmp_gt_i64_e32 vcc, 0, v[0:1]
	v_not_b32_e32 v1, v1
	v_ashrrev_i32_e32 v1, 31, v1
	v_and_b32_e32 v84, v84, v85
	;; [unrolled: 8-line block ×5, first 2 shown]
	v_xor_b32_e32 v85, vcc_hi, v1
	v_xor_b32_e32 v1, vcc_lo, v1
	v_and_b32_e32 v43, v43, v1
	v_lshlrev_b32_e32 v1, 24, v42
	v_cmp_gt_i64_e32 vcc, 0, v[0:1]
	v_not_b32_e32 v0, v1
	v_ashrrev_i32_e32 v0, 31, v0
	v_xor_b32_e32 v1, vcc_hi, v0
	v_xor_b32_e32 v0, vcc_lo, v0
	; wave barrier
	ds_read_b32 v82, v83 offset:32
	v_and_b32_e32 v84, v84, v85
	v_and_b32_e32 v0, v43, v0
	;; [unrolled: 1-line block ×3, first 2 shown]
	v_mbcnt_lo_u32_b32 v42, v0, 0
	v_mbcnt_hi_u32_b32 v84, v1, v42
	v_cmp_eq_u32_e32 vcc, 0, v84
	v_cmp_ne_u64_e64 s[16:17], 0, v[0:1]
	s_and_b64 s[20:21], s[16:17], vcc
	; wave barrier
	s_and_saveexec_b64 s[16:17], s[20:21]
	s_cbranch_execz .LBB100_34
; %bb.33:
	v_bcnt_u32_b32 v0, v0, 0
	v_bcnt_u32_b32 v0, v1, v0
	s_waitcnt lgkmcnt(0)
	v_add_u32_e32 v0, v82, v0
	ds_write_b32 v83, v0 offset:32
.LBB100_34:
	s_or_b64 exec, exec, s[16:17]
	v_and_b32_e32 v42, s18, v74
	v_and_b32_e32 v1, 1, v42
	v_add_co_u32_e32 v43, vcc, -1, v1
	v_mov_b32_e32 v89, 3
	v_addc_co_u32_e64 v88, s[16:17], 0, -1, vcc
	v_cmp_ne_u32_e32 vcc, 0, v1
	v_lshlrev_b32_sdwa v0, v89, v42 dst_sel:DWORD dst_unused:UNUSED_PAD src0_sel:DWORD src1_sel:BYTE_0
	v_xor_b32_e32 v1, vcc_hi, v88
	v_add_lshl_u32 v87, v86, v0, 2
	v_mov_b32_e32 v0, 0
	v_and_b32_e32 v88, exec_hi, v1
	v_lshlrev_b32_e32 v1, 30, v42
	v_xor_b32_e32 v43, vcc_lo, v43
	v_cmp_gt_i64_e32 vcc, 0, v[0:1]
	v_not_b32_e32 v1, v1
	v_ashrrev_i32_e32 v1, 31, v1
	v_and_b32_e32 v43, exec_lo, v43
	v_xor_b32_e32 v90, vcc_hi, v1
	v_xor_b32_e32 v1, vcc_lo, v1
	v_and_b32_e32 v43, v43, v1
	v_lshlrev_b32_e32 v1, 29, v42
	v_cmp_gt_i64_e32 vcc, 0, v[0:1]
	v_not_b32_e32 v1, v1
	v_ashrrev_i32_e32 v1, 31, v1
	v_and_b32_e32 v88, v88, v90
	v_xor_b32_e32 v90, vcc_hi, v1
	v_xor_b32_e32 v1, vcc_lo, v1
	v_and_b32_e32 v43, v43, v1
	v_lshlrev_b32_e32 v1, 28, v42
	v_cmp_gt_i64_e32 vcc, 0, v[0:1]
	v_not_b32_e32 v1, v1
	v_ashrrev_i32_e32 v1, 31, v1
	v_and_b32_e32 v88, v88, v90
	;; [unrolled: 8-line block ×5, first 2 shown]
	v_xor_b32_e32 v90, vcc_hi, v1
	v_xor_b32_e32 v1, vcc_lo, v1
	v_and_b32_e32 v88, v88, v90
	v_and_b32_e32 v90, v43, v1
	v_lshlrev_b32_e32 v1, 24, v42
	v_cmp_gt_i64_e32 vcc, 0, v[0:1]
	v_not_b32_e32 v1, v1
	v_ashrrev_i32_e32 v1, 31, v1
	v_xor_b32_e32 v42, vcc_hi, v1
	v_xor_b32_e32 v1, vcc_lo, v1
	; wave barrier
	ds_read_b32 v85, v87 offset:32
	v_and_b32_e32 v43, v88, v42
	v_and_b32_e32 v42, v90, v1
	v_mbcnt_lo_u32_b32 v1, v42, 0
	v_mbcnt_hi_u32_b32 v88, v43, v1
	v_cmp_eq_u32_e32 vcc, 0, v88
	v_cmp_ne_u64_e64 s[16:17], 0, v[42:43]
	s_and_b64 s[20:21], s[16:17], vcc
	; wave barrier
	s_and_saveexec_b64 s[16:17], s[20:21]
	s_cbranch_execz .LBB100_36
; %bb.35:
	v_bcnt_u32_b32 v1, v42, 0
	v_bcnt_u32_b32 v1, v43, v1
	s_waitcnt lgkmcnt(0)
	v_add_u32_e32 v1, v85, v1
	ds_write_b32 v87, v1 offset:32
.LBB100_36:
	s_or_b64 exec, exec, s[16:17]
	v_and_b32_e32 v42, s18, v75
	v_lshlrev_b32_sdwa v1, v89, v42 dst_sel:DWORD dst_unused:UNUSED_PAD src0_sel:DWORD src1_sel:BYTE_0
	v_add_lshl_u32 v90, v86, v1, 2
	v_and_b32_e32 v1, 1, v42
	v_add_co_u32_e32 v43, vcc, -1, v1
	v_addc_co_u32_e64 v91, s[16:17], 0, -1, vcc
	v_cmp_ne_u32_e32 vcc, 0, v1
	v_xor_b32_e32 v1, vcc_hi, v91
	v_and_b32_e32 v91, exec_hi, v1
	v_lshlrev_b32_e32 v1, 30, v42
	v_xor_b32_e32 v43, vcc_lo, v43
	v_cmp_gt_i64_e32 vcc, 0, v[0:1]
	v_not_b32_e32 v1, v1
	v_ashrrev_i32_e32 v1, 31, v1
	v_and_b32_e32 v43, exec_lo, v43
	v_xor_b32_e32 v92, vcc_hi, v1
	v_xor_b32_e32 v1, vcc_lo, v1
	v_and_b32_e32 v43, v43, v1
	v_lshlrev_b32_e32 v1, 29, v42
	v_cmp_gt_i64_e32 vcc, 0, v[0:1]
	v_not_b32_e32 v1, v1
	v_ashrrev_i32_e32 v1, 31, v1
	v_and_b32_e32 v91, v91, v92
	v_xor_b32_e32 v92, vcc_hi, v1
	v_xor_b32_e32 v1, vcc_lo, v1
	v_and_b32_e32 v43, v43, v1
	v_lshlrev_b32_e32 v1, 28, v42
	v_cmp_gt_i64_e32 vcc, 0, v[0:1]
	v_not_b32_e32 v1, v1
	v_ashrrev_i32_e32 v1, 31, v1
	v_and_b32_e32 v91, v91, v92
	;; [unrolled: 8-line block ×5, first 2 shown]
	v_xor_b32_e32 v92, vcc_hi, v1
	v_xor_b32_e32 v1, vcc_lo, v1
	v_and_b32_e32 v43, v43, v1
	v_lshlrev_b32_e32 v1, 24, v42
	v_cmp_gt_i64_e32 vcc, 0, v[0:1]
	v_not_b32_e32 v0, v1
	v_ashrrev_i32_e32 v0, 31, v0
	v_xor_b32_e32 v1, vcc_hi, v0
	v_xor_b32_e32 v0, vcc_lo, v0
	; wave barrier
	ds_read_b32 v89, v90 offset:32
	v_and_b32_e32 v91, v91, v92
	v_and_b32_e32 v0, v43, v0
	;; [unrolled: 1-line block ×3, first 2 shown]
	v_mbcnt_lo_u32_b32 v42, v0, 0
	v_mbcnt_hi_u32_b32 v91, v1, v42
	v_cmp_eq_u32_e32 vcc, 0, v91
	v_cmp_ne_u64_e64 s[16:17], 0, v[0:1]
	s_and_b64 s[20:21], s[16:17], vcc
	; wave barrier
	s_and_saveexec_b64 s[16:17], s[20:21]
	s_cbranch_execz .LBB100_38
; %bb.37:
	v_bcnt_u32_b32 v0, v0, 0
	v_bcnt_u32_b32 v0, v1, v0
	s_waitcnt lgkmcnt(0)
	v_add_u32_e32 v0, v89, v0
	ds_write_b32 v90, v0 offset:32
.LBB100_38:
	s_or_b64 exec, exec, s[16:17]
	v_and_b32_e32 v42, s18, v76
	v_and_b32_e32 v1, 1, v42
	v_add_co_u32_e32 v43, vcc, -1, v1
	v_mov_b32_e32 v95, 3
	v_addc_co_u32_e64 v94, s[16:17], 0, -1, vcc
	v_cmp_ne_u32_e32 vcc, 0, v1
	v_lshlrev_b32_sdwa v0, v95, v42 dst_sel:DWORD dst_unused:UNUSED_PAD src0_sel:DWORD src1_sel:BYTE_0
	v_xor_b32_e32 v1, vcc_hi, v94
	v_add_lshl_u32 v93, v86, v0, 2
	v_mov_b32_e32 v0, 0
	v_and_b32_e32 v94, exec_hi, v1
	v_lshlrev_b32_e32 v1, 30, v42
	v_xor_b32_e32 v43, vcc_lo, v43
	v_cmp_gt_i64_e32 vcc, 0, v[0:1]
	v_not_b32_e32 v1, v1
	v_ashrrev_i32_e32 v1, 31, v1
	v_and_b32_e32 v43, exec_lo, v43
	v_xor_b32_e32 v96, vcc_hi, v1
	v_xor_b32_e32 v1, vcc_lo, v1
	v_and_b32_e32 v43, v43, v1
	v_lshlrev_b32_e32 v1, 29, v42
	v_cmp_gt_i64_e32 vcc, 0, v[0:1]
	v_not_b32_e32 v1, v1
	v_ashrrev_i32_e32 v1, 31, v1
	v_and_b32_e32 v94, v94, v96
	v_xor_b32_e32 v96, vcc_hi, v1
	v_xor_b32_e32 v1, vcc_lo, v1
	v_and_b32_e32 v43, v43, v1
	v_lshlrev_b32_e32 v1, 28, v42
	v_cmp_gt_i64_e32 vcc, 0, v[0:1]
	v_not_b32_e32 v1, v1
	v_ashrrev_i32_e32 v1, 31, v1
	v_and_b32_e32 v94, v94, v96
	v_xor_b32_e32 v96, vcc_hi, v1
	v_xor_b32_e32 v1, vcc_lo, v1
	v_and_b32_e32 v43, v43, v1
	v_lshlrev_b32_e32 v1, 27, v42
	v_cmp_gt_i64_e32 vcc, 0, v[0:1]
	v_not_b32_e32 v1, v1
	v_ashrrev_i32_e32 v1, 31, v1
	v_and_b32_e32 v94, v94, v96
	v_xor_b32_e32 v96, vcc_hi, v1
	v_xor_b32_e32 v1, vcc_lo, v1
	v_and_b32_e32 v43, v43, v1
	v_lshlrev_b32_e32 v1, 26, v42
	v_cmp_gt_i64_e32 vcc, 0, v[0:1]
	v_not_b32_e32 v1, v1
	v_ashrrev_i32_e32 v1, 31, v1
	v_and_b32_e32 v94, v94, v96
	v_xor_b32_e32 v96, vcc_hi, v1
	v_xor_b32_e32 v1, vcc_lo, v1
	v_and_b32_e32 v43, v43, v1
	v_lshlrev_b32_e32 v1, 25, v42
	v_cmp_gt_i64_e32 vcc, 0, v[0:1]
	v_not_b32_e32 v1, v1
	v_ashrrev_i32_e32 v1, 31, v1
	v_and_b32_e32 v94, v94, v96
	v_xor_b32_e32 v96, vcc_hi, v1
	v_xor_b32_e32 v1, vcc_lo, v1
	v_and_b32_e32 v94, v94, v96
	v_and_b32_e32 v96, v43, v1
	v_lshlrev_b32_e32 v1, 24, v42
	v_cmp_gt_i64_e32 vcc, 0, v[0:1]
	v_not_b32_e32 v1, v1
	v_ashrrev_i32_e32 v1, 31, v1
	v_xor_b32_e32 v42, vcc_hi, v1
	v_xor_b32_e32 v1, vcc_lo, v1
	; wave barrier
	ds_read_b32 v92, v93 offset:32
	v_and_b32_e32 v43, v94, v42
	v_and_b32_e32 v42, v96, v1
	v_mbcnt_lo_u32_b32 v1, v42, 0
	v_mbcnt_hi_u32_b32 v94, v43, v1
	v_cmp_eq_u32_e32 vcc, 0, v94
	v_cmp_ne_u64_e64 s[16:17], 0, v[42:43]
	s_and_b64 s[20:21], s[16:17], vcc
	; wave barrier
	s_and_saveexec_b64 s[16:17], s[20:21]
	s_cbranch_execz .LBB100_40
; %bb.39:
	v_bcnt_u32_b32 v1, v42, 0
	v_bcnt_u32_b32 v1, v43, v1
	s_waitcnt lgkmcnt(0)
	v_add_u32_e32 v1, v92, v1
	ds_write_b32 v93, v1 offset:32
.LBB100_40:
	s_or_b64 exec, exec, s[16:17]
	v_and_b32_e32 v42, s18, v77
	v_lshlrev_b32_sdwa v1, v95, v42 dst_sel:DWORD dst_unused:UNUSED_PAD src0_sel:DWORD src1_sel:BYTE_0
	v_add_lshl_u32 v96, v86, v1, 2
	v_and_b32_e32 v1, 1, v42
	v_add_co_u32_e32 v43, vcc, -1, v1
	v_addc_co_u32_e64 v97, s[16:17], 0, -1, vcc
	v_cmp_ne_u32_e32 vcc, 0, v1
	v_xor_b32_e32 v1, vcc_hi, v97
	v_and_b32_e32 v97, exec_hi, v1
	v_lshlrev_b32_e32 v1, 30, v42
	v_xor_b32_e32 v43, vcc_lo, v43
	v_cmp_gt_i64_e32 vcc, 0, v[0:1]
	v_not_b32_e32 v1, v1
	v_ashrrev_i32_e32 v1, 31, v1
	v_and_b32_e32 v43, exec_lo, v43
	v_xor_b32_e32 v98, vcc_hi, v1
	v_xor_b32_e32 v1, vcc_lo, v1
	v_and_b32_e32 v43, v43, v1
	v_lshlrev_b32_e32 v1, 29, v42
	v_cmp_gt_i64_e32 vcc, 0, v[0:1]
	v_not_b32_e32 v1, v1
	v_ashrrev_i32_e32 v1, 31, v1
	v_and_b32_e32 v97, v97, v98
	v_xor_b32_e32 v98, vcc_hi, v1
	v_xor_b32_e32 v1, vcc_lo, v1
	v_and_b32_e32 v43, v43, v1
	v_lshlrev_b32_e32 v1, 28, v42
	v_cmp_gt_i64_e32 vcc, 0, v[0:1]
	v_not_b32_e32 v1, v1
	v_ashrrev_i32_e32 v1, 31, v1
	v_and_b32_e32 v97, v97, v98
	;; [unrolled: 8-line block ×5, first 2 shown]
	v_xor_b32_e32 v98, vcc_hi, v1
	v_xor_b32_e32 v1, vcc_lo, v1
	v_and_b32_e32 v43, v43, v1
	v_lshlrev_b32_e32 v1, 24, v42
	v_cmp_gt_i64_e32 vcc, 0, v[0:1]
	v_not_b32_e32 v0, v1
	v_ashrrev_i32_e32 v0, 31, v0
	v_xor_b32_e32 v1, vcc_hi, v0
	v_xor_b32_e32 v0, vcc_lo, v0
	; wave barrier
	ds_read_b32 v95, v96 offset:32
	v_and_b32_e32 v97, v97, v98
	v_and_b32_e32 v0, v43, v0
	v_and_b32_e32 v1, v97, v1
	v_mbcnt_lo_u32_b32 v42, v0, 0
	v_mbcnt_hi_u32_b32 v97, v1, v42
	v_cmp_eq_u32_e32 vcc, 0, v97
	v_cmp_ne_u64_e64 s[16:17], 0, v[0:1]
	s_and_b64 s[20:21], s[16:17], vcc
	; wave barrier
	s_and_saveexec_b64 s[16:17], s[20:21]
	s_cbranch_execz .LBB100_42
; %bb.41:
	v_bcnt_u32_b32 v0, v0, 0
	v_bcnt_u32_b32 v0, v1, v0
	s_waitcnt lgkmcnt(0)
	v_add_u32_e32 v0, v95, v0
	ds_write_b32 v96, v0 offset:32
.LBB100_42:
	s_or_b64 exec, exec, s[16:17]
	v_and_b32_e32 v42, s18, v78
	v_and_b32_e32 v1, 1, v42
	v_add_co_u32_e32 v43, vcc, -1, v1
	v_mov_b32_e32 v101, 3
	v_addc_co_u32_e64 v100, s[16:17], 0, -1, vcc
	v_cmp_ne_u32_e32 vcc, 0, v1
	v_lshlrev_b32_sdwa v0, v101, v42 dst_sel:DWORD dst_unused:UNUSED_PAD src0_sel:DWORD src1_sel:BYTE_0
	v_xor_b32_e32 v1, vcc_hi, v100
	v_add_lshl_u32 v99, v86, v0, 2
	v_mov_b32_e32 v0, 0
	v_and_b32_e32 v100, exec_hi, v1
	v_lshlrev_b32_e32 v1, 30, v42
	v_xor_b32_e32 v43, vcc_lo, v43
	v_cmp_gt_i64_e32 vcc, 0, v[0:1]
	v_not_b32_e32 v1, v1
	v_ashrrev_i32_e32 v1, 31, v1
	v_and_b32_e32 v43, exec_lo, v43
	v_xor_b32_e32 v102, vcc_hi, v1
	v_xor_b32_e32 v1, vcc_lo, v1
	v_and_b32_e32 v43, v43, v1
	v_lshlrev_b32_e32 v1, 29, v42
	v_cmp_gt_i64_e32 vcc, 0, v[0:1]
	v_not_b32_e32 v1, v1
	v_ashrrev_i32_e32 v1, 31, v1
	v_and_b32_e32 v100, v100, v102
	v_xor_b32_e32 v102, vcc_hi, v1
	v_xor_b32_e32 v1, vcc_lo, v1
	v_and_b32_e32 v43, v43, v1
	v_lshlrev_b32_e32 v1, 28, v42
	v_cmp_gt_i64_e32 vcc, 0, v[0:1]
	v_not_b32_e32 v1, v1
	v_ashrrev_i32_e32 v1, 31, v1
	v_and_b32_e32 v100, v100, v102
	;; [unrolled: 8-line block ×5, first 2 shown]
	v_xor_b32_e32 v102, vcc_hi, v1
	v_xor_b32_e32 v1, vcc_lo, v1
	v_and_b32_e32 v100, v100, v102
	v_and_b32_e32 v102, v43, v1
	v_lshlrev_b32_e32 v1, 24, v42
	v_cmp_gt_i64_e32 vcc, 0, v[0:1]
	v_not_b32_e32 v1, v1
	v_ashrrev_i32_e32 v1, 31, v1
	v_xor_b32_e32 v42, vcc_hi, v1
	v_xor_b32_e32 v1, vcc_lo, v1
	; wave barrier
	ds_read_b32 v98, v99 offset:32
	v_and_b32_e32 v43, v100, v42
	v_and_b32_e32 v42, v102, v1
	v_mbcnt_lo_u32_b32 v1, v42, 0
	v_mbcnt_hi_u32_b32 v100, v43, v1
	v_cmp_eq_u32_e32 vcc, 0, v100
	v_cmp_ne_u64_e64 s[16:17], 0, v[42:43]
	s_and_b64 s[20:21], s[16:17], vcc
	; wave barrier
	s_and_saveexec_b64 s[16:17], s[20:21]
	s_cbranch_execz .LBB100_44
; %bb.43:
	v_bcnt_u32_b32 v1, v42, 0
	v_bcnt_u32_b32 v1, v43, v1
	s_waitcnt lgkmcnt(0)
	v_add_u32_e32 v1, v98, v1
	ds_write_b32 v99, v1 offset:32
.LBB100_44:
	s_or_b64 exec, exec, s[16:17]
	v_and_b32_e32 v42, s18, v79
	v_lshlrev_b32_sdwa v1, v101, v42 dst_sel:DWORD dst_unused:UNUSED_PAD src0_sel:DWORD src1_sel:BYTE_0
	v_add_lshl_u32 v101, v86, v1, 2
	v_and_b32_e32 v1, 1, v42
	v_add_co_u32_e32 v43, vcc, -1, v1
	v_addc_co_u32_e64 v103, s[16:17], 0, -1, vcc
	v_cmp_ne_u32_e32 vcc, 0, v1
	v_xor_b32_e32 v1, vcc_hi, v103
	v_and_b32_e32 v103, exec_hi, v1
	v_lshlrev_b32_e32 v1, 30, v42
	v_xor_b32_e32 v43, vcc_lo, v43
	v_cmp_gt_i64_e32 vcc, 0, v[0:1]
	v_not_b32_e32 v1, v1
	v_ashrrev_i32_e32 v1, 31, v1
	v_and_b32_e32 v43, exec_lo, v43
	v_xor_b32_e32 v104, vcc_hi, v1
	v_xor_b32_e32 v1, vcc_lo, v1
	v_and_b32_e32 v43, v43, v1
	v_lshlrev_b32_e32 v1, 29, v42
	v_cmp_gt_i64_e32 vcc, 0, v[0:1]
	v_not_b32_e32 v1, v1
	v_ashrrev_i32_e32 v1, 31, v1
	v_and_b32_e32 v103, v103, v104
	v_xor_b32_e32 v104, vcc_hi, v1
	v_xor_b32_e32 v1, vcc_lo, v1
	v_and_b32_e32 v43, v43, v1
	v_lshlrev_b32_e32 v1, 28, v42
	v_cmp_gt_i64_e32 vcc, 0, v[0:1]
	v_not_b32_e32 v1, v1
	v_ashrrev_i32_e32 v1, 31, v1
	v_and_b32_e32 v103, v103, v104
	;; [unrolled: 8-line block ×5, first 2 shown]
	v_xor_b32_e32 v104, vcc_hi, v1
	v_xor_b32_e32 v1, vcc_lo, v1
	v_and_b32_e32 v43, v43, v1
	v_lshlrev_b32_e32 v1, 24, v42
	v_cmp_gt_i64_e32 vcc, 0, v[0:1]
	v_not_b32_e32 v0, v1
	v_ashrrev_i32_e32 v0, 31, v0
	v_xor_b32_e32 v1, vcc_hi, v0
	v_xor_b32_e32 v0, vcc_lo, v0
	; wave barrier
	ds_read_b32 v86, v101 offset:32
	v_and_b32_e32 v103, v103, v104
	v_and_b32_e32 v0, v43, v0
	v_and_b32_e32 v1, v103, v1
	v_mbcnt_lo_u32_b32 v42, v0, 0
	v_mbcnt_hi_u32_b32 v103, v1, v42
	v_cmp_eq_u32_e32 vcc, 0, v103
	v_cmp_ne_u64_e64 s[16:17], 0, v[0:1]
	v_add_u32_e32 v102, 32, v62
	s_and_b64 s[18:19], s[16:17], vcc
	; wave barrier
	s_and_saveexec_b64 s[16:17], s[18:19]
	s_cbranch_execz .LBB100_46
; %bb.45:
	v_bcnt_u32_b32 v0, v0, 0
	v_bcnt_u32_b32 v0, v1, v0
	s_waitcnt lgkmcnt(0)
	v_add_u32_e32 v0, v86, v0
	ds_write_b32 v101, v0 offset:32
.LBB100_46:
	s_or_b64 exec, exec, s[16:17]
	; wave barrier
	s_waitcnt lgkmcnt(0)
	s_barrier
	ds_read2_b32 v[0:1], v62 offset0:8 offset1:9
	ds_read2_b32 v[42:43], v102 offset0:2 offset1:3
	s_waitcnt lgkmcnt(1)
	v_add_u32_e32 v104, v1, v0
	s_waitcnt lgkmcnt(0)
	v_add3_u32 v43, v104, v42, v43
	v_and_b32_e32 v104, 15, v61
	v_cmp_ne_u32_e32 vcc, 0, v104
	v_mov_b32_dpp v105, v43 row_shr:1 row_mask:0xf bank_mask:0xf
	v_cndmask_b32_e32 v105, 0, v105, vcc
	v_add_u32_e32 v43, v105, v43
	v_cmp_lt_u32_e32 vcc, 1, v104
	s_nop 0
	v_mov_b32_dpp v105, v43 row_shr:2 row_mask:0xf bank_mask:0xf
	v_cndmask_b32_e32 v105, 0, v105, vcc
	v_add_u32_e32 v43, v43, v105
	v_cmp_lt_u32_e32 vcc, 3, v104
	s_nop 0
	;; [unrolled: 5-line block ×3, first 2 shown]
	v_mov_b32_dpp v105, v43 row_shr:8 row_mask:0xf bank_mask:0xf
	v_cndmask_b32_e32 v104, 0, v105, vcc
	v_add_u32_e32 v43, v43, v104
	v_bfe_i32 v105, v61, 4, 1
	v_cmp_lt_u32_e32 vcc, 31, v61
	v_mov_b32_dpp v104, v43 row_bcast:15 row_mask:0xf bank_mask:0xf
	v_and_b32_e32 v104, v105, v104
	v_add_u32_e32 v43, v43, v104
	v_min_u32_e32 v105, 0x1c0, v63
	v_or_b32_e32 v105, 63, v105
	v_mov_b32_dpp v104, v43 row_bcast:31 row_mask:0xf bank_mask:0xf
	v_cndmask_b32_e32 v104, 0, v104, vcc
	v_add_u32_e32 v43, v43, v104
	v_lshrrev_b32_e32 v104, 6, v36
	v_cmp_eq_u32_e32 vcc, v105, v36
	s_and_saveexec_b64 s[16:17], vcc
	s_cbranch_execz .LBB100_48
; %bb.47:
	v_lshlrev_b32_e32 v105, 2, v104
	ds_write_b32 v105, v43
.LBB100_48:
	s_or_b64 exec, exec, s[16:17]
	v_cmp_gt_u32_e32 vcc, 8, v36
	s_waitcnt lgkmcnt(0)
	s_barrier
	s_and_saveexec_b64 s[16:17], vcc
	s_cbranch_execz .LBB100_50
; %bb.49:
	v_lshlrev_b32_e32 v105, 2, v36
	ds_read_b32 v106, v105
	v_and_b32_e32 v107, 7, v61
	v_cmp_ne_u32_e32 vcc, 0, v107
	s_waitcnt lgkmcnt(0)
	v_mov_b32_dpp v108, v106 row_shr:1 row_mask:0xf bank_mask:0xf
	v_cndmask_b32_e32 v108, 0, v108, vcc
	v_add_u32_e32 v106, v108, v106
	v_cmp_lt_u32_e32 vcc, 1, v107
	s_nop 0
	v_mov_b32_dpp v108, v106 row_shr:2 row_mask:0xf bank_mask:0xf
	v_cndmask_b32_e32 v108, 0, v108, vcc
	v_add_u32_e32 v106, v106, v108
	v_cmp_lt_u32_e32 vcc, 3, v107
	s_nop 0
	v_mov_b32_dpp v108, v106 row_shr:4 row_mask:0xf bank_mask:0xf
	v_cndmask_b32_e32 v107, 0, v108, vcc
	v_add_u32_e32 v106, v106, v107
	ds_write_b32 v105, v106
.LBB100_50:
	s_or_b64 exec, exec, s[16:17]
	v_cmp_lt_u32_e32 vcc, 63, v36
	v_mov_b32_e32 v105, 0
	s_waitcnt lgkmcnt(0)
	s_barrier
	s_and_saveexec_b64 s[16:17], vcc
	s_cbranch_execz .LBB100_52
; %bb.51:
	v_lshl_add_u32 v104, v104, 2, -4
	ds_read_b32 v105, v104
.LBB100_52:
	s_or_b64 exec, exec, s[16:17]
	v_add_u32_e32 v104, -1, v61
	v_and_b32_e32 v106, 64, v61
	v_cmp_lt_i32_e32 vcc, v104, v106
	v_cndmask_b32_e32 v104, v104, v61, vcc
	s_waitcnt lgkmcnt(0)
	v_add_u32_e32 v43, v105, v43
	v_lshlrev_b32_e32 v104, 2, v104
	ds_bpermute_b32 v43, v104, v43
	v_cmp_eq_u32_e32 vcc, 0, v61
	s_movk_i32 s16, 0x80
	s_waitcnt lgkmcnt(0)
	v_cndmask_b32_e32 v43, v43, v105, vcc
	v_cmp_ne_u32_e32 vcc, 0, v36
	v_cndmask_b32_e32 v43, 0, v43, vcc
	v_add_u32_e32 v0, v43, v0
	v_add_u32_e32 v1, v0, v1
	v_add_u32_e32 v42, v1, v42
	ds_write2_b32 v62, v43, v0 offset0:8 offset1:9
	ds_write2_b32 v102, v1, v42 offset0:2 offset1:3
	s_waitcnt lgkmcnt(0)
	s_barrier
	ds_read_b32 v0, v80 offset:32
	ds_read_b32 v1, v83 offset:32
	;; [unrolled: 1-line block ×8, first 2 shown]
	s_waitcnt lgkmcnt(7)
	v_add_u32_e32 v81, v0, v81
	s_waitcnt lgkmcnt(6)
	v_add3_u32 v82, v84, v82, v1
	s_waitcnt lgkmcnt(5)
	v_add3_u32 v42, v88, v85, v42
	;; [unrolled: 2-line block ×7, first 2 shown]
	s_barrier
	ds_write_b8 v81, v72
	ds_write_b8 v82, v73
	;; [unrolled: 1-line block ×8, first 2 shown]
	v_lshlrev_b32_e32 v74, 3, v81
	s_waitcnt lgkmcnt(0)
	s_barrier
	ds_read_b64 v[0:1], v53
	s_waitcnt lgkmcnt(0)
	s_barrier
	ds_write_b64 v74, v[30:31]
	v_lshlrev_b32_e32 v30, 3, v82
	ds_write_b64 v30, v[32:33]
	v_lshlrev_b32_e32 v30, 3, v42
	;; [unrolled: 2-line block ×7, first 2 shown]
	v_lshlrev_b32_e32 v30, 3, v53
	ds_write_b64 v18, v[20:21]
	s_waitcnt lgkmcnt(0)
	s_barrier
	ds_read2_b64 v[18:21], v30 offset1:1
	ds_read2_b64 v[22:25], v30 offset0:2 offset1:3
	ds_read2_b64 v[26:29], v30 offset0:4 offset1:5
	ds_read2_b64 v[30:33], v30 offset0:6 offset1:7
	v_lshrrev_b32_e32 v72, 8, v0
	v_lshrrev_b32_e32 v73, 8, v1
	v_xor_b32_e32 v42, 0x80, v0
	v_xor_b32_sdwa v43, v72, s16 dst_sel:BYTE_1 dst_unused:UNUSED_PAD src0_sel:DWORD src1_sel:DWORD
	v_xor_b32_sdwa v72, v0, s16 dst_sel:DWORD dst_unused:UNUSED_PAD src0_sel:WORD_1 src1_sel:DWORD
	v_xor_b32_sdwa v0, v0, s16 dst_sel:BYTE_1 dst_unused:UNUSED_PAD src0_sel:BYTE_3 src1_sel:DWORD
	v_xor_b32_e32 v74, 0x80, v1
	v_xor_b32_sdwa v73, v73, s16 dst_sel:BYTE_1 dst_unused:UNUSED_PAD src0_sel:DWORD src1_sel:DWORD
	v_xor_b32_sdwa v75, v1, s16 dst_sel:DWORD dst_unused:UNUSED_PAD src0_sel:WORD_1 src1_sel:DWORD
	v_xor_b32_sdwa v1, v1, s16 dst_sel:BYTE_1 dst_unused:UNUSED_PAD src0_sel:BYTE_3 src1_sel:DWORD
	v_or_b32_sdwa v42, v42, v43 dst_sel:DWORD dst_unused:UNUSED_PAD src0_sel:BYTE_0 src1_sel:DWORD
	v_or_b32_sdwa v0, v72, v0 dst_sel:WORD_1 dst_unused:UNUSED_PAD src0_sel:BYTE_0 src1_sel:DWORD
	v_or_b32_sdwa v0, v42, v0 dst_sel:DWORD dst_unused:UNUSED_PAD src0_sel:WORD_0 src1_sel:DWORD
	v_or_b32_sdwa v42, v74, v73 dst_sel:DWORD dst_unused:UNUSED_PAD src0_sel:BYTE_0 src1_sel:DWORD
	v_or_b32_sdwa v1, v75, v1 dst_sel:WORD_1 dst_unused:UNUSED_PAD src0_sel:BYTE_0 src1_sel:DWORD
	v_or_b32_sdwa v1, v42, v1 dst_sel:DWORD dst_unused:UNUSED_PAD src0_sel:WORD_0 src1_sel:DWORD
	s_branch .LBB100_84
.LBB100_53:
	v_mov_b32_e32 v35, 0
	v_lshlrev_b64 v[2:3], 3, v[34:35]
	v_mov_b32_e32 v4, s35
	v_add_co_u32_e32 v2, vcc, s33, v2
	v_addc_co_u32_e32 v3, vcc, v4, v3, vcc
	global_load_dwordx2 v[2:3], v[2:3], off
	v_mov_b32_e32 v4, v35
	v_mov_b32_e32 v5, v35
	;; [unrolled: 1-line block ×14, first 2 shown]
	s_or_b64 exec, exec, s[16:17]
	s_and_saveexec_b64 s[16:17], s[2:3]
	s_cbranch_execz .LBB100_22
.LBB100_54:
	v_mul_lo_u32 v4, v32, s34
	v_mov_b32_e32 v5, 0
	v_lshlrev_b64 v[4:5], 3, v[4:5]
	v_mov_b32_e32 v32, s35
	v_add_co_u32_e32 v4, vcc, s33, v4
	v_addc_co_u32_e32 v5, vcc, v32, v5, vcc
	global_load_dwordx2 v[4:5], v[4:5], off
	s_or_b64 exec, exec, s[16:17]
	s_and_saveexec_b64 s[16:17], s[4:5]
	s_cbranch_execz .LBB100_23
.LBB100_55:
	v_mul_lo_u32 v6, v31, s34
	v_mov_b32_e32 v7, 0
	v_lshlrev_b64 v[6:7], 3, v[6:7]
	v_mov_b32_e32 v31, s35
	v_add_co_u32_e32 v6, vcc, s33, v6
	v_addc_co_u32_e32 v7, vcc, v31, v7, vcc
	global_load_dwordx2 v[6:7], v[6:7], off
	s_or_b64 exec, exec, s[16:17]
	s_and_saveexec_b64 s[16:17], s[6:7]
	s_cbranch_execz .LBB100_24
.LBB100_56:
	v_mul_lo_u32 v8, v30, s34
	v_mov_b32_e32 v9, 0
	v_lshlrev_b64 v[8:9], 3, v[8:9]
	v_mov_b32_e32 v30, s35
	v_add_co_u32_e32 v8, vcc, s33, v8
	v_addc_co_u32_e32 v9, vcc, v30, v9, vcc
	global_load_dwordx2 v[8:9], v[8:9], off
	s_or_b64 exec, exec, s[16:17]
	s_and_saveexec_b64 s[16:17], s[8:9]
	s_cbranch_execz .LBB100_25
.LBB100_57:
	v_mul_lo_u32 v10, v29, s34
	v_mov_b32_e32 v11, 0
	v_lshlrev_b64 v[10:11], 3, v[10:11]
	v_mov_b32_e32 v29, s35
	v_add_co_u32_e32 v10, vcc, s33, v10
	v_addc_co_u32_e32 v11, vcc, v29, v11, vcc
	global_load_dwordx2 v[10:11], v[10:11], off
	s_or_b64 exec, exec, s[16:17]
	s_and_saveexec_b64 s[16:17], s[10:11]
	s_cbranch_execz .LBB100_26
.LBB100_58:
	v_mul_lo_u32 v12, v28, s34
	v_mov_b32_e32 v13, 0
	v_lshlrev_b64 v[12:13], 3, v[12:13]
	v_mov_b32_e32 v28, s35
	v_add_co_u32_e32 v12, vcc, s33, v12
	v_addc_co_u32_e32 v13, vcc, v28, v13, vcc
	global_load_dwordx2 v[12:13], v[12:13], off
	s_or_b64 exec, exec, s[16:17]
	s_and_saveexec_b64 s[16:17], s[12:13]
	s_cbranch_execz .LBB100_27
.LBB100_59:
	v_mul_lo_u32 v14, v27, s34
	v_mov_b32_e32 v15, 0
	v_lshlrev_b64 v[14:15], 3, v[14:15]
	v_mov_b32_e32 v27, s35
	v_add_co_u32_e32 v14, vcc, s33, v14
	v_addc_co_u32_e32 v15, vcc, v27, v15, vcc
	global_load_dwordx2 v[14:15], v[14:15], off
	s_or_b64 exec, exec, s[16:17]
	s_xor_b64 s[16:17], s[44:45], -1
	s_and_saveexec_b64 s[18:19], s[14:15]
	s_cbranch_execnz .LBB100_28
	s_branch .LBB100_29
.LBB100_60:
                                        ; implicit-def: $vgpr1
                                        ; implicit-def: $vgpr32_vgpr33
                                        ; implicit-def: $vgpr28_vgpr29
                                        ; implicit-def: $vgpr24_vgpr25
                                        ; implicit-def: $vgpr20_vgpr21
	s_cbranch_execz .LBB100_84
; %bb.61:
	s_movk_i32 s16, 0x7f
	v_xor_b32_sdwa v0, v67, s16 dst_sel:BYTE_1 dst_unused:UNUSED_PAD src0_sel:DWORD src1_sel:DWORD
	v_xor_b32_e32 v1, 0x7f, v39
	v_or_b32_sdwa v0, v1, v0 dst_sel:DWORD dst_unused:UNUSED_PAD src0_sel:BYTE_0 src1_sel:DWORD
	v_xor_b32_sdwa v1, v39, s16 dst_sel:DWORD dst_unused:UNUSED_PAD src0_sel:BYTE_3 src1_sel:DWORD
	v_lshlrev_b16_e32 v1, 8, v1
	s_waitcnt lgkmcnt(3)
	v_xor_b32_sdwa v18, v39, s16 dst_sel:DWORD dst_unused:UNUSED_PAD src0_sel:WORD_1 src1_sel:DWORD
	v_or_b32_sdwa v1, v18, v1 dst_sel:WORD_1 dst_unused:UNUSED_PAD src0_sel:BYTE_0 src1_sel:DWORD
	v_or_b32_sdwa v1, v0, v1 dst_sel:DWORD dst_unused:UNUSED_PAD src0_sel:WORD_0 src1_sel:DWORD
	v_xor_b32_sdwa v0, v64, s16 dst_sel:BYTE_1 dst_unused:UNUSED_PAD src0_sel:DWORD src1_sel:DWORD
	v_xor_b32_e32 v18, 0x7f, v38
	v_or_b32_sdwa v0, v18, v0 dst_sel:DWORD dst_unused:UNUSED_PAD src0_sel:BYTE_0 src1_sel:DWORD
	v_xor_b32_sdwa v18, v40, s16 dst_sel:BYTE_1 dst_unused:UNUSED_PAD src0_sel:DWORD src1_sel:DWORD
	v_xor_b32_sdwa v19, v38, s16 dst_sel:DWORD dst_unused:UNUSED_PAD src0_sel:WORD_1 src1_sel:DWORD
	v_or_b32_sdwa v18, v19, v18 dst_sel:WORD_1 dst_unused:UNUSED_PAD src0_sel:BYTE_0 src1_sel:DWORD
	v_or_b32_sdwa v0, v0, v18 dst_sel:DWORD dst_unused:UNUSED_PAD src0_sel:WORD_0 src1_sel:DWORD
	s_getpc_b64 s[16:17]
	s_add_u32 s16, s16, _ZN7rocprim17ROCPRIM_400000_NS16block_radix_sortIaLj512ELj8ElLj1ELj1ELj0ELNS0_26block_radix_rank_algorithmE1ELNS0_18block_padding_hintE2ELNS0_4arch9wavefront6targetE1EE19radix_bits_per_passE@rel32@lo+4
	s_addc_u32 s17, s17, _ZN7rocprim17ROCPRIM_400000_NS16block_radix_sortIaLj512ELj8ElLj1ELj1ELj0ELNS0_26block_radix_rank_algorithmE1ELNS0_18block_padding_hintE2ELNS0_4arch9wavefront6targetE1EE19radix_bits_per_passE@rel32@hi+12
	ds_write_b64 v71, v[0:1]
	; wave barrier
	ds_read_u8 v20, v70
	ds_read_u8 v21, v70 offset:64
	s_waitcnt lgkmcnt(5)
	ds_read_u8 v22, v70 offset:128
	ds_read_u8 v23, v70 offset:192
	;; [unrolled: 1-line block ×4, first 2 shown]
	s_waitcnt lgkmcnt(8)
	ds_read_u8 v26, v70 offset:384
	ds_read_u8 v27, v70 offset:448
	s_waitcnt lgkmcnt(0)
	s_barrier
	ds_write2_b64 v69, v[14:15], v[16:17] offset1:1
	ds_write2_b64 v69, v[10:11], v[12:13] offset0:2 offset1:3
	ds_write2_b64 v69, v[6:7], v[8:9] offset0:4 offset1:5
	;; [unrolled: 1-line block ×3, first 2 shown]
	; wave barrier
	ds_read2st64_b64 v[12:15], v68 offset1:1
	ds_read2st64_b64 v[8:11], v68 offset0:2 offset1:3
	ds_read2st64_b64 v[4:7], v68 offset0:4 offset1:5
	;; [unrolled: 1-line block ×3, first 2 shown]
	s_waitcnt lgkmcnt(0)
	s_barrier
	s_load_dword s18, s[16:17], 0x0
	s_load_dword s19, s[42:43], 0xc
	v_mov_b32_e32 v30, 3
	s_waitcnt lgkmcnt(0)
	s_min_u32 s18, s18, 8
	s_lshr_b32 s16, s19, 16
	s_and_b32 s17, s19, 0xffff
	v_mad_u32_u24 v16, v66, s16, v65
	v_mad_u64_u32 v[18:19], s[16:17], v16, s17, v[36:37]
	s_lshl_b32 s16, -1, s18
	s_not_b32 s18, s16
	v_lshrrev_b32_e32 v38, 6, v18
	v_and_b32_e32 v18, s18, v20
	v_lshlrev_b32_sdwa v17, v30, v18 dst_sel:DWORD dst_unused:UNUSED_PAD src0_sel:DWORD src1_sel:BYTE_0
	v_add_lshl_u32 v28, v38, v17, 2
	v_and_b32_e32 v17, 1, v18
	v_add_co_u32_e32 v19, vcc, -1, v17
	v_addc_co_u32_e64 v29, s[16:17], 0, -1, vcc
	v_cmp_ne_u32_e32 vcc, 0, v17
	v_xor_b32_e32 v17, vcc_hi, v29
	v_mov_b32_e32 v16, 0
	v_and_b32_e32 v29, exec_hi, v17
	v_lshlrev_b32_e32 v17, 30, v18
	v_xor_b32_e32 v19, vcc_lo, v19
	v_cmp_gt_i64_e32 vcc, 0, v[16:17]
	v_not_b32_e32 v17, v17
	v_ashrrev_i32_e32 v17, 31, v17
	v_and_b32_e32 v19, exec_lo, v19
	v_xor_b32_e32 v31, vcc_hi, v17
	v_xor_b32_e32 v17, vcc_lo, v17
	v_and_b32_e32 v19, v19, v17
	v_lshlrev_b32_e32 v17, 29, v18
	v_cmp_gt_i64_e32 vcc, 0, v[16:17]
	v_not_b32_e32 v17, v17
	v_ashrrev_i32_e32 v17, 31, v17
	v_and_b32_e32 v29, v29, v31
	v_xor_b32_e32 v31, vcc_hi, v17
	v_xor_b32_e32 v17, vcc_lo, v17
	v_and_b32_e32 v19, v19, v17
	v_lshlrev_b32_e32 v17, 28, v18
	v_cmp_gt_i64_e32 vcc, 0, v[16:17]
	v_not_b32_e32 v17, v17
	v_ashrrev_i32_e32 v17, 31, v17
	v_and_b32_e32 v29, v29, v31
	;; [unrolled: 8-line block ×5, first 2 shown]
	v_xor_b32_e32 v31, vcc_hi, v17
	v_xor_b32_e32 v17, vcc_lo, v17
	v_and_b32_e32 v29, v29, v31
	v_and_b32_e32 v31, v19, v17
	v_lshlrev_b32_e32 v17, 24, v18
	v_cmp_gt_i64_e32 vcc, 0, v[16:17]
	v_not_b32_e32 v17, v17
	v_ashrrev_i32_e32 v17, 31, v17
	v_xor_b32_e32 v18, vcc_hi, v17
	v_xor_b32_e32 v17, vcc_lo, v17
	v_and_b32_e32 v19, v29, v18
	v_and_b32_e32 v18, v31, v17
	v_mbcnt_lo_u32_b32 v17, v18, 0
	v_mbcnt_hi_u32_b32 v29, v19, v17
	v_cmp_eq_u32_e32 vcc, 0, v29
	v_cmp_ne_u64_e64 s[16:17], 0, v[18:19]
	s_and_b64 s[20:21], s[16:17], vcc
	ds_write2_b32 v62, v16, v16 offset0:8 offset1:9
	ds_write2_b32 v62, v16, v16 offset0:10 offset1:11
	s_waitcnt lgkmcnt(0)
	s_barrier
	s_waitcnt lgkmcnt(0)
	; wave barrier
	s_and_saveexec_b64 s[16:17], s[20:21]
	s_cbranch_execz .LBB100_63
; %bb.62:
	v_bcnt_u32_b32 v17, v18, 0
	v_bcnt_u32_b32 v17, v19, v17
	ds_write_b32 v28, v17 offset:32
.LBB100_63:
	s_or_b64 exec, exec, s[16:17]
	v_and_b32_e32 v18, s18, v21
	v_lshlrev_b32_sdwa v17, v30, v18 dst_sel:DWORD dst_unused:UNUSED_PAD src0_sel:DWORD src1_sel:BYTE_0
	v_add_lshl_u32 v31, v38, v17, 2
	v_and_b32_e32 v17, 1, v18
	v_add_co_u32_e32 v19, vcc, -1, v17
	v_addc_co_u32_e64 v32, s[16:17], 0, -1, vcc
	v_cmp_ne_u32_e32 vcc, 0, v17
	v_xor_b32_e32 v17, vcc_hi, v32
	v_and_b32_e32 v32, exec_hi, v17
	v_lshlrev_b32_e32 v17, 30, v18
	v_xor_b32_e32 v19, vcc_lo, v19
	v_cmp_gt_i64_e32 vcc, 0, v[16:17]
	v_not_b32_e32 v17, v17
	v_ashrrev_i32_e32 v17, 31, v17
	v_and_b32_e32 v19, exec_lo, v19
	v_xor_b32_e32 v33, vcc_hi, v17
	v_xor_b32_e32 v17, vcc_lo, v17
	v_and_b32_e32 v19, v19, v17
	v_lshlrev_b32_e32 v17, 29, v18
	v_cmp_gt_i64_e32 vcc, 0, v[16:17]
	v_not_b32_e32 v17, v17
	v_ashrrev_i32_e32 v17, 31, v17
	v_and_b32_e32 v32, v32, v33
	v_xor_b32_e32 v33, vcc_hi, v17
	v_xor_b32_e32 v17, vcc_lo, v17
	v_and_b32_e32 v19, v19, v17
	v_lshlrev_b32_e32 v17, 28, v18
	v_cmp_gt_i64_e32 vcc, 0, v[16:17]
	v_not_b32_e32 v17, v17
	v_ashrrev_i32_e32 v17, 31, v17
	v_and_b32_e32 v32, v32, v33
	;; [unrolled: 8-line block ×5, first 2 shown]
	v_xor_b32_e32 v33, vcc_hi, v17
	v_xor_b32_e32 v17, vcc_lo, v17
	v_and_b32_e32 v19, v19, v17
	v_lshlrev_b32_e32 v17, 24, v18
	v_cmp_gt_i64_e32 vcc, 0, v[16:17]
	v_not_b32_e32 v16, v17
	v_ashrrev_i32_e32 v16, 31, v16
	v_xor_b32_e32 v17, vcc_hi, v16
	v_xor_b32_e32 v16, vcc_lo, v16
	; wave barrier
	ds_read_b32 v30, v31 offset:32
	v_and_b32_e32 v32, v32, v33
	v_and_b32_e32 v16, v19, v16
	;; [unrolled: 1-line block ×3, first 2 shown]
	v_mbcnt_lo_u32_b32 v18, v16, 0
	v_mbcnt_hi_u32_b32 v32, v17, v18
	v_cmp_eq_u32_e32 vcc, 0, v32
	v_cmp_ne_u64_e64 s[16:17], 0, v[16:17]
	s_and_b64 s[20:21], s[16:17], vcc
	; wave barrier
	s_and_saveexec_b64 s[16:17], s[20:21]
	s_cbranch_execz .LBB100_65
; %bb.64:
	v_bcnt_u32_b32 v16, v16, 0
	v_bcnt_u32_b32 v16, v17, v16
	s_waitcnt lgkmcnt(0)
	v_add_u32_e32 v16, v30, v16
	ds_write_b32 v31, v16 offset:32
.LBB100_65:
	s_or_b64 exec, exec, s[16:17]
	v_and_b32_e32 v18, s18, v22
	v_and_b32_e32 v17, 1, v18
	v_add_co_u32_e32 v19, vcc, -1, v17
	v_mov_b32_e32 v42, 3
	v_addc_co_u32_e64 v40, s[16:17], 0, -1, vcc
	v_cmp_ne_u32_e32 vcc, 0, v17
	v_lshlrev_b32_sdwa v16, v42, v18 dst_sel:DWORD dst_unused:UNUSED_PAD src0_sel:DWORD src1_sel:BYTE_0
	v_xor_b32_e32 v17, vcc_hi, v40
	v_add_lshl_u32 v39, v38, v16, 2
	v_mov_b32_e32 v16, 0
	v_and_b32_e32 v40, exec_hi, v17
	v_lshlrev_b32_e32 v17, 30, v18
	v_xor_b32_e32 v19, vcc_lo, v19
	v_cmp_gt_i64_e32 vcc, 0, v[16:17]
	v_not_b32_e32 v17, v17
	v_ashrrev_i32_e32 v17, 31, v17
	v_and_b32_e32 v19, exec_lo, v19
	v_xor_b32_e32 v43, vcc_hi, v17
	v_xor_b32_e32 v17, vcc_lo, v17
	v_and_b32_e32 v19, v19, v17
	v_lshlrev_b32_e32 v17, 29, v18
	v_cmp_gt_i64_e32 vcc, 0, v[16:17]
	v_not_b32_e32 v17, v17
	v_ashrrev_i32_e32 v17, 31, v17
	v_and_b32_e32 v40, v40, v43
	v_xor_b32_e32 v43, vcc_hi, v17
	v_xor_b32_e32 v17, vcc_lo, v17
	v_and_b32_e32 v19, v19, v17
	v_lshlrev_b32_e32 v17, 28, v18
	v_cmp_gt_i64_e32 vcc, 0, v[16:17]
	v_not_b32_e32 v17, v17
	v_ashrrev_i32_e32 v17, 31, v17
	v_and_b32_e32 v40, v40, v43
	;; [unrolled: 8-line block ×5, first 2 shown]
	v_xor_b32_e32 v43, vcc_hi, v17
	v_xor_b32_e32 v17, vcc_lo, v17
	v_and_b32_e32 v40, v40, v43
	v_and_b32_e32 v43, v19, v17
	v_lshlrev_b32_e32 v17, 24, v18
	v_cmp_gt_i64_e32 vcc, 0, v[16:17]
	v_not_b32_e32 v17, v17
	v_ashrrev_i32_e32 v17, 31, v17
	v_xor_b32_e32 v18, vcc_hi, v17
	v_xor_b32_e32 v17, vcc_lo, v17
	; wave barrier
	ds_read_b32 v33, v39 offset:32
	v_and_b32_e32 v19, v40, v18
	v_and_b32_e32 v18, v43, v17
	v_mbcnt_lo_u32_b32 v17, v18, 0
	v_mbcnt_hi_u32_b32 v40, v19, v17
	v_cmp_eq_u32_e32 vcc, 0, v40
	v_cmp_ne_u64_e64 s[16:17], 0, v[18:19]
	s_and_b64 s[20:21], s[16:17], vcc
	; wave barrier
	s_and_saveexec_b64 s[16:17], s[20:21]
	s_cbranch_execz .LBB100_67
; %bb.66:
	v_bcnt_u32_b32 v17, v18, 0
	v_bcnt_u32_b32 v17, v19, v17
	s_waitcnt lgkmcnt(0)
	v_add_u32_e32 v17, v33, v17
	ds_write_b32 v39, v17 offset:32
.LBB100_67:
	s_or_b64 exec, exec, s[16:17]
	v_and_b32_e32 v18, s18, v23
	v_lshlrev_b32_sdwa v17, v42, v18 dst_sel:DWORD dst_unused:UNUSED_PAD src0_sel:DWORD src1_sel:BYTE_0
	v_add_lshl_u32 v43, v38, v17, 2
	v_and_b32_e32 v17, 1, v18
	v_add_co_u32_e32 v19, vcc, -1, v17
	v_addc_co_u32_e64 v64, s[16:17], 0, -1, vcc
	v_cmp_ne_u32_e32 vcc, 0, v17
	v_xor_b32_e32 v17, vcc_hi, v64
	v_and_b32_e32 v64, exec_hi, v17
	v_lshlrev_b32_e32 v17, 30, v18
	v_xor_b32_e32 v19, vcc_lo, v19
	v_cmp_gt_i64_e32 vcc, 0, v[16:17]
	v_not_b32_e32 v17, v17
	v_ashrrev_i32_e32 v17, 31, v17
	v_and_b32_e32 v19, exec_lo, v19
	v_xor_b32_e32 v65, vcc_hi, v17
	v_xor_b32_e32 v17, vcc_lo, v17
	v_and_b32_e32 v19, v19, v17
	v_lshlrev_b32_e32 v17, 29, v18
	v_cmp_gt_i64_e32 vcc, 0, v[16:17]
	v_not_b32_e32 v17, v17
	v_ashrrev_i32_e32 v17, 31, v17
	v_and_b32_e32 v64, v64, v65
	v_xor_b32_e32 v65, vcc_hi, v17
	v_xor_b32_e32 v17, vcc_lo, v17
	v_and_b32_e32 v19, v19, v17
	v_lshlrev_b32_e32 v17, 28, v18
	v_cmp_gt_i64_e32 vcc, 0, v[16:17]
	v_not_b32_e32 v17, v17
	v_ashrrev_i32_e32 v17, 31, v17
	v_and_b32_e32 v64, v64, v65
	;; [unrolled: 8-line block ×5, first 2 shown]
	v_xor_b32_e32 v65, vcc_hi, v17
	v_xor_b32_e32 v17, vcc_lo, v17
	v_and_b32_e32 v19, v19, v17
	v_lshlrev_b32_e32 v17, 24, v18
	v_cmp_gt_i64_e32 vcc, 0, v[16:17]
	v_not_b32_e32 v16, v17
	v_ashrrev_i32_e32 v16, 31, v16
	v_xor_b32_e32 v17, vcc_hi, v16
	v_xor_b32_e32 v16, vcc_lo, v16
	; wave barrier
	ds_read_b32 v42, v43 offset:32
	v_and_b32_e32 v64, v64, v65
	v_and_b32_e32 v16, v19, v16
	;; [unrolled: 1-line block ×3, first 2 shown]
	v_mbcnt_lo_u32_b32 v18, v16, 0
	v_mbcnt_hi_u32_b32 v64, v17, v18
	v_cmp_eq_u32_e32 vcc, 0, v64
	v_cmp_ne_u64_e64 s[16:17], 0, v[16:17]
	s_and_b64 s[20:21], s[16:17], vcc
	; wave barrier
	s_and_saveexec_b64 s[16:17], s[20:21]
	s_cbranch_execz .LBB100_69
; %bb.68:
	v_bcnt_u32_b32 v16, v16, 0
	v_bcnt_u32_b32 v16, v17, v16
	s_waitcnt lgkmcnt(0)
	v_add_u32_e32 v16, v42, v16
	ds_write_b32 v43, v16 offset:32
.LBB100_69:
	s_or_b64 exec, exec, s[16:17]
	v_and_b32_e32 v18, s18, v24
	v_and_b32_e32 v17, 1, v18
	v_add_co_u32_e32 v19, vcc, -1, v17
	v_mov_b32_e32 v68, 3
	v_addc_co_u32_e64 v67, s[16:17], 0, -1, vcc
	v_cmp_ne_u32_e32 vcc, 0, v17
	v_lshlrev_b32_sdwa v16, v68, v18 dst_sel:DWORD dst_unused:UNUSED_PAD src0_sel:DWORD src1_sel:BYTE_0
	v_xor_b32_e32 v17, vcc_hi, v67
	v_add_lshl_u32 v66, v38, v16, 2
	v_mov_b32_e32 v16, 0
	v_and_b32_e32 v67, exec_hi, v17
	v_lshlrev_b32_e32 v17, 30, v18
	v_xor_b32_e32 v19, vcc_lo, v19
	v_cmp_gt_i64_e32 vcc, 0, v[16:17]
	v_not_b32_e32 v17, v17
	v_ashrrev_i32_e32 v17, 31, v17
	v_and_b32_e32 v19, exec_lo, v19
	v_xor_b32_e32 v69, vcc_hi, v17
	v_xor_b32_e32 v17, vcc_lo, v17
	v_and_b32_e32 v19, v19, v17
	v_lshlrev_b32_e32 v17, 29, v18
	v_cmp_gt_i64_e32 vcc, 0, v[16:17]
	v_not_b32_e32 v17, v17
	v_ashrrev_i32_e32 v17, 31, v17
	v_and_b32_e32 v67, v67, v69
	v_xor_b32_e32 v69, vcc_hi, v17
	v_xor_b32_e32 v17, vcc_lo, v17
	v_and_b32_e32 v19, v19, v17
	v_lshlrev_b32_e32 v17, 28, v18
	v_cmp_gt_i64_e32 vcc, 0, v[16:17]
	v_not_b32_e32 v17, v17
	v_ashrrev_i32_e32 v17, 31, v17
	v_and_b32_e32 v67, v67, v69
	;; [unrolled: 8-line block ×5, first 2 shown]
	v_xor_b32_e32 v69, vcc_hi, v17
	v_xor_b32_e32 v17, vcc_lo, v17
	v_and_b32_e32 v67, v67, v69
	v_and_b32_e32 v69, v19, v17
	v_lshlrev_b32_e32 v17, 24, v18
	v_cmp_gt_i64_e32 vcc, 0, v[16:17]
	v_not_b32_e32 v17, v17
	v_ashrrev_i32_e32 v17, 31, v17
	v_xor_b32_e32 v18, vcc_hi, v17
	v_xor_b32_e32 v17, vcc_lo, v17
	; wave barrier
	ds_read_b32 v65, v66 offset:32
	v_and_b32_e32 v19, v67, v18
	v_and_b32_e32 v18, v69, v17
	v_mbcnt_lo_u32_b32 v17, v18, 0
	v_mbcnt_hi_u32_b32 v67, v19, v17
	v_cmp_eq_u32_e32 vcc, 0, v67
	v_cmp_ne_u64_e64 s[16:17], 0, v[18:19]
	s_and_b64 s[20:21], s[16:17], vcc
	; wave barrier
	s_and_saveexec_b64 s[16:17], s[20:21]
	s_cbranch_execz .LBB100_71
; %bb.70:
	v_bcnt_u32_b32 v17, v18, 0
	v_bcnt_u32_b32 v17, v19, v17
	s_waitcnt lgkmcnt(0)
	v_add_u32_e32 v17, v65, v17
	ds_write_b32 v66, v17 offset:32
.LBB100_71:
	s_or_b64 exec, exec, s[16:17]
	v_and_b32_e32 v18, s18, v25
	v_lshlrev_b32_sdwa v17, v68, v18 dst_sel:DWORD dst_unused:UNUSED_PAD src0_sel:DWORD src1_sel:BYTE_0
	v_add_lshl_u32 v69, v38, v17, 2
	v_and_b32_e32 v17, 1, v18
	v_add_co_u32_e32 v19, vcc, -1, v17
	v_addc_co_u32_e64 v70, s[16:17], 0, -1, vcc
	v_cmp_ne_u32_e32 vcc, 0, v17
	v_xor_b32_e32 v17, vcc_hi, v70
	v_and_b32_e32 v70, exec_hi, v17
	v_lshlrev_b32_e32 v17, 30, v18
	v_xor_b32_e32 v19, vcc_lo, v19
	v_cmp_gt_i64_e32 vcc, 0, v[16:17]
	v_not_b32_e32 v17, v17
	v_ashrrev_i32_e32 v17, 31, v17
	v_and_b32_e32 v19, exec_lo, v19
	v_xor_b32_e32 v71, vcc_hi, v17
	v_xor_b32_e32 v17, vcc_lo, v17
	v_and_b32_e32 v19, v19, v17
	v_lshlrev_b32_e32 v17, 29, v18
	v_cmp_gt_i64_e32 vcc, 0, v[16:17]
	v_not_b32_e32 v17, v17
	v_ashrrev_i32_e32 v17, 31, v17
	v_and_b32_e32 v70, v70, v71
	v_xor_b32_e32 v71, vcc_hi, v17
	v_xor_b32_e32 v17, vcc_lo, v17
	v_and_b32_e32 v19, v19, v17
	v_lshlrev_b32_e32 v17, 28, v18
	v_cmp_gt_i64_e32 vcc, 0, v[16:17]
	v_not_b32_e32 v17, v17
	v_ashrrev_i32_e32 v17, 31, v17
	v_and_b32_e32 v70, v70, v71
	;; [unrolled: 8-line block ×5, first 2 shown]
	v_xor_b32_e32 v71, vcc_hi, v17
	v_xor_b32_e32 v17, vcc_lo, v17
	v_and_b32_e32 v19, v19, v17
	v_lshlrev_b32_e32 v17, 24, v18
	v_cmp_gt_i64_e32 vcc, 0, v[16:17]
	v_not_b32_e32 v16, v17
	v_ashrrev_i32_e32 v16, 31, v16
	v_xor_b32_e32 v17, vcc_hi, v16
	v_xor_b32_e32 v16, vcc_lo, v16
	; wave barrier
	ds_read_b32 v68, v69 offset:32
	v_and_b32_e32 v70, v70, v71
	v_and_b32_e32 v16, v19, v16
	;; [unrolled: 1-line block ×3, first 2 shown]
	v_mbcnt_lo_u32_b32 v18, v16, 0
	v_mbcnt_hi_u32_b32 v70, v17, v18
	v_cmp_eq_u32_e32 vcc, 0, v70
	v_cmp_ne_u64_e64 s[16:17], 0, v[16:17]
	s_and_b64 s[20:21], s[16:17], vcc
	; wave barrier
	s_and_saveexec_b64 s[16:17], s[20:21]
	s_cbranch_execz .LBB100_73
; %bb.72:
	v_bcnt_u32_b32 v16, v16, 0
	v_bcnt_u32_b32 v16, v17, v16
	s_waitcnt lgkmcnt(0)
	v_add_u32_e32 v16, v68, v16
	ds_write_b32 v69, v16 offset:32
.LBB100_73:
	s_or_b64 exec, exec, s[16:17]
	v_and_b32_e32 v18, s18, v26
	v_and_b32_e32 v17, 1, v18
	v_add_co_u32_e32 v19, vcc, -1, v17
	v_mov_b32_e32 v74, 3
	v_addc_co_u32_e64 v73, s[16:17], 0, -1, vcc
	v_cmp_ne_u32_e32 vcc, 0, v17
	v_lshlrev_b32_sdwa v16, v74, v18 dst_sel:DWORD dst_unused:UNUSED_PAD src0_sel:DWORD src1_sel:BYTE_0
	v_xor_b32_e32 v17, vcc_hi, v73
	v_add_lshl_u32 v72, v38, v16, 2
	v_mov_b32_e32 v16, 0
	v_and_b32_e32 v73, exec_hi, v17
	v_lshlrev_b32_e32 v17, 30, v18
	v_xor_b32_e32 v19, vcc_lo, v19
	v_cmp_gt_i64_e32 vcc, 0, v[16:17]
	v_not_b32_e32 v17, v17
	v_ashrrev_i32_e32 v17, 31, v17
	v_and_b32_e32 v19, exec_lo, v19
	v_xor_b32_e32 v75, vcc_hi, v17
	v_xor_b32_e32 v17, vcc_lo, v17
	v_and_b32_e32 v19, v19, v17
	v_lshlrev_b32_e32 v17, 29, v18
	v_cmp_gt_i64_e32 vcc, 0, v[16:17]
	v_not_b32_e32 v17, v17
	v_ashrrev_i32_e32 v17, 31, v17
	v_and_b32_e32 v73, v73, v75
	v_xor_b32_e32 v75, vcc_hi, v17
	v_xor_b32_e32 v17, vcc_lo, v17
	v_and_b32_e32 v19, v19, v17
	v_lshlrev_b32_e32 v17, 28, v18
	v_cmp_gt_i64_e32 vcc, 0, v[16:17]
	v_not_b32_e32 v17, v17
	v_ashrrev_i32_e32 v17, 31, v17
	v_and_b32_e32 v73, v73, v75
	v_xor_b32_e32 v75, vcc_hi, v17
	v_xor_b32_e32 v17, vcc_lo, v17
	v_and_b32_e32 v19, v19, v17
	v_lshlrev_b32_e32 v17, 27, v18
	v_cmp_gt_i64_e32 vcc, 0, v[16:17]
	v_not_b32_e32 v17, v17
	v_ashrrev_i32_e32 v17, 31, v17
	v_and_b32_e32 v73, v73, v75
	v_xor_b32_e32 v75, vcc_hi, v17
	v_xor_b32_e32 v17, vcc_lo, v17
	v_and_b32_e32 v19, v19, v17
	v_lshlrev_b32_e32 v17, 26, v18
	v_cmp_gt_i64_e32 vcc, 0, v[16:17]
	v_not_b32_e32 v17, v17
	v_ashrrev_i32_e32 v17, 31, v17
	v_and_b32_e32 v73, v73, v75
	v_xor_b32_e32 v75, vcc_hi, v17
	v_xor_b32_e32 v17, vcc_lo, v17
	v_and_b32_e32 v19, v19, v17
	v_lshlrev_b32_e32 v17, 25, v18
	v_cmp_gt_i64_e32 vcc, 0, v[16:17]
	v_not_b32_e32 v17, v17
	v_ashrrev_i32_e32 v17, 31, v17
	v_and_b32_e32 v73, v73, v75
	v_xor_b32_e32 v75, vcc_hi, v17
	v_xor_b32_e32 v17, vcc_lo, v17
	v_and_b32_e32 v73, v73, v75
	v_and_b32_e32 v75, v19, v17
	v_lshlrev_b32_e32 v17, 24, v18
	v_cmp_gt_i64_e32 vcc, 0, v[16:17]
	v_not_b32_e32 v17, v17
	v_ashrrev_i32_e32 v17, 31, v17
	v_xor_b32_e32 v18, vcc_hi, v17
	v_xor_b32_e32 v17, vcc_lo, v17
	; wave barrier
	ds_read_b32 v71, v72 offset:32
	v_and_b32_e32 v19, v73, v18
	v_and_b32_e32 v18, v75, v17
	v_mbcnt_lo_u32_b32 v17, v18, 0
	v_mbcnt_hi_u32_b32 v73, v19, v17
	v_cmp_eq_u32_e32 vcc, 0, v73
	v_cmp_ne_u64_e64 s[16:17], 0, v[18:19]
	s_and_b64 s[20:21], s[16:17], vcc
	; wave barrier
	s_and_saveexec_b64 s[16:17], s[20:21]
	s_cbranch_execz .LBB100_75
; %bb.74:
	v_bcnt_u32_b32 v17, v18, 0
	v_bcnt_u32_b32 v17, v19, v17
	s_waitcnt lgkmcnt(0)
	v_add_u32_e32 v17, v71, v17
	ds_write_b32 v72, v17 offset:32
.LBB100_75:
	s_or_b64 exec, exec, s[16:17]
	v_and_b32_e32 v18, s18, v27
	v_lshlrev_b32_sdwa v17, v74, v18 dst_sel:DWORD dst_unused:UNUSED_PAD src0_sel:DWORD src1_sel:BYTE_0
	v_add_lshl_u32 v74, v38, v17, 2
	v_and_b32_e32 v17, 1, v18
	v_add_co_u32_e32 v19, vcc, -1, v17
	v_addc_co_u32_e64 v76, s[16:17], 0, -1, vcc
	v_cmp_ne_u32_e32 vcc, 0, v17
	v_xor_b32_e32 v17, vcc_hi, v76
	v_and_b32_e32 v76, exec_hi, v17
	v_lshlrev_b32_e32 v17, 30, v18
	v_xor_b32_e32 v19, vcc_lo, v19
	v_cmp_gt_i64_e32 vcc, 0, v[16:17]
	v_not_b32_e32 v17, v17
	v_ashrrev_i32_e32 v17, 31, v17
	v_and_b32_e32 v19, exec_lo, v19
	v_xor_b32_e32 v77, vcc_hi, v17
	v_xor_b32_e32 v17, vcc_lo, v17
	v_and_b32_e32 v19, v19, v17
	v_lshlrev_b32_e32 v17, 29, v18
	v_cmp_gt_i64_e32 vcc, 0, v[16:17]
	v_not_b32_e32 v17, v17
	v_ashrrev_i32_e32 v17, 31, v17
	v_and_b32_e32 v76, v76, v77
	v_xor_b32_e32 v77, vcc_hi, v17
	v_xor_b32_e32 v17, vcc_lo, v17
	v_and_b32_e32 v19, v19, v17
	v_lshlrev_b32_e32 v17, 28, v18
	v_cmp_gt_i64_e32 vcc, 0, v[16:17]
	v_not_b32_e32 v17, v17
	v_ashrrev_i32_e32 v17, 31, v17
	v_and_b32_e32 v76, v76, v77
	;; [unrolled: 8-line block ×5, first 2 shown]
	v_xor_b32_e32 v77, vcc_hi, v17
	v_xor_b32_e32 v17, vcc_lo, v17
	v_and_b32_e32 v19, v19, v17
	v_lshlrev_b32_e32 v17, 24, v18
	v_cmp_gt_i64_e32 vcc, 0, v[16:17]
	v_not_b32_e32 v16, v17
	v_ashrrev_i32_e32 v16, 31, v16
	v_xor_b32_e32 v17, vcc_hi, v16
	v_xor_b32_e32 v16, vcc_lo, v16
	; wave barrier
	ds_read_b32 v38, v74 offset:32
	v_and_b32_e32 v76, v76, v77
	v_and_b32_e32 v16, v19, v16
	;; [unrolled: 1-line block ×3, first 2 shown]
	v_mbcnt_lo_u32_b32 v18, v16, 0
	v_mbcnt_hi_u32_b32 v76, v17, v18
	v_cmp_eq_u32_e32 vcc, 0, v76
	v_cmp_ne_u64_e64 s[16:17], 0, v[16:17]
	v_add_u32_e32 v75, 32, v62
	s_and_b64 s[18:19], s[16:17], vcc
	; wave barrier
	s_and_saveexec_b64 s[16:17], s[18:19]
	s_cbranch_execz .LBB100_77
; %bb.76:
	v_bcnt_u32_b32 v16, v16, 0
	v_bcnt_u32_b32 v16, v17, v16
	s_waitcnt lgkmcnt(0)
	v_add_u32_e32 v16, v38, v16
	ds_write_b32 v74, v16 offset:32
.LBB100_77:
	s_or_b64 exec, exec, s[16:17]
	; wave barrier
	s_waitcnt lgkmcnt(0)
	s_barrier
	ds_read2_b32 v[16:17], v62 offset0:8 offset1:9
	ds_read2_b32 v[18:19], v75 offset0:2 offset1:3
	v_min_u32_e32 v63, 0x1c0, v63
	v_or_b32_e32 v63, 63, v63
	s_waitcnt lgkmcnt(1)
	v_add_u32_e32 v77, v17, v16
	s_waitcnt lgkmcnt(0)
	v_add3_u32 v19, v77, v18, v19
	v_and_b32_e32 v77, 15, v61
	v_cmp_ne_u32_e32 vcc, 0, v77
	v_mov_b32_dpp v78, v19 row_shr:1 row_mask:0xf bank_mask:0xf
	v_cndmask_b32_e32 v78, 0, v78, vcc
	v_add_u32_e32 v19, v78, v19
	v_cmp_lt_u32_e32 vcc, 1, v77
	s_nop 0
	v_mov_b32_dpp v78, v19 row_shr:2 row_mask:0xf bank_mask:0xf
	v_cndmask_b32_e32 v78, 0, v78, vcc
	v_add_u32_e32 v19, v19, v78
	v_cmp_lt_u32_e32 vcc, 3, v77
	s_nop 0
	;; [unrolled: 5-line block ×3, first 2 shown]
	v_mov_b32_dpp v78, v19 row_shr:8 row_mask:0xf bank_mask:0xf
	v_cndmask_b32_e32 v77, 0, v78, vcc
	v_add_u32_e32 v19, v19, v77
	v_bfe_i32 v78, v61, 4, 1
	v_cmp_lt_u32_e32 vcc, 31, v61
	v_mov_b32_dpp v77, v19 row_bcast:15 row_mask:0xf bank_mask:0xf
	v_and_b32_e32 v77, v78, v77
	v_add_u32_e32 v19, v19, v77
	s_nop 1
	v_mov_b32_dpp v77, v19 row_bcast:31 row_mask:0xf bank_mask:0xf
	v_cndmask_b32_e32 v77, 0, v77, vcc
	v_add_u32_e32 v19, v19, v77
	v_lshrrev_b32_e32 v77, 6, v36
	v_cmp_eq_u32_e32 vcc, v63, v36
	s_and_saveexec_b64 s[16:17], vcc
	s_cbranch_execz .LBB100_79
; %bb.78:
	v_lshlrev_b32_e32 v63, 2, v77
	ds_write_b32 v63, v19
.LBB100_79:
	s_or_b64 exec, exec, s[16:17]
	v_cmp_gt_u32_e32 vcc, 8, v36
	s_waitcnt lgkmcnt(0)
	s_barrier
	s_and_saveexec_b64 s[16:17], vcc
	s_cbranch_execz .LBB100_81
; %bb.80:
	v_lshlrev_b32_e32 v63, 2, v36
	ds_read_b32 v78, v63
	v_and_b32_e32 v79, 7, v61
	v_cmp_ne_u32_e32 vcc, 0, v79
	s_waitcnt lgkmcnt(0)
	v_mov_b32_dpp v80, v78 row_shr:1 row_mask:0xf bank_mask:0xf
	v_cndmask_b32_e32 v80, 0, v80, vcc
	v_add_u32_e32 v78, v80, v78
	v_cmp_lt_u32_e32 vcc, 1, v79
	s_nop 0
	v_mov_b32_dpp v80, v78 row_shr:2 row_mask:0xf bank_mask:0xf
	v_cndmask_b32_e32 v80, 0, v80, vcc
	v_add_u32_e32 v78, v78, v80
	v_cmp_lt_u32_e32 vcc, 3, v79
	s_nop 0
	v_mov_b32_dpp v80, v78 row_shr:4 row_mask:0xf bank_mask:0xf
	v_cndmask_b32_e32 v79, 0, v80, vcc
	v_add_u32_e32 v78, v78, v79
	ds_write_b32 v63, v78
.LBB100_81:
	s_or_b64 exec, exec, s[16:17]
	v_cmp_lt_u32_e32 vcc, 63, v36
	v_mov_b32_e32 v63, 0
	s_waitcnt lgkmcnt(0)
	s_barrier
	s_and_saveexec_b64 s[16:17], vcc
	s_cbranch_execz .LBB100_83
; %bb.82:
	v_lshl_add_u32 v63, v77, 2, -4
	ds_read_b32 v63, v63
.LBB100_83:
	s_or_b64 exec, exec, s[16:17]
	v_add_u32_e32 v77, -1, v61
	v_and_b32_e32 v78, 64, v61
	v_cmp_lt_i32_e32 vcc, v77, v78
	v_cndmask_b32_e32 v77, v77, v61, vcc
	s_waitcnt lgkmcnt(0)
	v_add_u32_e32 v19, v63, v19
	v_lshlrev_b32_e32 v77, 2, v77
	ds_bpermute_b32 v19, v77, v19
	v_cmp_eq_u32_e32 vcc, 0, v61
	s_movk_i32 s16, 0x7f
	s_waitcnt lgkmcnt(0)
	v_cndmask_b32_e32 v19, v19, v63, vcc
	v_cmp_ne_u32_e32 vcc, 0, v36
	v_cndmask_b32_e32 v19, 0, v19, vcc
	v_add_u32_e32 v16, v19, v16
	v_add_u32_e32 v17, v16, v17
	v_add_u32_e32 v18, v17, v18
	ds_write2_b32 v62, v19, v16 offset0:8 offset1:9
	ds_write2_b32 v75, v17, v18 offset0:2 offset1:3
	s_waitcnt lgkmcnt(0)
	s_barrier
	ds_read_b32 v16, v28 offset:32
	ds_read_b32 v17, v31 offset:32
	;; [unrolled: 1-line block ×8, first 2 shown]
	s_waitcnt lgkmcnt(7)
	v_add_u32_e32 v29, v16, v29
	s_waitcnt lgkmcnt(6)
	v_add3_u32 v30, v32, v30, v17
	s_waitcnt lgkmcnt(5)
	v_add3_u32 v18, v40, v33, v18
	s_waitcnt lgkmcnt(4)
	v_add3_u32 v19, v64, v42, v19
	s_waitcnt lgkmcnt(3)
	v_add3_u32 v28, v67, v65, v28
	s_waitcnt lgkmcnt(2)
	v_add3_u32 v31, v70, v68, v31
	s_waitcnt lgkmcnt(1)
	v_add3_u32 v32, v73, v71, v36
	s_waitcnt lgkmcnt(0)
	v_add3_u32 v33, v76, v38, v39
	s_barrier
	ds_write_b8 v29, v20
	ds_write_b8 v30, v21
	;; [unrolled: 1-line block ×8, first 2 shown]
	v_lshlrev_b32_e32 v20, 3, v29
	s_waitcnt lgkmcnt(0)
	s_barrier
	ds_read_b64 v[16:17], v53
	s_waitcnt lgkmcnt(0)
	s_barrier
	ds_write_b64 v20, v[12:13]
	v_lshlrev_b32_e32 v12, 3, v30
	ds_write_b64 v12, v[14:15]
	v_lshlrev_b32_e32 v12, 3, v18
	;; [unrolled: 2-line block ×8, first 2 shown]
	s_waitcnt lgkmcnt(0)
	s_barrier
	ds_read2_b64 v[18:21], v0 offset1:1
	ds_read2_b64 v[22:25], v0 offset0:2 offset1:3
	ds_read2_b64 v[26:29], v0 offset0:4 offset1:5
	;; [unrolled: 1-line block ×3, first 2 shown]
	v_lshrrev_b32_e32 v36, 8, v16
	v_lshrrev_b32_e32 v38, 8, v17
	v_xor_b32_e32 v0, 0x7f, v16
	v_xor_b32_sdwa v1, v36, s16 dst_sel:BYTE_1 dst_unused:UNUSED_PAD src0_sel:DWORD src1_sel:DWORD
	v_xor_b32_sdwa v2, v16, s16 dst_sel:DWORD dst_unused:UNUSED_PAD src0_sel:WORD_1 src1_sel:DWORD
	v_xor_b32_sdwa v3, v16, s16 dst_sel:BYTE_1 dst_unused:UNUSED_PAD src0_sel:BYTE_3 src1_sel:DWORD
	v_xor_b32_e32 v4, 0x7f, v17
	v_xor_b32_sdwa v5, v38, s16 dst_sel:BYTE_1 dst_unused:UNUSED_PAD src0_sel:DWORD src1_sel:DWORD
	v_xor_b32_sdwa v6, v17, s16 dst_sel:DWORD dst_unused:UNUSED_PAD src0_sel:WORD_1 src1_sel:DWORD
	v_xor_b32_sdwa v7, v17, s16 dst_sel:BYTE_1 dst_unused:UNUSED_PAD src0_sel:BYTE_3 src1_sel:DWORD
	v_or_b32_sdwa v0, v0, v1 dst_sel:DWORD dst_unused:UNUSED_PAD src0_sel:BYTE_0 src1_sel:DWORD
	v_or_b32_sdwa v1, v2, v3 dst_sel:WORD_1 dst_unused:UNUSED_PAD src0_sel:BYTE_0 src1_sel:DWORD
	v_or_b32_sdwa v0, v0, v1 dst_sel:DWORD dst_unused:UNUSED_PAD src0_sel:WORD_0 src1_sel:DWORD
	v_or_b32_sdwa v1, v4, v5 dst_sel:DWORD dst_unused:UNUSED_PAD src0_sel:BYTE_0 src1_sel:DWORD
	v_or_b32_sdwa v2, v6, v7 dst_sel:WORD_1 dst_unused:UNUSED_PAD src0_sel:BYTE_0 src1_sel:DWORD
	v_or_b32_sdwa v1, v1, v2 dst_sel:DWORD dst_unused:UNUSED_PAD src0_sel:WORD_0 src1_sel:DWORD
.LBB100_84:
	s_waitcnt lgkmcnt(0)
	s_barrier
	ds_write_b64 v52, v[0:1]
	s_waitcnt lgkmcnt(0)
	s_barrier
	ds_read_u8 v8, v45 offset:512
	ds_read_u8 v7, v46 offset:1024
	;; [unrolled: 1-line block ×7, first 2 shown]
	v_mov_b32_e32 v1, s41
	v_add_co_u32_e32 v0, vcc, s40, v37
	v_addc_co_u32_e32 v1, vcc, 0, v1, vcc
	s_and_saveexec_b64 s[16:17], s[0:1]
	s_cbranch_execnz .LBB100_103
; %bb.85:
	s_or_b64 exec, exec, s[16:17]
	s_and_saveexec_b64 s[16:17], s[2:3]
	s_cbranch_execnz .LBB100_104
.LBB100_86:
	s_or_b64 exec, exec, s[16:17]
	s_and_saveexec_b64 s[16:17], s[4:5]
	s_cbranch_execnz .LBB100_105
.LBB100_87:
	s_or_b64 exec, exec, s[16:17]
	s_and_saveexec_b64 s[16:17], s[6:7]
	s_cbranch_execnz .LBB100_106
.LBB100_88:
	s_or_b64 exec, exec, s[16:17]
	s_and_saveexec_b64 s[16:17], s[8:9]
	s_cbranch_execnz .LBB100_107
.LBB100_89:
	s_or_b64 exec, exec, s[16:17]
	s_and_saveexec_b64 s[16:17], s[10:11]
	s_cbranch_execnz .LBB100_108
.LBB100_90:
	s_or_b64 exec, exec, s[16:17]
	s_and_saveexec_b64 s[16:17], s[12:13]
	s_cbranch_execnz .LBB100_109
.LBB100_91:
	s_or_b64 exec, exec, s[16:17]
	s_and_saveexec_b64 s[16:17], s[14:15]
	s_cbranch_execz .LBB100_93
.LBB100_92:
	s_mul_i32 s18, s38, 0xe00
	v_add_co_u32_e32 v0, vcc, s18, v0
	v_addc_co_u32_e32 v1, vcc, 0, v1, vcc
	s_waitcnt lgkmcnt(0)
	global_store_byte v[0:1], v2, off
.LBB100_93:
	s_or_b64 exec, exec, s[16:17]
	s_waitcnt lgkmcnt(0)
	s_barrier
	ds_write2_b64 v60, v[18:19], v[20:21] offset1:1
	ds_write2_b64 v60, v[22:23], v[24:25] offset0:2 offset1:3
	ds_write2_b64 v60, v[26:27], v[28:29] offset0:4 offset1:5
	;; [unrolled: 1-line block ×3, first 2 shown]
	s_waitcnt lgkmcnt(0)
	s_barrier
	ds_read_b64 v[14:15], v35 offset:4096
	ds_read_b64 v[12:13], v54 offset:8192
	;; [unrolled: 1-line block ×7, first 2 shown]
	v_mov_b32_e32 v35, 0
	v_lshlrev_b64 v[2:3], 3, v[34:35]
	v_mov_b32_e32 v16, s35
	v_add_co_u32_e32 v2, vcc, s33, v2
	v_addc_co_u32_e32 v3, vcc, v16, v3, vcc
	s_and_saveexec_b64 s[16:17], s[0:1]
	s_cbranch_execnz .LBB100_110
; %bb.94:
	s_or_b64 exec, exec, s[16:17]
	s_and_saveexec_b64 s[0:1], s[2:3]
	s_cbranch_execnz .LBB100_111
.LBB100_95:
	s_or_b64 exec, exec, s[0:1]
	s_and_saveexec_b64 s[0:1], s[4:5]
	s_cbranch_execnz .LBB100_112
.LBB100_96:
	s_or_b64 exec, exec, s[0:1]
	s_and_saveexec_b64 s[0:1], s[6:7]
	s_cbranch_execnz .LBB100_113
.LBB100_97:
	s_or_b64 exec, exec, s[0:1]
	s_and_saveexec_b64 s[0:1], s[8:9]
	s_cbranch_execnz .LBB100_114
.LBB100_98:
	s_or_b64 exec, exec, s[0:1]
	s_and_saveexec_b64 s[0:1], s[10:11]
	s_cbranch_execnz .LBB100_115
.LBB100_99:
	s_or_b64 exec, exec, s[0:1]
	s_and_saveexec_b64 s[0:1], s[12:13]
	s_cbranch_execnz .LBB100_116
.LBB100_100:
	s_or_b64 exec, exec, s[0:1]
	s_and_saveexec_b64 s[0:1], s[14:15]
	s_cbranch_execz .LBB100_102
.LBB100_101:
	s_mul_i32 s0, s34, 0xe00
	s_mov_b32 s1, 0
	s_lshl_b64 s[0:1], s[0:1], 3
	s_waitcnt lgkmcnt(1)
	v_mov_b32_e32 v4, s1
	v_add_co_u32_e32 v2, vcc, s0, v2
	v_addc_co_u32_e32 v3, vcc, v3, v4, vcc
	s_waitcnt lgkmcnt(0)
	global_store_dwordx2 v[2:3], v[0:1], off
.LBB100_102:
	s_endpgm
.LBB100_103:
	ds_read_u8 v9, v44
	s_waitcnt lgkmcnt(0)
	global_store_byte v[0:1], v9, off
	s_or_b64 exec, exec, s[16:17]
	s_and_saveexec_b64 s[16:17], s[2:3]
	s_cbranch_execz .LBB100_86
.LBB100_104:
	s_lshl_b32 s18, s38, 9
	v_add_co_u32_e32 v10, vcc, s18, v0
	v_addc_co_u32_e32 v11, vcc, 0, v1, vcc
	s_waitcnt lgkmcnt(6)
	global_store_byte v[10:11], v8, off
	s_or_b64 exec, exec, s[16:17]
	s_and_saveexec_b64 s[16:17], s[4:5]
	s_cbranch_execz .LBB100_87
.LBB100_105:
	s_lshl_b32 s18, s38, 10
	s_waitcnt lgkmcnt(6)
	v_add_co_u32_e32 v8, vcc, s18, v0
	v_addc_co_u32_e32 v9, vcc, 0, v1, vcc
	s_waitcnt lgkmcnt(5)
	global_store_byte v[8:9], v7, off
	s_or_b64 exec, exec, s[16:17]
	s_and_saveexec_b64 s[16:17], s[6:7]
	s_cbranch_execz .LBB100_88
.LBB100_106:
	s_mul_i32 s18, s38, 0x600
	s_waitcnt lgkmcnt(6)
	v_add_co_u32_e32 v8, vcc, s18, v0
	v_addc_co_u32_e32 v9, vcc, 0, v1, vcc
	s_waitcnt lgkmcnt(4)
	global_store_byte v[8:9], v6, off
	s_or_b64 exec, exec, s[16:17]
	s_and_saveexec_b64 s[16:17], s[8:9]
	s_cbranch_execz .LBB100_89
.LBB100_107:
	s_lshl_b32 s18, s38, 11
	s_waitcnt lgkmcnt(4)
	v_add_co_u32_e32 v6, vcc, s18, v0
	v_addc_co_u32_e32 v7, vcc, 0, v1, vcc
	s_waitcnt lgkmcnt(3)
	global_store_byte v[6:7], v5, off
	s_or_b64 exec, exec, s[16:17]
	s_and_saveexec_b64 s[16:17], s[10:11]
	s_cbranch_execz .LBB100_90
.LBB100_108:
	s_mul_i32 s18, s38, 0xa00
	s_waitcnt lgkmcnt(4)
	v_add_co_u32_e32 v6, vcc, s18, v0
	v_addc_co_u32_e32 v7, vcc, 0, v1, vcc
	s_waitcnt lgkmcnt(2)
	global_store_byte v[6:7], v4, off
	s_or_b64 exec, exec, s[16:17]
	s_and_saveexec_b64 s[16:17], s[12:13]
	s_cbranch_execz .LBB100_91
.LBB100_109:
	s_mul_i32 s18, s38, 0xc00
	s_waitcnt lgkmcnt(2)
	v_add_co_u32_e32 v4, vcc, s18, v0
	v_addc_co_u32_e32 v5, vcc, 0, v1, vcc
	s_waitcnt lgkmcnt(1)
	global_store_byte v[4:5], v3, off
	s_or_b64 exec, exec, s[16:17]
	s_and_saveexec_b64 s[16:17], s[14:15]
	s_cbranch_execnz .LBB100_92
	s_branch .LBB100_93
.LBB100_110:
	ds_read_b64 v[16:17], v41
	s_waitcnt lgkmcnt(0)
	global_store_dwordx2 v[2:3], v[16:17], off
	s_or_b64 exec, exec, s[16:17]
	s_and_saveexec_b64 s[0:1], s[2:3]
	s_cbranch_execz .LBB100_95
.LBB100_111:
	s_lshl_b32 s2, s34, 9
	s_mov_b32 s3, 0
	s_lshl_b64 s[2:3], s[2:3], 3
	v_mov_b32_e32 v17, s3
	v_add_co_u32_e32 v16, vcc, s2, v2
	v_addc_co_u32_e32 v17, vcc, v3, v17, vcc
	s_waitcnt lgkmcnt(6)
	global_store_dwordx2 v[16:17], v[14:15], off
	s_or_b64 exec, exec, s[0:1]
	s_and_saveexec_b64 s[0:1], s[4:5]
	s_cbranch_execz .LBB100_96
.LBB100_112:
	s_lshl_b32 s2, s34, 10
	s_mov_b32 s3, 0
	s_lshl_b64 s[2:3], s[2:3], 3
	s_waitcnt lgkmcnt(6)
	v_mov_b32_e32 v15, s3
	v_add_co_u32_e32 v14, vcc, s2, v2
	v_addc_co_u32_e32 v15, vcc, v3, v15, vcc
	s_waitcnt lgkmcnt(5)
	global_store_dwordx2 v[14:15], v[12:13], off
	s_or_b64 exec, exec, s[0:1]
	s_and_saveexec_b64 s[0:1], s[6:7]
	s_cbranch_execz .LBB100_97
.LBB100_113:
	s_mul_i32 s2, s34, 0x600
	s_mov_b32 s3, 0
	s_lshl_b64 s[2:3], s[2:3], 3
	s_waitcnt lgkmcnt(5)
	v_mov_b32_e32 v13, s3
	v_add_co_u32_e32 v12, vcc, s2, v2
	v_addc_co_u32_e32 v13, vcc, v3, v13, vcc
	s_waitcnt lgkmcnt(4)
	global_store_dwordx2 v[12:13], v[10:11], off
	s_or_b64 exec, exec, s[0:1]
	s_and_saveexec_b64 s[0:1], s[8:9]
	s_cbranch_execz .LBB100_98
.LBB100_114:
	s_lshl_b32 s2, s34, 11
	s_mov_b32 s3, 0
	s_lshl_b64 s[2:3], s[2:3], 3
	s_waitcnt lgkmcnt(4)
	v_mov_b32_e32 v11, s3
	v_add_co_u32_e32 v10, vcc, s2, v2
	v_addc_co_u32_e32 v11, vcc, v3, v11, vcc
	s_waitcnt lgkmcnt(3)
	global_store_dwordx2 v[10:11], v[8:9], off
	s_or_b64 exec, exec, s[0:1]
	s_and_saveexec_b64 s[0:1], s[10:11]
	s_cbranch_execz .LBB100_99
.LBB100_115:
	s_mul_i32 s2, s34, 0xa00
	s_mov_b32 s3, 0
	s_lshl_b64 s[2:3], s[2:3], 3
	s_waitcnt lgkmcnt(3)
	v_mov_b32_e32 v9, s3
	v_add_co_u32_e32 v8, vcc, s2, v2
	v_addc_co_u32_e32 v9, vcc, v3, v9, vcc
	s_waitcnt lgkmcnt(2)
	global_store_dwordx2 v[8:9], v[6:7], off
	s_or_b64 exec, exec, s[0:1]
	s_and_saveexec_b64 s[0:1], s[12:13]
	s_cbranch_execz .LBB100_100
.LBB100_116:
	s_mul_i32 s2, s34, 0xc00
	s_mov_b32 s3, 0
	s_lshl_b64 s[2:3], s[2:3], 3
	s_waitcnt lgkmcnt(2)
	v_mov_b32_e32 v7, s3
	v_add_co_u32_e32 v6, vcc, s2, v2
	v_addc_co_u32_e32 v7, vcc, v3, v7, vcc
	s_waitcnt lgkmcnt(1)
	global_store_dwordx2 v[6:7], v[4:5], off
	s_or_b64 exec, exec, s[0:1]
	s_and_saveexec_b64 s[0:1], s[14:15]
	s_cbranch_execnz .LBB100_101
	s_branch .LBB100_102
	.section	.rodata,"a",@progbits
	.p2align	6, 0x0
	.amdhsa_kernel _ZN2at6native18radixSortKVInPlaceILin2ELin1ELi512ELi8EaljEEvNS_4cuda6detail10TensorInfoIT3_T5_EES6_S6_S6_NS4_IT4_S6_EES6_b
		.amdhsa_group_segment_fixed_size 33792
		.amdhsa_private_segment_fixed_size 0
		.amdhsa_kernarg_size 712
		.amdhsa_user_sgpr_count 6
		.amdhsa_user_sgpr_private_segment_buffer 1
		.amdhsa_user_sgpr_dispatch_ptr 0
		.amdhsa_user_sgpr_queue_ptr 0
		.amdhsa_user_sgpr_kernarg_segment_ptr 1
		.amdhsa_user_sgpr_dispatch_id 0
		.amdhsa_user_sgpr_flat_scratch_init 0
		.amdhsa_user_sgpr_kernarg_preload_length 0
		.amdhsa_user_sgpr_kernarg_preload_offset 0
		.amdhsa_user_sgpr_private_segment_size 0
		.amdhsa_uses_dynamic_stack 0
		.amdhsa_system_sgpr_private_segment_wavefront_offset 0
		.amdhsa_system_sgpr_workgroup_id_x 1
		.amdhsa_system_sgpr_workgroup_id_y 1
		.amdhsa_system_sgpr_workgroup_id_z 1
		.amdhsa_system_sgpr_workgroup_info 0
		.amdhsa_system_vgpr_workitem_id 2
		.amdhsa_next_free_vgpr 109
		.amdhsa_next_free_sgpr 46
		.amdhsa_accum_offset 112
		.amdhsa_reserve_vcc 1
		.amdhsa_reserve_flat_scratch 0
		.amdhsa_float_round_mode_32 0
		.amdhsa_float_round_mode_16_64 0
		.amdhsa_float_denorm_mode_32 3
		.amdhsa_float_denorm_mode_16_64 3
		.amdhsa_dx10_clamp 1
		.amdhsa_ieee_mode 1
		.amdhsa_fp16_overflow 0
		.amdhsa_tg_split 0
		.amdhsa_exception_fp_ieee_invalid_op 0
		.amdhsa_exception_fp_denorm_src 0
		.amdhsa_exception_fp_ieee_div_zero 0
		.amdhsa_exception_fp_ieee_overflow 0
		.amdhsa_exception_fp_ieee_underflow 0
		.amdhsa_exception_fp_ieee_inexact 0
		.amdhsa_exception_int_div_zero 0
	.end_amdhsa_kernel
	.section	.text._ZN2at6native18radixSortKVInPlaceILin2ELin1ELi512ELi8EaljEEvNS_4cuda6detail10TensorInfoIT3_T5_EES6_S6_S6_NS4_IT4_S6_EES6_b,"axG",@progbits,_ZN2at6native18radixSortKVInPlaceILin2ELin1ELi512ELi8EaljEEvNS_4cuda6detail10TensorInfoIT3_T5_EES6_S6_S6_NS4_IT4_S6_EES6_b,comdat
.Lfunc_end100:
	.size	_ZN2at6native18radixSortKVInPlaceILin2ELin1ELi512ELi8EaljEEvNS_4cuda6detail10TensorInfoIT3_T5_EES6_S6_S6_NS4_IT4_S6_EES6_b, .Lfunc_end100-_ZN2at6native18radixSortKVInPlaceILin2ELin1ELi512ELi8EaljEEvNS_4cuda6detail10TensorInfoIT3_T5_EES6_S6_S6_NS4_IT4_S6_EES6_b
                                        ; -- End function
	.section	.AMDGPU.csdata,"",@progbits
; Kernel info:
; codeLenInByte = 11976
; NumSgprs: 50
; NumVgprs: 109
; NumAgprs: 0
; TotalNumVgprs: 109
; ScratchSize: 0
; MemoryBound: 0
; FloatMode: 240
; IeeeMode: 1
; LDSByteSize: 33792 bytes/workgroup (compile time only)
; SGPRBlocks: 6
; VGPRBlocks: 13
; NumSGPRsForWavesPerEU: 50
; NumVGPRsForWavesPerEU: 109
; AccumOffset: 112
; Occupancy: 2
; WaveLimiterHint : 1
; COMPUTE_PGM_RSRC2:SCRATCH_EN: 0
; COMPUTE_PGM_RSRC2:USER_SGPR: 6
; COMPUTE_PGM_RSRC2:TRAP_HANDLER: 0
; COMPUTE_PGM_RSRC2:TGID_X_EN: 1
; COMPUTE_PGM_RSRC2:TGID_Y_EN: 1
; COMPUTE_PGM_RSRC2:TGID_Z_EN: 1
; COMPUTE_PGM_RSRC2:TIDIG_COMP_CNT: 2
; COMPUTE_PGM_RSRC3_GFX90A:ACCUM_OFFSET: 27
; COMPUTE_PGM_RSRC3_GFX90A:TG_SPLIT: 0
	.section	.text._ZN2at6native18radixSortKVInPlaceILin2ELin1ELi256ELi8EaljEEvNS_4cuda6detail10TensorInfoIT3_T5_EES6_S6_S6_NS4_IT4_S6_EES6_b,"axG",@progbits,_ZN2at6native18radixSortKVInPlaceILin2ELin1ELi256ELi8EaljEEvNS_4cuda6detail10TensorInfoIT3_T5_EES6_S6_S6_NS4_IT4_S6_EES6_b,comdat
	.protected	_ZN2at6native18radixSortKVInPlaceILin2ELin1ELi256ELi8EaljEEvNS_4cuda6detail10TensorInfoIT3_T5_EES6_S6_S6_NS4_IT4_S6_EES6_b ; -- Begin function _ZN2at6native18radixSortKVInPlaceILin2ELin1ELi256ELi8EaljEEvNS_4cuda6detail10TensorInfoIT3_T5_EES6_S6_S6_NS4_IT4_S6_EES6_b
	.globl	_ZN2at6native18radixSortKVInPlaceILin2ELin1ELi256ELi8EaljEEvNS_4cuda6detail10TensorInfoIT3_T5_EES6_S6_S6_NS4_IT4_S6_EES6_b
	.p2align	8
	.type	_ZN2at6native18radixSortKVInPlaceILin2ELin1ELi256ELi8EaljEEvNS_4cuda6detail10TensorInfoIT3_T5_EES6_S6_S6_NS4_IT4_S6_EES6_b,@function
_ZN2at6native18radixSortKVInPlaceILin2ELin1ELi256ELi8EaljEEvNS_4cuda6detail10TensorInfoIT3_T5_EES6_S6_S6_NS4_IT4_S6_EES6_b: ; @_ZN2at6native18radixSortKVInPlaceILin2ELin1ELi256ELi8EaljEEvNS_4cuda6detail10TensorInfoIT3_T5_EES6_S6_S6_NS4_IT4_S6_EES6_b
; %bb.0:
	s_load_dwordx2 s[0:1], s[4:5], 0x1c8
	s_load_dwordx4 s[36:39], s[4:5], 0xd8
	s_add_u32 s42, s4, 0x1c8
	s_addc_u32 s43, s5, 0
	s_waitcnt lgkmcnt(0)
	s_mul_i32 s1, s1, s8
	s_add_i32 s1, s1, s7
	s_mul_i32 s0, s1, s0
	s_add_i32 s6, s0, s6
	s_cmp_ge_u32 s6, s36
	s_cbranch_scc1 .LBB101_102
; %bb.1:
	s_load_dword s2, s[4:5], 0x1b8
	s_load_dwordx2 s[0:1], s[4:5], 0x0
	s_add_u32 s14, s4, 0xe8
	s_addc_u32 s15, s5, 0
	s_mov_b32 s17, 0
	s_waitcnt lgkmcnt(0)
	s_cmp_lt_i32 s2, 2
	s_mov_b32 s16, s6
	s_cbranch_scc1 .LBB101_4
; %bb.2:
	s_add_i32 s16, s2, -1
	s_add_i32 s7, s2, 1
	s_lshl_b64 s[2:3], s[16:17], 2
	s_add_u32 s2, s2, s14
	s_addc_u32 s3, s3, s15
	s_add_u32 s2, s2, 8
	s_addc_u32 s3, s3, 0
	s_mov_b32 s16, s6
.LBB101_3:                              ; =>This Inner Loop Header: Depth=1
	s_load_dword s8, s[2:3], 0x0
	s_load_dword s10, s[2:3], 0x64
	s_mov_b32 s9, s16
	s_waitcnt lgkmcnt(0)
	v_cvt_f32_u32_e32 v1, s8
	s_sub_i32 s11, 0, s8
	v_rcp_iflag_f32_e32 v1, v1
	v_mul_f32_e32 v1, 0x4f7ffffe, v1
	v_cvt_u32_f32_e32 v1, v1
	v_readfirstlane_b32 s12, v1
	s_mul_i32 s11, s11, s12
	s_mul_hi_u32 s11, s12, s11
	s_add_i32 s12, s12, s11
	s_mul_hi_u32 s11, s16, s12
	s_mul_i32 s12, s11, s8
	s_sub_i32 s12, s16, s12
	s_add_i32 s13, s11, 1
	s_sub_i32 s16, s12, s8
	s_cmp_ge_u32 s12, s8
	s_cselect_b32 s11, s13, s11
	s_cselect_b32 s12, s16, s12
	s_add_i32 s13, s11, 1
	s_cmp_ge_u32 s12, s8
	s_cselect_b32 s16, s13, s11
	s_mul_i32 s8, s16, s8
	s_sub_i32 s8, s9, s8
	s_mul_i32 s8, s10, s8
	s_add_i32 s7, s7, -1
	s_add_i32 s17, s8, s17
	s_add_u32 s2, s2, -4
	s_addc_u32 s3, s3, -1
	s_cmp_gt_u32 s7, 2
	s_cbranch_scc1 .LBB101_3
.LBB101_4:
	s_load_dword s2, s[4:5], 0x6c
	s_load_dwordx2 s[34:35], s[4:5], 0x1c0
	s_movk_i32 s5, 0x80
	v_and_b32_e32 v36, 0x3ff, v0
	v_mul_lo_u32 v37, v36, s38
	s_waitcnt lgkmcnt(0)
	s_mul_i32 s4, s2, s6
	s_bitcmp1_b32 s35, 0
	s_cselect_b64 s[44:45], -1, 0
	s_and_b64 s[2:3], s[44:45], exec
	s_cselect_b32 s2, s5, 0x7f
	v_lshlrev_b16_e64 v2, 8, s2
	v_or_b32_e32 v2, s2, v2
	v_lshlrev_b32_e32 v3, 16, v2
	s_add_u32 s40, s0, s4
	v_or_b32_sdwa v2, v2, v3 dst_sel:DWORD dst_unused:UNUSED_PAD src0_sel:WORD_0 src1_sel:DWORD
	s_addc_u32 s41, s1, 0
	v_mov_b32_e32 v1, s2
	v_mov_b32_e32 v3, v2
	v_cmp_gt_u32_e64 s[0:1], s37, v36
	s_and_saveexec_b64 s[2:3], s[0:1]
	s_cbranch_execz .LBB101_6
; %bb.5:
	global_load_ubyte v1, v37, s[40:41]
	s_mov_b32 s4, 0x3020104
	v_mov_b32_e32 v5, v2
	s_waitcnt vmcnt(0)
	v_perm_b32 v4, v1, v2, s4
	v_pk_mov_b32 v[2:3], v[4:5], v[4:5] op_sel:[0,1]
.LBB101_6:
	s_or_b64 exec, exec, s[2:3]
	v_add_u32_e32 v32, 0x100, v36
	v_cmp_gt_u32_e64 s[2:3], s37, v32
	s_and_saveexec_b64 s[4:5], s[2:3]
	s_cbranch_execz .LBB101_8
; %bb.7:
	v_mul_lo_u32 v4, v32, s38
	global_load_ubyte v4, v4, s[40:41]
	s_mov_b32 s6, 0x7060004
	s_waitcnt vmcnt(0)
	v_perm_b32 v2, v2, v4, s6
.LBB101_8:
	s_or_b64 exec, exec, s[4:5]
	v_add_u32_e32 v31, 0x200, v36
	v_cmp_gt_u32_e64 s[4:5], s37, v31
	s_and_saveexec_b64 s[6:7], s[4:5]
	s_cbranch_execz .LBB101_10
; %bb.9:
	v_mul_lo_u32 v4, v31, s38
	global_load_ubyte v4, v4, s[40:41]
	s_movk_i32 s8, 0xff00
	v_and_b32_sdwa v5, v2, s8 dst_sel:DWORD dst_unused:UNUSED_PAD src0_sel:WORD_1 src1_sel:DWORD
	s_mov_b32 s8, 0xffff
	s_waitcnt vmcnt(0)
	v_or_b32_sdwa v4, v4, v5 dst_sel:WORD_1 dst_unused:UNUSED_PAD src0_sel:DWORD src1_sel:DWORD
	v_and_or_b32 v2, v2, s8, v4
.LBB101_10:
	s_or_b64 exec, exec, s[6:7]
	v_add_u32_e32 v30, 0x300, v36
	v_cmp_gt_u32_e64 s[6:7], s37, v30
	s_and_saveexec_b64 s[8:9], s[6:7]
	s_cbranch_execz .LBB101_12
; %bb.11:
	v_mul_lo_u32 v4, v30, s38
	global_load_ubyte v4, v4, s[40:41]
	s_movk_i32 s10, 0xff
	v_and_b32_sdwa v5, v2, s10 dst_sel:DWORD dst_unused:UNUSED_PAD src0_sel:WORD_1 src1_sel:DWORD
	s_mov_b32 s10, 0xffff
	s_waitcnt vmcnt(0)
	v_lshlrev_b16_e32 v4, 8, v4
	v_or_b32_sdwa v4, v5, v4 dst_sel:WORD_1 dst_unused:UNUSED_PAD src0_sel:DWORD src1_sel:DWORD
	v_and_or_b32 v2, v2, s10, v4
.LBB101_12:
	s_or_b64 exec, exec, s[8:9]
	v_or_b32_e32 v29, 0x400, v36
	v_cmp_gt_u32_e64 s[8:9], s37, v29
	s_and_saveexec_b64 s[10:11], s[8:9]
	s_cbranch_execz .LBB101_14
; %bb.13:
	v_mul_lo_u32 v4, v29, s38
	global_load_ubyte v4, v4, s[40:41]
	s_mov_b32 s12, 0x3020104
	s_waitcnt vmcnt(0)
	v_perm_b32 v3, v4, v3, s12
.LBB101_14:
	s_or_b64 exec, exec, s[10:11]
	v_add_u32_e32 v28, 0x500, v36
	v_cmp_gt_u32_e64 s[10:11], s37, v28
	s_and_saveexec_b64 s[12:13], s[10:11]
	s_cbranch_execz .LBB101_16
; %bb.15:
	v_mul_lo_u32 v4, v28, s38
	global_load_ubyte v4, v4, s[40:41]
	s_mov_b32 s18, 0x7060004
	s_waitcnt vmcnt(0)
	v_perm_b32 v3, v3, v4, s18
.LBB101_16:
	s_or_b64 exec, exec, s[12:13]
	s_load_dwordx2 s[18:19], s[14:15], 0x0
	v_add_u32_e32 v27, 0x600, v36
	v_cmp_gt_u32_e64 s[12:13], s37, v27
	s_and_saveexec_b64 s[20:21], s[12:13]
	s_cbranch_execz .LBB101_18
; %bb.17:
	v_mul_lo_u32 v4, v27, s38
	global_load_ubyte v4, v4, s[40:41]
	s_mov_b32 s22, 0x7000504
	s_waitcnt vmcnt(0)
	v_perm_b32 v3, v3, v4, s22
.LBB101_18:
	s_or_b64 exec, exec, s[20:21]
	s_load_dword s22, s[14:15], 0x6c
	v_add_u32_e32 v22, 0x700, v36
	v_cmp_gt_u32_e64 s[14:15], s37, v22
	s_and_saveexec_b64 s[20:21], s[14:15]
	s_cbranch_execz .LBB101_20
; %bb.19:
	v_mul_lo_u32 v4, v22, s38
	global_load_ubyte v4, v4, s[40:41]
	s_mov_b32 s23, 0x60504
	s_waitcnt vmcnt(0)
	v_perm_b32 v3, v3, v4, s23
.LBB101_20:
	s_or_b64 exec, exec, s[20:21]
	v_lshrrev_b32_e32 v26, 5, v36
	v_and_b32_e32 v4, 28, v26
	v_add_u32_e32 v44, v4, v36
	v_lshrrev_b32_e32 v25, 5, v32
	ds_write_b8 v44, v1
	v_and_b32_e32 v1, 60, v25
	v_lshrrev_b32_e32 v24, 5, v31
	v_add_u32_e32 v45, v1, v36
	v_and_b32_e32 v1, 60, v24
	v_lshrrev_b32_e32 v23, 5, v30
	v_add_u32_e32 v46, v1, v36
	;; [unrolled: 3-line block ×3, first 2 shown]
	v_and_b32_e32 v1, 60, v21
	v_lshrrev_b32_e32 v19, 5, v28
	v_lshrrev_b32_e32 v4, 8, v2
	v_add_u32_e32 v48, v1, v36
	v_and_b32_e32 v1, 0x7c, v19
	v_lshrrev_b32_e32 v18, 5, v27
	ds_write_b8 v45, v4 offset:256
	ds_write_b8_d16_hi v46, v2 offset:512
	v_lshrrev_b32_e32 v2, 24, v2
	v_add_u32_e32 v49, v1, v36
	v_and_b32_e32 v1, 0x7c, v18
	ds_write_b8 v47, v2 offset:768
	v_lshrrev_b32_e32 v2, 8, v3
	v_add_u32_e32 v50, v1, v36
	v_lshrrev_b32_e32 v1, 5, v22
	ds_write_b8 v48, v3 offset:1024
	ds_write_b8 v49, v2 offset:1280
	v_and_b32_e32 v2, 0x7c, v1
	v_lshrrev_b32_e32 v20, 2, v36
	v_add_u32_e32 v51, v2, v36
	v_lshlrev_b32_e32 v53, 3, v36
	v_and_b32_e32 v2, 0xfc, v20
	s_waitcnt lgkmcnt(0)
	s_mul_i32 s16, s22, s16
	ds_write_b8_d16_hi v50, v3 offset:1536
	v_lshrrev_b32_e32 v3, 24, v3
	v_add_u32_e32 v52, v2, v53
	s_add_i32 s16, s16, s17
	s_mov_b32 s17, 0
	ds_write_b8 v51, v3 offset:1792
	s_waitcnt lgkmcnt(0)
	s_barrier
	ds_read_b64 v[38:39], v52
	s_lshl_b64 s[20:21], s[16:17], 3
	s_add_u32 s33, s18, s20
	s_mov_b32 s16, s17
	s_addc_u32 s35, s19, s21
	s_mov_b32 s18, s17
	s_mov_b32 s19, s17
	;; [unrolled: 1-line block ×14, first 2 shown]
	v_pk_mov_b32 v[2:3], s[16:17], s[16:17] op_sel:[0,1]
	v_pk_mov_b32 v[4:5], s[18:19], s[18:19] op_sel:[0,1]
	;; [unrolled: 1-line block ×8, first 2 shown]
	v_pk_mov_b32 v[2:3], 0, 0
	v_mul_lo_u32 v34, v36, s34
	s_waitcnt lgkmcnt(0)
	s_barrier
	s_and_saveexec_b64 s[16:17], s[0:1]
	s_cbranch_execnz .LBB101_53
; %bb.21:
	s_or_b64 exec, exec, s[16:17]
	s_and_saveexec_b64 s[16:17], s[2:3]
	s_cbranch_execnz .LBB101_54
.LBB101_22:
	s_or_b64 exec, exec, s[16:17]
	s_and_saveexec_b64 s[16:17], s[4:5]
	s_cbranch_execnz .LBB101_55
.LBB101_23:
	s_or_b64 exec, exec, s[16:17]
	s_and_saveexec_b64 s[16:17], s[6:7]
	s_cbranch_execnz .LBB101_56
.LBB101_24:
	s_or_b64 exec, exec, s[16:17]
	s_and_saveexec_b64 s[16:17], s[8:9]
	s_cbranch_execnz .LBB101_57
.LBB101_25:
	s_or_b64 exec, exec, s[16:17]
	s_and_saveexec_b64 s[16:17], s[10:11]
	s_cbranch_execnz .LBB101_58
.LBB101_26:
	s_or_b64 exec, exec, s[16:17]
	s_and_saveexec_b64 s[16:17], s[12:13]
	s_cbranch_execnz .LBB101_59
.LBB101_27:
	s_or_b64 exec, exec, s[16:17]
	s_xor_b64 s[16:17], s[44:45], -1
	s_and_saveexec_b64 s[18:19], s[14:15]
	s_cbranch_execz .LBB101_29
.LBB101_28:
	v_mul_lo_u32 v16, v22, s34
	v_mov_b32_e32 v17, 0
	v_lshlrev_b64 v[16:17], 3, v[16:17]
	v_mov_b32_e32 v22, s35
	v_add_co_u32_e32 v16, vcc, s33, v16
	v_addc_co_u32_e32 v17, vcc, v22, v17, vcc
	global_load_dwordx2 v[16:17], v[16:17], off
.LBB101_29:
	s_or_b64 exec, exec, s[18:19]
	v_lshrrev_b64 v[40:41], 24, v[38:39]
	v_add_lshl_u32 v41, v26, v36, 3
	v_add_lshl_u32 v35, v25, v36, 3
	;; [unrolled: 1-line block ×9, first 2 shown]
	s_waitcnt vmcnt(0)
	ds_write_b64 v41, v[2:3]
	ds_write_b64 v35, v[4:5] offset:2048
	ds_write_b64 v54, v[6:7] offset:4096
	;; [unrolled: 1-line block ×7, first 2 shown]
	s_waitcnt lgkmcnt(0)
	s_barrier
	ds_read2_b64 v[14:17], v60 offset1:1
	ds_read2_b64 v[10:13], v60 offset0:2 offset1:3
	ds_read2_b64 v[6:9], v60 offset0:4 offset1:5
	ds_read2_b64 v[2:5], v60 offset0:6 offset1:7
	v_mbcnt_lo_u32_b32 v1, -1, 0
	v_mbcnt_hi_u32_b32 v61, -1, v1
	v_and_b32_e32 v63, 0x3c0, v36
	s_movk_i32 s18, 0x1e00
	v_add_lshl_u32 v71, v61, v63, 3
	v_and_or_b32 v70, v53, s18, v61
	v_lshrrev_b32_e32 v64, 8, v38
	v_lshrrev_b32_e32 v67, 8, v39
	s_and_b64 vcc, exec, s[16:17]
	v_bfe_u32 v65, v0, 10, 10
	v_bfe_u32 v66, v0, 20, 10
	v_lshlrev_b32_e32 v69, 3, v71
	v_lshlrev_b32_e32 v68, 3, v70
	;; [unrolled: 1-line block ×3, first 2 shown]
	s_waitcnt lgkmcnt(0)
	s_barrier
	s_cbranch_vccz .LBB101_60
; %bb.30:
	s_movk_i32 s16, 0x80
	v_xor_b32_sdwa v0, v67, s16 dst_sel:BYTE_1 dst_unused:UNUSED_PAD src0_sel:DWORD src1_sel:DWORD
	v_xor_b32_e32 v1, 0x80, v39
	v_or_b32_sdwa v0, v1, v0 dst_sel:DWORD dst_unused:UNUSED_PAD src0_sel:BYTE_0 src1_sel:DWORD
	v_xor_b32_sdwa v1, v39, s16 dst_sel:DWORD dst_unused:UNUSED_PAD src0_sel:BYTE_3 src1_sel:DWORD
	v_lshlrev_b16_e32 v1, 8, v1
	v_xor_b32_sdwa v18, v39, s16 dst_sel:DWORD dst_unused:UNUSED_PAD src0_sel:WORD_1 src1_sel:DWORD
	v_or_b32_sdwa v1, v18, v1 dst_sel:WORD_1 dst_unused:UNUSED_PAD src0_sel:BYTE_0 src1_sel:DWORD
	v_or_b32_sdwa v1, v0, v1 dst_sel:DWORD dst_unused:UNUSED_PAD src0_sel:WORD_0 src1_sel:DWORD
	v_xor_b32_sdwa v0, v64, s16 dst_sel:BYTE_1 dst_unused:UNUSED_PAD src0_sel:DWORD src1_sel:DWORD
	v_xor_b32_e32 v18, 0x80, v38
	v_or_b32_sdwa v0, v18, v0 dst_sel:DWORD dst_unused:UNUSED_PAD src0_sel:BYTE_0 src1_sel:DWORD
	v_xor_b32_sdwa v18, v40, s16 dst_sel:BYTE_1 dst_unused:UNUSED_PAD src0_sel:DWORD src1_sel:DWORD
	v_xor_b32_sdwa v19, v38, s16 dst_sel:DWORD dst_unused:UNUSED_PAD src0_sel:WORD_1 src1_sel:DWORD
	v_or_b32_sdwa v18, v19, v18 dst_sel:WORD_1 dst_unused:UNUSED_PAD src0_sel:BYTE_0 src1_sel:DWORD
	v_or_b32_sdwa v0, v0, v18 dst_sel:DWORD dst_unused:UNUSED_PAD src0_sel:WORD_0 src1_sel:DWORD
	s_getpc_b64 s[16:17]
	s_add_u32 s16, s16, _ZN7rocprim17ROCPRIM_400000_NS16block_radix_sortIaLj256ELj8ElLj1ELj1ELj0ELNS0_26block_radix_rank_algorithmE1ELNS0_18block_padding_hintE2ELNS0_4arch9wavefront6targetE1EE19radix_bits_per_passE@rel32@lo+4
	s_addc_u32 s17, s17, _ZN7rocprim17ROCPRIM_400000_NS16block_radix_sortIaLj256ELj8ElLj1ELj1ELj0ELNS0_26block_radix_rank_algorithmE1ELNS0_18block_padding_hintE2ELNS0_4arch9wavefront6targetE1EE19radix_bits_per_passE@rel32@hi+12
	ds_write_b64 v71, v[0:1]
	; wave barrier
	ds_read_u8 v72, v70
	ds_read_u8 v73, v70 offset:64
	ds_read_u8 v74, v70 offset:128
	ds_read_u8 v75, v70 offset:192
	ds_read_u8 v76, v70 offset:256
	ds_read_u8 v77, v70 offset:320
	ds_read_u8 v78, v70 offset:384
	ds_read_u8 v79, v70 offset:448
	s_waitcnt lgkmcnt(0)
	s_barrier
	ds_write2_b64 v69, v[14:15], v[16:17] offset1:1
	ds_write2_b64 v69, v[10:11], v[12:13] offset0:2 offset1:3
	ds_write2_b64 v69, v[6:7], v[8:9] offset0:4 offset1:5
	;; [unrolled: 1-line block ×3, first 2 shown]
	; wave barrier
	ds_read2st64_b64 v[30:33], v68 offset1:1
	ds_read2st64_b64 v[26:29], v68 offset0:2 offset1:3
	ds_read2st64_b64 v[22:25], v68 offset0:4 offset1:5
	ds_read2st64_b64 v[18:21], v68 offset0:6 offset1:7
	s_waitcnt lgkmcnt(0)
	s_barrier
	s_load_dword s18, s[16:17], 0x0
	s_load_dword s19, s[42:43], 0xc
	v_mov_b32_e32 v82, 2
	s_waitcnt lgkmcnt(0)
	s_min_u32 s18, s18, 8
	s_lshr_b32 s16, s19, 16
	s_and_b32 s17, s19, 0xffff
	v_mad_u32_u24 v0, v66, s16, v65
	v_mad_u64_u32 v[42:43], s[16:17], v0, s17, v[36:37]
	s_lshl_b32 s16, -1, s18
	s_not_b32 s18, s16
	v_lshrrev_b32_e32 v86, 6, v42
	v_and_b32_e32 v42, s18, v72
	v_lshlrev_b32_sdwa v1, v82, v42 dst_sel:DWORD dst_unused:UNUSED_PAD src0_sel:DWORD src1_sel:BYTE_0
	v_add_lshl_u32 v80, v86, v1, 2
	v_and_b32_e32 v1, 1, v42
	v_add_co_u32_e32 v43, vcc, -1, v1
	v_addc_co_u32_e64 v81, s[16:17], 0, -1, vcc
	v_cmp_ne_u32_e32 vcc, 0, v1
	v_xor_b32_e32 v1, vcc_hi, v81
	v_mov_b32_e32 v0, 0
	v_and_b32_e32 v81, exec_hi, v1
	v_lshlrev_b32_e32 v1, 30, v42
	v_xor_b32_e32 v43, vcc_lo, v43
	v_cmp_gt_i64_e32 vcc, 0, v[0:1]
	v_not_b32_e32 v1, v1
	v_ashrrev_i32_e32 v1, 31, v1
	v_and_b32_e32 v43, exec_lo, v43
	v_xor_b32_e32 v83, vcc_hi, v1
	v_xor_b32_e32 v1, vcc_lo, v1
	v_and_b32_e32 v43, v43, v1
	v_lshlrev_b32_e32 v1, 29, v42
	v_cmp_gt_i64_e32 vcc, 0, v[0:1]
	v_not_b32_e32 v1, v1
	v_ashrrev_i32_e32 v1, 31, v1
	v_and_b32_e32 v81, v81, v83
	v_xor_b32_e32 v83, vcc_hi, v1
	v_xor_b32_e32 v1, vcc_lo, v1
	v_and_b32_e32 v43, v43, v1
	v_lshlrev_b32_e32 v1, 28, v42
	v_cmp_gt_i64_e32 vcc, 0, v[0:1]
	v_not_b32_e32 v1, v1
	v_ashrrev_i32_e32 v1, 31, v1
	v_and_b32_e32 v81, v81, v83
	;; [unrolled: 8-line block ×5, first 2 shown]
	v_xor_b32_e32 v83, vcc_hi, v1
	v_xor_b32_e32 v1, vcc_lo, v1
	v_and_b32_e32 v81, v81, v83
	v_and_b32_e32 v83, v43, v1
	v_lshlrev_b32_e32 v1, 24, v42
	v_cmp_gt_i64_e32 vcc, 0, v[0:1]
	v_not_b32_e32 v1, v1
	v_ashrrev_i32_e32 v1, 31, v1
	v_xor_b32_e32 v42, vcc_hi, v1
	v_xor_b32_e32 v1, vcc_lo, v1
	v_and_b32_e32 v43, v81, v42
	v_and_b32_e32 v42, v83, v1
	v_mbcnt_lo_u32_b32 v1, v42, 0
	v_mbcnt_hi_u32_b32 v81, v43, v1
	v_cmp_eq_u32_e32 vcc, 0, v81
	v_cmp_ne_u64_e64 s[16:17], 0, v[42:43]
	s_and_b64 s[20:21], s[16:17], vcc
	ds_write2_b32 v62, v0, v0 offset0:4 offset1:5
	ds_write2_b32 v62, v0, v0 offset0:6 offset1:7
	s_waitcnt lgkmcnt(0)
	s_barrier
	s_waitcnt lgkmcnt(0)
	; wave barrier
	s_and_saveexec_b64 s[16:17], s[20:21]
	s_cbranch_execz .LBB101_32
; %bb.31:
	v_bcnt_u32_b32 v1, v42, 0
	v_bcnt_u32_b32 v1, v43, v1
	ds_write_b32 v80, v1 offset:16
.LBB101_32:
	s_or_b64 exec, exec, s[16:17]
	v_and_b32_e32 v42, s18, v73
	v_lshlrev_b32_sdwa v1, v82, v42 dst_sel:DWORD dst_unused:UNUSED_PAD src0_sel:DWORD src1_sel:BYTE_0
	v_add_lshl_u32 v83, v86, v1, 2
	v_and_b32_e32 v1, 1, v42
	v_add_co_u32_e32 v43, vcc, -1, v1
	v_addc_co_u32_e64 v84, s[16:17], 0, -1, vcc
	v_cmp_ne_u32_e32 vcc, 0, v1
	v_xor_b32_e32 v1, vcc_hi, v84
	v_and_b32_e32 v84, exec_hi, v1
	v_lshlrev_b32_e32 v1, 30, v42
	v_xor_b32_e32 v43, vcc_lo, v43
	v_cmp_gt_i64_e32 vcc, 0, v[0:1]
	v_not_b32_e32 v1, v1
	v_ashrrev_i32_e32 v1, 31, v1
	v_and_b32_e32 v43, exec_lo, v43
	v_xor_b32_e32 v85, vcc_hi, v1
	v_xor_b32_e32 v1, vcc_lo, v1
	v_and_b32_e32 v43, v43, v1
	v_lshlrev_b32_e32 v1, 29, v42
	v_cmp_gt_i64_e32 vcc, 0, v[0:1]
	v_not_b32_e32 v1, v1
	v_ashrrev_i32_e32 v1, 31, v1
	v_and_b32_e32 v84, v84, v85
	v_xor_b32_e32 v85, vcc_hi, v1
	v_xor_b32_e32 v1, vcc_lo, v1
	v_and_b32_e32 v43, v43, v1
	v_lshlrev_b32_e32 v1, 28, v42
	v_cmp_gt_i64_e32 vcc, 0, v[0:1]
	v_not_b32_e32 v1, v1
	v_ashrrev_i32_e32 v1, 31, v1
	v_and_b32_e32 v84, v84, v85
	;; [unrolled: 8-line block ×5, first 2 shown]
	v_xor_b32_e32 v85, vcc_hi, v1
	v_xor_b32_e32 v1, vcc_lo, v1
	v_and_b32_e32 v43, v43, v1
	v_lshlrev_b32_e32 v1, 24, v42
	v_cmp_gt_i64_e32 vcc, 0, v[0:1]
	v_not_b32_e32 v0, v1
	v_ashrrev_i32_e32 v0, 31, v0
	v_xor_b32_e32 v1, vcc_hi, v0
	v_xor_b32_e32 v0, vcc_lo, v0
	; wave barrier
	ds_read_b32 v82, v83 offset:16
	v_and_b32_e32 v84, v84, v85
	v_and_b32_e32 v0, v43, v0
	;; [unrolled: 1-line block ×3, first 2 shown]
	v_mbcnt_lo_u32_b32 v42, v0, 0
	v_mbcnt_hi_u32_b32 v84, v1, v42
	v_cmp_eq_u32_e32 vcc, 0, v84
	v_cmp_ne_u64_e64 s[16:17], 0, v[0:1]
	s_and_b64 s[20:21], s[16:17], vcc
	; wave barrier
	s_and_saveexec_b64 s[16:17], s[20:21]
	s_cbranch_execz .LBB101_34
; %bb.33:
	v_bcnt_u32_b32 v0, v0, 0
	v_bcnt_u32_b32 v0, v1, v0
	s_waitcnt lgkmcnt(0)
	v_add_u32_e32 v0, v82, v0
	ds_write_b32 v83, v0 offset:16
.LBB101_34:
	s_or_b64 exec, exec, s[16:17]
	v_and_b32_e32 v42, s18, v74
	v_and_b32_e32 v1, 1, v42
	v_add_co_u32_e32 v43, vcc, -1, v1
	v_mov_b32_e32 v89, 2
	v_addc_co_u32_e64 v88, s[16:17], 0, -1, vcc
	v_cmp_ne_u32_e32 vcc, 0, v1
	v_lshlrev_b32_sdwa v0, v89, v42 dst_sel:DWORD dst_unused:UNUSED_PAD src0_sel:DWORD src1_sel:BYTE_0
	v_xor_b32_e32 v1, vcc_hi, v88
	v_add_lshl_u32 v87, v86, v0, 2
	v_mov_b32_e32 v0, 0
	v_and_b32_e32 v88, exec_hi, v1
	v_lshlrev_b32_e32 v1, 30, v42
	v_xor_b32_e32 v43, vcc_lo, v43
	v_cmp_gt_i64_e32 vcc, 0, v[0:1]
	v_not_b32_e32 v1, v1
	v_ashrrev_i32_e32 v1, 31, v1
	v_and_b32_e32 v43, exec_lo, v43
	v_xor_b32_e32 v90, vcc_hi, v1
	v_xor_b32_e32 v1, vcc_lo, v1
	v_and_b32_e32 v43, v43, v1
	v_lshlrev_b32_e32 v1, 29, v42
	v_cmp_gt_i64_e32 vcc, 0, v[0:1]
	v_not_b32_e32 v1, v1
	v_ashrrev_i32_e32 v1, 31, v1
	v_and_b32_e32 v88, v88, v90
	v_xor_b32_e32 v90, vcc_hi, v1
	v_xor_b32_e32 v1, vcc_lo, v1
	v_and_b32_e32 v43, v43, v1
	v_lshlrev_b32_e32 v1, 28, v42
	v_cmp_gt_i64_e32 vcc, 0, v[0:1]
	v_not_b32_e32 v1, v1
	v_ashrrev_i32_e32 v1, 31, v1
	v_and_b32_e32 v88, v88, v90
	;; [unrolled: 8-line block ×5, first 2 shown]
	v_xor_b32_e32 v90, vcc_hi, v1
	v_xor_b32_e32 v1, vcc_lo, v1
	v_and_b32_e32 v88, v88, v90
	v_and_b32_e32 v90, v43, v1
	v_lshlrev_b32_e32 v1, 24, v42
	v_cmp_gt_i64_e32 vcc, 0, v[0:1]
	v_not_b32_e32 v1, v1
	v_ashrrev_i32_e32 v1, 31, v1
	v_xor_b32_e32 v42, vcc_hi, v1
	v_xor_b32_e32 v1, vcc_lo, v1
	; wave barrier
	ds_read_b32 v85, v87 offset:16
	v_and_b32_e32 v43, v88, v42
	v_and_b32_e32 v42, v90, v1
	v_mbcnt_lo_u32_b32 v1, v42, 0
	v_mbcnt_hi_u32_b32 v88, v43, v1
	v_cmp_eq_u32_e32 vcc, 0, v88
	v_cmp_ne_u64_e64 s[16:17], 0, v[42:43]
	s_and_b64 s[20:21], s[16:17], vcc
	; wave barrier
	s_and_saveexec_b64 s[16:17], s[20:21]
	s_cbranch_execz .LBB101_36
; %bb.35:
	v_bcnt_u32_b32 v1, v42, 0
	v_bcnt_u32_b32 v1, v43, v1
	s_waitcnt lgkmcnt(0)
	v_add_u32_e32 v1, v85, v1
	ds_write_b32 v87, v1 offset:16
.LBB101_36:
	s_or_b64 exec, exec, s[16:17]
	v_and_b32_e32 v42, s18, v75
	v_lshlrev_b32_sdwa v1, v89, v42 dst_sel:DWORD dst_unused:UNUSED_PAD src0_sel:DWORD src1_sel:BYTE_0
	v_add_lshl_u32 v90, v86, v1, 2
	v_and_b32_e32 v1, 1, v42
	v_add_co_u32_e32 v43, vcc, -1, v1
	v_addc_co_u32_e64 v91, s[16:17], 0, -1, vcc
	v_cmp_ne_u32_e32 vcc, 0, v1
	v_xor_b32_e32 v1, vcc_hi, v91
	v_and_b32_e32 v91, exec_hi, v1
	v_lshlrev_b32_e32 v1, 30, v42
	v_xor_b32_e32 v43, vcc_lo, v43
	v_cmp_gt_i64_e32 vcc, 0, v[0:1]
	v_not_b32_e32 v1, v1
	v_ashrrev_i32_e32 v1, 31, v1
	v_and_b32_e32 v43, exec_lo, v43
	v_xor_b32_e32 v92, vcc_hi, v1
	v_xor_b32_e32 v1, vcc_lo, v1
	v_and_b32_e32 v43, v43, v1
	v_lshlrev_b32_e32 v1, 29, v42
	v_cmp_gt_i64_e32 vcc, 0, v[0:1]
	v_not_b32_e32 v1, v1
	v_ashrrev_i32_e32 v1, 31, v1
	v_and_b32_e32 v91, v91, v92
	v_xor_b32_e32 v92, vcc_hi, v1
	v_xor_b32_e32 v1, vcc_lo, v1
	v_and_b32_e32 v43, v43, v1
	v_lshlrev_b32_e32 v1, 28, v42
	v_cmp_gt_i64_e32 vcc, 0, v[0:1]
	v_not_b32_e32 v1, v1
	v_ashrrev_i32_e32 v1, 31, v1
	v_and_b32_e32 v91, v91, v92
	;; [unrolled: 8-line block ×5, first 2 shown]
	v_xor_b32_e32 v92, vcc_hi, v1
	v_xor_b32_e32 v1, vcc_lo, v1
	v_and_b32_e32 v43, v43, v1
	v_lshlrev_b32_e32 v1, 24, v42
	v_cmp_gt_i64_e32 vcc, 0, v[0:1]
	v_not_b32_e32 v0, v1
	v_ashrrev_i32_e32 v0, 31, v0
	v_xor_b32_e32 v1, vcc_hi, v0
	v_xor_b32_e32 v0, vcc_lo, v0
	; wave barrier
	ds_read_b32 v89, v90 offset:16
	v_and_b32_e32 v91, v91, v92
	v_and_b32_e32 v0, v43, v0
	;; [unrolled: 1-line block ×3, first 2 shown]
	v_mbcnt_lo_u32_b32 v42, v0, 0
	v_mbcnt_hi_u32_b32 v91, v1, v42
	v_cmp_eq_u32_e32 vcc, 0, v91
	v_cmp_ne_u64_e64 s[16:17], 0, v[0:1]
	s_and_b64 s[20:21], s[16:17], vcc
	; wave barrier
	s_and_saveexec_b64 s[16:17], s[20:21]
	s_cbranch_execz .LBB101_38
; %bb.37:
	v_bcnt_u32_b32 v0, v0, 0
	v_bcnt_u32_b32 v0, v1, v0
	s_waitcnt lgkmcnt(0)
	v_add_u32_e32 v0, v89, v0
	ds_write_b32 v90, v0 offset:16
.LBB101_38:
	s_or_b64 exec, exec, s[16:17]
	v_and_b32_e32 v42, s18, v76
	v_and_b32_e32 v1, 1, v42
	v_add_co_u32_e32 v43, vcc, -1, v1
	v_mov_b32_e32 v95, 2
	v_addc_co_u32_e64 v94, s[16:17], 0, -1, vcc
	v_cmp_ne_u32_e32 vcc, 0, v1
	v_lshlrev_b32_sdwa v0, v95, v42 dst_sel:DWORD dst_unused:UNUSED_PAD src0_sel:DWORD src1_sel:BYTE_0
	v_xor_b32_e32 v1, vcc_hi, v94
	v_add_lshl_u32 v93, v86, v0, 2
	v_mov_b32_e32 v0, 0
	v_and_b32_e32 v94, exec_hi, v1
	v_lshlrev_b32_e32 v1, 30, v42
	v_xor_b32_e32 v43, vcc_lo, v43
	v_cmp_gt_i64_e32 vcc, 0, v[0:1]
	v_not_b32_e32 v1, v1
	v_ashrrev_i32_e32 v1, 31, v1
	v_and_b32_e32 v43, exec_lo, v43
	v_xor_b32_e32 v96, vcc_hi, v1
	v_xor_b32_e32 v1, vcc_lo, v1
	v_and_b32_e32 v43, v43, v1
	v_lshlrev_b32_e32 v1, 29, v42
	v_cmp_gt_i64_e32 vcc, 0, v[0:1]
	v_not_b32_e32 v1, v1
	v_ashrrev_i32_e32 v1, 31, v1
	v_and_b32_e32 v94, v94, v96
	v_xor_b32_e32 v96, vcc_hi, v1
	v_xor_b32_e32 v1, vcc_lo, v1
	v_and_b32_e32 v43, v43, v1
	v_lshlrev_b32_e32 v1, 28, v42
	v_cmp_gt_i64_e32 vcc, 0, v[0:1]
	v_not_b32_e32 v1, v1
	v_ashrrev_i32_e32 v1, 31, v1
	v_and_b32_e32 v94, v94, v96
	v_xor_b32_e32 v96, vcc_hi, v1
	v_xor_b32_e32 v1, vcc_lo, v1
	v_and_b32_e32 v43, v43, v1
	v_lshlrev_b32_e32 v1, 27, v42
	v_cmp_gt_i64_e32 vcc, 0, v[0:1]
	v_not_b32_e32 v1, v1
	v_ashrrev_i32_e32 v1, 31, v1
	v_and_b32_e32 v94, v94, v96
	v_xor_b32_e32 v96, vcc_hi, v1
	v_xor_b32_e32 v1, vcc_lo, v1
	v_and_b32_e32 v43, v43, v1
	v_lshlrev_b32_e32 v1, 26, v42
	v_cmp_gt_i64_e32 vcc, 0, v[0:1]
	v_not_b32_e32 v1, v1
	v_ashrrev_i32_e32 v1, 31, v1
	v_and_b32_e32 v94, v94, v96
	v_xor_b32_e32 v96, vcc_hi, v1
	v_xor_b32_e32 v1, vcc_lo, v1
	v_and_b32_e32 v43, v43, v1
	v_lshlrev_b32_e32 v1, 25, v42
	v_cmp_gt_i64_e32 vcc, 0, v[0:1]
	v_not_b32_e32 v1, v1
	v_ashrrev_i32_e32 v1, 31, v1
	v_and_b32_e32 v94, v94, v96
	v_xor_b32_e32 v96, vcc_hi, v1
	v_xor_b32_e32 v1, vcc_lo, v1
	v_and_b32_e32 v94, v94, v96
	v_and_b32_e32 v96, v43, v1
	v_lshlrev_b32_e32 v1, 24, v42
	v_cmp_gt_i64_e32 vcc, 0, v[0:1]
	v_not_b32_e32 v1, v1
	v_ashrrev_i32_e32 v1, 31, v1
	v_xor_b32_e32 v42, vcc_hi, v1
	v_xor_b32_e32 v1, vcc_lo, v1
	; wave barrier
	ds_read_b32 v92, v93 offset:16
	v_and_b32_e32 v43, v94, v42
	v_and_b32_e32 v42, v96, v1
	v_mbcnt_lo_u32_b32 v1, v42, 0
	v_mbcnt_hi_u32_b32 v94, v43, v1
	v_cmp_eq_u32_e32 vcc, 0, v94
	v_cmp_ne_u64_e64 s[16:17], 0, v[42:43]
	s_and_b64 s[20:21], s[16:17], vcc
	; wave barrier
	s_and_saveexec_b64 s[16:17], s[20:21]
	s_cbranch_execz .LBB101_40
; %bb.39:
	v_bcnt_u32_b32 v1, v42, 0
	v_bcnt_u32_b32 v1, v43, v1
	s_waitcnt lgkmcnt(0)
	v_add_u32_e32 v1, v92, v1
	ds_write_b32 v93, v1 offset:16
.LBB101_40:
	s_or_b64 exec, exec, s[16:17]
	v_and_b32_e32 v42, s18, v77
	v_lshlrev_b32_sdwa v1, v95, v42 dst_sel:DWORD dst_unused:UNUSED_PAD src0_sel:DWORD src1_sel:BYTE_0
	v_add_lshl_u32 v96, v86, v1, 2
	v_and_b32_e32 v1, 1, v42
	v_add_co_u32_e32 v43, vcc, -1, v1
	v_addc_co_u32_e64 v97, s[16:17], 0, -1, vcc
	v_cmp_ne_u32_e32 vcc, 0, v1
	v_xor_b32_e32 v1, vcc_hi, v97
	v_and_b32_e32 v97, exec_hi, v1
	v_lshlrev_b32_e32 v1, 30, v42
	v_xor_b32_e32 v43, vcc_lo, v43
	v_cmp_gt_i64_e32 vcc, 0, v[0:1]
	v_not_b32_e32 v1, v1
	v_ashrrev_i32_e32 v1, 31, v1
	v_and_b32_e32 v43, exec_lo, v43
	v_xor_b32_e32 v98, vcc_hi, v1
	v_xor_b32_e32 v1, vcc_lo, v1
	v_and_b32_e32 v43, v43, v1
	v_lshlrev_b32_e32 v1, 29, v42
	v_cmp_gt_i64_e32 vcc, 0, v[0:1]
	v_not_b32_e32 v1, v1
	v_ashrrev_i32_e32 v1, 31, v1
	v_and_b32_e32 v97, v97, v98
	v_xor_b32_e32 v98, vcc_hi, v1
	v_xor_b32_e32 v1, vcc_lo, v1
	v_and_b32_e32 v43, v43, v1
	v_lshlrev_b32_e32 v1, 28, v42
	v_cmp_gt_i64_e32 vcc, 0, v[0:1]
	v_not_b32_e32 v1, v1
	v_ashrrev_i32_e32 v1, 31, v1
	v_and_b32_e32 v97, v97, v98
	;; [unrolled: 8-line block ×5, first 2 shown]
	v_xor_b32_e32 v98, vcc_hi, v1
	v_xor_b32_e32 v1, vcc_lo, v1
	v_and_b32_e32 v43, v43, v1
	v_lshlrev_b32_e32 v1, 24, v42
	v_cmp_gt_i64_e32 vcc, 0, v[0:1]
	v_not_b32_e32 v0, v1
	v_ashrrev_i32_e32 v0, 31, v0
	v_xor_b32_e32 v1, vcc_hi, v0
	v_xor_b32_e32 v0, vcc_lo, v0
	; wave barrier
	ds_read_b32 v95, v96 offset:16
	v_and_b32_e32 v97, v97, v98
	v_and_b32_e32 v0, v43, v0
	;; [unrolled: 1-line block ×3, first 2 shown]
	v_mbcnt_lo_u32_b32 v42, v0, 0
	v_mbcnt_hi_u32_b32 v97, v1, v42
	v_cmp_eq_u32_e32 vcc, 0, v97
	v_cmp_ne_u64_e64 s[16:17], 0, v[0:1]
	s_and_b64 s[20:21], s[16:17], vcc
	; wave barrier
	s_and_saveexec_b64 s[16:17], s[20:21]
	s_cbranch_execz .LBB101_42
; %bb.41:
	v_bcnt_u32_b32 v0, v0, 0
	v_bcnt_u32_b32 v0, v1, v0
	s_waitcnt lgkmcnt(0)
	v_add_u32_e32 v0, v95, v0
	ds_write_b32 v96, v0 offset:16
.LBB101_42:
	s_or_b64 exec, exec, s[16:17]
	v_and_b32_e32 v42, s18, v78
	v_and_b32_e32 v1, 1, v42
	v_add_co_u32_e32 v43, vcc, -1, v1
	v_mov_b32_e32 v101, 2
	v_addc_co_u32_e64 v100, s[16:17], 0, -1, vcc
	v_cmp_ne_u32_e32 vcc, 0, v1
	v_lshlrev_b32_sdwa v0, v101, v42 dst_sel:DWORD dst_unused:UNUSED_PAD src0_sel:DWORD src1_sel:BYTE_0
	v_xor_b32_e32 v1, vcc_hi, v100
	v_add_lshl_u32 v99, v86, v0, 2
	v_mov_b32_e32 v0, 0
	v_and_b32_e32 v100, exec_hi, v1
	v_lshlrev_b32_e32 v1, 30, v42
	v_xor_b32_e32 v43, vcc_lo, v43
	v_cmp_gt_i64_e32 vcc, 0, v[0:1]
	v_not_b32_e32 v1, v1
	v_ashrrev_i32_e32 v1, 31, v1
	v_and_b32_e32 v43, exec_lo, v43
	v_xor_b32_e32 v102, vcc_hi, v1
	v_xor_b32_e32 v1, vcc_lo, v1
	v_and_b32_e32 v43, v43, v1
	v_lshlrev_b32_e32 v1, 29, v42
	v_cmp_gt_i64_e32 vcc, 0, v[0:1]
	v_not_b32_e32 v1, v1
	v_ashrrev_i32_e32 v1, 31, v1
	v_and_b32_e32 v100, v100, v102
	v_xor_b32_e32 v102, vcc_hi, v1
	v_xor_b32_e32 v1, vcc_lo, v1
	v_and_b32_e32 v43, v43, v1
	v_lshlrev_b32_e32 v1, 28, v42
	v_cmp_gt_i64_e32 vcc, 0, v[0:1]
	v_not_b32_e32 v1, v1
	v_ashrrev_i32_e32 v1, 31, v1
	v_and_b32_e32 v100, v100, v102
	;; [unrolled: 8-line block ×5, first 2 shown]
	v_xor_b32_e32 v102, vcc_hi, v1
	v_xor_b32_e32 v1, vcc_lo, v1
	v_and_b32_e32 v100, v100, v102
	v_and_b32_e32 v102, v43, v1
	v_lshlrev_b32_e32 v1, 24, v42
	v_cmp_gt_i64_e32 vcc, 0, v[0:1]
	v_not_b32_e32 v1, v1
	v_ashrrev_i32_e32 v1, 31, v1
	v_xor_b32_e32 v42, vcc_hi, v1
	v_xor_b32_e32 v1, vcc_lo, v1
	; wave barrier
	ds_read_b32 v98, v99 offset:16
	v_and_b32_e32 v43, v100, v42
	v_and_b32_e32 v42, v102, v1
	v_mbcnt_lo_u32_b32 v1, v42, 0
	v_mbcnt_hi_u32_b32 v100, v43, v1
	v_cmp_eq_u32_e32 vcc, 0, v100
	v_cmp_ne_u64_e64 s[16:17], 0, v[42:43]
	s_and_b64 s[20:21], s[16:17], vcc
	; wave barrier
	s_and_saveexec_b64 s[16:17], s[20:21]
	s_cbranch_execz .LBB101_44
; %bb.43:
	v_bcnt_u32_b32 v1, v42, 0
	v_bcnt_u32_b32 v1, v43, v1
	s_waitcnt lgkmcnt(0)
	v_add_u32_e32 v1, v98, v1
	ds_write_b32 v99, v1 offset:16
.LBB101_44:
	s_or_b64 exec, exec, s[16:17]
	v_and_b32_e32 v42, s18, v79
	v_lshlrev_b32_sdwa v1, v101, v42 dst_sel:DWORD dst_unused:UNUSED_PAD src0_sel:DWORD src1_sel:BYTE_0
	v_add_lshl_u32 v101, v86, v1, 2
	v_and_b32_e32 v1, 1, v42
	v_add_co_u32_e32 v43, vcc, -1, v1
	v_addc_co_u32_e64 v103, s[16:17], 0, -1, vcc
	v_cmp_ne_u32_e32 vcc, 0, v1
	v_xor_b32_e32 v1, vcc_hi, v103
	v_and_b32_e32 v103, exec_hi, v1
	v_lshlrev_b32_e32 v1, 30, v42
	v_xor_b32_e32 v43, vcc_lo, v43
	v_cmp_gt_i64_e32 vcc, 0, v[0:1]
	v_not_b32_e32 v1, v1
	v_ashrrev_i32_e32 v1, 31, v1
	v_and_b32_e32 v43, exec_lo, v43
	v_xor_b32_e32 v104, vcc_hi, v1
	v_xor_b32_e32 v1, vcc_lo, v1
	v_and_b32_e32 v43, v43, v1
	v_lshlrev_b32_e32 v1, 29, v42
	v_cmp_gt_i64_e32 vcc, 0, v[0:1]
	v_not_b32_e32 v1, v1
	v_ashrrev_i32_e32 v1, 31, v1
	v_and_b32_e32 v103, v103, v104
	v_xor_b32_e32 v104, vcc_hi, v1
	v_xor_b32_e32 v1, vcc_lo, v1
	v_and_b32_e32 v43, v43, v1
	v_lshlrev_b32_e32 v1, 28, v42
	v_cmp_gt_i64_e32 vcc, 0, v[0:1]
	v_not_b32_e32 v1, v1
	v_ashrrev_i32_e32 v1, 31, v1
	v_and_b32_e32 v103, v103, v104
	;; [unrolled: 8-line block ×5, first 2 shown]
	v_xor_b32_e32 v104, vcc_hi, v1
	v_xor_b32_e32 v1, vcc_lo, v1
	v_and_b32_e32 v43, v43, v1
	v_lshlrev_b32_e32 v1, 24, v42
	v_cmp_gt_i64_e32 vcc, 0, v[0:1]
	v_not_b32_e32 v0, v1
	v_ashrrev_i32_e32 v0, 31, v0
	v_xor_b32_e32 v1, vcc_hi, v0
	v_xor_b32_e32 v0, vcc_lo, v0
	; wave barrier
	ds_read_b32 v86, v101 offset:16
	v_and_b32_e32 v103, v103, v104
	v_and_b32_e32 v0, v43, v0
	;; [unrolled: 1-line block ×3, first 2 shown]
	v_mbcnt_lo_u32_b32 v42, v0, 0
	v_mbcnt_hi_u32_b32 v103, v1, v42
	v_cmp_eq_u32_e32 vcc, 0, v103
	v_cmp_ne_u64_e64 s[16:17], 0, v[0:1]
	v_add_u32_e32 v102, 16, v62
	s_and_b64 s[18:19], s[16:17], vcc
	; wave barrier
	s_and_saveexec_b64 s[16:17], s[18:19]
	s_cbranch_execz .LBB101_46
; %bb.45:
	v_bcnt_u32_b32 v0, v0, 0
	v_bcnt_u32_b32 v0, v1, v0
	s_waitcnt lgkmcnt(0)
	v_add_u32_e32 v0, v86, v0
	ds_write_b32 v101, v0 offset:16
.LBB101_46:
	s_or_b64 exec, exec, s[16:17]
	; wave barrier
	s_waitcnt lgkmcnt(0)
	s_barrier
	ds_read2_b32 v[0:1], v62 offset0:4 offset1:5
	ds_read2_b32 v[42:43], v102 offset0:2 offset1:3
	s_waitcnt lgkmcnt(1)
	v_add_u32_e32 v104, v1, v0
	s_waitcnt lgkmcnt(0)
	v_add3_u32 v43, v104, v42, v43
	v_and_b32_e32 v104, 15, v61
	v_cmp_ne_u32_e32 vcc, 0, v104
	v_mov_b32_dpp v105, v43 row_shr:1 row_mask:0xf bank_mask:0xf
	v_cndmask_b32_e32 v105, 0, v105, vcc
	v_add_u32_e32 v43, v105, v43
	v_cmp_lt_u32_e32 vcc, 1, v104
	s_nop 0
	v_mov_b32_dpp v105, v43 row_shr:2 row_mask:0xf bank_mask:0xf
	v_cndmask_b32_e32 v105, 0, v105, vcc
	v_add_u32_e32 v43, v43, v105
	v_cmp_lt_u32_e32 vcc, 3, v104
	s_nop 0
	;; [unrolled: 5-line block ×3, first 2 shown]
	v_mov_b32_dpp v105, v43 row_shr:8 row_mask:0xf bank_mask:0xf
	v_cndmask_b32_e32 v104, 0, v105, vcc
	v_add_u32_e32 v43, v43, v104
	v_bfe_i32 v105, v61, 4, 1
	v_cmp_lt_u32_e32 vcc, 31, v61
	v_mov_b32_dpp v104, v43 row_bcast:15 row_mask:0xf bank_mask:0xf
	v_and_b32_e32 v104, v105, v104
	v_add_u32_e32 v43, v43, v104
	v_min_u32_e32 v105, 0xc0, v63
	v_or_b32_e32 v105, 63, v105
	v_mov_b32_dpp v104, v43 row_bcast:31 row_mask:0xf bank_mask:0xf
	v_cndmask_b32_e32 v104, 0, v104, vcc
	v_add_u32_e32 v43, v43, v104
	v_lshrrev_b32_e32 v104, 6, v36
	v_cmp_eq_u32_e32 vcc, v105, v36
	s_and_saveexec_b64 s[16:17], vcc
	s_cbranch_execz .LBB101_48
; %bb.47:
	v_lshlrev_b32_e32 v105, 2, v104
	ds_write_b32 v105, v43
.LBB101_48:
	s_or_b64 exec, exec, s[16:17]
	v_cmp_gt_u32_e32 vcc, 4, v36
	s_waitcnt lgkmcnt(0)
	s_barrier
	s_and_saveexec_b64 s[16:17], vcc
	s_cbranch_execz .LBB101_50
; %bb.49:
	v_lshlrev_b32_e32 v105, 2, v36
	ds_read_b32 v106, v105
	v_and_b32_e32 v107, 3, v61
	v_cmp_ne_u32_e32 vcc, 0, v107
	s_waitcnt lgkmcnt(0)
	v_mov_b32_dpp v108, v106 row_shr:1 row_mask:0xf bank_mask:0xf
	v_cndmask_b32_e32 v108, 0, v108, vcc
	v_add_u32_e32 v106, v108, v106
	v_cmp_lt_u32_e32 vcc, 1, v107
	s_nop 0
	v_mov_b32_dpp v108, v106 row_shr:2 row_mask:0xf bank_mask:0xf
	v_cndmask_b32_e32 v107, 0, v108, vcc
	v_add_u32_e32 v106, v106, v107
	ds_write_b32 v105, v106
.LBB101_50:
	s_or_b64 exec, exec, s[16:17]
	v_cmp_lt_u32_e32 vcc, 63, v36
	v_mov_b32_e32 v105, 0
	s_waitcnt lgkmcnt(0)
	s_barrier
	s_and_saveexec_b64 s[16:17], vcc
	s_cbranch_execz .LBB101_52
; %bb.51:
	v_lshl_add_u32 v104, v104, 2, -4
	ds_read_b32 v105, v104
.LBB101_52:
	s_or_b64 exec, exec, s[16:17]
	v_add_u32_e32 v104, -1, v61
	v_and_b32_e32 v106, 64, v61
	v_cmp_lt_i32_e32 vcc, v104, v106
	v_cndmask_b32_e32 v104, v104, v61, vcc
	s_waitcnt lgkmcnt(0)
	v_add_u32_e32 v43, v105, v43
	v_lshlrev_b32_e32 v104, 2, v104
	ds_bpermute_b32 v43, v104, v43
	v_cmp_eq_u32_e32 vcc, 0, v61
	s_movk_i32 s16, 0x80
	s_waitcnt lgkmcnt(0)
	v_cndmask_b32_e32 v43, v43, v105, vcc
	v_cmp_ne_u32_e32 vcc, 0, v36
	v_cndmask_b32_e32 v43, 0, v43, vcc
	v_add_u32_e32 v0, v43, v0
	v_add_u32_e32 v1, v0, v1
	;; [unrolled: 1-line block ×3, first 2 shown]
	ds_write2_b32 v62, v43, v0 offset0:4 offset1:5
	ds_write2_b32 v102, v1, v42 offset0:2 offset1:3
	s_waitcnt lgkmcnt(0)
	s_barrier
	ds_read_b32 v0, v80 offset:16
	ds_read_b32 v1, v83 offset:16
	;; [unrolled: 1-line block ×8, first 2 shown]
	s_waitcnt lgkmcnt(7)
	v_add_u32_e32 v81, v0, v81
	s_waitcnt lgkmcnt(6)
	v_add3_u32 v82, v84, v82, v1
	s_waitcnt lgkmcnt(5)
	v_add3_u32 v42, v88, v85, v42
	;; [unrolled: 2-line block ×7, first 2 shown]
	s_barrier
	ds_write_b8 v81, v72
	ds_write_b8 v82, v73
	;; [unrolled: 1-line block ×8, first 2 shown]
	v_lshlrev_b32_e32 v74, 3, v81
	s_waitcnt lgkmcnt(0)
	s_barrier
	ds_read_b64 v[0:1], v53
	s_waitcnt lgkmcnt(0)
	s_barrier
	ds_write_b64 v74, v[30:31]
	v_lshlrev_b32_e32 v30, 3, v82
	ds_write_b64 v30, v[32:33]
	v_lshlrev_b32_e32 v30, 3, v42
	;; [unrolled: 2-line block ×7, first 2 shown]
	v_lshlrev_b32_e32 v30, 3, v53
	ds_write_b64 v18, v[20:21]
	s_waitcnt lgkmcnt(0)
	s_barrier
	ds_read2_b64 v[18:21], v30 offset1:1
	ds_read2_b64 v[22:25], v30 offset0:2 offset1:3
	ds_read2_b64 v[26:29], v30 offset0:4 offset1:5
	;; [unrolled: 1-line block ×3, first 2 shown]
	v_lshrrev_b32_e32 v72, 8, v0
	v_lshrrev_b32_e32 v73, 8, v1
	v_xor_b32_e32 v42, 0x80, v0
	v_xor_b32_sdwa v43, v72, s16 dst_sel:BYTE_1 dst_unused:UNUSED_PAD src0_sel:DWORD src1_sel:DWORD
	v_xor_b32_sdwa v72, v0, s16 dst_sel:DWORD dst_unused:UNUSED_PAD src0_sel:WORD_1 src1_sel:DWORD
	v_xor_b32_sdwa v0, v0, s16 dst_sel:BYTE_1 dst_unused:UNUSED_PAD src0_sel:BYTE_3 src1_sel:DWORD
	v_xor_b32_e32 v74, 0x80, v1
	v_xor_b32_sdwa v73, v73, s16 dst_sel:BYTE_1 dst_unused:UNUSED_PAD src0_sel:DWORD src1_sel:DWORD
	v_xor_b32_sdwa v75, v1, s16 dst_sel:DWORD dst_unused:UNUSED_PAD src0_sel:WORD_1 src1_sel:DWORD
	v_xor_b32_sdwa v1, v1, s16 dst_sel:BYTE_1 dst_unused:UNUSED_PAD src0_sel:BYTE_3 src1_sel:DWORD
	v_or_b32_sdwa v42, v42, v43 dst_sel:DWORD dst_unused:UNUSED_PAD src0_sel:BYTE_0 src1_sel:DWORD
	v_or_b32_sdwa v0, v72, v0 dst_sel:WORD_1 dst_unused:UNUSED_PAD src0_sel:BYTE_0 src1_sel:DWORD
	v_or_b32_sdwa v0, v42, v0 dst_sel:DWORD dst_unused:UNUSED_PAD src0_sel:WORD_0 src1_sel:DWORD
	v_or_b32_sdwa v42, v74, v73 dst_sel:DWORD dst_unused:UNUSED_PAD src0_sel:BYTE_0 src1_sel:DWORD
	v_or_b32_sdwa v1, v75, v1 dst_sel:WORD_1 dst_unused:UNUSED_PAD src0_sel:BYTE_0 src1_sel:DWORD
	v_or_b32_sdwa v1, v42, v1 dst_sel:DWORD dst_unused:UNUSED_PAD src0_sel:WORD_0 src1_sel:DWORD
	s_branch .LBB101_84
.LBB101_53:
	v_mov_b32_e32 v35, 0
	v_lshlrev_b64 v[2:3], 3, v[34:35]
	v_mov_b32_e32 v4, s35
	v_add_co_u32_e32 v2, vcc, s33, v2
	v_addc_co_u32_e32 v3, vcc, v4, v3, vcc
	global_load_dwordx2 v[2:3], v[2:3], off
	v_mov_b32_e32 v4, v35
	v_mov_b32_e32 v5, v35
	;; [unrolled: 1-line block ×14, first 2 shown]
	s_or_b64 exec, exec, s[16:17]
	s_and_saveexec_b64 s[16:17], s[2:3]
	s_cbranch_execz .LBB101_22
.LBB101_54:
	v_mul_lo_u32 v4, v32, s34
	v_mov_b32_e32 v5, 0
	v_lshlrev_b64 v[4:5], 3, v[4:5]
	v_mov_b32_e32 v32, s35
	v_add_co_u32_e32 v4, vcc, s33, v4
	v_addc_co_u32_e32 v5, vcc, v32, v5, vcc
	global_load_dwordx2 v[4:5], v[4:5], off
	s_or_b64 exec, exec, s[16:17]
	s_and_saveexec_b64 s[16:17], s[4:5]
	s_cbranch_execz .LBB101_23
.LBB101_55:
	v_mul_lo_u32 v6, v31, s34
	v_mov_b32_e32 v7, 0
	v_lshlrev_b64 v[6:7], 3, v[6:7]
	v_mov_b32_e32 v31, s35
	v_add_co_u32_e32 v6, vcc, s33, v6
	v_addc_co_u32_e32 v7, vcc, v31, v7, vcc
	global_load_dwordx2 v[6:7], v[6:7], off
	s_or_b64 exec, exec, s[16:17]
	s_and_saveexec_b64 s[16:17], s[6:7]
	s_cbranch_execz .LBB101_24
.LBB101_56:
	v_mul_lo_u32 v8, v30, s34
	v_mov_b32_e32 v9, 0
	v_lshlrev_b64 v[8:9], 3, v[8:9]
	v_mov_b32_e32 v30, s35
	v_add_co_u32_e32 v8, vcc, s33, v8
	v_addc_co_u32_e32 v9, vcc, v30, v9, vcc
	global_load_dwordx2 v[8:9], v[8:9], off
	s_or_b64 exec, exec, s[16:17]
	s_and_saveexec_b64 s[16:17], s[8:9]
	s_cbranch_execz .LBB101_25
.LBB101_57:
	v_mul_lo_u32 v10, v29, s34
	v_mov_b32_e32 v11, 0
	v_lshlrev_b64 v[10:11], 3, v[10:11]
	v_mov_b32_e32 v29, s35
	v_add_co_u32_e32 v10, vcc, s33, v10
	v_addc_co_u32_e32 v11, vcc, v29, v11, vcc
	global_load_dwordx2 v[10:11], v[10:11], off
	s_or_b64 exec, exec, s[16:17]
	s_and_saveexec_b64 s[16:17], s[10:11]
	s_cbranch_execz .LBB101_26
.LBB101_58:
	v_mul_lo_u32 v12, v28, s34
	v_mov_b32_e32 v13, 0
	v_lshlrev_b64 v[12:13], 3, v[12:13]
	v_mov_b32_e32 v28, s35
	v_add_co_u32_e32 v12, vcc, s33, v12
	v_addc_co_u32_e32 v13, vcc, v28, v13, vcc
	global_load_dwordx2 v[12:13], v[12:13], off
	s_or_b64 exec, exec, s[16:17]
	s_and_saveexec_b64 s[16:17], s[12:13]
	s_cbranch_execz .LBB101_27
.LBB101_59:
	v_mul_lo_u32 v14, v27, s34
	v_mov_b32_e32 v15, 0
	v_lshlrev_b64 v[14:15], 3, v[14:15]
	v_mov_b32_e32 v27, s35
	v_add_co_u32_e32 v14, vcc, s33, v14
	v_addc_co_u32_e32 v15, vcc, v27, v15, vcc
	global_load_dwordx2 v[14:15], v[14:15], off
	s_or_b64 exec, exec, s[16:17]
	s_xor_b64 s[16:17], s[44:45], -1
	s_and_saveexec_b64 s[18:19], s[14:15]
	s_cbranch_execnz .LBB101_28
	s_branch .LBB101_29
.LBB101_60:
                                        ; implicit-def: $vgpr1
                                        ; implicit-def: $vgpr32_vgpr33
                                        ; implicit-def: $vgpr28_vgpr29
                                        ; implicit-def: $vgpr24_vgpr25
                                        ; implicit-def: $vgpr20_vgpr21
	s_cbranch_execz .LBB101_84
; %bb.61:
	s_movk_i32 s16, 0x7f
	v_xor_b32_sdwa v0, v67, s16 dst_sel:BYTE_1 dst_unused:UNUSED_PAD src0_sel:DWORD src1_sel:DWORD
	v_xor_b32_e32 v1, 0x7f, v39
	v_or_b32_sdwa v0, v1, v0 dst_sel:DWORD dst_unused:UNUSED_PAD src0_sel:BYTE_0 src1_sel:DWORD
	v_xor_b32_sdwa v1, v39, s16 dst_sel:DWORD dst_unused:UNUSED_PAD src0_sel:BYTE_3 src1_sel:DWORD
	v_lshlrev_b16_e32 v1, 8, v1
	s_waitcnt lgkmcnt(3)
	v_xor_b32_sdwa v18, v39, s16 dst_sel:DWORD dst_unused:UNUSED_PAD src0_sel:WORD_1 src1_sel:DWORD
	v_or_b32_sdwa v1, v18, v1 dst_sel:WORD_1 dst_unused:UNUSED_PAD src0_sel:BYTE_0 src1_sel:DWORD
	v_or_b32_sdwa v1, v0, v1 dst_sel:DWORD dst_unused:UNUSED_PAD src0_sel:WORD_0 src1_sel:DWORD
	v_xor_b32_sdwa v0, v64, s16 dst_sel:BYTE_1 dst_unused:UNUSED_PAD src0_sel:DWORD src1_sel:DWORD
	v_xor_b32_e32 v18, 0x7f, v38
	v_or_b32_sdwa v0, v18, v0 dst_sel:DWORD dst_unused:UNUSED_PAD src0_sel:BYTE_0 src1_sel:DWORD
	v_xor_b32_sdwa v18, v40, s16 dst_sel:BYTE_1 dst_unused:UNUSED_PAD src0_sel:DWORD src1_sel:DWORD
	v_xor_b32_sdwa v19, v38, s16 dst_sel:DWORD dst_unused:UNUSED_PAD src0_sel:WORD_1 src1_sel:DWORD
	v_or_b32_sdwa v18, v19, v18 dst_sel:WORD_1 dst_unused:UNUSED_PAD src0_sel:BYTE_0 src1_sel:DWORD
	v_or_b32_sdwa v0, v0, v18 dst_sel:DWORD dst_unused:UNUSED_PAD src0_sel:WORD_0 src1_sel:DWORD
	s_getpc_b64 s[16:17]
	s_add_u32 s16, s16, _ZN7rocprim17ROCPRIM_400000_NS16block_radix_sortIaLj256ELj8ElLj1ELj1ELj0ELNS0_26block_radix_rank_algorithmE1ELNS0_18block_padding_hintE2ELNS0_4arch9wavefront6targetE1EE19radix_bits_per_passE@rel32@lo+4
	s_addc_u32 s17, s17, _ZN7rocprim17ROCPRIM_400000_NS16block_radix_sortIaLj256ELj8ElLj1ELj1ELj0ELNS0_26block_radix_rank_algorithmE1ELNS0_18block_padding_hintE2ELNS0_4arch9wavefront6targetE1EE19radix_bits_per_passE@rel32@hi+12
	ds_write_b64 v71, v[0:1]
	; wave barrier
	ds_read_u8 v20, v70
	ds_read_u8 v21, v70 offset:64
	s_waitcnt lgkmcnt(5)
	ds_read_u8 v22, v70 offset:128
	ds_read_u8 v23, v70 offset:192
	;; [unrolled: 1-line block ×4, first 2 shown]
	s_waitcnt lgkmcnt(8)
	ds_read_u8 v26, v70 offset:384
	ds_read_u8 v27, v70 offset:448
	s_waitcnt lgkmcnt(0)
	s_barrier
	ds_write2_b64 v69, v[14:15], v[16:17] offset1:1
	ds_write2_b64 v69, v[10:11], v[12:13] offset0:2 offset1:3
	ds_write2_b64 v69, v[6:7], v[8:9] offset0:4 offset1:5
	ds_write2_b64 v69, v[2:3], v[4:5] offset0:6 offset1:7
	; wave barrier
	ds_read2st64_b64 v[12:15], v68 offset1:1
	ds_read2st64_b64 v[8:11], v68 offset0:2 offset1:3
	ds_read2st64_b64 v[4:7], v68 offset0:4 offset1:5
	;; [unrolled: 1-line block ×3, first 2 shown]
	s_waitcnt lgkmcnt(0)
	s_barrier
	s_load_dword s18, s[16:17], 0x0
	s_load_dword s19, s[42:43], 0xc
	v_mov_b32_e32 v30, 2
	s_waitcnt lgkmcnt(0)
	s_min_u32 s18, s18, 8
	s_lshr_b32 s16, s19, 16
	s_and_b32 s17, s19, 0xffff
	v_mad_u32_u24 v16, v66, s16, v65
	v_mad_u64_u32 v[18:19], s[16:17], v16, s17, v[36:37]
	s_lshl_b32 s16, -1, s18
	s_not_b32 s18, s16
	v_lshrrev_b32_e32 v38, 6, v18
	v_and_b32_e32 v18, s18, v20
	v_lshlrev_b32_sdwa v17, v30, v18 dst_sel:DWORD dst_unused:UNUSED_PAD src0_sel:DWORD src1_sel:BYTE_0
	v_add_lshl_u32 v28, v38, v17, 2
	v_and_b32_e32 v17, 1, v18
	v_add_co_u32_e32 v19, vcc, -1, v17
	v_addc_co_u32_e64 v29, s[16:17], 0, -1, vcc
	v_cmp_ne_u32_e32 vcc, 0, v17
	v_xor_b32_e32 v17, vcc_hi, v29
	v_mov_b32_e32 v16, 0
	v_and_b32_e32 v29, exec_hi, v17
	v_lshlrev_b32_e32 v17, 30, v18
	v_xor_b32_e32 v19, vcc_lo, v19
	v_cmp_gt_i64_e32 vcc, 0, v[16:17]
	v_not_b32_e32 v17, v17
	v_ashrrev_i32_e32 v17, 31, v17
	v_and_b32_e32 v19, exec_lo, v19
	v_xor_b32_e32 v31, vcc_hi, v17
	v_xor_b32_e32 v17, vcc_lo, v17
	v_and_b32_e32 v19, v19, v17
	v_lshlrev_b32_e32 v17, 29, v18
	v_cmp_gt_i64_e32 vcc, 0, v[16:17]
	v_not_b32_e32 v17, v17
	v_ashrrev_i32_e32 v17, 31, v17
	v_and_b32_e32 v29, v29, v31
	v_xor_b32_e32 v31, vcc_hi, v17
	v_xor_b32_e32 v17, vcc_lo, v17
	v_and_b32_e32 v19, v19, v17
	v_lshlrev_b32_e32 v17, 28, v18
	v_cmp_gt_i64_e32 vcc, 0, v[16:17]
	v_not_b32_e32 v17, v17
	v_ashrrev_i32_e32 v17, 31, v17
	v_and_b32_e32 v29, v29, v31
	;; [unrolled: 8-line block ×5, first 2 shown]
	v_xor_b32_e32 v31, vcc_hi, v17
	v_xor_b32_e32 v17, vcc_lo, v17
	v_and_b32_e32 v29, v29, v31
	v_and_b32_e32 v31, v19, v17
	v_lshlrev_b32_e32 v17, 24, v18
	v_cmp_gt_i64_e32 vcc, 0, v[16:17]
	v_not_b32_e32 v17, v17
	v_ashrrev_i32_e32 v17, 31, v17
	v_xor_b32_e32 v18, vcc_hi, v17
	v_xor_b32_e32 v17, vcc_lo, v17
	v_and_b32_e32 v19, v29, v18
	v_and_b32_e32 v18, v31, v17
	v_mbcnt_lo_u32_b32 v17, v18, 0
	v_mbcnt_hi_u32_b32 v29, v19, v17
	v_cmp_eq_u32_e32 vcc, 0, v29
	v_cmp_ne_u64_e64 s[16:17], 0, v[18:19]
	s_and_b64 s[20:21], s[16:17], vcc
	ds_write2_b32 v62, v16, v16 offset0:4 offset1:5
	ds_write2_b32 v62, v16, v16 offset0:6 offset1:7
	s_waitcnt lgkmcnt(0)
	s_barrier
	s_waitcnt lgkmcnt(0)
	; wave barrier
	s_and_saveexec_b64 s[16:17], s[20:21]
	s_cbranch_execz .LBB101_63
; %bb.62:
	v_bcnt_u32_b32 v17, v18, 0
	v_bcnt_u32_b32 v17, v19, v17
	ds_write_b32 v28, v17 offset:16
.LBB101_63:
	s_or_b64 exec, exec, s[16:17]
	v_and_b32_e32 v18, s18, v21
	v_lshlrev_b32_sdwa v17, v30, v18 dst_sel:DWORD dst_unused:UNUSED_PAD src0_sel:DWORD src1_sel:BYTE_0
	v_add_lshl_u32 v31, v38, v17, 2
	v_and_b32_e32 v17, 1, v18
	v_add_co_u32_e32 v19, vcc, -1, v17
	v_addc_co_u32_e64 v32, s[16:17], 0, -1, vcc
	v_cmp_ne_u32_e32 vcc, 0, v17
	v_xor_b32_e32 v17, vcc_hi, v32
	v_and_b32_e32 v32, exec_hi, v17
	v_lshlrev_b32_e32 v17, 30, v18
	v_xor_b32_e32 v19, vcc_lo, v19
	v_cmp_gt_i64_e32 vcc, 0, v[16:17]
	v_not_b32_e32 v17, v17
	v_ashrrev_i32_e32 v17, 31, v17
	v_and_b32_e32 v19, exec_lo, v19
	v_xor_b32_e32 v33, vcc_hi, v17
	v_xor_b32_e32 v17, vcc_lo, v17
	v_and_b32_e32 v19, v19, v17
	v_lshlrev_b32_e32 v17, 29, v18
	v_cmp_gt_i64_e32 vcc, 0, v[16:17]
	v_not_b32_e32 v17, v17
	v_ashrrev_i32_e32 v17, 31, v17
	v_and_b32_e32 v32, v32, v33
	v_xor_b32_e32 v33, vcc_hi, v17
	v_xor_b32_e32 v17, vcc_lo, v17
	v_and_b32_e32 v19, v19, v17
	v_lshlrev_b32_e32 v17, 28, v18
	v_cmp_gt_i64_e32 vcc, 0, v[16:17]
	v_not_b32_e32 v17, v17
	v_ashrrev_i32_e32 v17, 31, v17
	v_and_b32_e32 v32, v32, v33
	;; [unrolled: 8-line block ×5, first 2 shown]
	v_xor_b32_e32 v33, vcc_hi, v17
	v_xor_b32_e32 v17, vcc_lo, v17
	v_and_b32_e32 v19, v19, v17
	v_lshlrev_b32_e32 v17, 24, v18
	v_cmp_gt_i64_e32 vcc, 0, v[16:17]
	v_not_b32_e32 v16, v17
	v_ashrrev_i32_e32 v16, 31, v16
	v_xor_b32_e32 v17, vcc_hi, v16
	v_xor_b32_e32 v16, vcc_lo, v16
	; wave barrier
	ds_read_b32 v30, v31 offset:16
	v_and_b32_e32 v32, v32, v33
	v_and_b32_e32 v16, v19, v16
	;; [unrolled: 1-line block ×3, first 2 shown]
	v_mbcnt_lo_u32_b32 v18, v16, 0
	v_mbcnt_hi_u32_b32 v32, v17, v18
	v_cmp_eq_u32_e32 vcc, 0, v32
	v_cmp_ne_u64_e64 s[16:17], 0, v[16:17]
	s_and_b64 s[20:21], s[16:17], vcc
	; wave barrier
	s_and_saveexec_b64 s[16:17], s[20:21]
	s_cbranch_execz .LBB101_65
; %bb.64:
	v_bcnt_u32_b32 v16, v16, 0
	v_bcnt_u32_b32 v16, v17, v16
	s_waitcnt lgkmcnt(0)
	v_add_u32_e32 v16, v30, v16
	ds_write_b32 v31, v16 offset:16
.LBB101_65:
	s_or_b64 exec, exec, s[16:17]
	v_and_b32_e32 v18, s18, v22
	v_and_b32_e32 v17, 1, v18
	v_add_co_u32_e32 v19, vcc, -1, v17
	v_mov_b32_e32 v42, 2
	v_addc_co_u32_e64 v40, s[16:17], 0, -1, vcc
	v_cmp_ne_u32_e32 vcc, 0, v17
	v_lshlrev_b32_sdwa v16, v42, v18 dst_sel:DWORD dst_unused:UNUSED_PAD src0_sel:DWORD src1_sel:BYTE_0
	v_xor_b32_e32 v17, vcc_hi, v40
	v_add_lshl_u32 v39, v38, v16, 2
	v_mov_b32_e32 v16, 0
	v_and_b32_e32 v40, exec_hi, v17
	v_lshlrev_b32_e32 v17, 30, v18
	v_xor_b32_e32 v19, vcc_lo, v19
	v_cmp_gt_i64_e32 vcc, 0, v[16:17]
	v_not_b32_e32 v17, v17
	v_ashrrev_i32_e32 v17, 31, v17
	v_and_b32_e32 v19, exec_lo, v19
	v_xor_b32_e32 v43, vcc_hi, v17
	v_xor_b32_e32 v17, vcc_lo, v17
	v_and_b32_e32 v19, v19, v17
	v_lshlrev_b32_e32 v17, 29, v18
	v_cmp_gt_i64_e32 vcc, 0, v[16:17]
	v_not_b32_e32 v17, v17
	v_ashrrev_i32_e32 v17, 31, v17
	v_and_b32_e32 v40, v40, v43
	v_xor_b32_e32 v43, vcc_hi, v17
	v_xor_b32_e32 v17, vcc_lo, v17
	v_and_b32_e32 v19, v19, v17
	v_lshlrev_b32_e32 v17, 28, v18
	v_cmp_gt_i64_e32 vcc, 0, v[16:17]
	v_not_b32_e32 v17, v17
	v_ashrrev_i32_e32 v17, 31, v17
	v_and_b32_e32 v40, v40, v43
	;; [unrolled: 8-line block ×5, first 2 shown]
	v_xor_b32_e32 v43, vcc_hi, v17
	v_xor_b32_e32 v17, vcc_lo, v17
	v_and_b32_e32 v40, v40, v43
	v_and_b32_e32 v43, v19, v17
	v_lshlrev_b32_e32 v17, 24, v18
	v_cmp_gt_i64_e32 vcc, 0, v[16:17]
	v_not_b32_e32 v17, v17
	v_ashrrev_i32_e32 v17, 31, v17
	v_xor_b32_e32 v18, vcc_hi, v17
	v_xor_b32_e32 v17, vcc_lo, v17
	; wave barrier
	ds_read_b32 v33, v39 offset:16
	v_and_b32_e32 v19, v40, v18
	v_and_b32_e32 v18, v43, v17
	v_mbcnt_lo_u32_b32 v17, v18, 0
	v_mbcnt_hi_u32_b32 v40, v19, v17
	v_cmp_eq_u32_e32 vcc, 0, v40
	v_cmp_ne_u64_e64 s[16:17], 0, v[18:19]
	s_and_b64 s[20:21], s[16:17], vcc
	; wave barrier
	s_and_saveexec_b64 s[16:17], s[20:21]
	s_cbranch_execz .LBB101_67
; %bb.66:
	v_bcnt_u32_b32 v17, v18, 0
	v_bcnt_u32_b32 v17, v19, v17
	s_waitcnt lgkmcnt(0)
	v_add_u32_e32 v17, v33, v17
	ds_write_b32 v39, v17 offset:16
.LBB101_67:
	s_or_b64 exec, exec, s[16:17]
	v_and_b32_e32 v18, s18, v23
	v_lshlrev_b32_sdwa v17, v42, v18 dst_sel:DWORD dst_unused:UNUSED_PAD src0_sel:DWORD src1_sel:BYTE_0
	v_add_lshl_u32 v43, v38, v17, 2
	v_and_b32_e32 v17, 1, v18
	v_add_co_u32_e32 v19, vcc, -1, v17
	v_addc_co_u32_e64 v64, s[16:17], 0, -1, vcc
	v_cmp_ne_u32_e32 vcc, 0, v17
	v_xor_b32_e32 v17, vcc_hi, v64
	v_and_b32_e32 v64, exec_hi, v17
	v_lshlrev_b32_e32 v17, 30, v18
	v_xor_b32_e32 v19, vcc_lo, v19
	v_cmp_gt_i64_e32 vcc, 0, v[16:17]
	v_not_b32_e32 v17, v17
	v_ashrrev_i32_e32 v17, 31, v17
	v_and_b32_e32 v19, exec_lo, v19
	v_xor_b32_e32 v65, vcc_hi, v17
	v_xor_b32_e32 v17, vcc_lo, v17
	v_and_b32_e32 v19, v19, v17
	v_lshlrev_b32_e32 v17, 29, v18
	v_cmp_gt_i64_e32 vcc, 0, v[16:17]
	v_not_b32_e32 v17, v17
	v_ashrrev_i32_e32 v17, 31, v17
	v_and_b32_e32 v64, v64, v65
	v_xor_b32_e32 v65, vcc_hi, v17
	v_xor_b32_e32 v17, vcc_lo, v17
	v_and_b32_e32 v19, v19, v17
	v_lshlrev_b32_e32 v17, 28, v18
	v_cmp_gt_i64_e32 vcc, 0, v[16:17]
	v_not_b32_e32 v17, v17
	v_ashrrev_i32_e32 v17, 31, v17
	v_and_b32_e32 v64, v64, v65
	;; [unrolled: 8-line block ×5, first 2 shown]
	v_xor_b32_e32 v65, vcc_hi, v17
	v_xor_b32_e32 v17, vcc_lo, v17
	v_and_b32_e32 v19, v19, v17
	v_lshlrev_b32_e32 v17, 24, v18
	v_cmp_gt_i64_e32 vcc, 0, v[16:17]
	v_not_b32_e32 v16, v17
	v_ashrrev_i32_e32 v16, 31, v16
	v_xor_b32_e32 v17, vcc_hi, v16
	v_xor_b32_e32 v16, vcc_lo, v16
	; wave barrier
	ds_read_b32 v42, v43 offset:16
	v_and_b32_e32 v64, v64, v65
	v_and_b32_e32 v16, v19, v16
	;; [unrolled: 1-line block ×3, first 2 shown]
	v_mbcnt_lo_u32_b32 v18, v16, 0
	v_mbcnt_hi_u32_b32 v64, v17, v18
	v_cmp_eq_u32_e32 vcc, 0, v64
	v_cmp_ne_u64_e64 s[16:17], 0, v[16:17]
	s_and_b64 s[20:21], s[16:17], vcc
	; wave barrier
	s_and_saveexec_b64 s[16:17], s[20:21]
	s_cbranch_execz .LBB101_69
; %bb.68:
	v_bcnt_u32_b32 v16, v16, 0
	v_bcnt_u32_b32 v16, v17, v16
	s_waitcnt lgkmcnt(0)
	v_add_u32_e32 v16, v42, v16
	ds_write_b32 v43, v16 offset:16
.LBB101_69:
	s_or_b64 exec, exec, s[16:17]
	v_and_b32_e32 v18, s18, v24
	v_and_b32_e32 v17, 1, v18
	v_add_co_u32_e32 v19, vcc, -1, v17
	v_mov_b32_e32 v68, 2
	v_addc_co_u32_e64 v67, s[16:17], 0, -1, vcc
	v_cmp_ne_u32_e32 vcc, 0, v17
	v_lshlrev_b32_sdwa v16, v68, v18 dst_sel:DWORD dst_unused:UNUSED_PAD src0_sel:DWORD src1_sel:BYTE_0
	v_xor_b32_e32 v17, vcc_hi, v67
	v_add_lshl_u32 v66, v38, v16, 2
	v_mov_b32_e32 v16, 0
	v_and_b32_e32 v67, exec_hi, v17
	v_lshlrev_b32_e32 v17, 30, v18
	v_xor_b32_e32 v19, vcc_lo, v19
	v_cmp_gt_i64_e32 vcc, 0, v[16:17]
	v_not_b32_e32 v17, v17
	v_ashrrev_i32_e32 v17, 31, v17
	v_and_b32_e32 v19, exec_lo, v19
	v_xor_b32_e32 v69, vcc_hi, v17
	v_xor_b32_e32 v17, vcc_lo, v17
	v_and_b32_e32 v19, v19, v17
	v_lshlrev_b32_e32 v17, 29, v18
	v_cmp_gt_i64_e32 vcc, 0, v[16:17]
	v_not_b32_e32 v17, v17
	v_ashrrev_i32_e32 v17, 31, v17
	v_and_b32_e32 v67, v67, v69
	v_xor_b32_e32 v69, vcc_hi, v17
	v_xor_b32_e32 v17, vcc_lo, v17
	v_and_b32_e32 v19, v19, v17
	v_lshlrev_b32_e32 v17, 28, v18
	v_cmp_gt_i64_e32 vcc, 0, v[16:17]
	v_not_b32_e32 v17, v17
	v_ashrrev_i32_e32 v17, 31, v17
	v_and_b32_e32 v67, v67, v69
	;; [unrolled: 8-line block ×5, first 2 shown]
	v_xor_b32_e32 v69, vcc_hi, v17
	v_xor_b32_e32 v17, vcc_lo, v17
	v_and_b32_e32 v67, v67, v69
	v_and_b32_e32 v69, v19, v17
	v_lshlrev_b32_e32 v17, 24, v18
	v_cmp_gt_i64_e32 vcc, 0, v[16:17]
	v_not_b32_e32 v17, v17
	v_ashrrev_i32_e32 v17, 31, v17
	v_xor_b32_e32 v18, vcc_hi, v17
	v_xor_b32_e32 v17, vcc_lo, v17
	; wave barrier
	ds_read_b32 v65, v66 offset:16
	v_and_b32_e32 v19, v67, v18
	v_and_b32_e32 v18, v69, v17
	v_mbcnt_lo_u32_b32 v17, v18, 0
	v_mbcnt_hi_u32_b32 v67, v19, v17
	v_cmp_eq_u32_e32 vcc, 0, v67
	v_cmp_ne_u64_e64 s[16:17], 0, v[18:19]
	s_and_b64 s[20:21], s[16:17], vcc
	; wave barrier
	s_and_saveexec_b64 s[16:17], s[20:21]
	s_cbranch_execz .LBB101_71
; %bb.70:
	v_bcnt_u32_b32 v17, v18, 0
	v_bcnt_u32_b32 v17, v19, v17
	s_waitcnt lgkmcnt(0)
	v_add_u32_e32 v17, v65, v17
	ds_write_b32 v66, v17 offset:16
.LBB101_71:
	s_or_b64 exec, exec, s[16:17]
	v_and_b32_e32 v18, s18, v25
	v_lshlrev_b32_sdwa v17, v68, v18 dst_sel:DWORD dst_unused:UNUSED_PAD src0_sel:DWORD src1_sel:BYTE_0
	v_add_lshl_u32 v69, v38, v17, 2
	v_and_b32_e32 v17, 1, v18
	v_add_co_u32_e32 v19, vcc, -1, v17
	v_addc_co_u32_e64 v70, s[16:17], 0, -1, vcc
	v_cmp_ne_u32_e32 vcc, 0, v17
	v_xor_b32_e32 v17, vcc_hi, v70
	v_and_b32_e32 v70, exec_hi, v17
	v_lshlrev_b32_e32 v17, 30, v18
	v_xor_b32_e32 v19, vcc_lo, v19
	v_cmp_gt_i64_e32 vcc, 0, v[16:17]
	v_not_b32_e32 v17, v17
	v_ashrrev_i32_e32 v17, 31, v17
	v_and_b32_e32 v19, exec_lo, v19
	v_xor_b32_e32 v71, vcc_hi, v17
	v_xor_b32_e32 v17, vcc_lo, v17
	v_and_b32_e32 v19, v19, v17
	v_lshlrev_b32_e32 v17, 29, v18
	v_cmp_gt_i64_e32 vcc, 0, v[16:17]
	v_not_b32_e32 v17, v17
	v_ashrrev_i32_e32 v17, 31, v17
	v_and_b32_e32 v70, v70, v71
	v_xor_b32_e32 v71, vcc_hi, v17
	v_xor_b32_e32 v17, vcc_lo, v17
	v_and_b32_e32 v19, v19, v17
	v_lshlrev_b32_e32 v17, 28, v18
	v_cmp_gt_i64_e32 vcc, 0, v[16:17]
	v_not_b32_e32 v17, v17
	v_ashrrev_i32_e32 v17, 31, v17
	v_and_b32_e32 v70, v70, v71
	;; [unrolled: 8-line block ×5, first 2 shown]
	v_xor_b32_e32 v71, vcc_hi, v17
	v_xor_b32_e32 v17, vcc_lo, v17
	v_and_b32_e32 v19, v19, v17
	v_lshlrev_b32_e32 v17, 24, v18
	v_cmp_gt_i64_e32 vcc, 0, v[16:17]
	v_not_b32_e32 v16, v17
	v_ashrrev_i32_e32 v16, 31, v16
	v_xor_b32_e32 v17, vcc_hi, v16
	v_xor_b32_e32 v16, vcc_lo, v16
	; wave barrier
	ds_read_b32 v68, v69 offset:16
	v_and_b32_e32 v70, v70, v71
	v_and_b32_e32 v16, v19, v16
	;; [unrolled: 1-line block ×3, first 2 shown]
	v_mbcnt_lo_u32_b32 v18, v16, 0
	v_mbcnt_hi_u32_b32 v70, v17, v18
	v_cmp_eq_u32_e32 vcc, 0, v70
	v_cmp_ne_u64_e64 s[16:17], 0, v[16:17]
	s_and_b64 s[20:21], s[16:17], vcc
	; wave barrier
	s_and_saveexec_b64 s[16:17], s[20:21]
	s_cbranch_execz .LBB101_73
; %bb.72:
	v_bcnt_u32_b32 v16, v16, 0
	v_bcnt_u32_b32 v16, v17, v16
	s_waitcnt lgkmcnt(0)
	v_add_u32_e32 v16, v68, v16
	ds_write_b32 v69, v16 offset:16
.LBB101_73:
	s_or_b64 exec, exec, s[16:17]
	v_and_b32_e32 v18, s18, v26
	v_and_b32_e32 v17, 1, v18
	v_add_co_u32_e32 v19, vcc, -1, v17
	v_mov_b32_e32 v74, 2
	v_addc_co_u32_e64 v73, s[16:17], 0, -1, vcc
	v_cmp_ne_u32_e32 vcc, 0, v17
	v_lshlrev_b32_sdwa v16, v74, v18 dst_sel:DWORD dst_unused:UNUSED_PAD src0_sel:DWORD src1_sel:BYTE_0
	v_xor_b32_e32 v17, vcc_hi, v73
	v_add_lshl_u32 v72, v38, v16, 2
	v_mov_b32_e32 v16, 0
	v_and_b32_e32 v73, exec_hi, v17
	v_lshlrev_b32_e32 v17, 30, v18
	v_xor_b32_e32 v19, vcc_lo, v19
	v_cmp_gt_i64_e32 vcc, 0, v[16:17]
	v_not_b32_e32 v17, v17
	v_ashrrev_i32_e32 v17, 31, v17
	v_and_b32_e32 v19, exec_lo, v19
	v_xor_b32_e32 v75, vcc_hi, v17
	v_xor_b32_e32 v17, vcc_lo, v17
	v_and_b32_e32 v19, v19, v17
	v_lshlrev_b32_e32 v17, 29, v18
	v_cmp_gt_i64_e32 vcc, 0, v[16:17]
	v_not_b32_e32 v17, v17
	v_ashrrev_i32_e32 v17, 31, v17
	v_and_b32_e32 v73, v73, v75
	v_xor_b32_e32 v75, vcc_hi, v17
	v_xor_b32_e32 v17, vcc_lo, v17
	v_and_b32_e32 v19, v19, v17
	v_lshlrev_b32_e32 v17, 28, v18
	v_cmp_gt_i64_e32 vcc, 0, v[16:17]
	v_not_b32_e32 v17, v17
	v_ashrrev_i32_e32 v17, 31, v17
	v_and_b32_e32 v73, v73, v75
	;; [unrolled: 8-line block ×5, first 2 shown]
	v_xor_b32_e32 v75, vcc_hi, v17
	v_xor_b32_e32 v17, vcc_lo, v17
	v_and_b32_e32 v73, v73, v75
	v_and_b32_e32 v75, v19, v17
	v_lshlrev_b32_e32 v17, 24, v18
	v_cmp_gt_i64_e32 vcc, 0, v[16:17]
	v_not_b32_e32 v17, v17
	v_ashrrev_i32_e32 v17, 31, v17
	v_xor_b32_e32 v18, vcc_hi, v17
	v_xor_b32_e32 v17, vcc_lo, v17
	; wave barrier
	ds_read_b32 v71, v72 offset:16
	v_and_b32_e32 v19, v73, v18
	v_and_b32_e32 v18, v75, v17
	v_mbcnt_lo_u32_b32 v17, v18, 0
	v_mbcnt_hi_u32_b32 v73, v19, v17
	v_cmp_eq_u32_e32 vcc, 0, v73
	v_cmp_ne_u64_e64 s[16:17], 0, v[18:19]
	s_and_b64 s[20:21], s[16:17], vcc
	; wave barrier
	s_and_saveexec_b64 s[16:17], s[20:21]
	s_cbranch_execz .LBB101_75
; %bb.74:
	v_bcnt_u32_b32 v17, v18, 0
	v_bcnt_u32_b32 v17, v19, v17
	s_waitcnt lgkmcnt(0)
	v_add_u32_e32 v17, v71, v17
	ds_write_b32 v72, v17 offset:16
.LBB101_75:
	s_or_b64 exec, exec, s[16:17]
	v_and_b32_e32 v18, s18, v27
	v_lshlrev_b32_sdwa v17, v74, v18 dst_sel:DWORD dst_unused:UNUSED_PAD src0_sel:DWORD src1_sel:BYTE_0
	v_add_lshl_u32 v74, v38, v17, 2
	v_and_b32_e32 v17, 1, v18
	v_add_co_u32_e32 v19, vcc, -1, v17
	v_addc_co_u32_e64 v76, s[16:17], 0, -1, vcc
	v_cmp_ne_u32_e32 vcc, 0, v17
	v_xor_b32_e32 v17, vcc_hi, v76
	v_and_b32_e32 v76, exec_hi, v17
	v_lshlrev_b32_e32 v17, 30, v18
	v_xor_b32_e32 v19, vcc_lo, v19
	v_cmp_gt_i64_e32 vcc, 0, v[16:17]
	v_not_b32_e32 v17, v17
	v_ashrrev_i32_e32 v17, 31, v17
	v_and_b32_e32 v19, exec_lo, v19
	v_xor_b32_e32 v77, vcc_hi, v17
	v_xor_b32_e32 v17, vcc_lo, v17
	v_and_b32_e32 v19, v19, v17
	v_lshlrev_b32_e32 v17, 29, v18
	v_cmp_gt_i64_e32 vcc, 0, v[16:17]
	v_not_b32_e32 v17, v17
	v_ashrrev_i32_e32 v17, 31, v17
	v_and_b32_e32 v76, v76, v77
	v_xor_b32_e32 v77, vcc_hi, v17
	v_xor_b32_e32 v17, vcc_lo, v17
	v_and_b32_e32 v19, v19, v17
	v_lshlrev_b32_e32 v17, 28, v18
	v_cmp_gt_i64_e32 vcc, 0, v[16:17]
	v_not_b32_e32 v17, v17
	v_ashrrev_i32_e32 v17, 31, v17
	v_and_b32_e32 v76, v76, v77
	v_xor_b32_e32 v77, vcc_hi, v17
	v_xor_b32_e32 v17, vcc_lo, v17
	v_and_b32_e32 v19, v19, v17
	v_lshlrev_b32_e32 v17, 27, v18
	v_cmp_gt_i64_e32 vcc, 0, v[16:17]
	v_not_b32_e32 v17, v17
	v_ashrrev_i32_e32 v17, 31, v17
	v_and_b32_e32 v76, v76, v77
	v_xor_b32_e32 v77, vcc_hi, v17
	v_xor_b32_e32 v17, vcc_lo, v17
	v_and_b32_e32 v19, v19, v17
	v_lshlrev_b32_e32 v17, 26, v18
	v_cmp_gt_i64_e32 vcc, 0, v[16:17]
	v_not_b32_e32 v17, v17
	v_ashrrev_i32_e32 v17, 31, v17
	v_and_b32_e32 v76, v76, v77
	v_xor_b32_e32 v77, vcc_hi, v17
	v_xor_b32_e32 v17, vcc_lo, v17
	v_and_b32_e32 v19, v19, v17
	v_lshlrev_b32_e32 v17, 25, v18
	v_cmp_gt_i64_e32 vcc, 0, v[16:17]
	v_not_b32_e32 v17, v17
	v_ashrrev_i32_e32 v17, 31, v17
	v_and_b32_e32 v76, v76, v77
	v_xor_b32_e32 v77, vcc_hi, v17
	v_xor_b32_e32 v17, vcc_lo, v17
	v_and_b32_e32 v19, v19, v17
	v_lshlrev_b32_e32 v17, 24, v18
	v_cmp_gt_i64_e32 vcc, 0, v[16:17]
	v_not_b32_e32 v16, v17
	v_ashrrev_i32_e32 v16, 31, v16
	v_xor_b32_e32 v17, vcc_hi, v16
	v_xor_b32_e32 v16, vcc_lo, v16
	; wave barrier
	ds_read_b32 v38, v74 offset:16
	v_and_b32_e32 v76, v76, v77
	v_and_b32_e32 v16, v19, v16
	;; [unrolled: 1-line block ×3, first 2 shown]
	v_mbcnt_lo_u32_b32 v18, v16, 0
	v_mbcnt_hi_u32_b32 v76, v17, v18
	v_cmp_eq_u32_e32 vcc, 0, v76
	v_cmp_ne_u64_e64 s[16:17], 0, v[16:17]
	v_add_u32_e32 v75, 16, v62
	s_and_b64 s[18:19], s[16:17], vcc
	; wave barrier
	s_and_saveexec_b64 s[16:17], s[18:19]
	s_cbranch_execz .LBB101_77
; %bb.76:
	v_bcnt_u32_b32 v16, v16, 0
	v_bcnt_u32_b32 v16, v17, v16
	s_waitcnt lgkmcnt(0)
	v_add_u32_e32 v16, v38, v16
	ds_write_b32 v74, v16 offset:16
.LBB101_77:
	s_or_b64 exec, exec, s[16:17]
	; wave barrier
	s_waitcnt lgkmcnt(0)
	s_barrier
	ds_read2_b32 v[16:17], v62 offset0:4 offset1:5
	ds_read2_b32 v[18:19], v75 offset0:2 offset1:3
	v_min_u32_e32 v63, 0xc0, v63
	v_or_b32_e32 v63, 63, v63
	s_waitcnt lgkmcnt(1)
	v_add_u32_e32 v77, v17, v16
	s_waitcnt lgkmcnt(0)
	v_add3_u32 v19, v77, v18, v19
	v_and_b32_e32 v77, 15, v61
	v_cmp_ne_u32_e32 vcc, 0, v77
	v_mov_b32_dpp v78, v19 row_shr:1 row_mask:0xf bank_mask:0xf
	v_cndmask_b32_e32 v78, 0, v78, vcc
	v_add_u32_e32 v19, v78, v19
	v_cmp_lt_u32_e32 vcc, 1, v77
	s_nop 0
	v_mov_b32_dpp v78, v19 row_shr:2 row_mask:0xf bank_mask:0xf
	v_cndmask_b32_e32 v78, 0, v78, vcc
	v_add_u32_e32 v19, v19, v78
	v_cmp_lt_u32_e32 vcc, 3, v77
	s_nop 0
	;; [unrolled: 5-line block ×3, first 2 shown]
	v_mov_b32_dpp v78, v19 row_shr:8 row_mask:0xf bank_mask:0xf
	v_cndmask_b32_e32 v77, 0, v78, vcc
	v_add_u32_e32 v19, v19, v77
	v_bfe_i32 v78, v61, 4, 1
	v_cmp_lt_u32_e32 vcc, 31, v61
	v_mov_b32_dpp v77, v19 row_bcast:15 row_mask:0xf bank_mask:0xf
	v_and_b32_e32 v77, v78, v77
	v_add_u32_e32 v19, v19, v77
	s_nop 1
	v_mov_b32_dpp v77, v19 row_bcast:31 row_mask:0xf bank_mask:0xf
	v_cndmask_b32_e32 v77, 0, v77, vcc
	v_add_u32_e32 v19, v19, v77
	v_lshrrev_b32_e32 v77, 6, v36
	v_cmp_eq_u32_e32 vcc, v63, v36
	s_and_saveexec_b64 s[16:17], vcc
	s_cbranch_execz .LBB101_79
; %bb.78:
	v_lshlrev_b32_e32 v63, 2, v77
	ds_write_b32 v63, v19
.LBB101_79:
	s_or_b64 exec, exec, s[16:17]
	v_cmp_gt_u32_e32 vcc, 4, v36
	s_waitcnt lgkmcnt(0)
	s_barrier
	s_and_saveexec_b64 s[16:17], vcc
	s_cbranch_execz .LBB101_81
; %bb.80:
	v_lshlrev_b32_e32 v63, 2, v36
	ds_read_b32 v78, v63
	v_and_b32_e32 v79, 3, v61
	v_cmp_ne_u32_e32 vcc, 0, v79
	s_waitcnt lgkmcnt(0)
	v_mov_b32_dpp v80, v78 row_shr:1 row_mask:0xf bank_mask:0xf
	v_cndmask_b32_e32 v80, 0, v80, vcc
	v_add_u32_e32 v78, v80, v78
	v_cmp_lt_u32_e32 vcc, 1, v79
	s_nop 0
	v_mov_b32_dpp v80, v78 row_shr:2 row_mask:0xf bank_mask:0xf
	v_cndmask_b32_e32 v79, 0, v80, vcc
	v_add_u32_e32 v78, v78, v79
	ds_write_b32 v63, v78
.LBB101_81:
	s_or_b64 exec, exec, s[16:17]
	v_cmp_lt_u32_e32 vcc, 63, v36
	v_mov_b32_e32 v63, 0
	s_waitcnt lgkmcnt(0)
	s_barrier
	s_and_saveexec_b64 s[16:17], vcc
	s_cbranch_execz .LBB101_83
; %bb.82:
	v_lshl_add_u32 v63, v77, 2, -4
	ds_read_b32 v63, v63
.LBB101_83:
	s_or_b64 exec, exec, s[16:17]
	v_add_u32_e32 v77, -1, v61
	v_and_b32_e32 v78, 64, v61
	v_cmp_lt_i32_e32 vcc, v77, v78
	v_cndmask_b32_e32 v77, v77, v61, vcc
	s_waitcnt lgkmcnt(0)
	v_add_u32_e32 v19, v63, v19
	v_lshlrev_b32_e32 v77, 2, v77
	ds_bpermute_b32 v19, v77, v19
	v_cmp_eq_u32_e32 vcc, 0, v61
	s_movk_i32 s16, 0x7f
	s_waitcnt lgkmcnt(0)
	v_cndmask_b32_e32 v19, v19, v63, vcc
	v_cmp_ne_u32_e32 vcc, 0, v36
	v_cndmask_b32_e32 v19, 0, v19, vcc
	v_add_u32_e32 v16, v19, v16
	v_add_u32_e32 v17, v16, v17
	v_add_u32_e32 v18, v17, v18
	ds_write2_b32 v62, v19, v16 offset0:4 offset1:5
	ds_write2_b32 v75, v17, v18 offset0:2 offset1:3
	s_waitcnt lgkmcnt(0)
	s_barrier
	ds_read_b32 v16, v28 offset:16
	ds_read_b32 v17, v31 offset:16
	;; [unrolled: 1-line block ×8, first 2 shown]
	s_waitcnt lgkmcnt(7)
	v_add_u32_e32 v29, v16, v29
	s_waitcnt lgkmcnt(6)
	v_add3_u32 v30, v32, v30, v17
	s_waitcnt lgkmcnt(5)
	v_add3_u32 v18, v40, v33, v18
	;; [unrolled: 2-line block ×7, first 2 shown]
	s_barrier
	ds_write_b8 v29, v20
	ds_write_b8 v30, v21
	;; [unrolled: 1-line block ×8, first 2 shown]
	v_lshlrev_b32_e32 v20, 3, v29
	s_waitcnt lgkmcnt(0)
	s_barrier
	ds_read_b64 v[16:17], v53
	s_waitcnt lgkmcnt(0)
	s_barrier
	ds_write_b64 v20, v[12:13]
	v_lshlrev_b32_e32 v12, 3, v30
	ds_write_b64 v12, v[14:15]
	v_lshlrev_b32_e32 v12, 3, v18
	;; [unrolled: 2-line block ×8, first 2 shown]
	s_waitcnt lgkmcnt(0)
	s_barrier
	ds_read2_b64 v[18:21], v0 offset1:1
	ds_read2_b64 v[22:25], v0 offset0:2 offset1:3
	ds_read2_b64 v[26:29], v0 offset0:4 offset1:5
	;; [unrolled: 1-line block ×3, first 2 shown]
	v_lshrrev_b32_e32 v36, 8, v16
	v_lshrrev_b32_e32 v38, 8, v17
	v_xor_b32_e32 v0, 0x7f, v16
	v_xor_b32_sdwa v1, v36, s16 dst_sel:BYTE_1 dst_unused:UNUSED_PAD src0_sel:DWORD src1_sel:DWORD
	v_xor_b32_sdwa v2, v16, s16 dst_sel:DWORD dst_unused:UNUSED_PAD src0_sel:WORD_1 src1_sel:DWORD
	v_xor_b32_sdwa v3, v16, s16 dst_sel:BYTE_1 dst_unused:UNUSED_PAD src0_sel:BYTE_3 src1_sel:DWORD
	v_xor_b32_e32 v4, 0x7f, v17
	v_xor_b32_sdwa v5, v38, s16 dst_sel:BYTE_1 dst_unused:UNUSED_PAD src0_sel:DWORD src1_sel:DWORD
	v_xor_b32_sdwa v6, v17, s16 dst_sel:DWORD dst_unused:UNUSED_PAD src0_sel:WORD_1 src1_sel:DWORD
	v_xor_b32_sdwa v7, v17, s16 dst_sel:BYTE_1 dst_unused:UNUSED_PAD src0_sel:BYTE_3 src1_sel:DWORD
	v_or_b32_sdwa v0, v0, v1 dst_sel:DWORD dst_unused:UNUSED_PAD src0_sel:BYTE_0 src1_sel:DWORD
	v_or_b32_sdwa v1, v2, v3 dst_sel:WORD_1 dst_unused:UNUSED_PAD src0_sel:BYTE_0 src1_sel:DWORD
	v_or_b32_sdwa v0, v0, v1 dst_sel:DWORD dst_unused:UNUSED_PAD src0_sel:WORD_0 src1_sel:DWORD
	v_or_b32_sdwa v1, v4, v5 dst_sel:DWORD dst_unused:UNUSED_PAD src0_sel:BYTE_0 src1_sel:DWORD
	v_or_b32_sdwa v2, v6, v7 dst_sel:WORD_1 dst_unused:UNUSED_PAD src0_sel:BYTE_0 src1_sel:DWORD
	v_or_b32_sdwa v1, v1, v2 dst_sel:DWORD dst_unused:UNUSED_PAD src0_sel:WORD_0 src1_sel:DWORD
.LBB101_84:
	s_waitcnt lgkmcnt(0)
	s_barrier
	ds_write_b64 v52, v[0:1]
	s_waitcnt lgkmcnt(0)
	s_barrier
	ds_read_u8 v8, v45 offset:256
	ds_read_u8 v7, v46 offset:512
	;; [unrolled: 1-line block ×7, first 2 shown]
	v_mov_b32_e32 v1, s41
	v_add_co_u32_e32 v0, vcc, s40, v37
	v_addc_co_u32_e32 v1, vcc, 0, v1, vcc
	s_and_saveexec_b64 s[16:17], s[0:1]
	s_cbranch_execnz .LBB101_103
; %bb.85:
	s_or_b64 exec, exec, s[16:17]
	s_and_saveexec_b64 s[16:17], s[2:3]
	s_cbranch_execnz .LBB101_104
.LBB101_86:
	s_or_b64 exec, exec, s[16:17]
	s_and_saveexec_b64 s[16:17], s[4:5]
	s_cbranch_execnz .LBB101_105
.LBB101_87:
	s_or_b64 exec, exec, s[16:17]
	s_and_saveexec_b64 s[16:17], s[6:7]
	s_cbranch_execnz .LBB101_106
.LBB101_88:
	s_or_b64 exec, exec, s[16:17]
	s_and_saveexec_b64 s[16:17], s[8:9]
	s_cbranch_execnz .LBB101_107
.LBB101_89:
	s_or_b64 exec, exec, s[16:17]
	s_and_saveexec_b64 s[16:17], s[10:11]
	s_cbranch_execnz .LBB101_108
.LBB101_90:
	s_or_b64 exec, exec, s[16:17]
	s_and_saveexec_b64 s[16:17], s[12:13]
	s_cbranch_execnz .LBB101_109
.LBB101_91:
	s_or_b64 exec, exec, s[16:17]
	s_and_saveexec_b64 s[16:17], s[14:15]
	s_cbranch_execz .LBB101_93
.LBB101_92:
	s_mul_i32 s18, s38, 0x700
	v_add_co_u32_e32 v0, vcc, s18, v0
	v_addc_co_u32_e32 v1, vcc, 0, v1, vcc
	s_waitcnt lgkmcnt(0)
	global_store_byte v[0:1], v2, off
.LBB101_93:
	s_or_b64 exec, exec, s[16:17]
	s_waitcnt lgkmcnt(0)
	s_barrier
	ds_write2_b64 v60, v[18:19], v[20:21] offset1:1
	ds_write2_b64 v60, v[22:23], v[24:25] offset0:2 offset1:3
	ds_write2_b64 v60, v[26:27], v[28:29] offset0:4 offset1:5
	;; [unrolled: 1-line block ×3, first 2 shown]
	s_waitcnt lgkmcnt(0)
	s_barrier
	ds_read_b64 v[14:15], v35 offset:2048
	ds_read_b64 v[12:13], v54 offset:4096
	;; [unrolled: 1-line block ×7, first 2 shown]
	v_mov_b32_e32 v35, 0
	v_lshlrev_b64 v[2:3], 3, v[34:35]
	v_mov_b32_e32 v16, s35
	v_add_co_u32_e32 v2, vcc, s33, v2
	v_addc_co_u32_e32 v3, vcc, v16, v3, vcc
	s_and_saveexec_b64 s[16:17], s[0:1]
	s_cbranch_execnz .LBB101_110
; %bb.94:
	s_or_b64 exec, exec, s[16:17]
	s_and_saveexec_b64 s[0:1], s[2:3]
	s_cbranch_execnz .LBB101_111
.LBB101_95:
	s_or_b64 exec, exec, s[0:1]
	s_and_saveexec_b64 s[0:1], s[4:5]
	s_cbranch_execnz .LBB101_112
.LBB101_96:
	s_or_b64 exec, exec, s[0:1]
	s_and_saveexec_b64 s[0:1], s[6:7]
	s_cbranch_execnz .LBB101_113
.LBB101_97:
	s_or_b64 exec, exec, s[0:1]
	s_and_saveexec_b64 s[0:1], s[8:9]
	s_cbranch_execnz .LBB101_114
.LBB101_98:
	s_or_b64 exec, exec, s[0:1]
	s_and_saveexec_b64 s[0:1], s[10:11]
	s_cbranch_execnz .LBB101_115
.LBB101_99:
	s_or_b64 exec, exec, s[0:1]
	s_and_saveexec_b64 s[0:1], s[12:13]
	s_cbranch_execnz .LBB101_116
.LBB101_100:
	s_or_b64 exec, exec, s[0:1]
	s_and_saveexec_b64 s[0:1], s[14:15]
	s_cbranch_execz .LBB101_102
.LBB101_101:
	s_mul_i32 s0, s34, 0x700
	s_mov_b32 s1, 0
	s_lshl_b64 s[0:1], s[0:1], 3
	s_waitcnt lgkmcnt(1)
	v_mov_b32_e32 v4, s1
	v_add_co_u32_e32 v2, vcc, s0, v2
	v_addc_co_u32_e32 v3, vcc, v3, v4, vcc
	s_waitcnt lgkmcnt(0)
	global_store_dwordx2 v[2:3], v[0:1], off
.LBB101_102:
	s_endpgm
.LBB101_103:
	ds_read_u8 v9, v44
	s_waitcnt lgkmcnt(0)
	global_store_byte v[0:1], v9, off
	s_or_b64 exec, exec, s[16:17]
	s_and_saveexec_b64 s[16:17], s[2:3]
	s_cbranch_execz .LBB101_86
.LBB101_104:
	s_lshl_b32 s18, s38, 8
	v_add_co_u32_e32 v10, vcc, s18, v0
	v_addc_co_u32_e32 v11, vcc, 0, v1, vcc
	s_waitcnt lgkmcnt(6)
	global_store_byte v[10:11], v8, off
	s_or_b64 exec, exec, s[16:17]
	s_and_saveexec_b64 s[16:17], s[4:5]
	s_cbranch_execz .LBB101_87
.LBB101_105:
	s_lshl_b32 s18, s38, 9
	s_waitcnt lgkmcnt(6)
	v_add_co_u32_e32 v8, vcc, s18, v0
	v_addc_co_u32_e32 v9, vcc, 0, v1, vcc
	s_waitcnt lgkmcnt(5)
	global_store_byte v[8:9], v7, off
	s_or_b64 exec, exec, s[16:17]
	s_and_saveexec_b64 s[16:17], s[6:7]
	s_cbranch_execz .LBB101_88
.LBB101_106:
	s_mul_i32 s18, s38, 0x300
	s_waitcnt lgkmcnt(6)
	v_add_co_u32_e32 v8, vcc, s18, v0
	v_addc_co_u32_e32 v9, vcc, 0, v1, vcc
	s_waitcnt lgkmcnt(4)
	global_store_byte v[8:9], v6, off
	s_or_b64 exec, exec, s[16:17]
	s_and_saveexec_b64 s[16:17], s[8:9]
	s_cbranch_execz .LBB101_89
.LBB101_107:
	s_lshl_b32 s18, s38, 10
	s_waitcnt lgkmcnt(4)
	v_add_co_u32_e32 v6, vcc, s18, v0
	v_addc_co_u32_e32 v7, vcc, 0, v1, vcc
	s_waitcnt lgkmcnt(3)
	global_store_byte v[6:7], v5, off
	s_or_b64 exec, exec, s[16:17]
	s_and_saveexec_b64 s[16:17], s[10:11]
	s_cbranch_execz .LBB101_90
.LBB101_108:
	s_mul_i32 s18, s38, 0x500
	s_waitcnt lgkmcnt(4)
	v_add_co_u32_e32 v6, vcc, s18, v0
	v_addc_co_u32_e32 v7, vcc, 0, v1, vcc
	s_waitcnt lgkmcnt(2)
	global_store_byte v[6:7], v4, off
	s_or_b64 exec, exec, s[16:17]
	s_and_saveexec_b64 s[16:17], s[12:13]
	s_cbranch_execz .LBB101_91
.LBB101_109:
	s_mul_i32 s18, s38, 0x600
	s_waitcnt lgkmcnt(2)
	v_add_co_u32_e32 v4, vcc, s18, v0
	v_addc_co_u32_e32 v5, vcc, 0, v1, vcc
	s_waitcnt lgkmcnt(1)
	global_store_byte v[4:5], v3, off
	s_or_b64 exec, exec, s[16:17]
	s_and_saveexec_b64 s[16:17], s[14:15]
	s_cbranch_execnz .LBB101_92
	s_branch .LBB101_93
.LBB101_110:
	ds_read_b64 v[16:17], v41
	s_waitcnt lgkmcnt(0)
	global_store_dwordx2 v[2:3], v[16:17], off
	s_or_b64 exec, exec, s[16:17]
	s_and_saveexec_b64 s[0:1], s[2:3]
	s_cbranch_execz .LBB101_95
.LBB101_111:
	s_lshl_b32 s2, s34, 8
	s_mov_b32 s3, 0
	s_lshl_b64 s[2:3], s[2:3], 3
	v_mov_b32_e32 v17, s3
	v_add_co_u32_e32 v16, vcc, s2, v2
	v_addc_co_u32_e32 v17, vcc, v3, v17, vcc
	s_waitcnt lgkmcnt(6)
	global_store_dwordx2 v[16:17], v[14:15], off
	s_or_b64 exec, exec, s[0:1]
	s_and_saveexec_b64 s[0:1], s[4:5]
	s_cbranch_execz .LBB101_96
.LBB101_112:
	s_lshl_b32 s2, s34, 9
	s_mov_b32 s3, 0
	s_lshl_b64 s[2:3], s[2:3], 3
	s_waitcnt lgkmcnt(6)
	v_mov_b32_e32 v15, s3
	v_add_co_u32_e32 v14, vcc, s2, v2
	v_addc_co_u32_e32 v15, vcc, v3, v15, vcc
	s_waitcnt lgkmcnt(5)
	global_store_dwordx2 v[14:15], v[12:13], off
	s_or_b64 exec, exec, s[0:1]
	s_and_saveexec_b64 s[0:1], s[6:7]
	s_cbranch_execz .LBB101_97
.LBB101_113:
	s_mul_i32 s2, s34, 0x300
	s_mov_b32 s3, 0
	s_lshl_b64 s[2:3], s[2:3], 3
	s_waitcnt lgkmcnt(5)
	v_mov_b32_e32 v13, s3
	v_add_co_u32_e32 v12, vcc, s2, v2
	v_addc_co_u32_e32 v13, vcc, v3, v13, vcc
	s_waitcnt lgkmcnt(4)
	global_store_dwordx2 v[12:13], v[10:11], off
	s_or_b64 exec, exec, s[0:1]
	s_and_saveexec_b64 s[0:1], s[8:9]
	s_cbranch_execz .LBB101_98
.LBB101_114:
	s_lshl_b32 s2, s34, 10
	s_mov_b32 s3, 0
	s_lshl_b64 s[2:3], s[2:3], 3
	s_waitcnt lgkmcnt(4)
	v_mov_b32_e32 v11, s3
	v_add_co_u32_e32 v10, vcc, s2, v2
	v_addc_co_u32_e32 v11, vcc, v3, v11, vcc
	s_waitcnt lgkmcnt(3)
	global_store_dwordx2 v[10:11], v[8:9], off
	s_or_b64 exec, exec, s[0:1]
	s_and_saveexec_b64 s[0:1], s[10:11]
	s_cbranch_execz .LBB101_99
.LBB101_115:
	s_mul_i32 s2, s34, 0x500
	s_mov_b32 s3, 0
	s_lshl_b64 s[2:3], s[2:3], 3
	s_waitcnt lgkmcnt(3)
	v_mov_b32_e32 v9, s3
	v_add_co_u32_e32 v8, vcc, s2, v2
	v_addc_co_u32_e32 v9, vcc, v3, v9, vcc
	s_waitcnt lgkmcnt(2)
	global_store_dwordx2 v[8:9], v[6:7], off
	s_or_b64 exec, exec, s[0:1]
	s_and_saveexec_b64 s[0:1], s[12:13]
	s_cbranch_execz .LBB101_100
.LBB101_116:
	s_mul_i32 s2, s34, 0x600
	s_mov_b32 s3, 0
	s_lshl_b64 s[2:3], s[2:3], 3
	s_waitcnt lgkmcnt(2)
	v_mov_b32_e32 v7, s3
	v_add_co_u32_e32 v6, vcc, s2, v2
	v_addc_co_u32_e32 v7, vcc, v3, v7, vcc
	s_waitcnt lgkmcnt(1)
	global_store_dwordx2 v[6:7], v[4:5], off
	s_or_b64 exec, exec, s[0:1]
	s_and_saveexec_b64 s[0:1], s[14:15]
	s_cbranch_execnz .LBB101_101
	s_branch .LBB101_102
	.section	.rodata,"a",@progbits
	.p2align	6, 0x0
	.amdhsa_kernel _ZN2at6native18radixSortKVInPlaceILin2ELin1ELi256ELi8EaljEEvNS_4cuda6detail10TensorInfoIT3_T5_EES6_S6_S6_NS4_IT4_S6_EES6_b
		.amdhsa_group_segment_fixed_size 16896
		.amdhsa_private_segment_fixed_size 0
		.amdhsa_kernarg_size 712
		.amdhsa_user_sgpr_count 6
		.amdhsa_user_sgpr_private_segment_buffer 1
		.amdhsa_user_sgpr_dispatch_ptr 0
		.amdhsa_user_sgpr_queue_ptr 0
		.amdhsa_user_sgpr_kernarg_segment_ptr 1
		.amdhsa_user_sgpr_dispatch_id 0
		.amdhsa_user_sgpr_flat_scratch_init 0
		.amdhsa_user_sgpr_kernarg_preload_length 0
		.amdhsa_user_sgpr_kernarg_preload_offset 0
		.amdhsa_user_sgpr_private_segment_size 0
		.amdhsa_uses_dynamic_stack 0
		.amdhsa_system_sgpr_private_segment_wavefront_offset 0
		.amdhsa_system_sgpr_workgroup_id_x 1
		.amdhsa_system_sgpr_workgroup_id_y 1
		.amdhsa_system_sgpr_workgroup_id_z 1
		.amdhsa_system_sgpr_workgroup_info 0
		.amdhsa_system_vgpr_workitem_id 2
		.amdhsa_next_free_vgpr 109
		.amdhsa_next_free_sgpr 46
		.amdhsa_accum_offset 112
		.amdhsa_reserve_vcc 1
		.amdhsa_reserve_flat_scratch 0
		.amdhsa_float_round_mode_32 0
		.amdhsa_float_round_mode_16_64 0
		.amdhsa_float_denorm_mode_32 3
		.amdhsa_float_denorm_mode_16_64 3
		.amdhsa_dx10_clamp 1
		.amdhsa_ieee_mode 1
		.amdhsa_fp16_overflow 0
		.amdhsa_tg_split 0
		.amdhsa_exception_fp_ieee_invalid_op 0
		.amdhsa_exception_fp_denorm_src 0
		.amdhsa_exception_fp_ieee_div_zero 0
		.amdhsa_exception_fp_ieee_overflow 0
		.amdhsa_exception_fp_ieee_underflow 0
		.amdhsa_exception_fp_ieee_inexact 0
		.amdhsa_exception_int_div_zero 0
	.end_amdhsa_kernel
	.section	.text._ZN2at6native18radixSortKVInPlaceILin2ELin1ELi256ELi8EaljEEvNS_4cuda6detail10TensorInfoIT3_T5_EES6_S6_S6_NS4_IT4_S6_EES6_b,"axG",@progbits,_ZN2at6native18radixSortKVInPlaceILin2ELin1ELi256ELi8EaljEEvNS_4cuda6detail10TensorInfoIT3_T5_EES6_S6_S6_NS4_IT4_S6_EES6_b,comdat
.Lfunc_end101:
	.size	_ZN2at6native18radixSortKVInPlaceILin2ELin1ELi256ELi8EaljEEvNS_4cuda6detail10TensorInfoIT3_T5_EES6_S6_S6_NS4_IT4_S6_EES6_b, .Lfunc_end101-_ZN2at6native18radixSortKVInPlaceILin2ELin1ELi256ELi8EaljEEvNS_4cuda6detail10TensorInfoIT3_T5_EES6_S6_S6_NS4_IT4_S6_EES6_b
                                        ; -- End function
	.section	.AMDGPU.csdata,"",@progbits
; Kernel info:
; codeLenInByte = 11920
; NumSgprs: 50
; NumVgprs: 109
; NumAgprs: 0
; TotalNumVgprs: 109
; ScratchSize: 0
; MemoryBound: 0
; FloatMode: 240
; IeeeMode: 1
; LDSByteSize: 16896 bytes/workgroup (compile time only)
; SGPRBlocks: 6
; VGPRBlocks: 13
; NumSGPRsForWavesPerEU: 50
; NumVGPRsForWavesPerEU: 109
; AccumOffset: 112
; Occupancy: 3
; WaveLimiterHint : 1
; COMPUTE_PGM_RSRC2:SCRATCH_EN: 0
; COMPUTE_PGM_RSRC2:USER_SGPR: 6
; COMPUTE_PGM_RSRC2:TRAP_HANDLER: 0
; COMPUTE_PGM_RSRC2:TGID_X_EN: 1
; COMPUTE_PGM_RSRC2:TGID_Y_EN: 1
; COMPUTE_PGM_RSRC2:TGID_Z_EN: 1
; COMPUTE_PGM_RSRC2:TIDIG_COMP_CNT: 2
; COMPUTE_PGM_RSRC3_GFX90A:ACCUM_OFFSET: 27
; COMPUTE_PGM_RSRC3_GFX90A:TG_SPLIT: 0
	.section	.text._ZN2at6native18radixSortKVInPlaceILin2ELin1ELi128ELi8EaljEEvNS_4cuda6detail10TensorInfoIT3_T5_EES6_S6_S6_NS4_IT4_S6_EES6_b,"axG",@progbits,_ZN2at6native18radixSortKVInPlaceILin2ELin1ELi128ELi8EaljEEvNS_4cuda6detail10TensorInfoIT3_T5_EES6_S6_S6_NS4_IT4_S6_EES6_b,comdat
	.protected	_ZN2at6native18radixSortKVInPlaceILin2ELin1ELi128ELi8EaljEEvNS_4cuda6detail10TensorInfoIT3_T5_EES6_S6_S6_NS4_IT4_S6_EES6_b ; -- Begin function _ZN2at6native18radixSortKVInPlaceILin2ELin1ELi128ELi8EaljEEvNS_4cuda6detail10TensorInfoIT3_T5_EES6_S6_S6_NS4_IT4_S6_EES6_b
	.globl	_ZN2at6native18radixSortKVInPlaceILin2ELin1ELi128ELi8EaljEEvNS_4cuda6detail10TensorInfoIT3_T5_EES6_S6_S6_NS4_IT4_S6_EES6_b
	.p2align	8
	.type	_ZN2at6native18radixSortKVInPlaceILin2ELin1ELi128ELi8EaljEEvNS_4cuda6detail10TensorInfoIT3_T5_EES6_S6_S6_NS4_IT4_S6_EES6_b,@function
_ZN2at6native18radixSortKVInPlaceILin2ELin1ELi128ELi8EaljEEvNS_4cuda6detail10TensorInfoIT3_T5_EES6_S6_S6_NS4_IT4_S6_EES6_b: ; @_ZN2at6native18radixSortKVInPlaceILin2ELin1ELi128ELi8EaljEEvNS_4cuda6detail10TensorInfoIT3_T5_EES6_S6_S6_NS4_IT4_S6_EES6_b
; %bb.0:
	s_load_dwordx2 s[0:1], s[4:5], 0x1c8
	s_load_dwordx4 s[36:39], s[4:5], 0xd8
	s_add_u32 s42, s4, 0x1c8
	s_addc_u32 s43, s5, 0
	s_waitcnt lgkmcnt(0)
	s_mul_i32 s1, s1, s8
	s_add_i32 s1, s1, s7
	s_mul_i32 s0, s1, s0
	s_add_i32 s6, s0, s6
	s_cmp_ge_u32 s6, s36
	s_cbranch_scc1 .LBB102_102
; %bb.1:
	s_load_dword s2, s[4:5], 0x1b8
	s_load_dwordx2 s[0:1], s[4:5], 0x0
	s_add_u32 s14, s4, 0xe8
	s_addc_u32 s15, s5, 0
	s_mov_b32 s17, 0
	s_waitcnt lgkmcnt(0)
	s_cmp_lt_i32 s2, 2
	s_mov_b32 s16, s6
	s_cbranch_scc1 .LBB102_4
; %bb.2:
	s_add_i32 s16, s2, -1
	s_add_i32 s7, s2, 1
	s_lshl_b64 s[2:3], s[16:17], 2
	s_add_u32 s2, s2, s14
	s_addc_u32 s3, s3, s15
	s_add_u32 s2, s2, 8
	s_addc_u32 s3, s3, 0
	s_mov_b32 s16, s6
.LBB102_3:                              ; =>This Inner Loop Header: Depth=1
	s_load_dword s8, s[2:3], 0x0
	s_load_dword s10, s[2:3], 0x64
	s_mov_b32 s9, s16
	s_waitcnt lgkmcnt(0)
	v_cvt_f32_u32_e32 v1, s8
	s_sub_i32 s11, 0, s8
	v_rcp_iflag_f32_e32 v1, v1
	v_mul_f32_e32 v1, 0x4f7ffffe, v1
	v_cvt_u32_f32_e32 v1, v1
	v_readfirstlane_b32 s12, v1
	s_mul_i32 s11, s11, s12
	s_mul_hi_u32 s11, s12, s11
	s_add_i32 s12, s12, s11
	s_mul_hi_u32 s11, s16, s12
	s_mul_i32 s12, s11, s8
	s_sub_i32 s12, s16, s12
	s_add_i32 s13, s11, 1
	s_sub_i32 s16, s12, s8
	s_cmp_ge_u32 s12, s8
	s_cselect_b32 s11, s13, s11
	s_cselect_b32 s12, s16, s12
	s_add_i32 s13, s11, 1
	s_cmp_ge_u32 s12, s8
	s_cselect_b32 s16, s13, s11
	s_mul_i32 s8, s16, s8
	s_sub_i32 s8, s9, s8
	s_mul_i32 s8, s10, s8
	s_add_i32 s7, s7, -1
	s_add_i32 s17, s8, s17
	s_add_u32 s2, s2, -4
	s_addc_u32 s3, s3, -1
	s_cmp_gt_u32 s7, 2
	s_cbranch_scc1 .LBB102_3
.LBB102_4:
	s_load_dword s2, s[4:5], 0x6c
	s_load_dwordx2 s[34:35], s[4:5], 0x1c0
	s_movk_i32 s5, 0x80
	v_and_b32_e32 v36, 0x3ff, v0
	v_mul_lo_u32 v37, v36, s38
	s_waitcnt lgkmcnt(0)
	s_mul_i32 s4, s2, s6
	s_bitcmp1_b32 s35, 0
	s_cselect_b64 s[44:45], -1, 0
	s_and_b64 s[2:3], s[44:45], exec
	s_cselect_b32 s2, s5, 0x7f
	v_lshlrev_b16_e64 v2, 8, s2
	v_or_b32_e32 v2, s2, v2
	v_lshlrev_b32_e32 v3, 16, v2
	s_add_u32 s40, s0, s4
	v_or_b32_sdwa v2, v2, v3 dst_sel:DWORD dst_unused:UNUSED_PAD src0_sel:WORD_0 src1_sel:DWORD
	s_addc_u32 s41, s1, 0
	v_mov_b32_e32 v1, s2
	v_mov_b32_e32 v3, v2
	v_cmp_gt_u32_e64 s[0:1], s37, v36
	s_and_saveexec_b64 s[2:3], s[0:1]
	s_cbranch_execz .LBB102_6
; %bb.5:
	global_load_ubyte v1, v37, s[40:41]
	s_mov_b32 s4, 0x3020104
	v_mov_b32_e32 v5, v2
	s_waitcnt vmcnt(0)
	v_perm_b32 v4, v1, v2, s4
	v_pk_mov_b32 v[2:3], v[4:5], v[4:5] op_sel:[0,1]
.LBB102_6:
	s_or_b64 exec, exec, s[2:3]
	v_add_u32_e32 v32, 0x80, v36
	v_cmp_gt_u32_e64 s[2:3], s37, v32
	s_and_saveexec_b64 s[4:5], s[2:3]
	s_cbranch_execz .LBB102_8
; %bb.7:
	v_mul_lo_u32 v4, v32, s38
	global_load_ubyte v4, v4, s[40:41]
	s_mov_b32 s6, 0x7060004
	s_waitcnt vmcnt(0)
	v_perm_b32 v2, v2, v4, s6
.LBB102_8:
	s_or_b64 exec, exec, s[4:5]
	v_add_u32_e32 v31, 0x100, v36
	v_cmp_gt_u32_e64 s[4:5], s37, v31
	s_and_saveexec_b64 s[6:7], s[4:5]
	s_cbranch_execz .LBB102_10
; %bb.9:
	v_mul_lo_u32 v4, v31, s38
	global_load_ubyte v4, v4, s[40:41]
	s_movk_i32 s8, 0xff00
	v_and_b32_sdwa v5, v2, s8 dst_sel:DWORD dst_unused:UNUSED_PAD src0_sel:WORD_1 src1_sel:DWORD
	s_mov_b32 s8, 0xffff
	s_waitcnt vmcnt(0)
	v_or_b32_sdwa v4, v4, v5 dst_sel:WORD_1 dst_unused:UNUSED_PAD src0_sel:DWORD src1_sel:DWORD
	v_and_or_b32 v2, v2, s8, v4
.LBB102_10:
	s_or_b64 exec, exec, s[6:7]
	v_add_u32_e32 v30, 0x180, v36
	v_cmp_gt_u32_e64 s[6:7], s37, v30
	s_and_saveexec_b64 s[8:9], s[6:7]
	s_cbranch_execz .LBB102_12
; %bb.11:
	v_mul_lo_u32 v4, v30, s38
	global_load_ubyte v4, v4, s[40:41]
	s_movk_i32 s10, 0xff
	v_and_b32_sdwa v5, v2, s10 dst_sel:DWORD dst_unused:UNUSED_PAD src0_sel:WORD_1 src1_sel:DWORD
	s_mov_b32 s10, 0xffff
	s_waitcnt vmcnt(0)
	v_lshlrev_b16_e32 v4, 8, v4
	v_or_b32_sdwa v4, v5, v4 dst_sel:WORD_1 dst_unused:UNUSED_PAD src0_sel:DWORD src1_sel:DWORD
	v_and_or_b32 v2, v2, s10, v4
.LBB102_12:
	s_or_b64 exec, exec, s[8:9]
	v_add_u32_e32 v29, 0x200, v36
	v_cmp_gt_u32_e64 s[8:9], s37, v29
	s_and_saveexec_b64 s[10:11], s[8:9]
	s_cbranch_execz .LBB102_14
; %bb.13:
	v_mul_lo_u32 v4, v29, s38
	global_load_ubyte v4, v4, s[40:41]
	s_mov_b32 s12, 0x3020104
	s_waitcnt vmcnt(0)
	v_perm_b32 v3, v4, v3, s12
.LBB102_14:
	s_or_b64 exec, exec, s[10:11]
	v_add_u32_e32 v28, 0x280, v36
	v_cmp_gt_u32_e64 s[10:11], s37, v28
	s_and_saveexec_b64 s[12:13], s[10:11]
	s_cbranch_execz .LBB102_16
; %bb.15:
	v_mul_lo_u32 v4, v28, s38
	global_load_ubyte v4, v4, s[40:41]
	s_mov_b32 s18, 0x7060004
	s_waitcnt vmcnt(0)
	v_perm_b32 v3, v3, v4, s18
.LBB102_16:
	s_or_b64 exec, exec, s[12:13]
	s_load_dwordx2 s[18:19], s[14:15], 0x0
	v_add_u32_e32 v27, 0x300, v36
	v_cmp_gt_u32_e64 s[12:13], s37, v27
	s_and_saveexec_b64 s[20:21], s[12:13]
	s_cbranch_execz .LBB102_18
; %bb.17:
	v_mul_lo_u32 v4, v27, s38
	global_load_ubyte v4, v4, s[40:41]
	s_mov_b32 s22, 0x7000504
	s_waitcnt vmcnt(0)
	v_perm_b32 v3, v3, v4, s22
.LBB102_18:
	s_or_b64 exec, exec, s[20:21]
	s_load_dword s22, s[14:15], 0x6c
	v_add_u32_e32 v22, 0x380, v36
	v_cmp_gt_u32_e64 s[14:15], s37, v22
	s_and_saveexec_b64 s[20:21], s[14:15]
	s_cbranch_execz .LBB102_20
; %bb.19:
	v_mul_lo_u32 v4, v22, s38
	global_load_ubyte v4, v4, s[40:41]
	s_mov_b32 s23, 0x60504
	s_waitcnt vmcnt(0)
	v_perm_b32 v3, v3, v4, s23
.LBB102_20:
	s_or_b64 exec, exec, s[20:21]
	v_lshrrev_b32_e32 v26, 5, v36
	v_and_b32_e32 v4, 28, v26
	v_add_u32_e32 v44, v4, v36
	v_lshrrev_b32_e32 v25, 5, v32
	ds_write_b8 v44, v1
	v_and_b32_e32 v1, 60, v25
	v_lshrrev_b32_e32 v24, 5, v31
	v_add_u32_e32 v45, v1, v36
	v_and_b32_e32 v1, 60, v24
	v_lshrrev_b32_e32 v23, 5, v30
	v_add_u32_e32 v46, v1, v36
	;; [unrolled: 3-line block ×3, first 2 shown]
	v_and_b32_e32 v1, 60, v21
	v_lshrrev_b32_e32 v19, 5, v28
	v_lshrrev_b32_e32 v4, 8, v2
	v_add_u32_e32 v48, v1, v36
	v_and_b32_e32 v1, 60, v19
	v_lshrrev_b32_e32 v18, 5, v27
	ds_write_b8 v45, v4 offset:128
	ds_write_b8_d16_hi v46, v2 offset:256
	v_lshrrev_b32_e32 v2, 24, v2
	v_add_u32_e32 v49, v1, v36
	v_and_b32_e32 v1, 60, v18
	ds_write_b8 v47, v2 offset:384
	v_lshrrev_b32_e32 v2, 8, v3
	v_add_u32_e32 v50, v1, v36
	v_lshrrev_b32_e32 v1, 5, v22
	ds_write_b8 v48, v3 offset:512
	ds_write_b8 v49, v2 offset:640
	v_and_b32_e32 v2, 60, v1
	v_lshrrev_b32_e32 v20, 2, v36
	v_add_u32_e32 v51, v2, v36
	v_lshlrev_b32_e32 v53, 3, v36
	v_and_b32_e32 v2, 0xfc, v20
	s_waitcnt lgkmcnt(0)
	s_mul_i32 s16, s22, s16
	ds_write_b8_d16_hi v50, v3 offset:768
	v_lshrrev_b32_e32 v3, 24, v3
	v_add_u32_e32 v52, v2, v53
	s_add_i32 s16, s16, s17
	s_mov_b32 s17, 0
	ds_write_b8 v51, v3 offset:896
	s_waitcnt lgkmcnt(0)
	s_barrier
	ds_read_b64 v[38:39], v52
	s_lshl_b64 s[20:21], s[16:17], 3
	s_add_u32 s33, s18, s20
	s_mov_b32 s16, s17
	s_addc_u32 s35, s19, s21
	s_mov_b32 s18, s17
	s_mov_b32 s19, s17
	;; [unrolled: 1-line block ×14, first 2 shown]
	v_pk_mov_b32 v[2:3], s[16:17], s[16:17] op_sel:[0,1]
	v_pk_mov_b32 v[4:5], s[18:19], s[18:19] op_sel:[0,1]
	;; [unrolled: 1-line block ×8, first 2 shown]
	v_pk_mov_b32 v[2:3], 0, 0
	v_mul_lo_u32 v34, v36, s34
	s_waitcnt lgkmcnt(0)
	s_barrier
	s_and_saveexec_b64 s[16:17], s[0:1]
	s_cbranch_execnz .LBB102_53
; %bb.21:
	s_or_b64 exec, exec, s[16:17]
	s_and_saveexec_b64 s[16:17], s[2:3]
	s_cbranch_execnz .LBB102_54
.LBB102_22:
	s_or_b64 exec, exec, s[16:17]
	s_and_saveexec_b64 s[16:17], s[4:5]
	s_cbranch_execnz .LBB102_55
.LBB102_23:
	s_or_b64 exec, exec, s[16:17]
	s_and_saveexec_b64 s[16:17], s[6:7]
	s_cbranch_execnz .LBB102_56
.LBB102_24:
	s_or_b64 exec, exec, s[16:17]
	s_and_saveexec_b64 s[16:17], s[8:9]
	s_cbranch_execnz .LBB102_57
.LBB102_25:
	s_or_b64 exec, exec, s[16:17]
	s_and_saveexec_b64 s[16:17], s[10:11]
	s_cbranch_execnz .LBB102_58
.LBB102_26:
	s_or_b64 exec, exec, s[16:17]
	s_and_saveexec_b64 s[16:17], s[12:13]
	s_cbranch_execnz .LBB102_59
.LBB102_27:
	s_or_b64 exec, exec, s[16:17]
	s_xor_b64 s[16:17], s[44:45], -1
	s_and_saveexec_b64 s[18:19], s[14:15]
	s_cbranch_execz .LBB102_29
.LBB102_28:
	v_mul_lo_u32 v16, v22, s34
	v_mov_b32_e32 v17, 0
	v_lshlrev_b64 v[16:17], 3, v[16:17]
	v_mov_b32_e32 v22, s35
	v_add_co_u32_e32 v16, vcc, s33, v16
	v_addc_co_u32_e32 v17, vcc, v22, v17, vcc
	global_load_dwordx2 v[16:17], v[16:17], off
.LBB102_29:
	s_or_b64 exec, exec, s[18:19]
	v_lshrrev_b64 v[40:41], 24, v[38:39]
	v_add_lshl_u32 v41, v26, v36, 3
	v_add_lshl_u32 v35, v25, v36, 3
	;; [unrolled: 1-line block ×9, first 2 shown]
	s_waitcnt vmcnt(0)
	ds_write_b64 v41, v[2:3]
	ds_write_b64 v35, v[4:5] offset:1024
	ds_write_b64 v54, v[6:7] offset:2048
	;; [unrolled: 1-line block ×7, first 2 shown]
	s_waitcnt lgkmcnt(0)
	s_barrier
	ds_read2_b64 v[14:17], v60 offset1:1
	ds_read2_b64 v[10:13], v60 offset0:2 offset1:3
	ds_read2_b64 v[6:9], v60 offset0:4 offset1:5
	;; [unrolled: 1-line block ×3, first 2 shown]
	v_mbcnt_lo_u32_b32 v1, -1, 0
	v_mbcnt_hi_u32_b32 v61, -1, v1
	v_and_b32_e32 v63, 0x3c0, v36
	s_movk_i32 s18, 0x1e00
	v_add_lshl_u32 v71, v61, v63, 3
	v_and_or_b32 v70, v53, s18, v61
	v_lshrrev_b32_e32 v64, 8, v38
	v_lshrrev_b32_e32 v67, 8, v39
	s_and_b64 vcc, exec, s[16:17]
	v_bfe_u32 v65, v0, 10, 10
	v_bfe_u32 v66, v0, 20, 10
	v_lshlrev_b32_e32 v69, 3, v71
	v_lshlrev_b32_e32 v68, 3, v70
	;; [unrolled: 1-line block ×3, first 2 shown]
	s_waitcnt lgkmcnt(0)
	s_barrier
	s_cbranch_vccz .LBB102_60
; %bb.30:
	s_movk_i32 s16, 0x80
	v_xor_b32_sdwa v0, v67, s16 dst_sel:BYTE_1 dst_unused:UNUSED_PAD src0_sel:DWORD src1_sel:DWORD
	v_xor_b32_e32 v1, 0x80, v39
	v_or_b32_sdwa v0, v1, v0 dst_sel:DWORD dst_unused:UNUSED_PAD src0_sel:BYTE_0 src1_sel:DWORD
	v_xor_b32_sdwa v1, v39, s16 dst_sel:DWORD dst_unused:UNUSED_PAD src0_sel:BYTE_3 src1_sel:DWORD
	v_lshlrev_b16_e32 v1, 8, v1
	v_xor_b32_sdwa v18, v39, s16 dst_sel:DWORD dst_unused:UNUSED_PAD src0_sel:WORD_1 src1_sel:DWORD
	v_or_b32_sdwa v1, v18, v1 dst_sel:WORD_1 dst_unused:UNUSED_PAD src0_sel:BYTE_0 src1_sel:DWORD
	v_or_b32_sdwa v1, v0, v1 dst_sel:DWORD dst_unused:UNUSED_PAD src0_sel:WORD_0 src1_sel:DWORD
	v_xor_b32_sdwa v0, v64, s16 dst_sel:BYTE_1 dst_unused:UNUSED_PAD src0_sel:DWORD src1_sel:DWORD
	v_xor_b32_e32 v18, 0x80, v38
	v_or_b32_sdwa v0, v18, v0 dst_sel:DWORD dst_unused:UNUSED_PAD src0_sel:BYTE_0 src1_sel:DWORD
	v_xor_b32_sdwa v18, v40, s16 dst_sel:BYTE_1 dst_unused:UNUSED_PAD src0_sel:DWORD src1_sel:DWORD
	v_xor_b32_sdwa v19, v38, s16 dst_sel:DWORD dst_unused:UNUSED_PAD src0_sel:WORD_1 src1_sel:DWORD
	v_or_b32_sdwa v18, v19, v18 dst_sel:WORD_1 dst_unused:UNUSED_PAD src0_sel:BYTE_0 src1_sel:DWORD
	v_or_b32_sdwa v0, v0, v18 dst_sel:DWORD dst_unused:UNUSED_PAD src0_sel:WORD_0 src1_sel:DWORD
	s_getpc_b64 s[16:17]
	s_add_u32 s16, s16, _ZN7rocprim17ROCPRIM_400000_NS16block_radix_sortIaLj128ELj8ElLj1ELj1ELj0ELNS0_26block_radix_rank_algorithmE1ELNS0_18block_padding_hintE2ELNS0_4arch9wavefront6targetE1EE19radix_bits_per_passE@rel32@lo+4
	s_addc_u32 s17, s17, _ZN7rocprim17ROCPRIM_400000_NS16block_radix_sortIaLj128ELj8ElLj1ELj1ELj0ELNS0_26block_radix_rank_algorithmE1ELNS0_18block_padding_hintE2ELNS0_4arch9wavefront6targetE1EE19radix_bits_per_passE@rel32@hi+12
	ds_write_b64 v71, v[0:1]
	; wave barrier
	ds_read_u8 v72, v70
	ds_read_u8 v73, v70 offset:64
	ds_read_u8 v74, v70 offset:128
	;; [unrolled: 1-line block ×7, first 2 shown]
	s_waitcnt lgkmcnt(0)
	s_barrier
	ds_write2_b64 v69, v[14:15], v[16:17] offset1:1
	ds_write2_b64 v69, v[10:11], v[12:13] offset0:2 offset1:3
	ds_write2_b64 v69, v[6:7], v[8:9] offset0:4 offset1:5
	;; [unrolled: 1-line block ×3, first 2 shown]
	; wave barrier
	ds_read2st64_b64 v[30:33], v68 offset1:1
	ds_read2st64_b64 v[26:29], v68 offset0:2 offset1:3
	ds_read2st64_b64 v[22:25], v68 offset0:4 offset1:5
	;; [unrolled: 1-line block ×3, first 2 shown]
	s_waitcnt lgkmcnt(0)
	s_barrier
	s_load_dword s18, s[16:17], 0x0
	s_load_dword s19, s[42:43], 0xc
	v_mov_b32_e32 v82, 1
	s_waitcnt lgkmcnt(0)
	s_min_u32 s18, s18, 8
	s_lshr_b32 s16, s19, 16
	s_and_b32 s17, s19, 0xffff
	v_mad_u32_u24 v0, v66, s16, v65
	v_mad_u64_u32 v[42:43], s[16:17], v0, s17, v[36:37]
	s_lshl_b32 s16, -1, s18
	s_not_b32 s18, s16
	v_lshrrev_b32_e32 v85, 6, v42
	v_and_b32_e32 v42, s18, v72
	v_lshlrev_b32_sdwa v1, v82, v42 dst_sel:DWORD dst_unused:UNUSED_PAD src0_sel:DWORD src1_sel:BYTE_0
	v_add_lshl_u32 v80, v85, v1, 2
	v_and_b32_e32 v1, 1, v42
	v_add_co_u32_e32 v43, vcc, -1, v1
	v_addc_co_u32_e64 v81, s[16:17], 0, -1, vcc
	v_cmp_ne_u32_e32 vcc, 0, v1
	v_xor_b32_e32 v1, vcc_hi, v81
	v_mov_b32_e32 v0, 0
	v_and_b32_e32 v81, exec_hi, v1
	v_lshlrev_b32_e32 v1, 30, v42
	v_xor_b32_e32 v43, vcc_lo, v43
	v_cmp_gt_i64_e32 vcc, 0, v[0:1]
	v_not_b32_e32 v1, v1
	v_ashrrev_i32_e32 v1, 31, v1
	v_and_b32_e32 v43, exec_lo, v43
	v_xor_b32_e32 v83, vcc_hi, v1
	v_xor_b32_e32 v1, vcc_lo, v1
	v_and_b32_e32 v43, v43, v1
	v_lshlrev_b32_e32 v1, 29, v42
	v_cmp_gt_i64_e32 vcc, 0, v[0:1]
	v_not_b32_e32 v1, v1
	v_ashrrev_i32_e32 v1, 31, v1
	v_and_b32_e32 v81, v81, v83
	v_xor_b32_e32 v83, vcc_hi, v1
	v_xor_b32_e32 v1, vcc_lo, v1
	v_and_b32_e32 v43, v43, v1
	v_lshlrev_b32_e32 v1, 28, v42
	v_cmp_gt_i64_e32 vcc, 0, v[0:1]
	v_not_b32_e32 v1, v1
	v_ashrrev_i32_e32 v1, 31, v1
	v_and_b32_e32 v81, v81, v83
	;; [unrolled: 8-line block ×5, first 2 shown]
	v_xor_b32_e32 v83, vcc_hi, v1
	v_xor_b32_e32 v1, vcc_lo, v1
	v_and_b32_e32 v81, v81, v83
	v_and_b32_e32 v83, v43, v1
	v_lshlrev_b32_e32 v1, 24, v42
	v_cmp_gt_i64_e32 vcc, 0, v[0:1]
	v_not_b32_e32 v1, v1
	v_ashrrev_i32_e32 v1, 31, v1
	v_xor_b32_e32 v42, vcc_hi, v1
	v_xor_b32_e32 v1, vcc_lo, v1
	v_and_b32_e32 v43, v81, v42
	v_and_b32_e32 v42, v83, v1
	v_mbcnt_lo_u32_b32 v1, v42, 0
	v_mbcnt_hi_u32_b32 v81, v43, v1
	v_cmp_eq_u32_e32 vcc, 0, v81
	v_cmp_ne_u64_e64 s[16:17], 0, v[42:43]
	s_and_b64 s[20:21], s[16:17], vcc
	ds_write2_b32 v62, v0, v0 offset0:2 offset1:3
	ds_write2_b32 v62, v0, v0 offset0:4 offset1:5
	s_waitcnt lgkmcnt(0)
	s_barrier
	s_waitcnt lgkmcnt(0)
	; wave barrier
	s_and_saveexec_b64 s[16:17], s[20:21]
	s_cbranch_execz .LBB102_32
; %bb.31:
	v_bcnt_u32_b32 v1, v42, 0
	v_bcnt_u32_b32 v1, v43, v1
	ds_write_b32 v80, v1 offset:8
.LBB102_32:
	s_or_b64 exec, exec, s[16:17]
	v_and_b32_e32 v42, s18, v73
	v_lshlrev_b32_sdwa v1, v82, v42 dst_sel:DWORD dst_unused:UNUSED_PAD src0_sel:DWORD src1_sel:BYTE_0
	v_add_lshl_u32 v83, v85, v1, 2
	v_and_b32_e32 v1, 1, v42
	v_add_co_u32_e32 v43, vcc, -1, v1
	v_addc_co_u32_e64 v84, s[16:17], 0, -1, vcc
	v_cmp_ne_u32_e32 vcc, 0, v1
	v_xor_b32_e32 v1, vcc_hi, v84
	v_and_b32_e32 v84, exec_hi, v1
	v_lshlrev_b32_e32 v1, 30, v42
	v_xor_b32_e32 v43, vcc_lo, v43
	v_cmp_gt_i64_e32 vcc, 0, v[0:1]
	v_not_b32_e32 v1, v1
	v_ashrrev_i32_e32 v1, 31, v1
	v_and_b32_e32 v43, exec_lo, v43
	v_xor_b32_e32 v86, vcc_hi, v1
	v_xor_b32_e32 v1, vcc_lo, v1
	v_and_b32_e32 v43, v43, v1
	v_lshlrev_b32_e32 v1, 29, v42
	v_cmp_gt_i64_e32 vcc, 0, v[0:1]
	v_not_b32_e32 v1, v1
	v_ashrrev_i32_e32 v1, 31, v1
	v_and_b32_e32 v84, v84, v86
	v_xor_b32_e32 v86, vcc_hi, v1
	v_xor_b32_e32 v1, vcc_lo, v1
	v_and_b32_e32 v43, v43, v1
	v_lshlrev_b32_e32 v1, 28, v42
	v_cmp_gt_i64_e32 vcc, 0, v[0:1]
	v_not_b32_e32 v1, v1
	v_ashrrev_i32_e32 v1, 31, v1
	v_and_b32_e32 v84, v84, v86
	;; [unrolled: 8-line block ×5, first 2 shown]
	v_xor_b32_e32 v86, vcc_hi, v1
	v_xor_b32_e32 v1, vcc_lo, v1
	v_and_b32_e32 v43, v43, v1
	v_lshlrev_b32_e32 v1, 24, v42
	v_cmp_gt_i64_e32 vcc, 0, v[0:1]
	v_not_b32_e32 v0, v1
	v_ashrrev_i32_e32 v0, 31, v0
	v_xor_b32_e32 v1, vcc_hi, v0
	v_xor_b32_e32 v0, vcc_lo, v0
	; wave barrier
	ds_read_b32 v82, v83 offset:8
	v_and_b32_e32 v84, v84, v86
	v_and_b32_e32 v0, v43, v0
	;; [unrolled: 1-line block ×3, first 2 shown]
	v_mbcnt_lo_u32_b32 v42, v0, 0
	v_mbcnt_hi_u32_b32 v84, v1, v42
	v_cmp_eq_u32_e32 vcc, 0, v84
	v_cmp_ne_u64_e64 s[16:17], 0, v[0:1]
	s_and_b64 s[20:21], s[16:17], vcc
	; wave barrier
	s_and_saveexec_b64 s[16:17], s[20:21]
	s_cbranch_execz .LBB102_34
; %bb.33:
	v_bcnt_u32_b32 v0, v0, 0
	v_bcnt_u32_b32 v0, v1, v0
	s_waitcnt lgkmcnt(0)
	v_add_u32_e32 v0, v82, v0
	ds_write_b32 v83, v0 offset:8
.LBB102_34:
	s_or_b64 exec, exec, s[16:17]
	v_and_b32_e32 v42, s18, v74
	v_and_b32_e32 v1, 1, v42
	v_add_co_u32_e32 v43, vcc, -1, v1
	v_mov_b32_e32 v89, 1
	v_addc_co_u32_e64 v88, s[16:17], 0, -1, vcc
	v_cmp_ne_u32_e32 vcc, 0, v1
	v_lshlrev_b32_sdwa v0, v89, v42 dst_sel:DWORD dst_unused:UNUSED_PAD src0_sel:DWORD src1_sel:BYTE_0
	v_xor_b32_e32 v1, vcc_hi, v88
	v_add_lshl_u32 v87, v85, v0, 2
	v_mov_b32_e32 v0, 0
	v_and_b32_e32 v88, exec_hi, v1
	v_lshlrev_b32_e32 v1, 30, v42
	v_xor_b32_e32 v43, vcc_lo, v43
	v_cmp_gt_i64_e32 vcc, 0, v[0:1]
	v_not_b32_e32 v1, v1
	v_ashrrev_i32_e32 v1, 31, v1
	v_and_b32_e32 v43, exec_lo, v43
	v_xor_b32_e32 v90, vcc_hi, v1
	v_xor_b32_e32 v1, vcc_lo, v1
	v_and_b32_e32 v43, v43, v1
	v_lshlrev_b32_e32 v1, 29, v42
	v_cmp_gt_i64_e32 vcc, 0, v[0:1]
	v_not_b32_e32 v1, v1
	v_ashrrev_i32_e32 v1, 31, v1
	v_and_b32_e32 v88, v88, v90
	v_xor_b32_e32 v90, vcc_hi, v1
	v_xor_b32_e32 v1, vcc_lo, v1
	v_and_b32_e32 v43, v43, v1
	v_lshlrev_b32_e32 v1, 28, v42
	v_cmp_gt_i64_e32 vcc, 0, v[0:1]
	v_not_b32_e32 v1, v1
	v_ashrrev_i32_e32 v1, 31, v1
	v_and_b32_e32 v88, v88, v90
	;; [unrolled: 8-line block ×5, first 2 shown]
	v_xor_b32_e32 v90, vcc_hi, v1
	v_xor_b32_e32 v1, vcc_lo, v1
	v_and_b32_e32 v88, v88, v90
	v_and_b32_e32 v90, v43, v1
	v_lshlrev_b32_e32 v1, 24, v42
	v_cmp_gt_i64_e32 vcc, 0, v[0:1]
	v_not_b32_e32 v1, v1
	v_ashrrev_i32_e32 v1, 31, v1
	v_xor_b32_e32 v42, vcc_hi, v1
	v_xor_b32_e32 v1, vcc_lo, v1
	; wave barrier
	ds_read_b32 v86, v87 offset:8
	v_and_b32_e32 v43, v88, v42
	v_and_b32_e32 v42, v90, v1
	v_mbcnt_lo_u32_b32 v1, v42, 0
	v_mbcnt_hi_u32_b32 v88, v43, v1
	v_cmp_eq_u32_e32 vcc, 0, v88
	v_cmp_ne_u64_e64 s[16:17], 0, v[42:43]
	s_and_b64 s[20:21], s[16:17], vcc
	; wave barrier
	s_and_saveexec_b64 s[16:17], s[20:21]
	s_cbranch_execz .LBB102_36
; %bb.35:
	v_bcnt_u32_b32 v1, v42, 0
	v_bcnt_u32_b32 v1, v43, v1
	s_waitcnt lgkmcnt(0)
	v_add_u32_e32 v1, v86, v1
	ds_write_b32 v87, v1 offset:8
.LBB102_36:
	s_or_b64 exec, exec, s[16:17]
	v_and_b32_e32 v42, s18, v75
	v_lshlrev_b32_sdwa v1, v89, v42 dst_sel:DWORD dst_unused:UNUSED_PAD src0_sel:DWORD src1_sel:BYTE_0
	v_add_lshl_u32 v90, v85, v1, 2
	v_and_b32_e32 v1, 1, v42
	v_add_co_u32_e32 v43, vcc, -1, v1
	v_addc_co_u32_e64 v91, s[16:17], 0, -1, vcc
	v_cmp_ne_u32_e32 vcc, 0, v1
	v_xor_b32_e32 v1, vcc_hi, v91
	v_and_b32_e32 v91, exec_hi, v1
	v_lshlrev_b32_e32 v1, 30, v42
	v_xor_b32_e32 v43, vcc_lo, v43
	v_cmp_gt_i64_e32 vcc, 0, v[0:1]
	v_not_b32_e32 v1, v1
	v_ashrrev_i32_e32 v1, 31, v1
	v_and_b32_e32 v43, exec_lo, v43
	v_xor_b32_e32 v92, vcc_hi, v1
	v_xor_b32_e32 v1, vcc_lo, v1
	v_and_b32_e32 v43, v43, v1
	v_lshlrev_b32_e32 v1, 29, v42
	v_cmp_gt_i64_e32 vcc, 0, v[0:1]
	v_not_b32_e32 v1, v1
	v_ashrrev_i32_e32 v1, 31, v1
	v_and_b32_e32 v91, v91, v92
	v_xor_b32_e32 v92, vcc_hi, v1
	v_xor_b32_e32 v1, vcc_lo, v1
	v_and_b32_e32 v43, v43, v1
	v_lshlrev_b32_e32 v1, 28, v42
	v_cmp_gt_i64_e32 vcc, 0, v[0:1]
	v_not_b32_e32 v1, v1
	v_ashrrev_i32_e32 v1, 31, v1
	v_and_b32_e32 v91, v91, v92
	;; [unrolled: 8-line block ×5, first 2 shown]
	v_xor_b32_e32 v92, vcc_hi, v1
	v_xor_b32_e32 v1, vcc_lo, v1
	v_and_b32_e32 v43, v43, v1
	v_lshlrev_b32_e32 v1, 24, v42
	v_cmp_gt_i64_e32 vcc, 0, v[0:1]
	v_not_b32_e32 v0, v1
	v_ashrrev_i32_e32 v0, 31, v0
	v_xor_b32_e32 v1, vcc_hi, v0
	v_xor_b32_e32 v0, vcc_lo, v0
	; wave barrier
	ds_read_b32 v89, v90 offset:8
	v_and_b32_e32 v91, v91, v92
	v_and_b32_e32 v0, v43, v0
	;; [unrolled: 1-line block ×3, first 2 shown]
	v_mbcnt_lo_u32_b32 v42, v0, 0
	v_mbcnt_hi_u32_b32 v91, v1, v42
	v_cmp_eq_u32_e32 vcc, 0, v91
	v_cmp_ne_u64_e64 s[16:17], 0, v[0:1]
	s_and_b64 s[20:21], s[16:17], vcc
	; wave barrier
	s_and_saveexec_b64 s[16:17], s[20:21]
	s_cbranch_execz .LBB102_38
; %bb.37:
	v_bcnt_u32_b32 v0, v0, 0
	v_bcnt_u32_b32 v0, v1, v0
	s_waitcnt lgkmcnt(0)
	v_add_u32_e32 v0, v89, v0
	ds_write_b32 v90, v0 offset:8
.LBB102_38:
	s_or_b64 exec, exec, s[16:17]
	v_and_b32_e32 v42, s18, v76
	v_and_b32_e32 v1, 1, v42
	v_add_co_u32_e32 v43, vcc, -1, v1
	v_mov_b32_e32 v95, 1
	v_addc_co_u32_e64 v94, s[16:17], 0, -1, vcc
	v_cmp_ne_u32_e32 vcc, 0, v1
	v_lshlrev_b32_sdwa v0, v95, v42 dst_sel:DWORD dst_unused:UNUSED_PAD src0_sel:DWORD src1_sel:BYTE_0
	v_xor_b32_e32 v1, vcc_hi, v94
	v_add_lshl_u32 v93, v85, v0, 2
	v_mov_b32_e32 v0, 0
	v_and_b32_e32 v94, exec_hi, v1
	v_lshlrev_b32_e32 v1, 30, v42
	v_xor_b32_e32 v43, vcc_lo, v43
	v_cmp_gt_i64_e32 vcc, 0, v[0:1]
	v_not_b32_e32 v1, v1
	v_ashrrev_i32_e32 v1, 31, v1
	v_and_b32_e32 v43, exec_lo, v43
	v_xor_b32_e32 v96, vcc_hi, v1
	v_xor_b32_e32 v1, vcc_lo, v1
	v_and_b32_e32 v43, v43, v1
	v_lshlrev_b32_e32 v1, 29, v42
	v_cmp_gt_i64_e32 vcc, 0, v[0:1]
	v_not_b32_e32 v1, v1
	v_ashrrev_i32_e32 v1, 31, v1
	v_and_b32_e32 v94, v94, v96
	v_xor_b32_e32 v96, vcc_hi, v1
	v_xor_b32_e32 v1, vcc_lo, v1
	v_and_b32_e32 v43, v43, v1
	v_lshlrev_b32_e32 v1, 28, v42
	v_cmp_gt_i64_e32 vcc, 0, v[0:1]
	v_not_b32_e32 v1, v1
	v_ashrrev_i32_e32 v1, 31, v1
	v_and_b32_e32 v94, v94, v96
	;; [unrolled: 8-line block ×5, first 2 shown]
	v_xor_b32_e32 v96, vcc_hi, v1
	v_xor_b32_e32 v1, vcc_lo, v1
	v_and_b32_e32 v94, v94, v96
	v_and_b32_e32 v96, v43, v1
	v_lshlrev_b32_e32 v1, 24, v42
	v_cmp_gt_i64_e32 vcc, 0, v[0:1]
	v_not_b32_e32 v1, v1
	v_ashrrev_i32_e32 v1, 31, v1
	v_xor_b32_e32 v42, vcc_hi, v1
	v_xor_b32_e32 v1, vcc_lo, v1
	; wave barrier
	ds_read_b32 v92, v93 offset:8
	v_and_b32_e32 v43, v94, v42
	v_and_b32_e32 v42, v96, v1
	v_mbcnt_lo_u32_b32 v1, v42, 0
	v_mbcnt_hi_u32_b32 v94, v43, v1
	v_cmp_eq_u32_e32 vcc, 0, v94
	v_cmp_ne_u64_e64 s[16:17], 0, v[42:43]
	s_and_b64 s[20:21], s[16:17], vcc
	; wave barrier
	s_and_saveexec_b64 s[16:17], s[20:21]
	s_cbranch_execz .LBB102_40
; %bb.39:
	v_bcnt_u32_b32 v1, v42, 0
	v_bcnt_u32_b32 v1, v43, v1
	s_waitcnt lgkmcnt(0)
	v_add_u32_e32 v1, v92, v1
	ds_write_b32 v93, v1 offset:8
.LBB102_40:
	s_or_b64 exec, exec, s[16:17]
	v_and_b32_e32 v42, s18, v77
	v_lshlrev_b32_sdwa v1, v95, v42 dst_sel:DWORD dst_unused:UNUSED_PAD src0_sel:DWORD src1_sel:BYTE_0
	v_add_lshl_u32 v96, v85, v1, 2
	v_and_b32_e32 v1, 1, v42
	v_add_co_u32_e32 v43, vcc, -1, v1
	v_addc_co_u32_e64 v97, s[16:17], 0, -1, vcc
	v_cmp_ne_u32_e32 vcc, 0, v1
	v_xor_b32_e32 v1, vcc_hi, v97
	v_and_b32_e32 v97, exec_hi, v1
	v_lshlrev_b32_e32 v1, 30, v42
	v_xor_b32_e32 v43, vcc_lo, v43
	v_cmp_gt_i64_e32 vcc, 0, v[0:1]
	v_not_b32_e32 v1, v1
	v_ashrrev_i32_e32 v1, 31, v1
	v_and_b32_e32 v43, exec_lo, v43
	v_xor_b32_e32 v98, vcc_hi, v1
	v_xor_b32_e32 v1, vcc_lo, v1
	v_and_b32_e32 v43, v43, v1
	v_lshlrev_b32_e32 v1, 29, v42
	v_cmp_gt_i64_e32 vcc, 0, v[0:1]
	v_not_b32_e32 v1, v1
	v_ashrrev_i32_e32 v1, 31, v1
	v_and_b32_e32 v97, v97, v98
	v_xor_b32_e32 v98, vcc_hi, v1
	v_xor_b32_e32 v1, vcc_lo, v1
	v_and_b32_e32 v43, v43, v1
	v_lshlrev_b32_e32 v1, 28, v42
	v_cmp_gt_i64_e32 vcc, 0, v[0:1]
	v_not_b32_e32 v1, v1
	v_ashrrev_i32_e32 v1, 31, v1
	v_and_b32_e32 v97, v97, v98
	;; [unrolled: 8-line block ×5, first 2 shown]
	v_xor_b32_e32 v98, vcc_hi, v1
	v_xor_b32_e32 v1, vcc_lo, v1
	v_and_b32_e32 v43, v43, v1
	v_lshlrev_b32_e32 v1, 24, v42
	v_cmp_gt_i64_e32 vcc, 0, v[0:1]
	v_not_b32_e32 v0, v1
	v_ashrrev_i32_e32 v0, 31, v0
	v_xor_b32_e32 v1, vcc_hi, v0
	v_xor_b32_e32 v0, vcc_lo, v0
	; wave barrier
	ds_read_b32 v95, v96 offset:8
	v_and_b32_e32 v97, v97, v98
	v_and_b32_e32 v0, v43, v0
	;; [unrolled: 1-line block ×3, first 2 shown]
	v_mbcnt_lo_u32_b32 v42, v0, 0
	v_mbcnt_hi_u32_b32 v97, v1, v42
	v_cmp_eq_u32_e32 vcc, 0, v97
	v_cmp_ne_u64_e64 s[16:17], 0, v[0:1]
	s_and_b64 s[20:21], s[16:17], vcc
	; wave barrier
	s_and_saveexec_b64 s[16:17], s[20:21]
	s_cbranch_execz .LBB102_42
; %bb.41:
	v_bcnt_u32_b32 v0, v0, 0
	v_bcnt_u32_b32 v0, v1, v0
	s_waitcnt lgkmcnt(0)
	v_add_u32_e32 v0, v95, v0
	ds_write_b32 v96, v0 offset:8
.LBB102_42:
	s_or_b64 exec, exec, s[16:17]
	v_and_b32_e32 v42, s18, v78
	v_and_b32_e32 v1, 1, v42
	v_add_co_u32_e32 v43, vcc, -1, v1
	v_mov_b32_e32 v101, 1
	v_addc_co_u32_e64 v100, s[16:17], 0, -1, vcc
	v_cmp_ne_u32_e32 vcc, 0, v1
	v_lshlrev_b32_sdwa v0, v101, v42 dst_sel:DWORD dst_unused:UNUSED_PAD src0_sel:DWORD src1_sel:BYTE_0
	v_xor_b32_e32 v1, vcc_hi, v100
	v_add_lshl_u32 v99, v85, v0, 2
	v_mov_b32_e32 v0, 0
	v_and_b32_e32 v100, exec_hi, v1
	v_lshlrev_b32_e32 v1, 30, v42
	v_xor_b32_e32 v43, vcc_lo, v43
	v_cmp_gt_i64_e32 vcc, 0, v[0:1]
	v_not_b32_e32 v1, v1
	v_ashrrev_i32_e32 v1, 31, v1
	v_and_b32_e32 v43, exec_lo, v43
	v_xor_b32_e32 v102, vcc_hi, v1
	v_xor_b32_e32 v1, vcc_lo, v1
	v_and_b32_e32 v43, v43, v1
	v_lshlrev_b32_e32 v1, 29, v42
	v_cmp_gt_i64_e32 vcc, 0, v[0:1]
	v_not_b32_e32 v1, v1
	v_ashrrev_i32_e32 v1, 31, v1
	v_and_b32_e32 v100, v100, v102
	v_xor_b32_e32 v102, vcc_hi, v1
	v_xor_b32_e32 v1, vcc_lo, v1
	v_and_b32_e32 v43, v43, v1
	v_lshlrev_b32_e32 v1, 28, v42
	v_cmp_gt_i64_e32 vcc, 0, v[0:1]
	v_not_b32_e32 v1, v1
	v_ashrrev_i32_e32 v1, 31, v1
	v_and_b32_e32 v100, v100, v102
	;; [unrolled: 8-line block ×5, first 2 shown]
	v_xor_b32_e32 v102, vcc_hi, v1
	v_xor_b32_e32 v1, vcc_lo, v1
	v_and_b32_e32 v100, v100, v102
	v_and_b32_e32 v102, v43, v1
	v_lshlrev_b32_e32 v1, 24, v42
	v_cmp_gt_i64_e32 vcc, 0, v[0:1]
	v_not_b32_e32 v1, v1
	v_ashrrev_i32_e32 v1, 31, v1
	v_xor_b32_e32 v42, vcc_hi, v1
	v_xor_b32_e32 v1, vcc_lo, v1
	; wave barrier
	ds_read_b32 v98, v99 offset:8
	v_and_b32_e32 v43, v100, v42
	v_and_b32_e32 v42, v102, v1
	v_mbcnt_lo_u32_b32 v1, v42, 0
	v_mbcnt_hi_u32_b32 v100, v43, v1
	v_cmp_eq_u32_e32 vcc, 0, v100
	v_cmp_ne_u64_e64 s[16:17], 0, v[42:43]
	s_and_b64 s[20:21], s[16:17], vcc
	; wave barrier
	s_and_saveexec_b64 s[16:17], s[20:21]
	s_cbranch_execz .LBB102_44
; %bb.43:
	v_bcnt_u32_b32 v1, v42, 0
	v_bcnt_u32_b32 v1, v43, v1
	s_waitcnt lgkmcnt(0)
	v_add_u32_e32 v1, v98, v1
	ds_write_b32 v99, v1 offset:8
.LBB102_44:
	s_or_b64 exec, exec, s[16:17]
	v_and_b32_e32 v42, s18, v79
	v_lshlrev_b32_sdwa v1, v101, v42 dst_sel:DWORD dst_unused:UNUSED_PAD src0_sel:DWORD src1_sel:BYTE_0
	v_add_lshl_u32 v101, v85, v1, 2
	v_and_b32_e32 v1, 1, v42
	v_add_co_u32_e32 v43, vcc, -1, v1
	v_addc_co_u32_e64 v103, s[16:17], 0, -1, vcc
	v_cmp_ne_u32_e32 vcc, 0, v1
	v_xor_b32_e32 v1, vcc_hi, v103
	v_and_b32_e32 v103, exec_hi, v1
	v_lshlrev_b32_e32 v1, 30, v42
	v_xor_b32_e32 v43, vcc_lo, v43
	v_cmp_gt_i64_e32 vcc, 0, v[0:1]
	v_not_b32_e32 v1, v1
	v_ashrrev_i32_e32 v1, 31, v1
	v_and_b32_e32 v43, exec_lo, v43
	v_xor_b32_e32 v104, vcc_hi, v1
	v_xor_b32_e32 v1, vcc_lo, v1
	v_and_b32_e32 v43, v43, v1
	v_lshlrev_b32_e32 v1, 29, v42
	v_cmp_gt_i64_e32 vcc, 0, v[0:1]
	v_not_b32_e32 v1, v1
	v_ashrrev_i32_e32 v1, 31, v1
	v_and_b32_e32 v103, v103, v104
	v_xor_b32_e32 v104, vcc_hi, v1
	v_xor_b32_e32 v1, vcc_lo, v1
	v_and_b32_e32 v43, v43, v1
	v_lshlrev_b32_e32 v1, 28, v42
	v_cmp_gt_i64_e32 vcc, 0, v[0:1]
	v_not_b32_e32 v1, v1
	v_ashrrev_i32_e32 v1, 31, v1
	v_and_b32_e32 v103, v103, v104
	;; [unrolled: 8-line block ×5, first 2 shown]
	v_xor_b32_e32 v104, vcc_hi, v1
	v_xor_b32_e32 v1, vcc_lo, v1
	v_and_b32_e32 v43, v43, v1
	v_lshlrev_b32_e32 v1, 24, v42
	v_cmp_gt_i64_e32 vcc, 0, v[0:1]
	v_not_b32_e32 v0, v1
	v_ashrrev_i32_e32 v0, 31, v0
	v_xor_b32_e32 v1, vcc_hi, v0
	v_xor_b32_e32 v0, vcc_lo, v0
	; wave barrier
	ds_read_b32 v85, v101 offset:8
	v_and_b32_e32 v103, v103, v104
	v_and_b32_e32 v0, v43, v0
	;; [unrolled: 1-line block ×3, first 2 shown]
	v_mbcnt_lo_u32_b32 v42, v0, 0
	v_mbcnt_hi_u32_b32 v103, v1, v42
	v_cmp_eq_u32_e32 vcc, 0, v103
	v_cmp_ne_u64_e64 s[16:17], 0, v[0:1]
	v_or_b32_e32 v102, 8, v62
	s_and_b64 s[18:19], s[16:17], vcc
	; wave barrier
	s_and_saveexec_b64 s[16:17], s[18:19]
	s_cbranch_execz .LBB102_46
; %bb.45:
	v_bcnt_u32_b32 v0, v0, 0
	v_bcnt_u32_b32 v0, v1, v0
	s_waitcnt lgkmcnt(0)
	v_add_u32_e32 v0, v85, v0
	ds_write_b32 v101, v0 offset:8
.LBB102_46:
	s_or_b64 exec, exec, s[16:17]
	; wave barrier
	s_waitcnt lgkmcnt(0)
	s_barrier
	ds_read2_b32 v[0:1], v62 offset0:2 offset1:3
	ds_read2_b32 v[42:43], v102 offset0:2 offset1:3
	s_waitcnt lgkmcnt(1)
	v_add_u32_e32 v104, v1, v0
	s_waitcnt lgkmcnt(0)
	v_add3_u32 v43, v104, v42, v43
	v_and_b32_e32 v104, 15, v61
	v_cmp_ne_u32_e32 vcc, 0, v104
	v_mov_b32_dpp v105, v43 row_shr:1 row_mask:0xf bank_mask:0xf
	v_cndmask_b32_e32 v105, 0, v105, vcc
	v_add_u32_e32 v43, v105, v43
	v_cmp_lt_u32_e32 vcc, 1, v104
	s_nop 0
	v_mov_b32_dpp v105, v43 row_shr:2 row_mask:0xf bank_mask:0xf
	v_cndmask_b32_e32 v105, 0, v105, vcc
	v_add_u32_e32 v43, v43, v105
	v_cmp_lt_u32_e32 vcc, 3, v104
	s_nop 0
	;; [unrolled: 5-line block ×3, first 2 shown]
	v_mov_b32_dpp v105, v43 row_shr:8 row_mask:0xf bank_mask:0xf
	v_cndmask_b32_e32 v104, 0, v105, vcc
	v_add_u32_e32 v43, v43, v104
	v_bfe_i32 v105, v61, 4, 1
	v_cmp_lt_u32_e32 vcc, 31, v61
	v_mov_b32_dpp v104, v43 row_bcast:15 row_mask:0xf bank_mask:0xf
	v_and_b32_e32 v104, v105, v104
	v_add_u32_e32 v43, v43, v104
	v_min_u32_e32 v105, 64, v63
	v_or_b32_e32 v105, 63, v105
	v_mov_b32_dpp v104, v43 row_bcast:31 row_mask:0xf bank_mask:0xf
	v_cndmask_b32_e32 v104, 0, v104, vcc
	v_add_u32_e32 v43, v43, v104
	v_lshrrev_b32_e32 v104, 6, v36
	v_cmp_eq_u32_e32 vcc, v105, v36
	s_and_saveexec_b64 s[16:17], vcc
	s_cbranch_execz .LBB102_48
; %bb.47:
	v_lshlrev_b32_e32 v105, 2, v104
	ds_write_b32 v105, v43
.LBB102_48:
	s_or_b64 exec, exec, s[16:17]
	v_cmp_gt_u32_e32 vcc, 2, v36
	s_waitcnt lgkmcnt(0)
	s_barrier
	s_and_saveexec_b64 s[16:17], vcc
	s_cbranch_execz .LBB102_50
; %bb.49:
	v_lshlrev_b32_e32 v105, 2, v36
	ds_read_b32 v106, v105
	v_bfe_i32 v107, v61, 0, 1
	s_waitcnt lgkmcnt(0)
	v_mov_b32_dpp v108, v106 row_shr:1 row_mask:0xf bank_mask:0xf
	v_and_b32_e32 v107, v107, v108
	v_add_u32_e32 v106, v107, v106
	ds_write_b32 v105, v106
.LBB102_50:
	s_or_b64 exec, exec, s[16:17]
	v_cmp_lt_u32_e32 vcc, 63, v36
	v_mov_b32_e32 v105, 0
	s_waitcnt lgkmcnt(0)
	s_barrier
	s_and_saveexec_b64 s[16:17], vcc
	s_cbranch_execz .LBB102_52
; %bb.51:
	v_lshl_add_u32 v104, v104, 2, -4
	ds_read_b32 v105, v104
.LBB102_52:
	s_or_b64 exec, exec, s[16:17]
	v_add_u32_e32 v104, -1, v61
	v_and_b32_e32 v106, 64, v61
	v_cmp_lt_i32_e32 vcc, v104, v106
	v_cndmask_b32_e32 v104, v104, v61, vcc
	s_waitcnt lgkmcnt(0)
	v_add_u32_e32 v43, v105, v43
	v_lshlrev_b32_e32 v104, 2, v104
	ds_bpermute_b32 v43, v104, v43
	v_cmp_eq_u32_e32 vcc, 0, v61
	s_movk_i32 s16, 0x80
	s_waitcnt lgkmcnt(0)
	v_cndmask_b32_e32 v43, v43, v105, vcc
	v_cmp_ne_u32_e32 vcc, 0, v36
	v_cndmask_b32_e32 v43, 0, v43, vcc
	v_add_u32_e32 v0, v43, v0
	v_add_u32_e32 v1, v0, v1
	;; [unrolled: 1-line block ×3, first 2 shown]
	ds_write2_b32 v62, v43, v0 offset0:2 offset1:3
	ds_write2_b32 v102, v1, v42 offset0:2 offset1:3
	s_waitcnt lgkmcnt(0)
	s_barrier
	ds_read_b32 v0, v80 offset:8
	ds_read_b32 v1, v83 offset:8
	;; [unrolled: 1-line block ×8, first 2 shown]
	s_waitcnt lgkmcnt(7)
	v_add_u32_e32 v81, v0, v81
	s_waitcnt lgkmcnt(6)
	v_add3_u32 v82, v84, v82, v1
	s_waitcnt lgkmcnt(5)
	v_add3_u32 v42, v88, v86, v42
	;; [unrolled: 2-line block ×7, first 2 shown]
	s_barrier
	ds_write_b8 v81, v72
	ds_write_b8 v82, v73
	;; [unrolled: 1-line block ×8, first 2 shown]
	v_lshlrev_b32_e32 v74, 3, v81
	s_waitcnt lgkmcnt(0)
	s_barrier
	ds_read_b64 v[0:1], v53
	s_waitcnt lgkmcnt(0)
	s_barrier
	ds_write_b64 v74, v[30:31]
	v_lshlrev_b32_e32 v30, 3, v82
	ds_write_b64 v30, v[32:33]
	v_lshlrev_b32_e32 v30, 3, v42
	;; [unrolled: 2-line block ×7, first 2 shown]
	v_lshlrev_b32_e32 v30, 3, v53
	ds_write_b64 v18, v[20:21]
	s_waitcnt lgkmcnt(0)
	s_barrier
	ds_read2_b64 v[18:21], v30 offset1:1
	ds_read2_b64 v[22:25], v30 offset0:2 offset1:3
	ds_read2_b64 v[26:29], v30 offset0:4 offset1:5
	;; [unrolled: 1-line block ×3, first 2 shown]
	v_lshrrev_b32_e32 v72, 8, v0
	v_lshrrev_b32_e32 v73, 8, v1
	v_xor_b32_e32 v42, 0x80, v0
	v_xor_b32_sdwa v43, v72, s16 dst_sel:BYTE_1 dst_unused:UNUSED_PAD src0_sel:DWORD src1_sel:DWORD
	v_xor_b32_sdwa v72, v0, s16 dst_sel:DWORD dst_unused:UNUSED_PAD src0_sel:WORD_1 src1_sel:DWORD
	v_xor_b32_sdwa v0, v0, s16 dst_sel:BYTE_1 dst_unused:UNUSED_PAD src0_sel:BYTE_3 src1_sel:DWORD
	v_xor_b32_e32 v74, 0x80, v1
	v_xor_b32_sdwa v73, v73, s16 dst_sel:BYTE_1 dst_unused:UNUSED_PAD src0_sel:DWORD src1_sel:DWORD
	v_xor_b32_sdwa v75, v1, s16 dst_sel:DWORD dst_unused:UNUSED_PAD src0_sel:WORD_1 src1_sel:DWORD
	v_xor_b32_sdwa v1, v1, s16 dst_sel:BYTE_1 dst_unused:UNUSED_PAD src0_sel:BYTE_3 src1_sel:DWORD
	v_or_b32_sdwa v42, v42, v43 dst_sel:DWORD dst_unused:UNUSED_PAD src0_sel:BYTE_0 src1_sel:DWORD
	v_or_b32_sdwa v0, v72, v0 dst_sel:WORD_1 dst_unused:UNUSED_PAD src0_sel:BYTE_0 src1_sel:DWORD
	v_or_b32_sdwa v0, v42, v0 dst_sel:DWORD dst_unused:UNUSED_PAD src0_sel:WORD_0 src1_sel:DWORD
	v_or_b32_sdwa v42, v74, v73 dst_sel:DWORD dst_unused:UNUSED_PAD src0_sel:BYTE_0 src1_sel:DWORD
	v_or_b32_sdwa v1, v75, v1 dst_sel:WORD_1 dst_unused:UNUSED_PAD src0_sel:BYTE_0 src1_sel:DWORD
	v_or_b32_sdwa v1, v42, v1 dst_sel:DWORD dst_unused:UNUSED_PAD src0_sel:WORD_0 src1_sel:DWORD
	s_branch .LBB102_84
.LBB102_53:
	v_mov_b32_e32 v35, 0
	v_lshlrev_b64 v[2:3], 3, v[34:35]
	v_mov_b32_e32 v4, s35
	v_add_co_u32_e32 v2, vcc, s33, v2
	v_addc_co_u32_e32 v3, vcc, v4, v3, vcc
	global_load_dwordx2 v[2:3], v[2:3], off
	v_mov_b32_e32 v4, v35
	v_mov_b32_e32 v5, v35
	;; [unrolled: 1-line block ×14, first 2 shown]
	s_or_b64 exec, exec, s[16:17]
	s_and_saveexec_b64 s[16:17], s[2:3]
	s_cbranch_execz .LBB102_22
.LBB102_54:
	v_mul_lo_u32 v4, v32, s34
	v_mov_b32_e32 v5, 0
	v_lshlrev_b64 v[4:5], 3, v[4:5]
	v_mov_b32_e32 v32, s35
	v_add_co_u32_e32 v4, vcc, s33, v4
	v_addc_co_u32_e32 v5, vcc, v32, v5, vcc
	global_load_dwordx2 v[4:5], v[4:5], off
	s_or_b64 exec, exec, s[16:17]
	s_and_saveexec_b64 s[16:17], s[4:5]
	s_cbranch_execz .LBB102_23
.LBB102_55:
	v_mul_lo_u32 v6, v31, s34
	v_mov_b32_e32 v7, 0
	v_lshlrev_b64 v[6:7], 3, v[6:7]
	v_mov_b32_e32 v31, s35
	v_add_co_u32_e32 v6, vcc, s33, v6
	v_addc_co_u32_e32 v7, vcc, v31, v7, vcc
	global_load_dwordx2 v[6:7], v[6:7], off
	s_or_b64 exec, exec, s[16:17]
	s_and_saveexec_b64 s[16:17], s[6:7]
	s_cbranch_execz .LBB102_24
.LBB102_56:
	v_mul_lo_u32 v8, v30, s34
	v_mov_b32_e32 v9, 0
	v_lshlrev_b64 v[8:9], 3, v[8:9]
	v_mov_b32_e32 v30, s35
	v_add_co_u32_e32 v8, vcc, s33, v8
	v_addc_co_u32_e32 v9, vcc, v30, v9, vcc
	global_load_dwordx2 v[8:9], v[8:9], off
	s_or_b64 exec, exec, s[16:17]
	s_and_saveexec_b64 s[16:17], s[8:9]
	s_cbranch_execz .LBB102_25
.LBB102_57:
	v_mul_lo_u32 v10, v29, s34
	v_mov_b32_e32 v11, 0
	v_lshlrev_b64 v[10:11], 3, v[10:11]
	v_mov_b32_e32 v29, s35
	v_add_co_u32_e32 v10, vcc, s33, v10
	v_addc_co_u32_e32 v11, vcc, v29, v11, vcc
	global_load_dwordx2 v[10:11], v[10:11], off
	s_or_b64 exec, exec, s[16:17]
	s_and_saveexec_b64 s[16:17], s[10:11]
	s_cbranch_execz .LBB102_26
.LBB102_58:
	v_mul_lo_u32 v12, v28, s34
	v_mov_b32_e32 v13, 0
	v_lshlrev_b64 v[12:13], 3, v[12:13]
	v_mov_b32_e32 v28, s35
	v_add_co_u32_e32 v12, vcc, s33, v12
	v_addc_co_u32_e32 v13, vcc, v28, v13, vcc
	global_load_dwordx2 v[12:13], v[12:13], off
	s_or_b64 exec, exec, s[16:17]
	s_and_saveexec_b64 s[16:17], s[12:13]
	s_cbranch_execz .LBB102_27
.LBB102_59:
	v_mul_lo_u32 v14, v27, s34
	v_mov_b32_e32 v15, 0
	v_lshlrev_b64 v[14:15], 3, v[14:15]
	v_mov_b32_e32 v27, s35
	v_add_co_u32_e32 v14, vcc, s33, v14
	v_addc_co_u32_e32 v15, vcc, v27, v15, vcc
	global_load_dwordx2 v[14:15], v[14:15], off
	s_or_b64 exec, exec, s[16:17]
	s_xor_b64 s[16:17], s[44:45], -1
	s_and_saveexec_b64 s[18:19], s[14:15]
	s_cbranch_execnz .LBB102_28
	s_branch .LBB102_29
.LBB102_60:
                                        ; implicit-def: $vgpr1
                                        ; implicit-def: $vgpr32_vgpr33
                                        ; implicit-def: $vgpr28_vgpr29
                                        ; implicit-def: $vgpr24_vgpr25
                                        ; implicit-def: $vgpr20_vgpr21
	s_cbranch_execz .LBB102_84
; %bb.61:
	s_movk_i32 s16, 0x7f
	v_xor_b32_sdwa v0, v67, s16 dst_sel:BYTE_1 dst_unused:UNUSED_PAD src0_sel:DWORD src1_sel:DWORD
	v_xor_b32_e32 v1, 0x7f, v39
	v_or_b32_sdwa v0, v1, v0 dst_sel:DWORD dst_unused:UNUSED_PAD src0_sel:BYTE_0 src1_sel:DWORD
	v_xor_b32_sdwa v1, v39, s16 dst_sel:DWORD dst_unused:UNUSED_PAD src0_sel:BYTE_3 src1_sel:DWORD
	v_lshlrev_b16_e32 v1, 8, v1
	s_waitcnt lgkmcnt(3)
	v_xor_b32_sdwa v18, v39, s16 dst_sel:DWORD dst_unused:UNUSED_PAD src0_sel:WORD_1 src1_sel:DWORD
	v_or_b32_sdwa v1, v18, v1 dst_sel:WORD_1 dst_unused:UNUSED_PAD src0_sel:BYTE_0 src1_sel:DWORD
	v_or_b32_sdwa v1, v0, v1 dst_sel:DWORD dst_unused:UNUSED_PAD src0_sel:WORD_0 src1_sel:DWORD
	v_xor_b32_sdwa v0, v64, s16 dst_sel:BYTE_1 dst_unused:UNUSED_PAD src0_sel:DWORD src1_sel:DWORD
	v_xor_b32_e32 v18, 0x7f, v38
	v_or_b32_sdwa v0, v18, v0 dst_sel:DWORD dst_unused:UNUSED_PAD src0_sel:BYTE_0 src1_sel:DWORD
	v_xor_b32_sdwa v18, v40, s16 dst_sel:BYTE_1 dst_unused:UNUSED_PAD src0_sel:DWORD src1_sel:DWORD
	v_xor_b32_sdwa v19, v38, s16 dst_sel:DWORD dst_unused:UNUSED_PAD src0_sel:WORD_1 src1_sel:DWORD
	v_or_b32_sdwa v18, v19, v18 dst_sel:WORD_1 dst_unused:UNUSED_PAD src0_sel:BYTE_0 src1_sel:DWORD
	v_or_b32_sdwa v0, v0, v18 dst_sel:DWORD dst_unused:UNUSED_PAD src0_sel:WORD_0 src1_sel:DWORD
	s_getpc_b64 s[16:17]
	s_add_u32 s16, s16, _ZN7rocprim17ROCPRIM_400000_NS16block_radix_sortIaLj128ELj8ElLj1ELj1ELj0ELNS0_26block_radix_rank_algorithmE1ELNS0_18block_padding_hintE2ELNS0_4arch9wavefront6targetE1EE19radix_bits_per_passE@rel32@lo+4
	s_addc_u32 s17, s17, _ZN7rocprim17ROCPRIM_400000_NS16block_radix_sortIaLj128ELj8ElLj1ELj1ELj0ELNS0_26block_radix_rank_algorithmE1ELNS0_18block_padding_hintE2ELNS0_4arch9wavefront6targetE1EE19radix_bits_per_passE@rel32@hi+12
	ds_write_b64 v71, v[0:1]
	; wave barrier
	ds_read_u8 v20, v70
	ds_read_u8 v21, v70 offset:64
	s_waitcnt lgkmcnt(5)
	ds_read_u8 v22, v70 offset:128
	ds_read_u8 v23, v70 offset:192
	ds_read_u8 v24, v70 offset:256
	ds_read_u8 v25, v70 offset:320
	s_waitcnt lgkmcnt(8)
	ds_read_u8 v26, v70 offset:384
	ds_read_u8 v27, v70 offset:448
	s_waitcnt lgkmcnt(0)
	s_barrier
	ds_write2_b64 v69, v[14:15], v[16:17] offset1:1
	ds_write2_b64 v69, v[10:11], v[12:13] offset0:2 offset1:3
	ds_write2_b64 v69, v[6:7], v[8:9] offset0:4 offset1:5
	;; [unrolled: 1-line block ×3, first 2 shown]
	; wave barrier
	ds_read2st64_b64 v[12:15], v68 offset1:1
	ds_read2st64_b64 v[8:11], v68 offset0:2 offset1:3
	ds_read2st64_b64 v[4:7], v68 offset0:4 offset1:5
	ds_read2st64_b64 v[0:3], v68 offset0:6 offset1:7
	s_waitcnt lgkmcnt(0)
	s_barrier
	s_load_dword s18, s[16:17], 0x0
	s_load_dword s19, s[42:43], 0xc
	v_mov_b32_e32 v30, 1
	s_waitcnt lgkmcnt(0)
	s_min_u32 s18, s18, 8
	s_lshr_b32 s16, s19, 16
	s_and_b32 s17, s19, 0xffff
	v_mad_u32_u24 v16, v66, s16, v65
	v_mad_u64_u32 v[18:19], s[16:17], v16, s17, v[36:37]
	s_lshl_b32 s16, -1, s18
	s_not_b32 s18, s16
	v_lshrrev_b32_e32 v33, 6, v18
	v_and_b32_e32 v18, s18, v20
	v_lshlrev_b32_sdwa v17, v30, v18 dst_sel:DWORD dst_unused:UNUSED_PAD src0_sel:DWORD src1_sel:BYTE_0
	v_add_lshl_u32 v28, v33, v17, 2
	v_and_b32_e32 v17, 1, v18
	v_add_co_u32_e32 v19, vcc, -1, v17
	v_addc_co_u32_e64 v29, s[16:17], 0, -1, vcc
	v_cmp_ne_u32_e32 vcc, 0, v17
	v_xor_b32_e32 v17, vcc_hi, v29
	v_mov_b32_e32 v16, 0
	v_and_b32_e32 v29, exec_hi, v17
	v_lshlrev_b32_e32 v17, 30, v18
	v_xor_b32_e32 v19, vcc_lo, v19
	v_cmp_gt_i64_e32 vcc, 0, v[16:17]
	v_not_b32_e32 v17, v17
	v_ashrrev_i32_e32 v17, 31, v17
	v_and_b32_e32 v19, exec_lo, v19
	v_xor_b32_e32 v31, vcc_hi, v17
	v_xor_b32_e32 v17, vcc_lo, v17
	v_and_b32_e32 v19, v19, v17
	v_lshlrev_b32_e32 v17, 29, v18
	v_cmp_gt_i64_e32 vcc, 0, v[16:17]
	v_not_b32_e32 v17, v17
	v_ashrrev_i32_e32 v17, 31, v17
	v_and_b32_e32 v29, v29, v31
	v_xor_b32_e32 v31, vcc_hi, v17
	v_xor_b32_e32 v17, vcc_lo, v17
	v_and_b32_e32 v19, v19, v17
	v_lshlrev_b32_e32 v17, 28, v18
	v_cmp_gt_i64_e32 vcc, 0, v[16:17]
	v_not_b32_e32 v17, v17
	v_ashrrev_i32_e32 v17, 31, v17
	v_and_b32_e32 v29, v29, v31
	;; [unrolled: 8-line block ×5, first 2 shown]
	v_xor_b32_e32 v31, vcc_hi, v17
	v_xor_b32_e32 v17, vcc_lo, v17
	v_and_b32_e32 v29, v29, v31
	v_and_b32_e32 v31, v19, v17
	v_lshlrev_b32_e32 v17, 24, v18
	v_cmp_gt_i64_e32 vcc, 0, v[16:17]
	v_not_b32_e32 v17, v17
	v_ashrrev_i32_e32 v17, 31, v17
	v_xor_b32_e32 v18, vcc_hi, v17
	v_xor_b32_e32 v17, vcc_lo, v17
	v_and_b32_e32 v19, v29, v18
	v_and_b32_e32 v18, v31, v17
	v_mbcnt_lo_u32_b32 v17, v18, 0
	v_mbcnt_hi_u32_b32 v29, v19, v17
	v_cmp_eq_u32_e32 vcc, 0, v29
	v_cmp_ne_u64_e64 s[16:17], 0, v[18:19]
	s_and_b64 s[20:21], s[16:17], vcc
	ds_write2_b32 v62, v16, v16 offset0:2 offset1:3
	ds_write2_b32 v62, v16, v16 offset0:4 offset1:5
	s_waitcnt lgkmcnt(0)
	s_barrier
	s_waitcnt lgkmcnt(0)
	; wave barrier
	s_and_saveexec_b64 s[16:17], s[20:21]
	s_cbranch_execz .LBB102_63
; %bb.62:
	v_bcnt_u32_b32 v17, v18, 0
	v_bcnt_u32_b32 v17, v19, v17
	ds_write_b32 v28, v17 offset:8
.LBB102_63:
	s_or_b64 exec, exec, s[16:17]
	v_and_b32_e32 v18, s18, v21
	v_lshlrev_b32_sdwa v17, v30, v18 dst_sel:DWORD dst_unused:UNUSED_PAD src0_sel:DWORD src1_sel:BYTE_0
	v_add_lshl_u32 v31, v33, v17, 2
	v_and_b32_e32 v17, 1, v18
	v_add_co_u32_e32 v19, vcc, -1, v17
	v_addc_co_u32_e64 v32, s[16:17], 0, -1, vcc
	v_cmp_ne_u32_e32 vcc, 0, v17
	v_xor_b32_e32 v17, vcc_hi, v32
	v_and_b32_e32 v32, exec_hi, v17
	v_lshlrev_b32_e32 v17, 30, v18
	v_xor_b32_e32 v19, vcc_lo, v19
	v_cmp_gt_i64_e32 vcc, 0, v[16:17]
	v_not_b32_e32 v17, v17
	v_ashrrev_i32_e32 v17, 31, v17
	v_and_b32_e32 v19, exec_lo, v19
	v_xor_b32_e32 v38, vcc_hi, v17
	v_xor_b32_e32 v17, vcc_lo, v17
	v_and_b32_e32 v19, v19, v17
	v_lshlrev_b32_e32 v17, 29, v18
	v_cmp_gt_i64_e32 vcc, 0, v[16:17]
	v_not_b32_e32 v17, v17
	v_ashrrev_i32_e32 v17, 31, v17
	v_and_b32_e32 v32, v32, v38
	v_xor_b32_e32 v38, vcc_hi, v17
	v_xor_b32_e32 v17, vcc_lo, v17
	v_and_b32_e32 v19, v19, v17
	v_lshlrev_b32_e32 v17, 28, v18
	v_cmp_gt_i64_e32 vcc, 0, v[16:17]
	v_not_b32_e32 v17, v17
	v_ashrrev_i32_e32 v17, 31, v17
	v_and_b32_e32 v32, v32, v38
	v_xor_b32_e32 v38, vcc_hi, v17
	v_xor_b32_e32 v17, vcc_lo, v17
	v_and_b32_e32 v19, v19, v17
	v_lshlrev_b32_e32 v17, 27, v18
	v_cmp_gt_i64_e32 vcc, 0, v[16:17]
	v_not_b32_e32 v17, v17
	v_ashrrev_i32_e32 v17, 31, v17
	v_and_b32_e32 v32, v32, v38
	v_xor_b32_e32 v38, vcc_hi, v17
	v_xor_b32_e32 v17, vcc_lo, v17
	v_and_b32_e32 v19, v19, v17
	v_lshlrev_b32_e32 v17, 26, v18
	v_cmp_gt_i64_e32 vcc, 0, v[16:17]
	v_not_b32_e32 v17, v17
	v_ashrrev_i32_e32 v17, 31, v17
	v_and_b32_e32 v32, v32, v38
	v_xor_b32_e32 v38, vcc_hi, v17
	v_xor_b32_e32 v17, vcc_lo, v17
	v_and_b32_e32 v19, v19, v17
	v_lshlrev_b32_e32 v17, 25, v18
	v_cmp_gt_i64_e32 vcc, 0, v[16:17]
	v_not_b32_e32 v17, v17
	v_ashrrev_i32_e32 v17, 31, v17
	v_and_b32_e32 v32, v32, v38
	v_xor_b32_e32 v38, vcc_hi, v17
	v_xor_b32_e32 v17, vcc_lo, v17
	v_and_b32_e32 v19, v19, v17
	v_lshlrev_b32_e32 v17, 24, v18
	v_cmp_gt_i64_e32 vcc, 0, v[16:17]
	v_not_b32_e32 v16, v17
	v_ashrrev_i32_e32 v16, 31, v16
	v_xor_b32_e32 v17, vcc_hi, v16
	v_xor_b32_e32 v16, vcc_lo, v16
	; wave barrier
	ds_read_b32 v30, v31 offset:8
	v_and_b32_e32 v32, v32, v38
	v_and_b32_e32 v16, v19, v16
	;; [unrolled: 1-line block ×3, first 2 shown]
	v_mbcnt_lo_u32_b32 v18, v16, 0
	v_mbcnt_hi_u32_b32 v32, v17, v18
	v_cmp_eq_u32_e32 vcc, 0, v32
	v_cmp_ne_u64_e64 s[16:17], 0, v[16:17]
	s_and_b64 s[20:21], s[16:17], vcc
	; wave barrier
	s_and_saveexec_b64 s[16:17], s[20:21]
	s_cbranch_execz .LBB102_65
; %bb.64:
	v_bcnt_u32_b32 v16, v16, 0
	v_bcnt_u32_b32 v16, v17, v16
	s_waitcnt lgkmcnt(0)
	v_add_u32_e32 v16, v30, v16
	ds_write_b32 v31, v16 offset:8
.LBB102_65:
	s_or_b64 exec, exec, s[16:17]
	v_and_b32_e32 v18, s18, v22
	v_and_b32_e32 v17, 1, v18
	v_add_co_u32_e32 v19, vcc, -1, v17
	v_mov_b32_e32 v42, 1
	v_addc_co_u32_e64 v40, s[16:17], 0, -1, vcc
	v_cmp_ne_u32_e32 vcc, 0, v17
	v_lshlrev_b32_sdwa v16, v42, v18 dst_sel:DWORD dst_unused:UNUSED_PAD src0_sel:DWORD src1_sel:BYTE_0
	v_xor_b32_e32 v17, vcc_hi, v40
	v_add_lshl_u32 v39, v33, v16, 2
	v_mov_b32_e32 v16, 0
	v_and_b32_e32 v40, exec_hi, v17
	v_lshlrev_b32_e32 v17, 30, v18
	v_xor_b32_e32 v19, vcc_lo, v19
	v_cmp_gt_i64_e32 vcc, 0, v[16:17]
	v_not_b32_e32 v17, v17
	v_ashrrev_i32_e32 v17, 31, v17
	v_and_b32_e32 v19, exec_lo, v19
	v_xor_b32_e32 v43, vcc_hi, v17
	v_xor_b32_e32 v17, vcc_lo, v17
	v_and_b32_e32 v19, v19, v17
	v_lshlrev_b32_e32 v17, 29, v18
	v_cmp_gt_i64_e32 vcc, 0, v[16:17]
	v_not_b32_e32 v17, v17
	v_ashrrev_i32_e32 v17, 31, v17
	v_and_b32_e32 v40, v40, v43
	v_xor_b32_e32 v43, vcc_hi, v17
	v_xor_b32_e32 v17, vcc_lo, v17
	v_and_b32_e32 v19, v19, v17
	v_lshlrev_b32_e32 v17, 28, v18
	v_cmp_gt_i64_e32 vcc, 0, v[16:17]
	v_not_b32_e32 v17, v17
	v_ashrrev_i32_e32 v17, 31, v17
	v_and_b32_e32 v40, v40, v43
	;; [unrolled: 8-line block ×5, first 2 shown]
	v_xor_b32_e32 v43, vcc_hi, v17
	v_xor_b32_e32 v17, vcc_lo, v17
	v_and_b32_e32 v40, v40, v43
	v_and_b32_e32 v43, v19, v17
	v_lshlrev_b32_e32 v17, 24, v18
	v_cmp_gt_i64_e32 vcc, 0, v[16:17]
	v_not_b32_e32 v17, v17
	v_ashrrev_i32_e32 v17, 31, v17
	v_xor_b32_e32 v18, vcc_hi, v17
	v_xor_b32_e32 v17, vcc_lo, v17
	; wave barrier
	ds_read_b32 v38, v39 offset:8
	v_and_b32_e32 v19, v40, v18
	v_and_b32_e32 v18, v43, v17
	v_mbcnt_lo_u32_b32 v17, v18, 0
	v_mbcnt_hi_u32_b32 v40, v19, v17
	v_cmp_eq_u32_e32 vcc, 0, v40
	v_cmp_ne_u64_e64 s[16:17], 0, v[18:19]
	s_and_b64 s[20:21], s[16:17], vcc
	; wave barrier
	s_and_saveexec_b64 s[16:17], s[20:21]
	s_cbranch_execz .LBB102_67
; %bb.66:
	v_bcnt_u32_b32 v17, v18, 0
	v_bcnt_u32_b32 v17, v19, v17
	s_waitcnt lgkmcnt(0)
	v_add_u32_e32 v17, v38, v17
	ds_write_b32 v39, v17 offset:8
.LBB102_67:
	s_or_b64 exec, exec, s[16:17]
	v_and_b32_e32 v18, s18, v23
	v_lshlrev_b32_sdwa v17, v42, v18 dst_sel:DWORD dst_unused:UNUSED_PAD src0_sel:DWORD src1_sel:BYTE_0
	v_add_lshl_u32 v43, v33, v17, 2
	v_and_b32_e32 v17, 1, v18
	v_add_co_u32_e32 v19, vcc, -1, v17
	v_addc_co_u32_e64 v64, s[16:17], 0, -1, vcc
	v_cmp_ne_u32_e32 vcc, 0, v17
	v_xor_b32_e32 v17, vcc_hi, v64
	v_and_b32_e32 v64, exec_hi, v17
	v_lshlrev_b32_e32 v17, 30, v18
	v_xor_b32_e32 v19, vcc_lo, v19
	v_cmp_gt_i64_e32 vcc, 0, v[16:17]
	v_not_b32_e32 v17, v17
	v_ashrrev_i32_e32 v17, 31, v17
	v_and_b32_e32 v19, exec_lo, v19
	v_xor_b32_e32 v65, vcc_hi, v17
	v_xor_b32_e32 v17, vcc_lo, v17
	v_and_b32_e32 v19, v19, v17
	v_lshlrev_b32_e32 v17, 29, v18
	v_cmp_gt_i64_e32 vcc, 0, v[16:17]
	v_not_b32_e32 v17, v17
	v_ashrrev_i32_e32 v17, 31, v17
	v_and_b32_e32 v64, v64, v65
	v_xor_b32_e32 v65, vcc_hi, v17
	v_xor_b32_e32 v17, vcc_lo, v17
	v_and_b32_e32 v19, v19, v17
	v_lshlrev_b32_e32 v17, 28, v18
	v_cmp_gt_i64_e32 vcc, 0, v[16:17]
	v_not_b32_e32 v17, v17
	v_ashrrev_i32_e32 v17, 31, v17
	v_and_b32_e32 v64, v64, v65
	;; [unrolled: 8-line block ×5, first 2 shown]
	v_xor_b32_e32 v65, vcc_hi, v17
	v_xor_b32_e32 v17, vcc_lo, v17
	v_and_b32_e32 v19, v19, v17
	v_lshlrev_b32_e32 v17, 24, v18
	v_cmp_gt_i64_e32 vcc, 0, v[16:17]
	v_not_b32_e32 v16, v17
	v_ashrrev_i32_e32 v16, 31, v16
	v_xor_b32_e32 v17, vcc_hi, v16
	v_xor_b32_e32 v16, vcc_lo, v16
	; wave barrier
	ds_read_b32 v42, v43 offset:8
	v_and_b32_e32 v64, v64, v65
	v_and_b32_e32 v16, v19, v16
	;; [unrolled: 1-line block ×3, first 2 shown]
	v_mbcnt_lo_u32_b32 v18, v16, 0
	v_mbcnt_hi_u32_b32 v64, v17, v18
	v_cmp_eq_u32_e32 vcc, 0, v64
	v_cmp_ne_u64_e64 s[16:17], 0, v[16:17]
	s_and_b64 s[20:21], s[16:17], vcc
	; wave barrier
	s_and_saveexec_b64 s[16:17], s[20:21]
	s_cbranch_execz .LBB102_69
; %bb.68:
	v_bcnt_u32_b32 v16, v16, 0
	v_bcnt_u32_b32 v16, v17, v16
	s_waitcnt lgkmcnt(0)
	v_add_u32_e32 v16, v42, v16
	ds_write_b32 v43, v16 offset:8
.LBB102_69:
	s_or_b64 exec, exec, s[16:17]
	v_and_b32_e32 v18, s18, v24
	v_and_b32_e32 v17, 1, v18
	v_add_co_u32_e32 v19, vcc, -1, v17
	v_mov_b32_e32 v68, 1
	v_addc_co_u32_e64 v67, s[16:17], 0, -1, vcc
	v_cmp_ne_u32_e32 vcc, 0, v17
	v_lshlrev_b32_sdwa v16, v68, v18 dst_sel:DWORD dst_unused:UNUSED_PAD src0_sel:DWORD src1_sel:BYTE_0
	v_xor_b32_e32 v17, vcc_hi, v67
	v_add_lshl_u32 v66, v33, v16, 2
	v_mov_b32_e32 v16, 0
	v_and_b32_e32 v67, exec_hi, v17
	v_lshlrev_b32_e32 v17, 30, v18
	v_xor_b32_e32 v19, vcc_lo, v19
	v_cmp_gt_i64_e32 vcc, 0, v[16:17]
	v_not_b32_e32 v17, v17
	v_ashrrev_i32_e32 v17, 31, v17
	v_and_b32_e32 v19, exec_lo, v19
	v_xor_b32_e32 v69, vcc_hi, v17
	v_xor_b32_e32 v17, vcc_lo, v17
	v_and_b32_e32 v19, v19, v17
	v_lshlrev_b32_e32 v17, 29, v18
	v_cmp_gt_i64_e32 vcc, 0, v[16:17]
	v_not_b32_e32 v17, v17
	v_ashrrev_i32_e32 v17, 31, v17
	v_and_b32_e32 v67, v67, v69
	v_xor_b32_e32 v69, vcc_hi, v17
	v_xor_b32_e32 v17, vcc_lo, v17
	v_and_b32_e32 v19, v19, v17
	v_lshlrev_b32_e32 v17, 28, v18
	v_cmp_gt_i64_e32 vcc, 0, v[16:17]
	v_not_b32_e32 v17, v17
	v_ashrrev_i32_e32 v17, 31, v17
	v_and_b32_e32 v67, v67, v69
	;; [unrolled: 8-line block ×5, first 2 shown]
	v_xor_b32_e32 v69, vcc_hi, v17
	v_xor_b32_e32 v17, vcc_lo, v17
	v_and_b32_e32 v67, v67, v69
	v_and_b32_e32 v69, v19, v17
	v_lshlrev_b32_e32 v17, 24, v18
	v_cmp_gt_i64_e32 vcc, 0, v[16:17]
	v_not_b32_e32 v17, v17
	v_ashrrev_i32_e32 v17, 31, v17
	v_xor_b32_e32 v18, vcc_hi, v17
	v_xor_b32_e32 v17, vcc_lo, v17
	; wave barrier
	ds_read_b32 v65, v66 offset:8
	v_and_b32_e32 v19, v67, v18
	v_and_b32_e32 v18, v69, v17
	v_mbcnt_lo_u32_b32 v17, v18, 0
	v_mbcnt_hi_u32_b32 v67, v19, v17
	v_cmp_eq_u32_e32 vcc, 0, v67
	v_cmp_ne_u64_e64 s[16:17], 0, v[18:19]
	s_and_b64 s[20:21], s[16:17], vcc
	; wave barrier
	s_and_saveexec_b64 s[16:17], s[20:21]
	s_cbranch_execz .LBB102_71
; %bb.70:
	v_bcnt_u32_b32 v17, v18, 0
	v_bcnt_u32_b32 v17, v19, v17
	s_waitcnt lgkmcnt(0)
	v_add_u32_e32 v17, v65, v17
	ds_write_b32 v66, v17 offset:8
.LBB102_71:
	s_or_b64 exec, exec, s[16:17]
	v_and_b32_e32 v18, s18, v25
	v_lshlrev_b32_sdwa v17, v68, v18 dst_sel:DWORD dst_unused:UNUSED_PAD src0_sel:DWORD src1_sel:BYTE_0
	v_add_lshl_u32 v69, v33, v17, 2
	v_and_b32_e32 v17, 1, v18
	v_add_co_u32_e32 v19, vcc, -1, v17
	v_addc_co_u32_e64 v70, s[16:17], 0, -1, vcc
	v_cmp_ne_u32_e32 vcc, 0, v17
	v_xor_b32_e32 v17, vcc_hi, v70
	v_and_b32_e32 v70, exec_hi, v17
	v_lshlrev_b32_e32 v17, 30, v18
	v_xor_b32_e32 v19, vcc_lo, v19
	v_cmp_gt_i64_e32 vcc, 0, v[16:17]
	v_not_b32_e32 v17, v17
	v_ashrrev_i32_e32 v17, 31, v17
	v_and_b32_e32 v19, exec_lo, v19
	v_xor_b32_e32 v71, vcc_hi, v17
	v_xor_b32_e32 v17, vcc_lo, v17
	v_and_b32_e32 v19, v19, v17
	v_lshlrev_b32_e32 v17, 29, v18
	v_cmp_gt_i64_e32 vcc, 0, v[16:17]
	v_not_b32_e32 v17, v17
	v_ashrrev_i32_e32 v17, 31, v17
	v_and_b32_e32 v70, v70, v71
	v_xor_b32_e32 v71, vcc_hi, v17
	v_xor_b32_e32 v17, vcc_lo, v17
	v_and_b32_e32 v19, v19, v17
	v_lshlrev_b32_e32 v17, 28, v18
	v_cmp_gt_i64_e32 vcc, 0, v[16:17]
	v_not_b32_e32 v17, v17
	v_ashrrev_i32_e32 v17, 31, v17
	v_and_b32_e32 v70, v70, v71
	;; [unrolled: 8-line block ×5, first 2 shown]
	v_xor_b32_e32 v71, vcc_hi, v17
	v_xor_b32_e32 v17, vcc_lo, v17
	v_and_b32_e32 v19, v19, v17
	v_lshlrev_b32_e32 v17, 24, v18
	v_cmp_gt_i64_e32 vcc, 0, v[16:17]
	v_not_b32_e32 v16, v17
	v_ashrrev_i32_e32 v16, 31, v16
	v_xor_b32_e32 v17, vcc_hi, v16
	v_xor_b32_e32 v16, vcc_lo, v16
	; wave barrier
	ds_read_b32 v68, v69 offset:8
	v_and_b32_e32 v70, v70, v71
	v_and_b32_e32 v16, v19, v16
	;; [unrolled: 1-line block ×3, first 2 shown]
	v_mbcnt_lo_u32_b32 v18, v16, 0
	v_mbcnt_hi_u32_b32 v70, v17, v18
	v_cmp_eq_u32_e32 vcc, 0, v70
	v_cmp_ne_u64_e64 s[16:17], 0, v[16:17]
	s_and_b64 s[20:21], s[16:17], vcc
	; wave barrier
	s_and_saveexec_b64 s[16:17], s[20:21]
	s_cbranch_execz .LBB102_73
; %bb.72:
	v_bcnt_u32_b32 v16, v16, 0
	v_bcnt_u32_b32 v16, v17, v16
	s_waitcnt lgkmcnt(0)
	v_add_u32_e32 v16, v68, v16
	ds_write_b32 v69, v16 offset:8
.LBB102_73:
	s_or_b64 exec, exec, s[16:17]
	v_and_b32_e32 v18, s18, v26
	v_and_b32_e32 v17, 1, v18
	v_add_co_u32_e32 v19, vcc, -1, v17
	v_mov_b32_e32 v74, 1
	v_addc_co_u32_e64 v73, s[16:17], 0, -1, vcc
	v_cmp_ne_u32_e32 vcc, 0, v17
	v_lshlrev_b32_sdwa v16, v74, v18 dst_sel:DWORD dst_unused:UNUSED_PAD src0_sel:DWORD src1_sel:BYTE_0
	v_xor_b32_e32 v17, vcc_hi, v73
	v_add_lshl_u32 v72, v33, v16, 2
	v_mov_b32_e32 v16, 0
	v_and_b32_e32 v73, exec_hi, v17
	v_lshlrev_b32_e32 v17, 30, v18
	v_xor_b32_e32 v19, vcc_lo, v19
	v_cmp_gt_i64_e32 vcc, 0, v[16:17]
	v_not_b32_e32 v17, v17
	v_ashrrev_i32_e32 v17, 31, v17
	v_and_b32_e32 v19, exec_lo, v19
	v_xor_b32_e32 v75, vcc_hi, v17
	v_xor_b32_e32 v17, vcc_lo, v17
	v_and_b32_e32 v19, v19, v17
	v_lshlrev_b32_e32 v17, 29, v18
	v_cmp_gt_i64_e32 vcc, 0, v[16:17]
	v_not_b32_e32 v17, v17
	v_ashrrev_i32_e32 v17, 31, v17
	v_and_b32_e32 v73, v73, v75
	v_xor_b32_e32 v75, vcc_hi, v17
	v_xor_b32_e32 v17, vcc_lo, v17
	v_and_b32_e32 v19, v19, v17
	v_lshlrev_b32_e32 v17, 28, v18
	v_cmp_gt_i64_e32 vcc, 0, v[16:17]
	v_not_b32_e32 v17, v17
	v_ashrrev_i32_e32 v17, 31, v17
	v_and_b32_e32 v73, v73, v75
	;; [unrolled: 8-line block ×5, first 2 shown]
	v_xor_b32_e32 v75, vcc_hi, v17
	v_xor_b32_e32 v17, vcc_lo, v17
	v_and_b32_e32 v73, v73, v75
	v_and_b32_e32 v75, v19, v17
	v_lshlrev_b32_e32 v17, 24, v18
	v_cmp_gt_i64_e32 vcc, 0, v[16:17]
	v_not_b32_e32 v17, v17
	v_ashrrev_i32_e32 v17, 31, v17
	v_xor_b32_e32 v18, vcc_hi, v17
	v_xor_b32_e32 v17, vcc_lo, v17
	; wave barrier
	ds_read_b32 v71, v72 offset:8
	v_and_b32_e32 v19, v73, v18
	v_and_b32_e32 v18, v75, v17
	v_mbcnt_lo_u32_b32 v17, v18, 0
	v_mbcnt_hi_u32_b32 v73, v19, v17
	v_cmp_eq_u32_e32 vcc, 0, v73
	v_cmp_ne_u64_e64 s[16:17], 0, v[18:19]
	s_and_b64 s[20:21], s[16:17], vcc
	; wave barrier
	s_and_saveexec_b64 s[16:17], s[20:21]
	s_cbranch_execz .LBB102_75
; %bb.74:
	v_bcnt_u32_b32 v17, v18, 0
	v_bcnt_u32_b32 v17, v19, v17
	s_waitcnt lgkmcnt(0)
	v_add_u32_e32 v17, v71, v17
	ds_write_b32 v72, v17 offset:8
.LBB102_75:
	s_or_b64 exec, exec, s[16:17]
	v_and_b32_e32 v18, s18, v27
	v_lshlrev_b32_sdwa v17, v74, v18 dst_sel:DWORD dst_unused:UNUSED_PAD src0_sel:DWORD src1_sel:BYTE_0
	v_add_lshl_u32 v74, v33, v17, 2
	v_and_b32_e32 v17, 1, v18
	v_add_co_u32_e32 v19, vcc, -1, v17
	v_addc_co_u32_e64 v76, s[16:17], 0, -1, vcc
	v_cmp_ne_u32_e32 vcc, 0, v17
	v_xor_b32_e32 v17, vcc_hi, v76
	v_and_b32_e32 v76, exec_hi, v17
	v_lshlrev_b32_e32 v17, 30, v18
	v_xor_b32_e32 v19, vcc_lo, v19
	v_cmp_gt_i64_e32 vcc, 0, v[16:17]
	v_not_b32_e32 v17, v17
	v_ashrrev_i32_e32 v17, 31, v17
	v_and_b32_e32 v19, exec_lo, v19
	v_xor_b32_e32 v77, vcc_hi, v17
	v_xor_b32_e32 v17, vcc_lo, v17
	v_and_b32_e32 v19, v19, v17
	v_lshlrev_b32_e32 v17, 29, v18
	v_cmp_gt_i64_e32 vcc, 0, v[16:17]
	v_not_b32_e32 v17, v17
	v_ashrrev_i32_e32 v17, 31, v17
	v_and_b32_e32 v76, v76, v77
	v_xor_b32_e32 v77, vcc_hi, v17
	v_xor_b32_e32 v17, vcc_lo, v17
	v_and_b32_e32 v19, v19, v17
	v_lshlrev_b32_e32 v17, 28, v18
	v_cmp_gt_i64_e32 vcc, 0, v[16:17]
	v_not_b32_e32 v17, v17
	v_ashrrev_i32_e32 v17, 31, v17
	v_and_b32_e32 v76, v76, v77
	;; [unrolled: 8-line block ×5, first 2 shown]
	v_xor_b32_e32 v77, vcc_hi, v17
	v_xor_b32_e32 v17, vcc_lo, v17
	v_and_b32_e32 v19, v19, v17
	v_lshlrev_b32_e32 v17, 24, v18
	v_cmp_gt_i64_e32 vcc, 0, v[16:17]
	v_not_b32_e32 v16, v17
	v_ashrrev_i32_e32 v16, 31, v16
	v_xor_b32_e32 v17, vcc_hi, v16
	v_xor_b32_e32 v16, vcc_lo, v16
	; wave barrier
	ds_read_b32 v33, v74 offset:8
	v_and_b32_e32 v76, v76, v77
	v_and_b32_e32 v16, v19, v16
	;; [unrolled: 1-line block ×3, first 2 shown]
	v_mbcnt_lo_u32_b32 v18, v16, 0
	v_mbcnt_hi_u32_b32 v76, v17, v18
	v_cmp_eq_u32_e32 vcc, 0, v76
	v_cmp_ne_u64_e64 s[16:17], 0, v[16:17]
	v_or_b32_e32 v75, 8, v62
	s_and_b64 s[18:19], s[16:17], vcc
	; wave barrier
	s_and_saveexec_b64 s[16:17], s[18:19]
	s_cbranch_execz .LBB102_77
; %bb.76:
	v_bcnt_u32_b32 v16, v16, 0
	v_bcnt_u32_b32 v16, v17, v16
	s_waitcnt lgkmcnt(0)
	v_add_u32_e32 v16, v33, v16
	ds_write_b32 v74, v16 offset:8
.LBB102_77:
	s_or_b64 exec, exec, s[16:17]
	; wave barrier
	s_waitcnt lgkmcnt(0)
	s_barrier
	ds_read2_b32 v[16:17], v62 offset0:2 offset1:3
	ds_read2_b32 v[18:19], v75 offset0:2 offset1:3
	v_min_u32_e32 v63, 64, v63
	v_or_b32_e32 v63, 63, v63
	s_waitcnt lgkmcnt(1)
	v_add_u32_e32 v77, v17, v16
	s_waitcnt lgkmcnt(0)
	v_add3_u32 v19, v77, v18, v19
	v_and_b32_e32 v77, 15, v61
	v_cmp_ne_u32_e32 vcc, 0, v77
	v_mov_b32_dpp v78, v19 row_shr:1 row_mask:0xf bank_mask:0xf
	v_cndmask_b32_e32 v78, 0, v78, vcc
	v_add_u32_e32 v19, v78, v19
	v_cmp_lt_u32_e32 vcc, 1, v77
	s_nop 0
	v_mov_b32_dpp v78, v19 row_shr:2 row_mask:0xf bank_mask:0xf
	v_cndmask_b32_e32 v78, 0, v78, vcc
	v_add_u32_e32 v19, v19, v78
	v_cmp_lt_u32_e32 vcc, 3, v77
	s_nop 0
	;; [unrolled: 5-line block ×3, first 2 shown]
	v_mov_b32_dpp v78, v19 row_shr:8 row_mask:0xf bank_mask:0xf
	v_cndmask_b32_e32 v77, 0, v78, vcc
	v_add_u32_e32 v19, v19, v77
	v_bfe_i32 v78, v61, 4, 1
	v_cmp_lt_u32_e32 vcc, 31, v61
	v_mov_b32_dpp v77, v19 row_bcast:15 row_mask:0xf bank_mask:0xf
	v_and_b32_e32 v77, v78, v77
	v_add_u32_e32 v19, v19, v77
	s_nop 1
	v_mov_b32_dpp v77, v19 row_bcast:31 row_mask:0xf bank_mask:0xf
	v_cndmask_b32_e32 v77, 0, v77, vcc
	v_add_u32_e32 v19, v19, v77
	v_lshrrev_b32_e32 v77, 6, v36
	v_cmp_eq_u32_e32 vcc, v63, v36
	s_and_saveexec_b64 s[16:17], vcc
	s_cbranch_execz .LBB102_79
; %bb.78:
	v_lshlrev_b32_e32 v63, 2, v77
	ds_write_b32 v63, v19
.LBB102_79:
	s_or_b64 exec, exec, s[16:17]
	v_cmp_gt_u32_e32 vcc, 2, v36
	s_waitcnt lgkmcnt(0)
	s_barrier
	s_and_saveexec_b64 s[16:17], vcc
	s_cbranch_execz .LBB102_81
; %bb.80:
	v_lshlrev_b32_e32 v63, 2, v36
	ds_read_b32 v78, v63
	v_bfe_i32 v79, v61, 0, 1
	s_waitcnt lgkmcnt(0)
	v_mov_b32_dpp v80, v78 row_shr:1 row_mask:0xf bank_mask:0xf
	v_and_b32_e32 v79, v79, v80
	v_add_u32_e32 v78, v79, v78
	ds_write_b32 v63, v78
.LBB102_81:
	s_or_b64 exec, exec, s[16:17]
	v_cmp_lt_u32_e32 vcc, 63, v36
	v_mov_b32_e32 v63, 0
	s_waitcnt lgkmcnt(0)
	s_barrier
	s_and_saveexec_b64 s[16:17], vcc
	s_cbranch_execz .LBB102_83
; %bb.82:
	v_lshl_add_u32 v63, v77, 2, -4
	ds_read_b32 v63, v63
.LBB102_83:
	s_or_b64 exec, exec, s[16:17]
	v_add_u32_e32 v77, -1, v61
	v_and_b32_e32 v78, 64, v61
	v_cmp_lt_i32_e32 vcc, v77, v78
	v_cndmask_b32_e32 v77, v77, v61, vcc
	s_waitcnt lgkmcnt(0)
	v_add_u32_e32 v19, v63, v19
	v_lshlrev_b32_e32 v77, 2, v77
	ds_bpermute_b32 v19, v77, v19
	v_cmp_eq_u32_e32 vcc, 0, v61
	s_movk_i32 s16, 0x7f
	s_waitcnt lgkmcnt(0)
	v_cndmask_b32_e32 v19, v19, v63, vcc
	v_cmp_ne_u32_e32 vcc, 0, v36
	v_cndmask_b32_e32 v19, 0, v19, vcc
	v_add_u32_e32 v16, v19, v16
	v_add_u32_e32 v17, v16, v17
	;; [unrolled: 1-line block ×3, first 2 shown]
	ds_write2_b32 v62, v19, v16 offset0:2 offset1:3
	ds_write2_b32 v75, v17, v18 offset0:2 offset1:3
	s_waitcnt lgkmcnt(0)
	s_barrier
	ds_read_b32 v16, v28 offset:8
	ds_read_b32 v17, v31 offset:8
	;; [unrolled: 1-line block ×8, first 2 shown]
	s_waitcnt lgkmcnt(7)
	v_add_u32_e32 v29, v16, v29
	s_waitcnt lgkmcnt(6)
	v_add3_u32 v30, v32, v30, v17
	s_waitcnt lgkmcnt(5)
	v_add3_u32 v18, v40, v38, v18
	s_waitcnt lgkmcnt(4)
	v_add3_u32 v19, v64, v42, v19
	s_waitcnt lgkmcnt(3)
	v_add3_u32 v28, v67, v65, v28
	s_waitcnt lgkmcnt(2)
	v_add3_u32 v31, v70, v68, v31
	s_waitcnt lgkmcnt(1)
	v_add3_u32 v32, v73, v71, v36
	s_waitcnt lgkmcnt(0)
	v_add3_u32 v33, v76, v33, v39
	s_barrier
	ds_write_b8 v29, v20
	ds_write_b8 v30, v21
	;; [unrolled: 1-line block ×8, first 2 shown]
	v_lshlrev_b32_e32 v20, 3, v29
	s_waitcnt lgkmcnt(0)
	s_barrier
	ds_read_b64 v[16:17], v53
	s_waitcnt lgkmcnt(0)
	s_barrier
	ds_write_b64 v20, v[12:13]
	v_lshlrev_b32_e32 v12, 3, v30
	ds_write_b64 v12, v[14:15]
	v_lshlrev_b32_e32 v12, 3, v18
	;; [unrolled: 2-line block ×8, first 2 shown]
	s_waitcnt lgkmcnt(0)
	s_barrier
	ds_read2_b64 v[18:21], v0 offset1:1
	ds_read2_b64 v[22:25], v0 offset0:2 offset1:3
	ds_read2_b64 v[26:29], v0 offset0:4 offset1:5
	;; [unrolled: 1-line block ×3, first 2 shown]
	v_lshrrev_b32_e32 v36, 8, v16
	v_lshrrev_b32_e32 v38, 8, v17
	v_xor_b32_e32 v0, 0x7f, v16
	v_xor_b32_sdwa v1, v36, s16 dst_sel:BYTE_1 dst_unused:UNUSED_PAD src0_sel:DWORD src1_sel:DWORD
	v_xor_b32_sdwa v2, v16, s16 dst_sel:DWORD dst_unused:UNUSED_PAD src0_sel:WORD_1 src1_sel:DWORD
	v_xor_b32_sdwa v3, v16, s16 dst_sel:BYTE_1 dst_unused:UNUSED_PAD src0_sel:BYTE_3 src1_sel:DWORD
	v_xor_b32_e32 v4, 0x7f, v17
	v_xor_b32_sdwa v5, v38, s16 dst_sel:BYTE_1 dst_unused:UNUSED_PAD src0_sel:DWORD src1_sel:DWORD
	v_xor_b32_sdwa v6, v17, s16 dst_sel:DWORD dst_unused:UNUSED_PAD src0_sel:WORD_1 src1_sel:DWORD
	v_xor_b32_sdwa v7, v17, s16 dst_sel:BYTE_1 dst_unused:UNUSED_PAD src0_sel:BYTE_3 src1_sel:DWORD
	v_or_b32_sdwa v0, v0, v1 dst_sel:DWORD dst_unused:UNUSED_PAD src0_sel:BYTE_0 src1_sel:DWORD
	v_or_b32_sdwa v1, v2, v3 dst_sel:WORD_1 dst_unused:UNUSED_PAD src0_sel:BYTE_0 src1_sel:DWORD
	v_or_b32_sdwa v0, v0, v1 dst_sel:DWORD dst_unused:UNUSED_PAD src0_sel:WORD_0 src1_sel:DWORD
	v_or_b32_sdwa v1, v4, v5 dst_sel:DWORD dst_unused:UNUSED_PAD src0_sel:BYTE_0 src1_sel:DWORD
	v_or_b32_sdwa v2, v6, v7 dst_sel:WORD_1 dst_unused:UNUSED_PAD src0_sel:BYTE_0 src1_sel:DWORD
	v_or_b32_sdwa v1, v1, v2 dst_sel:DWORD dst_unused:UNUSED_PAD src0_sel:WORD_0 src1_sel:DWORD
.LBB102_84:
	s_waitcnt lgkmcnt(0)
	s_barrier
	ds_write_b64 v52, v[0:1]
	s_waitcnt lgkmcnt(0)
	s_barrier
	ds_read_u8 v8, v45 offset:128
	ds_read_u8 v7, v46 offset:256
	;; [unrolled: 1-line block ×7, first 2 shown]
	v_mov_b32_e32 v1, s41
	v_add_co_u32_e32 v0, vcc, s40, v37
	v_addc_co_u32_e32 v1, vcc, 0, v1, vcc
	s_and_saveexec_b64 s[16:17], s[0:1]
	s_cbranch_execnz .LBB102_103
; %bb.85:
	s_or_b64 exec, exec, s[16:17]
	s_and_saveexec_b64 s[16:17], s[2:3]
	s_cbranch_execnz .LBB102_104
.LBB102_86:
	s_or_b64 exec, exec, s[16:17]
	s_and_saveexec_b64 s[16:17], s[4:5]
	s_cbranch_execnz .LBB102_105
.LBB102_87:
	s_or_b64 exec, exec, s[16:17]
	s_and_saveexec_b64 s[16:17], s[6:7]
	s_cbranch_execnz .LBB102_106
.LBB102_88:
	s_or_b64 exec, exec, s[16:17]
	s_and_saveexec_b64 s[16:17], s[8:9]
	s_cbranch_execnz .LBB102_107
.LBB102_89:
	s_or_b64 exec, exec, s[16:17]
	s_and_saveexec_b64 s[16:17], s[10:11]
	s_cbranch_execnz .LBB102_108
.LBB102_90:
	s_or_b64 exec, exec, s[16:17]
	s_and_saveexec_b64 s[16:17], s[12:13]
	s_cbranch_execnz .LBB102_109
.LBB102_91:
	s_or_b64 exec, exec, s[16:17]
	s_and_saveexec_b64 s[16:17], s[14:15]
	s_cbranch_execz .LBB102_93
.LBB102_92:
	s_mul_i32 s18, s38, 0x380
	v_add_co_u32_e32 v0, vcc, s18, v0
	v_addc_co_u32_e32 v1, vcc, 0, v1, vcc
	s_waitcnt lgkmcnt(0)
	global_store_byte v[0:1], v2, off
.LBB102_93:
	s_or_b64 exec, exec, s[16:17]
	s_waitcnt lgkmcnt(0)
	s_barrier
	ds_write2_b64 v60, v[18:19], v[20:21] offset1:1
	ds_write2_b64 v60, v[22:23], v[24:25] offset0:2 offset1:3
	ds_write2_b64 v60, v[26:27], v[28:29] offset0:4 offset1:5
	;; [unrolled: 1-line block ×3, first 2 shown]
	s_waitcnt lgkmcnt(0)
	s_barrier
	ds_read_b64 v[14:15], v35 offset:1024
	ds_read_b64 v[12:13], v54 offset:2048
	ds_read_b64 v[10:11], v55 offset:3072
	ds_read_b64 v[8:9], v56 offset:4096
	ds_read_b64 v[6:7], v57 offset:5120
	ds_read_b64 v[4:5], v58 offset:6144
	ds_read_b64 v[0:1], v59 offset:7168
	v_mov_b32_e32 v35, 0
	v_lshlrev_b64 v[2:3], 3, v[34:35]
	v_mov_b32_e32 v16, s35
	v_add_co_u32_e32 v2, vcc, s33, v2
	v_addc_co_u32_e32 v3, vcc, v16, v3, vcc
	s_and_saveexec_b64 s[16:17], s[0:1]
	s_cbranch_execnz .LBB102_110
; %bb.94:
	s_or_b64 exec, exec, s[16:17]
	s_and_saveexec_b64 s[0:1], s[2:3]
	s_cbranch_execnz .LBB102_111
.LBB102_95:
	s_or_b64 exec, exec, s[0:1]
	s_and_saveexec_b64 s[0:1], s[4:5]
	s_cbranch_execnz .LBB102_112
.LBB102_96:
	s_or_b64 exec, exec, s[0:1]
	s_and_saveexec_b64 s[0:1], s[6:7]
	s_cbranch_execnz .LBB102_113
.LBB102_97:
	s_or_b64 exec, exec, s[0:1]
	s_and_saveexec_b64 s[0:1], s[8:9]
	s_cbranch_execnz .LBB102_114
.LBB102_98:
	s_or_b64 exec, exec, s[0:1]
	s_and_saveexec_b64 s[0:1], s[10:11]
	s_cbranch_execnz .LBB102_115
.LBB102_99:
	s_or_b64 exec, exec, s[0:1]
	s_and_saveexec_b64 s[0:1], s[12:13]
	s_cbranch_execnz .LBB102_116
.LBB102_100:
	s_or_b64 exec, exec, s[0:1]
	s_and_saveexec_b64 s[0:1], s[14:15]
	s_cbranch_execz .LBB102_102
.LBB102_101:
	s_mul_i32 s0, s34, 0x380
	s_mov_b32 s1, 0
	s_lshl_b64 s[0:1], s[0:1], 3
	s_waitcnt lgkmcnt(1)
	v_mov_b32_e32 v4, s1
	v_add_co_u32_e32 v2, vcc, s0, v2
	v_addc_co_u32_e32 v3, vcc, v3, v4, vcc
	s_waitcnt lgkmcnt(0)
	global_store_dwordx2 v[2:3], v[0:1], off
.LBB102_102:
	s_endpgm
.LBB102_103:
	ds_read_u8 v9, v44
	s_waitcnt lgkmcnt(0)
	global_store_byte v[0:1], v9, off
	s_or_b64 exec, exec, s[16:17]
	s_and_saveexec_b64 s[16:17], s[2:3]
	s_cbranch_execz .LBB102_86
.LBB102_104:
	s_lshl_b32 s18, s38, 7
	v_add_co_u32_e32 v10, vcc, s18, v0
	v_addc_co_u32_e32 v11, vcc, 0, v1, vcc
	s_waitcnt lgkmcnt(6)
	global_store_byte v[10:11], v8, off
	s_or_b64 exec, exec, s[16:17]
	s_and_saveexec_b64 s[16:17], s[4:5]
	s_cbranch_execz .LBB102_87
.LBB102_105:
	s_lshl_b32 s18, s38, 8
	s_waitcnt lgkmcnt(6)
	v_add_co_u32_e32 v8, vcc, s18, v0
	v_addc_co_u32_e32 v9, vcc, 0, v1, vcc
	s_waitcnt lgkmcnt(5)
	global_store_byte v[8:9], v7, off
	s_or_b64 exec, exec, s[16:17]
	s_and_saveexec_b64 s[16:17], s[6:7]
	s_cbranch_execz .LBB102_88
.LBB102_106:
	s_mul_i32 s18, s38, 0x180
	s_waitcnt lgkmcnt(6)
	v_add_co_u32_e32 v8, vcc, s18, v0
	v_addc_co_u32_e32 v9, vcc, 0, v1, vcc
	s_waitcnt lgkmcnt(4)
	global_store_byte v[8:9], v6, off
	s_or_b64 exec, exec, s[16:17]
	s_and_saveexec_b64 s[16:17], s[8:9]
	s_cbranch_execz .LBB102_89
.LBB102_107:
	s_lshl_b32 s18, s38, 9
	s_waitcnt lgkmcnt(4)
	v_add_co_u32_e32 v6, vcc, s18, v0
	v_addc_co_u32_e32 v7, vcc, 0, v1, vcc
	s_waitcnt lgkmcnt(3)
	global_store_byte v[6:7], v5, off
	s_or_b64 exec, exec, s[16:17]
	s_and_saveexec_b64 s[16:17], s[10:11]
	s_cbranch_execz .LBB102_90
.LBB102_108:
	s_mul_i32 s18, s38, 0x280
	s_waitcnt lgkmcnt(4)
	v_add_co_u32_e32 v6, vcc, s18, v0
	v_addc_co_u32_e32 v7, vcc, 0, v1, vcc
	s_waitcnt lgkmcnt(2)
	global_store_byte v[6:7], v4, off
	s_or_b64 exec, exec, s[16:17]
	s_and_saveexec_b64 s[16:17], s[12:13]
	s_cbranch_execz .LBB102_91
.LBB102_109:
	s_mul_i32 s18, s38, 0x300
	s_waitcnt lgkmcnt(2)
	v_add_co_u32_e32 v4, vcc, s18, v0
	v_addc_co_u32_e32 v5, vcc, 0, v1, vcc
	s_waitcnt lgkmcnt(1)
	global_store_byte v[4:5], v3, off
	s_or_b64 exec, exec, s[16:17]
	s_and_saveexec_b64 s[16:17], s[14:15]
	s_cbranch_execnz .LBB102_92
	s_branch .LBB102_93
.LBB102_110:
	ds_read_b64 v[16:17], v41
	s_waitcnt lgkmcnt(0)
	global_store_dwordx2 v[2:3], v[16:17], off
	s_or_b64 exec, exec, s[16:17]
	s_and_saveexec_b64 s[0:1], s[2:3]
	s_cbranch_execz .LBB102_95
.LBB102_111:
	s_lshl_b32 s2, s34, 7
	s_mov_b32 s3, 0
	s_lshl_b64 s[2:3], s[2:3], 3
	v_mov_b32_e32 v17, s3
	v_add_co_u32_e32 v16, vcc, s2, v2
	v_addc_co_u32_e32 v17, vcc, v3, v17, vcc
	s_waitcnt lgkmcnt(6)
	global_store_dwordx2 v[16:17], v[14:15], off
	s_or_b64 exec, exec, s[0:1]
	s_and_saveexec_b64 s[0:1], s[4:5]
	s_cbranch_execz .LBB102_96
.LBB102_112:
	s_lshl_b32 s2, s34, 8
	s_mov_b32 s3, 0
	s_lshl_b64 s[2:3], s[2:3], 3
	s_waitcnt lgkmcnt(6)
	v_mov_b32_e32 v15, s3
	v_add_co_u32_e32 v14, vcc, s2, v2
	v_addc_co_u32_e32 v15, vcc, v3, v15, vcc
	s_waitcnt lgkmcnt(5)
	global_store_dwordx2 v[14:15], v[12:13], off
	s_or_b64 exec, exec, s[0:1]
	s_and_saveexec_b64 s[0:1], s[6:7]
	s_cbranch_execz .LBB102_97
.LBB102_113:
	s_mul_i32 s2, s34, 0x180
	s_mov_b32 s3, 0
	s_lshl_b64 s[2:3], s[2:3], 3
	s_waitcnt lgkmcnt(5)
	v_mov_b32_e32 v13, s3
	v_add_co_u32_e32 v12, vcc, s2, v2
	v_addc_co_u32_e32 v13, vcc, v3, v13, vcc
	s_waitcnt lgkmcnt(4)
	global_store_dwordx2 v[12:13], v[10:11], off
	s_or_b64 exec, exec, s[0:1]
	s_and_saveexec_b64 s[0:1], s[8:9]
	s_cbranch_execz .LBB102_98
.LBB102_114:
	s_lshl_b32 s2, s34, 9
	s_mov_b32 s3, 0
	s_lshl_b64 s[2:3], s[2:3], 3
	s_waitcnt lgkmcnt(4)
	v_mov_b32_e32 v11, s3
	v_add_co_u32_e32 v10, vcc, s2, v2
	v_addc_co_u32_e32 v11, vcc, v3, v11, vcc
	s_waitcnt lgkmcnt(3)
	global_store_dwordx2 v[10:11], v[8:9], off
	s_or_b64 exec, exec, s[0:1]
	s_and_saveexec_b64 s[0:1], s[10:11]
	s_cbranch_execz .LBB102_99
.LBB102_115:
	s_mul_i32 s2, s34, 0x280
	s_mov_b32 s3, 0
	s_lshl_b64 s[2:3], s[2:3], 3
	s_waitcnt lgkmcnt(3)
	v_mov_b32_e32 v9, s3
	v_add_co_u32_e32 v8, vcc, s2, v2
	v_addc_co_u32_e32 v9, vcc, v3, v9, vcc
	s_waitcnt lgkmcnt(2)
	global_store_dwordx2 v[8:9], v[6:7], off
	s_or_b64 exec, exec, s[0:1]
	s_and_saveexec_b64 s[0:1], s[12:13]
	s_cbranch_execz .LBB102_100
.LBB102_116:
	s_mul_i32 s2, s34, 0x300
	s_mov_b32 s3, 0
	s_lshl_b64 s[2:3], s[2:3], 3
	s_waitcnt lgkmcnt(2)
	v_mov_b32_e32 v7, s3
	v_add_co_u32_e32 v6, vcc, s2, v2
	v_addc_co_u32_e32 v7, vcc, v3, v7, vcc
	s_waitcnt lgkmcnt(1)
	global_store_dwordx2 v[6:7], v[4:5], off
	s_or_b64 exec, exec, s[0:1]
	s_and_saveexec_b64 s[0:1], s[14:15]
	s_cbranch_execnz .LBB102_101
	s_branch .LBB102_102
	.section	.rodata,"a",@progbits
	.p2align	6, 0x0
	.amdhsa_kernel _ZN2at6native18radixSortKVInPlaceILin2ELin1ELi128ELi8EaljEEvNS_4cuda6detail10TensorInfoIT3_T5_EES6_S6_S6_NS4_IT4_S6_EES6_b
		.amdhsa_group_segment_fixed_size 8448
		.amdhsa_private_segment_fixed_size 0
		.amdhsa_kernarg_size 712
		.amdhsa_user_sgpr_count 6
		.amdhsa_user_sgpr_private_segment_buffer 1
		.amdhsa_user_sgpr_dispatch_ptr 0
		.amdhsa_user_sgpr_queue_ptr 0
		.amdhsa_user_sgpr_kernarg_segment_ptr 1
		.amdhsa_user_sgpr_dispatch_id 0
		.amdhsa_user_sgpr_flat_scratch_init 0
		.amdhsa_user_sgpr_kernarg_preload_length 0
		.amdhsa_user_sgpr_kernarg_preload_offset 0
		.amdhsa_user_sgpr_private_segment_size 0
		.amdhsa_uses_dynamic_stack 0
		.amdhsa_system_sgpr_private_segment_wavefront_offset 0
		.amdhsa_system_sgpr_workgroup_id_x 1
		.amdhsa_system_sgpr_workgroup_id_y 1
		.amdhsa_system_sgpr_workgroup_id_z 1
		.amdhsa_system_sgpr_workgroup_info 0
		.amdhsa_system_vgpr_workitem_id 2
		.amdhsa_next_free_vgpr 109
		.amdhsa_next_free_sgpr 46
		.amdhsa_accum_offset 112
		.amdhsa_reserve_vcc 1
		.amdhsa_reserve_flat_scratch 0
		.amdhsa_float_round_mode_32 0
		.amdhsa_float_round_mode_16_64 0
		.amdhsa_float_denorm_mode_32 3
		.amdhsa_float_denorm_mode_16_64 3
		.amdhsa_dx10_clamp 1
		.amdhsa_ieee_mode 1
		.amdhsa_fp16_overflow 0
		.amdhsa_tg_split 0
		.amdhsa_exception_fp_ieee_invalid_op 0
		.amdhsa_exception_fp_denorm_src 0
		.amdhsa_exception_fp_ieee_div_zero 0
		.amdhsa_exception_fp_ieee_overflow 0
		.amdhsa_exception_fp_ieee_underflow 0
		.amdhsa_exception_fp_ieee_inexact 0
		.amdhsa_exception_int_div_zero 0
	.end_amdhsa_kernel
	.section	.text._ZN2at6native18radixSortKVInPlaceILin2ELin1ELi128ELi8EaljEEvNS_4cuda6detail10TensorInfoIT3_T5_EES6_S6_S6_NS4_IT4_S6_EES6_b,"axG",@progbits,_ZN2at6native18radixSortKVInPlaceILin2ELin1ELi128ELi8EaljEEvNS_4cuda6detail10TensorInfoIT3_T5_EES6_S6_S6_NS4_IT4_S6_EES6_b,comdat
.Lfunc_end102:
	.size	_ZN2at6native18radixSortKVInPlaceILin2ELin1ELi128ELi8EaljEEvNS_4cuda6detail10TensorInfoIT3_T5_EES6_S6_S6_NS4_IT4_S6_EES6_b, .Lfunc_end102-_ZN2at6native18radixSortKVInPlaceILin2ELin1ELi128ELi8EaljEEvNS_4cuda6detail10TensorInfoIT3_T5_EES6_S6_S6_NS4_IT4_S6_EES6_b
                                        ; -- End function
	.section	.AMDGPU.csdata,"",@progbits
; Kernel info:
; codeLenInByte = 11852
; NumSgprs: 50
; NumVgprs: 109
; NumAgprs: 0
; TotalNumVgprs: 109
; ScratchSize: 0
; MemoryBound: 0
; FloatMode: 240
; IeeeMode: 1
; LDSByteSize: 8448 bytes/workgroup (compile time only)
; SGPRBlocks: 6
; VGPRBlocks: 13
; NumSGPRsForWavesPerEU: 50
; NumVGPRsForWavesPerEU: 109
; AccumOffset: 112
; Occupancy: 4
; WaveLimiterHint : 1
; COMPUTE_PGM_RSRC2:SCRATCH_EN: 0
; COMPUTE_PGM_RSRC2:USER_SGPR: 6
; COMPUTE_PGM_RSRC2:TRAP_HANDLER: 0
; COMPUTE_PGM_RSRC2:TGID_X_EN: 1
; COMPUTE_PGM_RSRC2:TGID_Y_EN: 1
; COMPUTE_PGM_RSRC2:TGID_Z_EN: 1
; COMPUTE_PGM_RSRC2:TIDIG_COMP_CNT: 2
; COMPUTE_PGM_RSRC3_GFX90A:ACCUM_OFFSET: 27
; COMPUTE_PGM_RSRC3_GFX90A:TG_SPLIT: 0
	.section	.text._ZN2at6native18radixSortKVInPlaceILin2ELin1ELi32ELi4EaljEEvNS_4cuda6detail10TensorInfoIT3_T5_EES6_S6_S6_NS4_IT4_S6_EES6_b,"axG",@progbits,_ZN2at6native18radixSortKVInPlaceILin2ELin1ELi32ELi4EaljEEvNS_4cuda6detail10TensorInfoIT3_T5_EES6_S6_S6_NS4_IT4_S6_EES6_b,comdat
	.protected	_ZN2at6native18radixSortKVInPlaceILin2ELin1ELi32ELi4EaljEEvNS_4cuda6detail10TensorInfoIT3_T5_EES6_S6_S6_NS4_IT4_S6_EES6_b ; -- Begin function _ZN2at6native18radixSortKVInPlaceILin2ELin1ELi32ELi4EaljEEvNS_4cuda6detail10TensorInfoIT3_T5_EES6_S6_S6_NS4_IT4_S6_EES6_b
	.globl	_ZN2at6native18radixSortKVInPlaceILin2ELin1ELi32ELi4EaljEEvNS_4cuda6detail10TensorInfoIT3_T5_EES6_S6_S6_NS4_IT4_S6_EES6_b
	.p2align	8
	.type	_ZN2at6native18radixSortKVInPlaceILin2ELin1ELi32ELi4EaljEEvNS_4cuda6detail10TensorInfoIT3_T5_EES6_S6_S6_NS4_IT4_S6_EES6_b,@function
_ZN2at6native18radixSortKVInPlaceILin2ELin1ELi32ELi4EaljEEvNS_4cuda6detail10TensorInfoIT3_T5_EES6_S6_S6_NS4_IT4_S6_EES6_b: ; @_ZN2at6native18radixSortKVInPlaceILin2ELin1ELi32ELi4EaljEEvNS_4cuda6detail10TensorInfoIT3_T5_EES6_S6_S6_NS4_IT4_S6_EES6_b
; %bb.0:
	s_load_dwordx2 s[0:1], s[4:5], 0x1c8
	s_load_dwordx4 s[24:27], s[4:5], 0xd8
	s_waitcnt lgkmcnt(0)
	s_mul_i32 s1, s1, s8
	s_add_i32 s1, s1, s7
	s_mul_i32 s8, s1, s0
	s_add_i32 s8, s8, s6
	s_cmp_ge_u32 s8, s24
	s_cbranch_scc1 .LBB103_70
; %bb.1:
	s_load_dword s6, s[4:5], 0x1b8
	s_load_dwordx2 s[0:1], s[4:5], 0x0
	s_add_u32 s2, s4, 0xe8
	s_addc_u32 s3, s5, 0
	s_mov_b32 s11, 0
	s_waitcnt lgkmcnt(0)
	s_cmp_lt_i32 s6, 2
	s_mov_b32 s10, s8
	s_cbranch_scc1 .LBB103_4
; %bb.2:
	s_add_i32 s10, s6, -1
	s_add_i32 s9, s6, 1
	s_lshl_b64 s[6:7], s[10:11], 2
	s_add_u32 s6, s6, s2
	s_addc_u32 s7, s7, s3
	s_add_u32 s6, s6, 8
	s_addc_u32 s7, s7, 0
	s_mov_b32 s10, s8
.LBB103_3:                              ; =>This Inner Loop Header: Depth=1
	s_load_dword s12, s[6:7], 0x0
	s_load_dword s14, s[6:7], 0x64
	s_mov_b32 s13, s10
	s_waitcnt lgkmcnt(0)
	v_cvt_f32_u32_e32 v1, s12
	s_sub_i32 s10, 0, s12
	v_rcp_iflag_f32_e32 v1, v1
	v_mul_f32_e32 v1, 0x4f7ffffe, v1
	v_cvt_u32_f32_e32 v1, v1
	v_readfirstlane_b32 s15, v1
	s_mul_i32 s10, s10, s15
	s_mul_hi_u32 s10, s15, s10
	s_add_i32 s15, s15, s10
	s_mul_hi_u32 s10, s13, s15
	s_mul_i32 s15, s10, s12
	s_sub_i32 s15, s13, s15
	s_add_i32 s16, s10, 1
	s_sub_i32 s17, s15, s12
	s_cmp_ge_u32 s15, s12
	s_cselect_b32 s10, s16, s10
	s_cselect_b32 s15, s17, s15
	s_add_i32 s16, s10, 1
	s_cmp_ge_u32 s15, s12
	s_cselect_b32 s10, s16, s10
	s_mul_i32 s12, s10, s12
	s_sub_i32 s12, s13, s12
	s_mul_i32 s12, s14, s12
	s_add_i32 s9, s9, -1
	s_add_i32 s11, s12, s11
	s_add_u32 s6, s6, -4
	s_addc_u32 s7, s7, -1
	s_cmp_gt_u32 s9, 2
	s_cbranch_scc1 .LBB103_3
.LBB103_4:
	s_load_dword s6, s[4:5], 0x6c
	s_load_dwordx2 s[28:29], s[4:5], 0x1c0
	s_movk_i32 s7, 0x80
	v_mul_lo_u32 v28, v0, s26
	s_waitcnt lgkmcnt(0)
	s_mul_i32 s6, s6, s8
	s_bitcmp1_b32 s29, 0
	s_cselect_b64 s[8:9], -1, 0
	s_and_b64 s[4:5], s[8:9], exec
	s_cselect_b32 s4, s7, 0x7f
	v_lshlrev_b16_e64 v1, 8, s4
	v_or_b32_e32 v1, s4, v1
	s_add_u32 s30, s0, s6
	v_lshlrev_b32_e32 v2, 16, v1
	s_addc_u32 s31, s1, 0
	v_mov_b32_e32 v3, s4
	v_or_b32_sdwa v2, v1, v2 dst_sel:DWORD dst_unused:UNUSED_PAD src0_sel:WORD_0 src1_sel:DWORD
	v_cmp_gt_u32_e64 s[0:1], s25, v0
	s_and_saveexec_b64 s[4:5], s[0:1]
	s_cbranch_execz .LBB103_6
; %bb.5:
	global_load_ubyte v3, v28, s[30:31]
	s_mov_b32 s6, 0x3020104
	s_waitcnt vmcnt(0)
	v_perm_b32 v2, v3, v2, s6
.LBB103_6:
	s_or_b64 exec, exec, s[4:5]
	v_or_b32_e32 v1, 32, v0
	v_cmp_gt_u32_e64 s[6:7], s25, v1
	s_and_saveexec_b64 s[4:5], s[6:7]
	s_cbranch_execz .LBB103_8
; %bb.7:
	v_mul_lo_u32 v4, v1, s26
	global_load_ubyte v4, v4, s[30:31]
	s_mov_b32 s12, 0x7060004
	s_waitcnt vmcnt(0)
	v_perm_b32 v2, v2, v4, s12
.LBB103_8:
	s_or_b64 exec, exec, s[4:5]
	s_load_dwordx2 s[12:13], s[2:3], 0x0
	v_or_b32_e32 v10, 64, v0
	v_cmp_gt_u32_e64 s[4:5], s25, v10
	s_and_saveexec_b64 s[14:15], s[4:5]
	s_cbranch_execz .LBB103_10
; %bb.9:
	v_mul_lo_u32 v4, v10, s26
	global_load_ubyte v4, v4, s[30:31]
	s_mov_b32 s16, 0x7000504
	s_waitcnt vmcnt(0)
	v_perm_b32 v2, v2, v4, s16
.LBB103_10:
	s_or_b64 exec, exec, s[14:15]
	s_load_dword s16, s[2:3], 0x6c
	v_or_b32_e32 v11, 0x60, v0
	v_cmp_gt_u32_e64 s[2:3], s25, v11
	s_and_saveexec_b64 s[14:15], s[2:3]
	s_cbranch_execz .LBB103_12
; %bb.11:
	v_mul_lo_u32 v4, v11, s26
	global_load_ubyte v4, v4, s[30:31]
	s_mov_b32 s17, 0x60504
	s_waitcnt vmcnt(0)
	v_perm_b32 v2, v2, v4, s17
.LBB103_12:
	s_or_b64 exec, exec, s[14:15]
	ds_write_b8 v0, v3
	v_lshrrev_b32_e32 v3, 8, v2
	ds_write_b8 v0, v3 offset:32
	ds_write_b8_d16_hi v0, v2 offset:64
	v_lshrrev_b32_e32 v2, 24, v2
	v_lshlrev_b32_e32 v29, 2, v0
	ds_write_b8 v0, v2 offset:96
	s_waitcnt lgkmcnt(0)
	; wave barrier
	s_waitcnt lgkmcnt(0)
	ds_read_u8 v40, v29
	ds_read_u8 v39, v29 offset:1
	ds_read_u8 v38, v29 offset:2
	;; [unrolled: 1-line block ×3, first 2 shown]
	s_mul_i32 s10, s16, s10
	s_add_i32 s16, s10, s11
	s_mov_b32 s17, 0
	s_lshl_b64 s[10:11], s[16:17], 3
	s_mov_b32 s16, s17
	s_add_u32 s27, s12, s10
	s_mov_b32 s18, s17
	s_mov_b32 s19, s17
	;; [unrolled: 1-line block ×6, first 2 shown]
	v_pk_mov_b32 v[2:3], s[16:17], s[16:17] op_sel:[0,1]
	s_addc_u32 s29, s13, s11
	v_pk_mov_b32 v[4:5], s[18:19], s[18:19] op_sel:[0,1]
	v_pk_mov_b32 v[6:7], s[20:21], s[20:21] op_sel:[0,1]
	v_pk_mov_b32 v[8:9], s[22:23], s[22:23] op_sel:[0,1]
	v_pk_mov_b32 v[2:3], 0, 0
	v_mul_lo_u32 v18, v0, s28
	s_waitcnt lgkmcnt(0)
	; wave barrier
	s_waitcnt lgkmcnt(0)
	s_and_saveexec_b64 s[10:11], s[0:1]
	s_cbranch_execnz .LBB103_26
; %bb.13:
	s_or_b64 exec, exec, s[10:11]
	s_and_saveexec_b64 s[10:11], s[6:7]
	s_cbranch_execnz .LBB103_27
.LBB103_14:
	s_or_b64 exec, exec, s[10:11]
	s_and_saveexec_b64 s[10:11], s[4:5]
	s_cbranch_execz .LBB103_16
.LBB103_15:
	v_mul_lo_u32 v6, v10, s28
	v_mov_b32_e32 v7, 0
	v_lshlrev_b64 v[6:7], 3, v[6:7]
	v_mov_b32_e32 v12, s29
	v_add_co_u32_e32 v6, vcc, s27, v6
	v_addc_co_u32_e32 v7, vcc, v12, v7, vcc
	global_load_dwordx2 v[6:7], v[6:7], off
.LBB103_16:
	s_or_b64 exec, exec, s[10:11]
	s_xor_b64 s[24:25], s[8:9], -1
	v_lshrrev_b32_e32 v14, 5, v1
	v_lshrrev_b32_e32 v13, 5, v10
	v_lshrrev_b32_e32 v12, 5, v11
	v_lshrrev_b32_e32 v10, 3, v0
	s_and_saveexec_b64 s[8:9], s[2:3]
	s_cbranch_execz .LBB103_18
; %bb.17:
	v_mul_lo_u32 v8, v11, s28
	v_mov_b32_e32 v9, 0
	v_lshlrev_b64 v[8:9], 3, v[8:9]
	v_mov_b32_e32 v11, s29
	v_add_co_u32_e32 v8, vcc, s27, v8
	v_addc_co_u32_e32 v9, vcc, v11, v9, vcc
	global_load_dwordx2 v[8:9], v[8:9], off
.LBB103_18:
	s_or_b64 exec, exec, s[8:9]
	v_add_lshl_u32 v33, v10, v29, 3
	v_mbcnt_lo_u32_b32 v10, -1, 0
	s_getpc_b64 s[8:9]
	s_add_u32 s8, s8, _ZN7rocprim17ROCPRIM_400000_NS16block_radix_sortIaLj32ELj4ElLj1ELj1ELj0ELNS0_26block_radix_rank_algorithmE1ELNS0_18block_padding_hintE2ELNS0_4arch9wavefront6targetE1EE19radix_bits_per_passE@rel32@lo+4
	s_addc_u32 s9, s9, _ZN7rocprim17ROCPRIM_400000_NS16block_radix_sortIaLj32ELj4ElLj1ELj1ELj0ELNS0_26block_radix_rank_algorithmE1ELNS0_18block_padding_hintE2ELNS0_4arch9wavefront6targetE1EE19radix_bits_per_passE@rel32@hi+12
	v_mbcnt_hi_u32_b32 v10, -1, v10
	v_lshlrev_b32_e32 v30, 3, v0
	v_add_lshl_u32 v19, v14, v0, 3
	v_add_lshl_u32 v31, v13, v0, 3
	;; [unrolled: 1-line block ×3, first 2 shown]
	s_load_dword s33, s[8:9], 0x0
	v_and_b32_e32 v11, 15, v10
	s_waitcnt vmcnt(0)
	ds_write_b64 v30, v[2:3]
	ds_write_b64 v19, v[4:5] offset:256
	ds_write_b64 v31, v[6:7] offset:512
	ds_write_b64 v32, v[8:9] offset:768
	s_waitcnt lgkmcnt(0)
	; wave barrier
	s_waitcnt lgkmcnt(0)
	ds_read2_b64 v[2:5], v33 offset1:1
	ds_read2_b64 v[6:9], v33 offset0:2 offset1:3
	v_cmp_eq_u32_e64 s[20:21], 0, v11
	v_cmp_lt_u32_e64 s[18:19], 1, v11
	v_cmp_lt_u32_e64 s[16:17], 3, v11
	;; [unrolled: 1-line block ×3, first 2 shown]
	v_and_b32_e32 v11, 16, v10
	v_cmp_eq_u32_e64 s[12:13], 0, v11
	v_add_u32_e32 v11, -1, v10
	v_and_b32_e32 v12, 0x60, v10
	v_cmp_lt_i32_e32 vcc, v11, v12
	s_movk_i32 s8, 0x100
	v_cndmask_b32_e32 v11, v11, v10, vcc
	v_cmp_gt_u32_e64 s[22:23], s8, v0
	v_lshlrev_b32_e32 v35, 5, v0
	v_cmp_eq_u32_e64 s[10:11], 31, v0
	v_lshlrev_b32_e32 v36, 2, v11
	v_cmp_eq_u32_e64 s[8:9], 0, v10
	v_lshlrev_b32_e32 v34, 3, v29
	s_min_u32 s40, s33, 8
	s_and_b64 vcc, exec, s[24:25]
	s_waitcnt lgkmcnt(0)
	; wave barrier
	s_waitcnt lgkmcnt(0)
	s_cbranch_vccz .LBB103_28
; %bb.19:
	s_and_saveexec_b64 s[24:25], s[22:23]
	s_cbranch_execz .LBB103_29
; %bb.20:
	s_mov_b32 s41, 0
	s_mov_b64 s[34:35], 0
	v_mov_b32_e32 v12, 0
	v_pk_mov_b32 v[10:11], v[0:1], v[0:1] op_sel:[0,1]
	s_branch .LBB103_22
.LBB103_21:                             ;   in Loop: Header=BB103_22 Depth=1
	s_or_b64 exec, exec, s[38:39]
	s_add_i32 s41, s41, 2
	v_cmp_eq_u32_e64 s[36:37], 8, s41
	v_add_u32_e32 v11, 64, v11
	s_or_b64 s[34:35], s[36:37], s[34:35]
	v_add_u32_e32 v10, 64, v10
	s_andn2_b64 exec, exec, s[34:35]
	s_cbranch_execz .LBB103_29
.LBB103_22:                             ; =>This Inner Loop Header: Depth=1
	s_or_b32 s36, s41, 1
	v_cmp_le_u32_e64 s[36:37], s36, 7
	v_cmp_le_u32_e64 s[42:43], s41, 7
	s_and_saveexec_b64 s[38:39], s[42:43]
	s_cbranch_execz .LBB103_24
; %bb.23:                               ;   in Loop: Header=BB103_22 Depth=1
	v_lshlrev_b32_e32 v13, 2, v10
	ds_write_b32 v13, v12
.LBB103_24:                             ;   in Loop: Header=BB103_22 Depth=1
	s_or_b64 exec, exec, s[38:39]
	s_and_saveexec_b64 s[38:39], s[36:37]
	s_cbranch_execz .LBB103_21
; %bb.25:                               ;   in Loop: Header=BB103_22 Depth=1
	v_lshlrev_b32_e32 v13, 2, v11
	ds_write_b32 v13, v12
	s_branch .LBB103_21
.LBB103_26:
	v_mov_b32_e32 v19, 0
	v_lshlrev_b64 v[2:3], 3, v[18:19]
	v_mov_b32_e32 v4, s29
	v_add_co_u32_e32 v2, vcc, s27, v2
	v_addc_co_u32_e32 v3, vcc, v4, v3, vcc
	global_load_dwordx2 v[2:3], v[2:3], off
	v_mov_b32_e32 v4, v19
	v_mov_b32_e32 v5, v19
	v_mov_b32_e32 v6, v19
	v_mov_b32_e32 v7, v19
	v_mov_b32_e32 v8, v19
	v_mov_b32_e32 v9, v19
	s_or_b64 exec, exec, s[10:11]
	s_and_saveexec_b64 s[10:11], s[6:7]
	s_cbranch_execz .LBB103_14
.LBB103_27:
	v_mul_lo_u32 v4, v1, s28
	v_mov_b32_e32 v5, 0
	v_lshlrev_b64 v[4:5], 3, v[4:5]
	v_mov_b32_e32 v12, s29
	v_add_co_u32_e32 v4, vcc, s27, v4
	v_addc_co_u32_e32 v5, vcc, v12, v5, vcc
	global_load_dwordx2 v[4:5], v[4:5], off
	s_or_b64 exec, exec, s[10:11]
	s_and_saveexec_b64 s[10:11], s[4:5]
	s_cbranch_execnz .LBB103_15
	s_branch .LBB103_16
.LBB103_28:
                                        ; implicit-def: $vgpr16_vgpr17
                                        ; implicit-def: $vgpr12_vgpr13
                                        ; implicit-def: $vgpr20
	s_cbranch_execnz .LBB103_41
	s_branch .LBB103_60
.LBB103_29:
	s_or_b64 exec, exec, s[24:25]
	s_lshl_b32 s24, -1, s40
	v_xor_b32_e32 v20, 0xffffff80, v40
	s_not_b32 s24, s24
	v_and_b32_e32 v10, s24, v20
	v_bfe_u32 v11, v10, 3, 5
	v_lshlrev_b32_e32 v10, 5, v10
	s_movk_i32 s25, 0xe0
	v_and_or_b32 v10, v10, s25, v0
	v_lshlrev_b32_e32 v10, 1, v10
	v_add_lshl_u32 v25, v10, v11, 1
	ds_read_u16 v23, v25
	v_xor_b32_e32 v21, 0xffffff80, v39
	v_xor_b32_e32 v24, 0xffffff80, v38
	;; [unrolled: 1-line block ×3, first 2 shown]
	s_waitcnt lgkmcnt(0)
	v_add_u16_e32 v10, 1, v23
	ds_write_b16 v25, v10
	v_and_b32_e32 v10, s24, v21
	v_bfe_u32 v11, v10, 3, 5
	v_lshlrev_b32_e32 v10, 5, v10
	v_and_or_b32 v10, v10, s25, v0
	v_lshlrev_b32_e32 v10, 1, v10
	v_add_lshl_u32 v41, v10, v11, 1
	ds_read_u16 v26, v41
	s_waitcnt lgkmcnt(0)
	v_add_u16_e32 v10, 1, v26
	ds_write_b16 v41, v10
	v_and_b32_e32 v10, s24, v24
	v_bfe_u32 v11, v10, 3, 5
	v_lshlrev_b32_e32 v10, 5, v10
	v_and_or_b32 v10, v10, s25, v0
	v_lshlrev_b32_e32 v10, 1, v10
	v_add_lshl_u32 v43, v10, v11, 1
	ds_read_u16 v42, v43
	;; [unrolled: 10-line block ×3, first 2 shown]
	s_waitcnt lgkmcnt(0)
	v_add_u16_e32 v10, 1, v44
	ds_write_b16 v45, v10
	s_waitcnt lgkmcnt(0)
	; wave barrier
	s_waitcnt lgkmcnt(0)
	ds_read2_b32 v[16:17], v35 offset1:1
	ds_read2_b32 v[14:15], v35 offset0:2 offset1:3
	ds_read2_b32 v[10:11], v35 offset0:4 offset1:5
	ds_read2_b32 v[12:13], v35 offset0:6 offset1:7
	s_waitcnt lgkmcnt(3)
	v_add_u32_e32 v22, v17, v16
	s_waitcnt lgkmcnt(2)
	v_add3_u32 v22, v22, v14, v15
	s_waitcnt lgkmcnt(1)
	v_add3_u32 v22, v22, v10, v11
	;; [unrolled: 2-line block ×3, first 2 shown]
	s_nop 1
	v_mov_b32_dpp v22, v13 row_shr:1 row_mask:0xf bank_mask:0xf
	v_cndmask_b32_e64 v22, v22, 0, s[20:21]
	v_add_u32_e32 v13, v22, v13
	s_nop 1
	v_mov_b32_dpp v22, v13 row_shr:2 row_mask:0xf bank_mask:0xf
	v_cndmask_b32_e64 v22, 0, v22, s[18:19]
	v_add_u32_e32 v13, v13, v22
	;; [unrolled: 4-line block ×4, first 2 shown]
	s_nop 1
	v_mov_b32_dpp v22, v13 row_bcast:15 row_mask:0xf bank_mask:0xf
	v_cndmask_b32_e64 v22, v22, 0, s[12:13]
	v_add_u32_e32 v13, v13, v22
	s_and_saveexec_b64 s[24:25], s[10:11]
	s_cbranch_execz .LBB103_31
; %bb.30:
	v_mov_b32_e32 v22, 0
	ds_write_b32 v22, v13 offset:1024
.LBB103_31:
	s_or_b64 exec, exec, s[24:25]
	ds_bpermute_b32 v13, v36, v13
	v_mov_b32_e32 v22, 0
	s_waitcnt lgkmcnt(0)
	; wave barrier
	s_waitcnt lgkmcnt(0)
	ds_read_b32 v46, v22 offset:1024
	v_cndmask_b32_e64 v13, v13, 0, s[8:9]
	s_mov_b32 s41, 0
	s_waitcnt lgkmcnt(0)
	v_lshl_add_u32 v13, v46, 16, v13
	v_add_u32_e32 v16, v13, v16
	v_add_u32_e32 v17, v16, v17
	;; [unrolled: 1-line block ×7, first 2 shown]
	ds_write2_b32 v35, v13, v16 offset1:1
	ds_write2_b32 v35, v17, v14 offset0:2 offset1:3
	ds_write2_b32 v35, v15, v10 offset0:4 offset1:5
	;; [unrolled: 1-line block ×3, first 2 shown]
	s_waitcnt lgkmcnt(0)
	; wave barrier
	s_waitcnt lgkmcnt(0)
	ds_read_u16 v10, v25
	ds_read_u16 v11, v41
	;; [unrolled: 1-line block ×4, first 2 shown]
	s_waitcnt lgkmcnt(0)
	v_add_u32_sdwa v10, v10, v23 dst_sel:DWORD dst_unused:UNUSED_PAD src0_sel:DWORD src1_sel:WORD_0
	v_add_u32_sdwa v11, v11, v26 dst_sel:DWORD dst_unused:UNUSED_PAD src0_sel:DWORD src1_sel:WORD_0
	;; [unrolled: 1-line block ×4, first 2 shown]
	; wave barrier
	ds_write_b8 v10, v20
	ds_write_b8 v11, v21
	;; [unrolled: 1-line block ×4, first 2 shown]
	v_lshlrev_b32_e32 v10, 3, v10
	s_waitcnt lgkmcnt(0)
	; wave barrier
	s_waitcnt lgkmcnt(0)
	ds_read_u8 v41, v29
	ds_read_u8 v42, v29 offset:1
	ds_read_u8 v43, v29 offset:2
	;; [unrolled: 1-line block ×3, first 2 shown]
	s_waitcnt lgkmcnt(0)
	; wave barrier
	s_waitcnt lgkmcnt(0)
	ds_write_b64 v10, v[2:3]
	v_lshlrev_b32_e32 v10, 3, v11
	ds_write_b64 v10, v[4:5]
	v_lshlrev_b32_e32 v10, 3, v12
	;; [unrolled: 2-line block ×3, first 2 shown]
	ds_write_b64 v10, v[8:9]
	s_waitcnt lgkmcnt(0)
	; wave barrier
	s_waitcnt lgkmcnt(0)
	ds_read2_b64 v[14:17], v34 offset1:1
	ds_read2_b64 v[10:13], v34 offset0:2 offset1:3
	s_waitcnt lgkmcnt(0)
	; wave barrier
	s_waitcnt lgkmcnt(0)
	s_and_saveexec_b64 s[24:25], s[22:23]
	s_cbranch_execz .LBB103_38
; %bb.32:
	s_mov_b64 s[34:35], 0
	v_pk_mov_b32 v[20:21], v[0:1], v[0:1] op_sel:[0,1]
	s_branch .LBB103_34
.LBB103_33:                             ;   in Loop: Header=BB103_34 Depth=1
	s_or_b64 exec, exec, s[38:39]
	s_add_i32 s41, s41, 2
	v_cmp_eq_u32_e64 s[36:37], 8, s41
	v_add_u32_e32 v21, 64, v21
	s_or_b64 s[34:35], s[36:37], s[34:35]
	v_add_u32_e32 v20, 64, v20
	s_andn2_b64 exec, exec, s[34:35]
	s_cbranch_execz .LBB103_38
.LBB103_34:                             ; =>This Inner Loop Header: Depth=1
	s_or_b32 s36, s41, 1
	v_cmp_le_u32_e64 s[36:37], s36, 7
	v_cmp_le_u32_e64 s[42:43], s41, 7
	s_and_saveexec_b64 s[38:39], s[42:43]
	s_cbranch_execz .LBB103_36
; %bb.35:                               ;   in Loop: Header=BB103_34 Depth=1
	v_lshlrev_b32_e32 v23, 2, v20
	ds_write_b32 v23, v22
.LBB103_36:                             ;   in Loop: Header=BB103_34 Depth=1
	s_or_b64 exec, exec, s[38:39]
	s_and_saveexec_b64 s[38:39], s[36:37]
	s_cbranch_execz .LBB103_33
; %bb.37:                               ;   in Loop: Header=BB103_34 Depth=1
	v_lshlrev_b32_e32 v23, 2, v21
	ds_write_b32 v23, v22
	s_branch .LBB103_33
.LBB103_38:
	s_or_b64 exec, exec, s[24:25]
	s_min_u32 s24, s33, 4
	s_lshl_b32 s24, -1, s24
	v_lshrrev_b16_e32 v20, 4, v41
	s_not_b32 s24, s24
	v_and_b32_e32 v20, 15, v20
	v_and_b32_sdwa v20, v20, s24 dst_sel:DWORD dst_unused:UNUSED_PAD src0_sel:WORD_0 src1_sel:DWORD
	v_lshlrev_b32_e32 v21, 5, v20
	s_movk_i32 s25, 0xe0
	v_lshrrev_b32_e32 v20, 2, v20
	v_and_or_b32 v21, v21, s25, v0
	v_and_b32_e32 v20, 2, v20
	v_lshl_or_b32 v46, v21, 2, v20
	ds_read_u16 v45, v46
	s_waitcnt lgkmcnt(0)
	v_add_u16_e32 v20, 1, v45
	ds_write_b16 v46, v20
	v_lshrrev_b16_e32 v20, 4, v42
	v_and_b32_e32 v20, 15, v20
	v_and_b32_sdwa v20, v20, s24 dst_sel:DWORD dst_unused:UNUSED_PAD src0_sel:WORD_0 src1_sel:DWORD
	v_lshlrev_b32_e32 v21, 5, v20
	v_lshrrev_b32_e32 v20, 2, v20
	v_and_or_b32 v21, v21, s25, v0
	v_and_b32_e32 v20, 2, v20
	v_lshl_or_b32 v48, v21, 2, v20
	ds_read_u16 v47, v48
	s_waitcnt lgkmcnt(0)
	v_add_u16_e32 v20, 1, v47
	ds_write_b16 v48, v20
	v_lshrrev_b16_e32 v20, 4, v43
	v_and_b32_e32 v20, 15, v20
	v_and_b32_sdwa v20, v20, s24 dst_sel:DWORD dst_unused:UNUSED_PAD src0_sel:WORD_0 src1_sel:DWORD
	v_lshlrev_b32_e32 v21, 5, v20
	;; [unrolled: 12-line block ×3, first 2 shown]
	v_lshrrev_b32_e32 v20, 2, v20
	v_and_or_b32 v21, v21, s25, v0
	v_and_b32_e32 v20, 2, v20
	v_lshl_or_b32 v52, v21, 2, v20
	ds_read_u16 v51, v52
	s_waitcnt lgkmcnt(0)
	v_add_u16_e32 v20, 1, v51
	ds_write_b16 v52, v20
	s_waitcnt lgkmcnt(0)
	; wave barrier
	s_waitcnt lgkmcnt(0)
	ds_read2_b32 v[26:27], v35 offset1:1
	ds_read2_b32 v[24:25], v35 offset0:2 offset1:3
	ds_read2_b32 v[20:21], v35 offset0:4 offset1:5
	;; [unrolled: 1-line block ×3, first 2 shown]
	s_waitcnt lgkmcnt(3)
	v_add_u32_e32 v53, v27, v26
	s_waitcnt lgkmcnt(2)
	v_add3_u32 v53, v53, v24, v25
	s_waitcnt lgkmcnt(1)
	v_add3_u32 v53, v53, v20, v21
	;; [unrolled: 2-line block ×3, first 2 shown]
	s_nop 1
	v_mov_b32_dpp v53, v23 row_shr:1 row_mask:0xf bank_mask:0xf
	v_cndmask_b32_e64 v53, v53, 0, s[20:21]
	v_add_u32_e32 v23, v53, v23
	s_nop 1
	v_mov_b32_dpp v53, v23 row_shr:2 row_mask:0xf bank_mask:0xf
	v_cndmask_b32_e64 v53, 0, v53, s[18:19]
	v_add_u32_e32 v23, v23, v53
	;; [unrolled: 4-line block ×4, first 2 shown]
	s_nop 1
	v_mov_b32_dpp v53, v23 row_bcast:15 row_mask:0xf bank_mask:0xf
	v_cndmask_b32_e64 v53, v53, 0, s[12:13]
	v_add_u32_e32 v23, v23, v53
	s_and_saveexec_b64 s[24:25], s[10:11]
	s_cbranch_execz .LBB103_40
; %bb.39:
	v_mov_b32_e32 v53, 0
	ds_write_b32 v53, v23 offset:1024
.LBB103_40:
	s_or_b64 exec, exec, s[24:25]
	ds_bpermute_b32 v23, v36, v23
	v_mov_b32_e32 v53, 0
	s_waitcnt lgkmcnt(0)
	; wave barrier
	s_waitcnt lgkmcnt(0)
	ds_read_b32 v53, v53 offset:1024
	v_cndmask_b32_e64 v23, v23, 0, s[8:9]
	s_movk_i32 s24, 0x80
	s_waitcnt lgkmcnt(0)
	v_lshl_add_u32 v23, v53, 16, v23
	v_add_u32_e32 v26, v23, v26
	v_add_u32_e32 v27, v26, v27
	v_add_u32_e32 v24, v27, v24
	v_add_u32_e32 v25, v24, v25
	v_add_u32_e32 v20, v25, v20
	v_add_u32_e32 v21, v20, v21
	v_add_u32_e32 v22, v21, v22
	ds_write2_b32 v35, v23, v26 offset1:1
	ds_write2_b32 v35, v27, v24 offset0:2 offset1:3
	ds_write2_b32 v35, v25, v20 offset0:4 offset1:5
	;; [unrolled: 1-line block ×3, first 2 shown]
	s_waitcnt lgkmcnt(0)
	; wave barrier
	s_waitcnt lgkmcnt(0)
	ds_read_u16 v20, v52
	ds_read_u16 v21, v50
	;; [unrolled: 1-line block ×4, first 2 shown]
	s_waitcnt lgkmcnt(0)
	v_add_u32_sdwa v20, v20, v51 dst_sel:DWORD dst_unused:UNUSED_PAD src0_sel:DWORD src1_sel:WORD_0
	v_add_u32_sdwa v21, v21, v49 dst_sel:DWORD dst_unused:UNUSED_PAD src0_sel:DWORD src1_sel:WORD_0
	;; [unrolled: 1-line block ×4, first 2 shown]
	; wave barrier
	ds_write_b8 v23, v41
	ds_write_b8 v22, v42
	ds_write_b8 v21, v43
	ds_write_b8 v20, v44
	v_lshlrev_b32_e32 v23, 3, v23
	s_waitcnt lgkmcnt(0)
	; wave barrier
	s_waitcnt lgkmcnt(0)
	ds_read_u8 v24, v29
	ds_read_u8 v25, v29 offset:1
	ds_read_u8 v26, v29 offset:2
	;; [unrolled: 1-line block ×3, first 2 shown]
	s_waitcnt lgkmcnt(0)
	; wave barrier
	s_waitcnt lgkmcnt(0)
	ds_write_b64 v23, v[14:15]
	v_lshlrev_b32_e32 v14, 3, v22
	ds_write_b64 v14, v[16:17]
	v_lshlrev_b32_e32 v14, 3, v21
	;; [unrolled: 2-line block ×3, first 2 shown]
	ds_write_b64 v10, v[12:13]
	s_waitcnt lgkmcnt(0)
	; wave barrier
	s_waitcnt lgkmcnt(0)
	ds_read2_b64 v[10:13], v34 offset1:1
	ds_read2_b64 v[14:17], v34 offset0:2 offset1:3
	v_xor_b32_e32 v20, 0x80, v24
	v_xor_b32_sdwa v21, v25, s24 dst_sel:BYTE_1 dst_unused:UNUSED_PAD src0_sel:DWORD src1_sel:DWORD
	v_xor_b32_e32 v22, 0x80, v26
	v_xor_b32_sdwa v23, v27, s24 dst_sel:BYTE_1 dst_unused:UNUSED_PAD src0_sel:DWORD src1_sel:DWORD
	v_or_b32_e32 v20, v20, v21
	v_or_b32_sdwa v21, v22, v23 dst_sel:WORD_1 dst_unused:UNUSED_PAD src0_sel:DWORD src1_sel:DWORD
	v_or_b32_sdwa v20, v20, v21 dst_sel:DWORD dst_unused:UNUSED_PAD src0_sel:WORD_0 src1_sel:DWORD
	s_branch .LBB103_60
.LBB103_41:
	s_and_saveexec_b64 s[24:25], s[22:23]
	s_cbranch_execz .LBB103_48
; %bb.42:
	s_mov_b32 s41, 0
	s_mov_b64 s[34:35], 0
	s_waitcnt lgkmcnt(1)
	v_mov_b32_e32 v12, 0
	v_pk_mov_b32 v[10:11], v[0:1], v[0:1] op_sel:[0,1]
	s_branch .LBB103_44
.LBB103_43:                             ;   in Loop: Header=BB103_44 Depth=1
	s_or_b64 exec, exec, s[38:39]
	s_add_i32 s41, s41, 2
	v_cmp_eq_u32_e64 s[36:37], 8, s41
	v_add_u32_e32 v11, 64, v11
	s_or_b64 s[34:35], s[36:37], s[34:35]
	v_add_u32_e32 v10, 64, v10
	s_andn2_b64 exec, exec, s[34:35]
	s_cbranch_execz .LBB103_48
.LBB103_44:                             ; =>This Inner Loop Header: Depth=1
	s_or_b32 s36, s41, 1
	v_cmp_le_u32_e64 s[36:37], s36, 7
	v_cmp_le_u32_e64 s[42:43], s41, 7
	s_and_saveexec_b64 s[38:39], s[42:43]
	s_cbranch_execz .LBB103_46
; %bb.45:                               ;   in Loop: Header=BB103_44 Depth=1
	v_lshlrev_b32_e32 v13, 2, v10
	ds_write_b32 v13, v12
.LBB103_46:                             ;   in Loop: Header=BB103_44 Depth=1
	s_or_b64 exec, exec, s[38:39]
	s_and_saveexec_b64 s[38:39], s[36:37]
	s_cbranch_execz .LBB103_43
; %bb.47:                               ;   in Loop: Header=BB103_44 Depth=1
	v_lshlrev_b32_e32 v13, 2, v11
	ds_write_b32 v13, v12
	s_branch .LBB103_43
.LBB103_48:
	s_or_b64 exec, exec, s[24:25]
	s_lshl_b32 s24, -1, s40
	v_xor_b32_e32 v20, 0x7f, v40
	s_not_b32 s24, s24
	s_waitcnt lgkmcnt(1)
	v_and_b32_e32 v10, s24, v20
	v_bfe_u32 v11, v10, 3, 5
	v_lshlrev_b32_e32 v10, 5, v10
	s_movk_i32 s25, 0xe0
	v_and_or_b32 v10, v10, s25, v0
	v_lshlrev_b32_e32 v10, 1, v10
	v_add_lshl_u32 v24, v10, v11, 1
	ds_read_u16 v22, v24
	v_xor_b32_e32 v21, 0x7f, v39
	v_xor_b32_e32 v23, 0x7f, v38
	;; [unrolled: 1-line block ×3, first 2 shown]
	s_waitcnt lgkmcnt(0)
	v_add_u16_e32 v10, 1, v22
	ds_write_b16 v24, v10
	v_and_b32_e32 v10, s24, v21
	v_bfe_u32 v11, v10, 3, 5
	v_lshlrev_b32_e32 v10, 5, v10
	v_and_or_b32 v10, v10, s25, v0
	v_lshlrev_b32_e32 v10, 1, v10
	v_add_lshl_u32 v27, v10, v11, 1
	ds_read_u16 v25, v27
	s_waitcnt lgkmcnt(0)
	v_add_u16_e32 v10, 1, v25
	ds_write_b16 v27, v10
	v_and_b32_e32 v10, s24, v23
	v_bfe_u32 v11, v10, 3, 5
	v_lshlrev_b32_e32 v10, 5, v10
	v_and_or_b32 v10, v10, s25, v0
	v_lshlrev_b32_e32 v10, 1, v10
	v_add_lshl_u32 v39, v10, v11, 1
	ds_read_u16 v38, v39
	;; [unrolled: 10-line block ×3, first 2 shown]
	s_waitcnt lgkmcnt(0)
	v_add_u16_e32 v10, 1, v37
	ds_write_b16 v40, v10
	s_waitcnt lgkmcnt(0)
	; wave barrier
	s_waitcnt lgkmcnt(0)
	ds_read2_b32 v[16:17], v35 offset1:1
	ds_read2_b32 v[14:15], v35 offset0:2 offset1:3
	ds_read2_b32 v[10:11], v35 offset0:4 offset1:5
	;; [unrolled: 1-line block ×3, first 2 shown]
	s_waitcnt lgkmcnt(3)
	v_add_u32_e32 v41, v17, v16
	s_waitcnt lgkmcnt(2)
	v_add3_u32 v41, v41, v14, v15
	s_waitcnt lgkmcnt(1)
	v_add3_u32 v41, v41, v10, v11
	;; [unrolled: 2-line block ×3, first 2 shown]
	s_nop 1
	v_mov_b32_dpp v41, v13 row_shr:1 row_mask:0xf bank_mask:0xf
	v_cndmask_b32_e64 v41, v41, 0, s[20:21]
	v_add_u32_e32 v13, v41, v13
	s_nop 1
	v_mov_b32_dpp v41, v13 row_shr:2 row_mask:0xf bank_mask:0xf
	v_cndmask_b32_e64 v41, 0, v41, s[18:19]
	v_add_u32_e32 v13, v13, v41
	;; [unrolled: 4-line block ×4, first 2 shown]
	s_nop 1
	v_mov_b32_dpp v41, v13 row_bcast:15 row_mask:0xf bank_mask:0xf
	v_cndmask_b32_e64 v41, v41, 0, s[12:13]
	v_add_u32_e32 v13, v13, v41
	s_and_saveexec_b64 s[24:25], s[10:11]
	s_cbranch_execz .LBB103_50
; %bb.49:
	v_mov_b32_e32 v41, 0
	ds_write_b32 v41, v13 offset:1024
.LBB103_50:
	s_or_b64 exec, exec, s[24:25]
	ds_bpermute_b32 v41, v36, v13
	v_mov_b32_e32 v13, 0
	s_waitcnt lgkmcnt(0)
	; wave barrier
	s_waitcnt lgkmcnt(0)
	ds_read_b32 v42, v13 offset:1024
	v_cndmask_b32_e64 v41, v41, 0, s[8:9]
	s_mov_b32 s38, 0
	s_waitcnt lgkmcnt(0)
	v_lshl_add_u32 v41, v42, 16, v41
	v_add_u32_e32 v16, v41, v16
	v_add_u32_e32 v17, v16, v17
	;; [unrolled: 1-line block ×7, first 2 shown]
	ds_write2_b32 v35, v41, v16 offset1:1
	ds_write2_b32 v35, v17, v14 offset0:2 offset1:3
	ds_write2_b32 v35, v15, v10 offset0:4 offset1:5
	;; [unrolled: 1-line block ×3, first 2 shown]
	s_waitcnt lgkmcnt(0)
	; wave barrier
	s_waitcnt lgkmcnt(0)
	ds_read_u16 v10, v24
	ds_read_u16 v11, v27
	;; [unrolled: 1-line block ×4, first 2 shown]
	s_waitcnt lgkmcnt(0)
	v_add_u32_sdwa v10, v10, v22 dst_sel:DWORD dst_unused:UNUSED_PAD src0_sel:DWORD src1_sel:WORD_0
	v_add_u32_sdwa v11, v11, v25 dst_sel:DWORD dst_unused:UNUSED_PAD src0_sel:DWORD src1_sel:WORD_0
	;; [unrolled: 1-line block ×4, first 2 shown]
	; wave barrier
	ds_write_b8 v10, v20
	ds_write_b8 v11, v21
	;; [unrolled: 1-line block ×4, first 2 shown]
	v_lshlrev_b32_e32 v10, 3, v10
	s_waitcnt lgkmcnt(0)
	; wave barrier
	s_waitcnt lgkmcnt(0)
	ds_read_u8 v20, v29
	ds_read_u8 v21, v29 offset:1
	ds_read_u8 v22, v29 offset:2
	;; [unrolled: 1-line block ×3, first 2 shown]
	s_waitcnt lgkmcnt(0)
	; wave barrier
	s_waitcnt lgkmcnt(0)
	ds_write_b64 v10, v[2:3]
	v_lshlrev_b32_e32 v2, 3, v11
	ds_write_b64 v2, v[4:5]
	v_lshlrev_b32_e32 v2, 3, v12
	ds_write_b64 v2, v[6:7]
	v_lshlrev_b32_e32 v2, 3, v14
	ds_write_b64 v2, v[8:9]
	s_waitcnt lgkmcnt(0)
	; wave barrier
	s_waitcnt lgkmcnt(0)
	ds_read2_b64 v[6:9], v34 offset1:1
	ds_read2_b64 v[2:5], v34 offset0:2 offset1:3
	s_waitcnt lgkmcnt(0)
	; wave barrier
	s_waitcnt lgkmcnt(0)
	s_and_saveexec_b64 s[24:25], s[22:23]
	s_cbranch_execz .LBB103_57
; %bb.51:
	s_mov_b64 s[22:23], 0
	v_pk_mov_b32 v[10:11], v[0:1], v[0:1] op_sel:[0,1]
	s_branch .LBB103_53
.LBB103_52:                             ;   in Loop: Header=BB103_53 Depth=1
	s_or_b64 exec, exec, s[36:37]
	s_add_i32 s38, s38, 2
	v_cmp_eq_u32_e64 s[34:35], 8, s38
	v_add_u32_e32 v11, 64, v11
	s_or_b64 s[22:23], s[34:35], s[22:23]
	v_add_u32_e32 v10, 64, v10
	s_andn2_b64 exec, exec, s[22:23]
	s_cbranch_execz .LBB103_57
.LBB103_53:                             ; =>This Inner Loop Header: Depth=1
	s_or_b32 s34, s38, 1
	v_cmp_le_u32_e64 s[34:35], s34, 7
	v_cmp_le_u32_e64 s[40:41], s38, 7
	s_and_saveexec_b64 s[36:37], s[40:41]
	s_cbranch_execz .LBB103_55
; %bb.54:                               ;   in Loop: Header=BB103_53 Depth=1
	v_lshlrev_b32_e32 v1, 2, v10
	ds_write_b32 v1, v13
.LBB103_55:                             ;   in Loop: Header=BB103_53 Depth=1
	s_or_b64 exec, exec, s[36:37]
	s_and_saveexec_b64 s[36:37], s[34:35]
	s_cbranch_execz .LBB103_52
; %bb.56:                               ;   in Loop: Header=BB103_53 Depth=1
	v_lshlrev_b32_e32 v1, 2, v11
	ds_write_b32 v1, v13
	s_branch .LBB103_52
.LBB103_57:
	s_or_b64 exec, exec, s[24:25]
	s_min_u32 s22, s33, 4
	s_lshl_b32 s22, -1, s22
	v_lshrrev_b16_e32 v1, 4, v20
	s_not_b32 s22, s22
	v_and_b32_e32 v1, 15, v1
	v_and_b32_sdwa v1, v1, s22 dst_sel:DWORD dst_unused:UNUSED_PAD src0_sel:WORD_0 src1_sel:DWORD
	v_lshlrev_b32_e32 v10, 5, v1
	s_movk_i32 s23, 0xe0
	v_lshrrev_b32_e32 v1, 2, v1
	v_and_or_b32 v10, v10, s23, v0
	v_and_b32_e32 v1, 2, v1
	v_lshl_or_b32 v24, v10, 2, v1
	ds_read_u16 v1, v24
	s_waitcnt lgkmcnt(0)
	v_add_u16_e32 v10, 1, v1
	ds_write_b16 v24, v10
	v_lshrrev_b16_e32 v10, 4, v21
	v_and_b32_e32 v10, 15, v10
	v_and_b32_sdwa v10, v10, s22 dst_sel:DWORD dst_unused:UNUSED_PAD src0_sel:WORD_0 src1_sel:DWORD
	v_lshlrev_b32_e32 v11, 5, v10
	v_lshrrev_b32_e32 v10, 2, v10
	v_and_or_b32 v11, v11, s23, v0
	v_and_b32_e32 v10, 2, v10
	v_lshl_or_b32 v26, v11, 2, v10
	ds_read_u16 v25, v26
	s_waitcnt lgkmcnt(0)
	v_add_u16_e32 v10, 1, v25
	ds_write_b16 v26, v10
	v_lshrrev_b16_e32 v10, 4, v22
	v_and_b32_e32 v10, 15, v10
	v_and_b32_sdwa v10, v10, s22 dst_sel:DWORD dst_unused:UNUSED_PAD src0_sel:WORD_0 src1_sel:DWORD
	v_lshlrev_b32_e32 v11, 5, v10
	;; [unrolled: 12-line block ×3, first 2 shown]
	v_lshrrev_b32_e32 v10, 2, v10
	v_and_or_b32 v11, v11, s23, v0
	v_and_b32_e32 v10, 2, v10
	v_lshl_or_b32 v39, v11, 2, v10
	ds_read_u16 v38, v39
	s_waitcnt lgkmcnt(0)
	v_add_u16_e32 v10, 1, v38
	ds_write_b16 v39, v10
	s_waitcnt lgkmcnt(0)
	; wave barrier
	s_waitcnt lgkmcnt(0)
	ds_read2_b32 v[16:17], v35 offset1:1
	ds_read2_b32 v[14:15], v35 offset0:2 offset1:3
	ds_read2_b32 v[10:11], v35 offset0:4 offset1:5
	;; [unrolled: 1-line block ×3, first 2 shown]
	s_waitcnt lgkmcnt(3)
	v_add_u32_e32 v40, v17, v16
	s_waitcnt lgkmcnt(2)
	v_add3_u32 v40, v40, v14, v15
	s_waitcnt lgkmcnt(1)
	v_add3_u32 v40, v40, v10, v11
	;; [unrolled: 2-line block ×3, first 2 shown]
	s_nop 1
	v_mov_b32_dpp v40, v13 row_shr:1 row_mask:0xf bank_mask:0xf
	v_cndmask_b32_e64 v40, v40, 0, s[20:21]
	v_add_u32_e32 v13, v40, v13
	s_nop 1
	v_mov_b32_dpp v40, v13 row_shr:2 row_mask:0xf bank_mask:0xf
	v_cndmask_b32_e64 v40, 0, v40, s[18:19]
	v_add_u32_e32 v13, v13, v40
	s_nop 1
	v_mov_b32_dpp v40, v13 row_shr:4 row_mask:0xf bank_mask:0xf
	v_cndmask_b32_e64 v40, 0, v40, s[16:17]
	v_add_u32_e32 v13, v13, v40
	s_nop 1
	v_mov_b32_dpp v40, v13 row_shr:8 row_mask:0xf bank_mask:0xf
	v_cndmask_b32_e64 v40, 0, v40, s[14:15]
	v_add_u32_e32 v13, v13, v40
	s_nop 1
	v_mov_b32_dpp v40, v13 row_bcast:15 row_mask:0xf bank_mask:0xf
	v_cndmask_b32_e64 v40, v40, 0, s[12:13]
	v_add_u32_e32 v13, v13, v40
	s_and_saveexec_b64 s[12:13], s[10:11]
	s_cbranch_execz .LBB103_59
; %bb.58:
	v_mov_b32_e32 v40, 0
	ds_write_b32 v40, v13 offset:1024
.LBB103_59:
	s_or_b64 exec, exec, s[12:13]
	ds_bpermute_b32 v13, v36, v13
	v_mov_b32_e32 v36, 0
	s_waitcnt lgkmcnt(0)
	; wave barrier
	s_waitcnt lgkmcnt(0)
	ds_read_b32 v36, v36 offset:1024
	v_cndmask_b32_e64 v13, v13, 0, s[8:9]
	s_movk_i32 s8, 0x7f
	s_waitcnt lgkmcnt(0)
	v_lshl_add_u32 v13, v36, 16, v13
	v_add_u32_e32 v16, v13, v16
	v_add_u32_e32 v17, v16, v17
	;; [unrolled: 1-line block ×7, first 2 shown]
	ds_write2_b32 v35, v13, v16 offset1:1
	ds_write2_b32 v35, v17, v14 offset0:2 offset1:3
	ds_write2_b32 v35, v15, v10 offset0:4 offset1:5
	;; [unrolled: 1-line block ×3, first 2 shown]
	s_waitcnt lgkmcnt(0)
	; wave barrier
	s_waitcnt lgkmcnt(0)
	ds_read_u16 v10, v39
	ds_read_u16 v11, v37
	;; [unrolled: 1-line block ×4, first 2 shown]
	s_waitcnt lgkmcnt(0)
	v_add_u32_sdwa v10, v10, v38 dst_sel:DWORD dst_unused:UNUSED_PAD src0_sel:DWORD src1_sel:WORD_0
	v_add_u32_sdwa v11, v11, v27 dst_sel:DWORD dst_unused:UNUSED_PAD src0_sel:DWORD src1_sel:WORD_0
	;; [unrolled: 1-line block ×4, first 2 shown]
	; wave barrier
	ds_write_b8 v1, v20
	ds_write_b8 v12, v21
	;; [unrolled: 1-line block ×4, first 2 shown]
	v_lshlrev_b32_e32 v1, 3, v1
	s_waitcnt lgkmcnt(0)
	; wave barrier
	s_waitcnt lgkmcnt(0)
	ds_read_u8 v20, v29
	ds_read_u8 v21, v29 offset:1
	ds_read_u8 v22, v29 offset:2
	ds_read_u8 v23, v29 offset:3
	s_waitcnt lgkmcnt(0)
	; wave barrier
	s_waitcnt lgkmcnt(0)
	ds_write_b64 v1, v[6:7]
	v_lshlrev_b32_e32 v1, 3, v12
	ds_write_b64 v1, v[8:9]
	v_lshlrev_b32_e32 v1, 3, v11
	;; [unrolled: 2-line block ×3, first 2 shown]
	ds_write_b64 v1, v[4:5]
	s_waitcnt lgkmcnt(0)
	; wave barrier
	s_waitcnt lgkmcnt(0)
	ds_read2_b64 v[10:13], v34 offset1:1
	ds_read2_b64 v[14:17], v34 offset0:2 offset1:3
	v_xor_b32_e32 v1, 0x7f, v20
	v_xor_b32_sdwa v2, v21, s8 dst_sel:BYTE_1 dst_unused:UNUSED_PAD src0_sel:DWORD src1_sel:DWORD
	v_xor_b32_e32 v3, 0x7f, v22
	v_xor_b32_sdwa v4, v23, s8 dst_sel:BYTE_1 dst_unused:UNUSED_PAD src0_sel:DWORD src1_sel:DWORD
	v_or_b32_e32 v1, v1, v2
	v_or_b32_sdwa v2, v3, v4 dst_sel:WORD_1 dst_unused:UNUSED_PAD src0_sel:DWORD src1_sel:DWORD
	v_or_b32_sdwa v20, v1, v2 dst_sel:DWORD dst_unused:UNUSED_PAD src0_sel:WORD_0 src1_sel:DWORD
.LBB103_60:
	s_waitcnt lgkmcnt(0)
	; wave barrier
	s_waitcnt lgkmcnt(0)
	ds_write_b32 v29, v20
	s_waitcnt lgkmcnt(0)
	; wave barrier
	s_waitcnt lgkmcnt(0)
	ds_read_u8 v5, v0 offset:32
	ds_read_u8 v4, v0 offset:64
	;; [unrolled: 1-line block ×3, first 2 shown]
	v_mov_b32_e32 v3, s31
	v_add_co_u32_e32 v2, vcc, s30, v28
	v_addc_co_u32_e32 v3, vcc, 0, v3, vcc
	s_and_saveexec_b64 s[8:9], s[0:1]
	s_cbranch_execnz .LBB103_71
; %bb.61:
	s_or_b64 exec, exec, s[8:9]
	s_and_saveexec_b64 s[8:9], s[6:7]
	s_cbranch_execnz .LBB103_72
.LBB103_62:
	s_or_b64 exec, exec, s[8:9]
	s_and_saveexec_b64 s[8:9], s[4:5]
	s_cbranch_execnz .LBB103_73
.LBB103_63:
	s_or_b64 exec, exec, s[8:9]
	s_and_saveexec_b64 s[8:9], s[2:3]
	s_cbranch_execz .LBB103_65
.LBB103_64:
	s_mul_i32 s10, s26, 0x60
	v_add_co_u32_e32 v2, vcc, s10, v2
	v_addc_co_u32_e32 v3, vcc, 0, v3, vcc
	s_waitcnt lgkmcnt(0)
	global_store_byte v[2:3], v1, off
.LBB103_65:
	s_or_b64 exec, exec, s[8:9]
	s_waitcnt lgkmcnt(0)
	; wave barrier
	s_waitcnt lgkmcnt(0)
	ds_write2_b64 v33, v[10:11], v[12:13] offset1:1
	ds_write2_b64 v33, v[14:15], v[16:17] offset0:2 offset1:3
	s_waitcnt lgkmcnt(0)
	; wave barrier
	s_waitcnt lgkmcnt(0)
	ds_read_b64 v[6:7], v19 offset:256
	ds_read_b64 v[4:5], v31 offset:512
	;; [unrolled: 1-line block ×3, first 2 shown]
	v_mov_b32_e32 v19, 0
	v_lshlrev_b64 v[2:3], 3, v[18:19]
	v_mov_b32_e32 v8, s29
	v_add_co_u32_e32 v2, vcc, s27, v2
	v_addc_co_u32_e32 v3, vcc, v8, v3, vcc
	s_and_saveexec_b64 s[8:9], s[0:1]
	s_cbranch_execnz .LBB103_74
; %bb.66:
	s_or_b64 exec, exec, s[8:9]
	s_and_saveexec_b64 s[0:1], s[6:7]
	s_cbranch_execnz .LBB103_75
.LBB103_67:
	s_or_b64 exec, exec, s[0:1]
	s_and_saveexec_b64 s[0:1], s[4:5]
	s_cbranch_execnz .LBB103_76
.LBB103_68:
	s_or_b64 exec, exec, s[0:1]
	s_and_saveexec_b64 s[0:1], s[2:3]
	s_cbranch_execz .LBB103_70
.LBB103_69:
	s_mul_i32 s0, s28, 0x60
	s_mov_b32 s1, 0
	s_lshl_b64 s[0:1], s[0:1], 3
	s_waitcnt lgkmcnt(1)
	v_mov_b32_e32 v4, s1
	v_add_co_u32_e32 v2, vcc, s0, v2
	v_addc_co_u32_e32 v3, vcc, v3, v4, vcc
	s_waitcnt lgkmcnt(0)
	global_store_dwordx2 v[2:3], v[0:1], off
.LBB103_70:
	s_endpgm
.LBB103_71:
	ds_read_u8 v0, v0
	s_waitcnt lgkmcnt(0)
	global_store_byte v[2:3], v0, off
	s_or_b64 exec, exec, s[8:9]
	s_and_saveexec_b64 s[8:9], s[6:7]
	s_cbranch_execz .LBB103_62
.LBB103_72:
	s_lshl_b32 s10, s26, 5
	v_add_co_u32_e32 v6, vcc, s10, v2
	v_addc_co_u32_e32 v7, vcc, 0, v3, vcc
	s_waitcnt lgkmcnt(2)
	global_store_byte v[6:7], v5, off
	s_or_b64 exec, exec, s[8:9]
	s_and_saveexec_b64 s[8:9], s[4:5]
	s_cbranch_execz .LBB103_63
.LBB103_73:
	s_lshl_b32 s10, s26, 6
	v_add_co_u32_e32 v6, vcc, s10, v2
	v_addc_co_u32_e32 v7, vcc, 0, v3, vcc
	s_waitcnt lgkmcnt(1)
	global_store_byte v[6:7], v4, off
	s_or_b64 exec, exec, s[8:9]
	s_and_saveexec_b64 s[8:9], s[2:3]
	s_cbranch_execnz .LBB103_64
	s_branch .LBB103_65
.LBB103_74:
	ds_read_b64 v[8:9], v30
	s_waitcnt lgkmcnt(0)
	global_store_dwordx2 v[2:3], v[8:9], off
	s_or_b64 exec, exec, s[8:9]
	s_and_saveexec_b64 s[0:1], s[6:7]
	s_cbranch_execz .LBB103_67
.LBB103_75:
	s_lshl_b32 s6, s28, 5
	s_mov_b32 s7, 0
	s_lshl_b64 s[6:7], s[6:7], 3
	v_mov_b32_e32 v9, s7
	v_add_co_u32_e32 v8, vcc, s6, v2
	v_addc_co_u32_e32 v9, vcc, v3, v9, vcc
	s_waitcnt lgkmcnt(2)
	global_store_dwordx2 v[8:9], v[6:7], off
	s_or_b64 exec, exec, s[0:1]
	s_and_saveexec_b64 s[0:1], s[4:5]
	s_cbranch_execz .LBB103_68
.LBB103_76:
	s_lshl_b32 s4, s28, 6
	s_mov_b32 s5, 0
	s_lshl_b64 s[4:5], s[4:5], 3
	s_waitcnt lgkmcnt(2)
	v_mov_b32_e32 v7, s5
	v_add_co_u32_e32 v6, vcc, s4, v2
	v_addc_co_u32_e32 v7, vcc, v3, v7, vcc
	s_waitcnt lgkmcnt(1)
	global_store_dwordx2 v[6:7], v[4:5], off
	s_or_b64 exec, exec, s[0:1]
	s_and_saveexec_b64 s[0:1], s[2:3]
	s_cbranch_execnz .LBB103_69
	s_branch .LBB103_70
	.section	.rodata,"a",@progbits
	.p2align	6, 0x0
	.amdhsa_kernel _ZN2at6native18radixSortKVInPlaceILin2ELin1ELi32ELi4EaljEEvNS_4cuda6detail10TensorInfoIT3_T5_EES6_S6_S6_NS4_IT4_S6_EES6_b
		.amdhsa_group_segment_fixed_size 1056
		.amdhsa_private_segment_fixed_size 0
		.amdhsa_kernarg_size 712
		.amdhsa_user_sgpr_count 6
		.amdhsa_user_sgpr_private_segment_buffer 1
		.amdhsa_user_sgpr_dispatch_ptr 0
		.amdhsa_user_sgpr_queue_ptr 0
		.amdhsa_user_sgpr_kernarg_segment_ptr 1
		.amdhsa_user_sgpr_dispatch_id 0
		.amdhsa_user_sgpr_flat_scratch_init 0
		.amdhsa_user_sgpr_kernarg_preload_length 0
		.amdhsa_user_sgpr_kernarg_preload_offset 0
		.amdhsa_user_sgpr_private_segment_size 0
		.amdhsa_uses_dynamic_stack 0
		.amdhsa_system_sgpr_private_segment_wavefront_offset 0
		.amdhsa_system_sgpr_workgroup_id_x 1
		.amdhsa_system_sgpr_workgroup_id_y 1
		.amdhsa_system_sgpr_workgroup_id_z 1
		.amdhsa_system_sgpr_workgroup_info 0
		.amdhsa_system_vgpr_workitem_id 0
		.amdhsa_next_free_vgpr 54
		.amdhsa_next_free_sgpr 44
		.amdhsa_accum_offset 56
		.amdhsa_reserve_vcc 1
		.amdhsa_reserve_flat_scratch 0
		.amdhsa_float_round_mode_32 0
		.amdhsa_float_round_mode_16_64 0
		.amdhsa_float_denorm_mode_32 3
		.amdhsa_float_denorm_mode_16_64 3
		.amdhsa_dx10_clamp 1
		.amdhsa_ieee_mode 1
		.amdhsa_fp16_overflow 0
		.amdhsa_tg_split 0
		.amdhsa_exception_fp_ieee_invalid_op 0
		.amdhsa_exception_fp_denorm_src 0
		.amdhsa_exception_fp_ieee_div_zero 0
		.amdhsa_exception_fp_ieee_overflow 0
		.amdhsa_exception_fp_ieee_underflow 0
		.amdhsa_exception_fp_ieee_inexact 0
		.amdhsa_exception_int_div_zero 0
	.end_amdhsa_kernel
	.section	.text._ZN2at6native18radixSortKVInPlaceILin2ELin1ELi32ELi4EaljEEvNS_4cuda6detail10TensorInfoIT3_T5_EES6_S6_S6_NS4_IT4_S6_EES6_b,"axG",@progbits,_ZN2at6native18radixSortKVInPlaceILin2ELin1ELi32ELi4EaljEEvNS_4cuda6detail10TensorInfoIT3_T5_EES6_S6_S6_NS4_IT4_S6_EES6_b,comdat
.Lfunc_end103:
	.size	_ZN2at6native18radixSortKVInPlaceILin2ELin1ELi32ELi4EaljEEvNS_4cuda6detail10TensorInfoIT3_T5_EES6_S6_S6_NS4_IT4_S6_EES6_b, .Lfunc_end103-_ZN2at6native18radixSortKVInPlaceILin2ELin1ELi32ELi4EaljEEvNS_4cuda6detail10TensorInfoIT3_T5_EES6_S6_S6_NS4_IT4_S6_EES6_b
                                        ; -- End function
	.section	.AMDGPU.csdata,"",@progbits
; Kernel info:
; codeLenInByte = 5992
; NumSgprs: 48
; NumVgprs: 54
; NumAgprs: 0
; TotalNumVgprs: 54
; ScratchSize: 0
; MemoryBound: 0
; FloatMode: 240
; IeeeMode: 1
; LDSByteSize: 1056 bytes/workgroup (compile time only)
; SGPRBlocks: 5
; VGPRBlocks: 6
; NumSGPRsForWavesPerEU: 48
; NumVGPRsForWavesPerEU: 54
; AccumOffset: 56
; Occupancy: 8
; WaveLimiterHint : 1
; COMPUTE_PGM_RSRC2:SCRATCH_EN: 0
; COMPUTE_PGM_RSRC2:USER_SGPR: 6
; COMPUTE_PGM_RSRC2:TRAP_HANDLER: 0
; COMPUTE_PGM_RSRC2:TGID_X_EN: 1
; COMPUTE_PGM_RSRC2:TGID_Y_EN: 1
; COMPUTE_PGM_RSRC2:TGID_Z_EN: 1
; COMPUTE_PGM_RSRC2:TIDIG_COMP_CNT: 0
; COMPUTE_PGM_RSRC3_GFX90A:ACCUM_OFFSET: 13
; COMPUTE_PGM_RSRC3_GFX90A:TG_SPLIT: 0
	.section	.text._ZN2at6native18radixSortKVInPlaceILin2ELin1ELi16ELi2EaljEEvNS_4cuda6detail10TensorInfoIT3_T5_EES6_S6_S6_NS4_IT4_S6_EES6_b,"axG",@progbits,_ZN2at6native18radixSortKVInPlaceILin2ELin1ELi16ELi2EaljEEvNS_4cuda6detail10TensorInfoIT3_T5_EES6_S6_S6_NS4_IT4_S6_EES6_b,comdat
	.protected	_ZN2at6native18radixSortKVInPlaceILin2ELin1ELi16ELi2EaljEEvNS_4cuda6detail10TensorInfoIT3_T5_EES6_S6_S6_NS4_IT4_S6_EES6_b ; -- Begin function _ZN2at6native18radixSortKVInPlaceILin2ELin1ELi16ELi2EaljEEvNS_4cuda6detail10TensorInfoIT3_T5_EES6_S6_S6_NS4_IT4_S6_EES6_b
	.globl	_ZN2at6native18radixSortKVInPlaceILin2ELin1ELi16ELi2EaljEEvNS_4cuda6detail10TensorInfoIT3_T5_EES6_S6_S6_NS4_IT4_S6_EES6_b
	.p2align	8
	.type	_ZN2at6native18radixSortKVInPlaceILin2ELin1ELi16ELi2EaljEEvNS_4cuda6detail10TensorInfoIT3_T5_EES6_S6_S6_NS4_IT4_S6_EES6_b,@function
_ZN2at6native18radixSortKVInPlaceILin2ELin1ELi16ELi2EaljEEvNS_4cuda6detail10TensorInfoIT3_T5_EES6_S6_S6_NS4_IT4_S6_EES6_b: ; @_ZN2at6native18radixSortKVInPlaceILin2ELin1ELi16ELi2EaljEEvNS_4cuda6detail10TensorInfoIT3_T5_EES6_S6_S6_NS4_IT4_S6_EES6_b
; %bb.0:
	s_load_dwordx2 s[0:1], s[4:5], 0x1c8
	s_load_dwordx4 s[16:19], s[4:5], 0xd8
	s_waitcnt lgkmcnt(0)
	s_mul_i32 s1, s1, s8
	s_add_i32 s1, s1, s7
	s_mul_i32 s10, s1, s0
	s_add_i32 s10, s10, s6
	s_cmp_ge_u32 s10, s16
	s_cbranch_scc1 .LBB104_60
; %bb.1:
	s_load_dword s8, s[4:5], 0x1b8
	s_load_dwordx2 s[0:1], s[4:5], 0x0
	s_add_u32 s2, s4, 0xe8
	s_addc_u32 s3, s5, 0
	s_mov_b32 s7, 0
	s_waitcnt lgkmcnt(0)
	s_cmp_lt_i32 s8, 2
	s_mov_b32 s6, s10
	s_cbranch_scc1 .LBB104_4
; %bb.2:
	s_add_i32 s6, s8, -1
	s_add_i32 s11, s8, 1
	s_lshl_b64 s[8:9], s[6:7], 2
	s_add_u32 s6, s8, s2
	s_addc_u32 s9, s9, s3
	s_add_u32 s8, s6, 8
	s_addc_u32 s9, s9, 0
	s_mov_b32 s6, s10
.LBB104_3:                              ; =>This Inner Loop Header: Depth=1
	s_load_dword s12, s[8:9], 0x0
	s_load_dword s14, s[8:9], 0x64
	s_mov_b32 s13, s6
	s_waitcnt lgkmcnt(0)
	v_cvt_f32_u32_e32 v1, s12
	s_sub_i32 s6, 0, s12
	v_rcp_iflag_f32_e32 v1, v1
	v_mul_f32_e32 v1, 0x4f7ffffe, v1
	v_cvt_u32_f32_e32 v1, v1
	v_readfirstlane_b32 s15, v1
	s_mul_i32 s6, s6, s15
	s_mul_hi_u32 s6, s15, s6
	s_add_i32 s15, s15, s6
	s_mul_hi_u32 s6, s13, s15
	s_mul_i32 s15, s6, s12
	s_sub_i32 s15, s13, s15
	s_add_i32 s16, s6, 1
	s_sub_i32 s19, s15, s12
	s_cmp_ge_u32 s15, s12
	s_cselect_b32 s6, s16, s6
	s_cselect_b32 s15, s19, s15
	s_add_i32 s16, s6, 1
	s_cmp_ge_u32 s15, s12
	s_cselect_b32 s6, s16, s6
	s_mul_i32 s12, s6, s12
	s_sub_i32 s12, s13, s12
	s_mul_i32 s12, s14, s12
	s_add_i32 s11, s11, -1
	s_add_i32 s7, s12, s7
	s_add_u32 s8, s8, -4
	s_addc_u32 s9, s9, -1
	s_cmp_gt_u32 s11, 2
	s_cbranch_scc1 .LBB104_3
.LBB104_4:
	s_load_dword s8, s[4:5], 0x6c
	s_load_dwordx2 s[20:21], s[4:5], 0x1c0
	s_movk_i32 s13, 0x80
	v_mul_lo_u32 v20, v0, s18
	s_waitcnt lgkmcnt(0)
	s_mul_i32 s12, s8, s10
	s_bitcmp1_b32 s21, 0
	s_cselect_b64 s[4:5], -1, 0
	s_load_dwordx2 s[8:9], s[2:3], 0x0
	s_and_b64 s[10:11], s[4:5], exec
	s_cselect_b32 s10, s13, 0x7f
	v_lshlrev_b16_e64 v1, 8, s10
	s_add_u32 s22, s0, s12
	v_or_b32_e32 v1, s10, v1
	s_addc_u32 s23, s1, 0
	v_mov_b32_e32 v2, s10
	v_and_b32_e32 v3, 0xffff, v1
	v_cmp_gt_u32_e64 s[0:1], s17, v0
	s_and_saveexec_b64 s[10:11], s[0:1]
	s_cbranch_execz .LBB104_6
; %bb.5:
	global_load_ubyte v2, v20, s[22:23]
	v_and_b32_e32 v1, 0xffffff00, v3
	s_waitcnt vmcnt(0)
	v_or_b32_e32 v1, v2, v1
	v_and_b32_e32 v3, 0xffff, v1
.LBB104_6:
	s_or_b64 exec, exec, s[10:11]
	s_load_dword s12, s[2:3], 0x6c
	v_or_b32_e32 v1, 16, v0
	v_cmp_gt_u32_e64 s[2:3], s17, v1
	s_and_saveexec_b64 s[10:11], s[2:3]
	s_cbranch_execz .LBB104_8
; %bb.7:
	v_mul_lo_u32 v4, v1, s18
	global_load_ubyte v4, v4, s[22:23]
	s_waitcnt vmcnt(0)
	v_lshlrev_b16_e32 v4, 8, v4
	v_or_b32_sdwa v3, v3, v4 dst_sel:DWORD dst_unused:UNUSED_PAD src0_sel:BYTE_0 src1_sel:DWORD
	v_and_b32_e32 v3, 0xffff, v3
.LBB104_8:
	s_or_b64 exec, exec, s[10:11]
	ds_write_b8 v0, v2
	v_lshrrev_b16_e32 v2, 8, v3
	v_lshlrev_b32_e32 v21, 1, v0
	s_waitcnt lgkmcnt(0)
	s_mul_i32 s6, s12, s6
	ds_write_b8 v0, v2 offset:16
	s_waitcnt lgkmcnt(0)
	; wave barrier
	s_waitcnt lgkmcnt(0)
	ds_read_u8 v26, v21
	ds_read_u8 v25, v21 offset:1
	s_add_i32 s12, s6, s7
	s_mov_b32 s13, 0
	s_lshl_b64 s[6:7], s[12:13], 3
	s_mov_b32 s12, s13
	s_add_u32 s19, s8, s6
	s_mov_b32 s14, s13
	s_mov_b32 s15, s13
	v_pk_mov_b32 v[2:3], s[12:13], s[12:13] op_sel:[0,1]
	s_addc_u32 s21, s9, s7
	v_pk_mov_b32 v[4:5], s[14:15], s[14:15] op_sel:[0,1]
	v_pk_mov_b32 v[2:3], 0, 0
	v_mul_lo_u32 v10, v0, s20
	s_waitcnt lgkmcnt(0)
	; wave barrier
	s_waitcnt lgkmcnt(0)
	s_and_saveexec_b64 s[6:7], s[0:1]
	s_cbranch_execz .LBB104_10
; %bb.9:
	v_mov_b32_e32 v11, 0
	v_lshlrev_b64 v[2:3], 3, v[10:11]
	v_mov_b32_e32 v4, s21
	v_add_co_u32_e32 v2, vcc, s19, v2
	v_addc_co_u32_e32 v3, vcc, v4, v3, vcc
	global_load_dwordx2 v[2:3], v[2:3], off
	v_mov_b32_e32 v4, v11
	v_mov_b32_e32 v5, v11
.LBB104_10:
	s_or_b64 exec, exec, s[6:7]
	s_xor_b64 s[24:25], s[4:5], -1
	s_and_saveexec_b64 s[4:5], s[2:3]
	s_cbranch_execz .LBB104_12
; %bb.11:
	v_mul_lo_u32 v4, v1, s20
	v_mov_b32_e32 v5, 0
	v_lshlrev_b64 v[4:5], 3, v[4:5]
	v_mov_b32_e32 v6, s21
	v_add_co_u32_e32 v4, vcc, s19, v4
	v_addc_co_u32_e32 v5, vcc, v6, v5, vcc
	global_load_dwordx2 v[4:5], v[4:5], off
.LBB104_12:
	s_or_b64 exec, exec, s[4:5]
	s_getpc_b64 s[4:5]
	s_add_u32 s4, s4, _ZN7rocprim17ROCPRIM_400000_NS16block_radix_sortIaLj16ELj2ElLj1ELj1ELj0ELNS0_26block_radix_rank_algorithmE1ELNS0_18block_padding_hintE2ELNS0_4arch9wavefront6targetE1EE19radix_bits_per_passE@rel32@lo+4
	s_addc_u32 s5, s5, _ZN7rocprim17ROCPRIM_400000_NS16block_radix_sortIaLj16ELj2ElLj1ELj1ELj0ELNS0_26block_radix_rank_algorithmE1ELNS0_18block_padding_hintE2ELNS0_4arch9wavefront6targetE1EE19radix_bits_per_passE@rel32@hi+12
	v_mbcnt_lo_u32_b32 v6, -1, 0
	v_lshlrev_b32_e32 v22, 3, v0
	v_lshlrev_b32_e32 v11, 3, v21
	s_load_dword s33, s[4:5], 0x0
	v_mbcnt_hi_u32_b32 v6, -1, v6
	s_waitcnt vmcnt(0)
	ds_write2_b64 v22, v[2:3], v[4:5] offset1:16
	s_waitcnt lgkmcnt(0)
	; wave barrier
	s_waitcnt lgkmcnt(0)
	ds_read2_b64 v[2:5], v11 offset1:1
	v_and_b32_e32 v7, 15, v6
	v_cmp_eq_u32_e64 s[14:15], 0, v7
	v_cmp_lt_u32_e64 s[12:13], 1, v7
	v_cmp_lt_u32_e64 s[10:11], 3, v7
	;; [unrolled: 1-line block ×3, first 2 shown]
	v_add_u32_e32 v7, -1, v6
	v_and_b32_e32 v8, 0x70, v6
	v_cmp_lt_i32_e32 vcc, v7, v8
	s_movk_i32 s4, 0x80
	v_cndmask_b32_e32 v7, v7, v6, vcc
	v_cmp_gt_u32_e64 s[16:17], s4, v0
	v_lshlrev_b32_e32 v23, 5, v0
	v_cmp_eq_u32_e64 s[6:7], 15, v0
	v_lshlrev_b32_e32 v24, 2, v7
	v_cmp_eq_u32_e64 s[4:5], 0, v6
	s_min_u32 s34, s33, 8
	s_and_b64 vcc, exec, s[24:25]
	s_waitcnt lgkmcnt(0)
	; wave barrier
	s_waitcnt lgkmcnt(0)
	s_cbranch_vccz .LBB104_20
; %bb.13:
	s_and_saveexec_b64 s[24:25], s[16:17]
	s_cbranch_execz .LBB104_21
; %bb.14:
	s_mov_b32 s35, 0
	s_mov_b64 s[26:27], 0
	v_mov_b32_e32 v8, 0
	v_pk_mov_b32 v[6:7], v[0:1], v[0:1] op_sel:[0,1]
	s_branch .LBB104_16
.LBB104_15:                             ;   in Loop: Header=BB104_16 Depth=1
	s_or_b64 exec, exec, s[30:31]
	s_add_i32 s35, s35, 2
	v_cmp_eq_u32_e64 s[28:29], 8, s35
	v_add_u32_e32 v7, 32, v7
	s_or_b64 s[26:27], s[28:29], s[26:27]
	v_add_u32_e32 v6, 32, v6
	s_andn2_b64 exec, exec, s[26:27]
	s_cbranch_execz .LBB104_21
.LBB104_16:                             ; =>This Inner Loop Header: Depth=1
	s_or_b32 s28, s35, 1
	v_cmp_le_u32_e64 s[28:29], s28, 7
	v_cmp_le_u32_e64 s[36:37], s35, 7
	s_and_saveexec_b64 s[30:31], s[36:37]
	s_cbranch_execz .LBB104_18
; %bb.17:                               ;   in Loop: Header=BB104_16 Depth=1
	v_lshlrev_b32_e32 v9, 2, v6
	ds_write_b32 v9, v8
.LBB104_18:                             ;   in Loop: Header=BB104_16 Depth=1
	s_or_b64 exec, exec, s[30:31]
	s_and_saveexec_b64 s[30:31], s[28:29]
	s_cbranch_execz .LBB104_15
; %bb.19:                               ;   in Loop: Header=BB104_16 Depth=1
	v_lshlrev_b32_e32 v9, 2, v7
	ds_write_b32 v9, v8
	s_branch .LBB104_15
.LBB104_20:
                                        ; implicit-def: $vgpr8_vgpr9
                                        ; implicit-def: $vgpr12
	s_cbranch_execnz .LBB104_33
	s_branch .LBB104_52
.LBB104_21:
	s_or_b64 exec, exec, s[24:25]
	s_lshl_b32 s24, -1, s34
	v_xor_b32_e32 v17, 0xffffff80, v26
	s_not_b32 s24, s24
	v_and_b32_e32 v6, s24, v17
	v_bfe_u32 v7, v6, 3, 5
	v_lshlrev_b32_e32 v6, 4, v6
	s_movk_i32 s25, 0x70
	v_and_or_b32 v6, v6, s25, v0
	v_lshlrev_b32_e32 v6, 1, v6
	v_add_lshl_u32 v27, v6, v7, 1
	ds_read_u16 v19, v27
	v_xor_b32_e32 v18, 0xffffff80, v25
	s_waitcnt lgkmcnt(0)
	v_add_u16_e32 v6, 1, v19
	ds_write_b16 v27, v6
	v_and_b32_e32 v6, s24, v18
	v_bfe_u32 v7, v6, 3, 5
	v_lshlrev_b32_e32 v6, 4, v6
	v_and_or_b32 v6, v6, s25, v0
	v_lshlrev_b32_e32 v6, 1, v6
	v_add_lshl_u32 v29, v6, v7, 1
	ds_read_u16 v28, v29
	s_waitcnt lgkmcnt(0)
	v_add_u16_e32 v6, 1, v28
	ds_write_b16 v29, v6
	s_waitcnt lgkmcnt(0)
	; wave barrier
	s_waitcnt lgkmcnt(0)
	ds_read2_b32 v[14:15], v23 offset1:1
	ds_read2_b32 v[12:13], v23 offset0:2 offset1:3
	ds_read2_b32 v[6:7], v23 offset0:4 offset1:5
	;; [unrolled: 1-line block ×3, first 2 shown]
	s_waitcnt lgkmcnt(3)
	v_add_u32_e32 v16, v15, v14
	s_waitcnt lgkmcnt(2)
	v_add3_u32 v16, v16, v12, v13
	s_waitcnt lgkmcnt(1)
	v_add3_u32 v16, v16, v6, v7
	s_waitcnt lgkmcnt(0)
	v_add3_u32 v9, v16, v8, v9
	s_nop 1
	v_mov_b32_dpp v16, v9 row_shr:1 row_mask:0xf bank_mask:0xf
	v_cndmask_b32_e64 v16, v16, 0, s[14:15]
	v_add_u32_e32 v9, v16, v9
	s_nop 1
	v_mov_b32_dpp v16, v9 row_shr:2 row_mask:0xf bank_mask:0xf
	v_cndmask_b32_e64 v16, 0, v16, s[12:13]
	v_add_u32_e32 v9, v9, v16
	;; [unrolled: 4-line block ×4, first 2 shown]
	s_and_saveexec_b64 s[24:25], s[6:7]
	s_cbranch_execz .LBB104_23
; %bb.22:
	v_mov_b32_e32 v16, 0
	ds_write_b32 v16, v9 offset:512
.LBB104_23:
	s_or_b64 exec, exec, s[24:25]
	ds_bpermute_b32 v9, v24, v9
	v_mov_b32_e32 v16, 0
	s_waitcnt lgkmcnt(0)
	; wave barrier
	s_waitcnt lgkmcnt(0)
	ds_read_b32 v30, v16 offset:512
	v_cndmask_b32_e64 v9, v9, 0, s[4:5]
	s_mov_b32 s35, 0
	s_waitcnt lgkmcnt(0)
	v_lshl_add_u32 v9, v30, 16, v9
	v_add_u32_e32 v14, v9, v14
	v_add_u32_e32 v15, v14, v15
	;; [unrolled: 1-line block ×7, first 2 shown]
	ds_write2_b32 v23, v9, v14 offset1:1
	ds_write2_b32 v23, v15, v12 offset0:2 offset1:3
	ds_write2_b32 v23, v13, v6 offset0:4 offset1:5
	;; [unrolled: 1-line block ×3, first 2 shown]
	s_waitcnt lgkmcnt(0)
	; wave barrier
	s_waitcnt lgkmcnt(0)
	ds_read_u16 v6, v27
	ds_read_u16 v7, v29
	s_waitcnt lgkmcnt(0)
	; wave barrier
	s_waitcnt lgkmcnt(0)
	v_add_u32_sdwa v6, v6, v19 dst_sel:DWORD dst_unused:UNUSED_PAD src0_sel:DWORD src1_sel:WORD_0
	v_add_u32_sdwa v7, v7, v28 dst_sel:DWORD dst_unused:UNUSED_PAD src0_sel:DWORD src1_sel:WORD_0
	ds_write_b8 v6, v17
	ds_write_b8 v7, v18
	v_lshlrev_b32_e32 v6, 3, v6
	s_waitcnt lgkmcnt(0)
	; wave barrier
	s_waitcnt lgkmcnt(0)
	ds_read_u8 v27, v21
	ds_read_u8 v28, v21 offset:1
	s_waitcnt lgkmcnt(0)
	; wave barrier
	s_waitcnt lgkmcnt(0)
	ds_write_b64 v6, v[2:3]
	v_lshlrev_b32_e32 v6, 3, v7
	ds_write_b64 v6, v[4:5]
	s_waitcnt lgkmcnt(0)
	; wave barrier
	s_waitcnt lgkmcnt(0)
	ds_read2_b64 v[6:9], v11 offset1:1
	s_waitcnt lgkmcnt(0)
	; wave barrier
	s_waitcnt lgkmcnt(0)
	s_and_saveexec_b64 s[24:25], s[16:17]
	s_cbranch_execz .LBB104_30
; %bb.24:
	s_mov_b64 s[26:27], 0
	v_pk_mov_b32 v[12:13], v[0:1], v[0:1] op_sel:[0,1]
	s_branch .LBB104_26
.LBB104_25:                             ;   in Loop: Header=BB104_26 Depth=1
	s_or_b64 exec, exec, s[30:31]
	s_add_i32 s35, s35, 2
	v_cmp_eq_u32_e64 s[28:29], 8, s35
	v_add_u32_e32 v13, 32, v13
	s_or_b64 s[26:27], s[28:29], s[26:27]
	v_add_u32_e32 v12, 32, v12
	s_andn2_b64 exec, exec, s[26:27]
	s_cbranch_execz .LBB104_30
.LBB104_26:                             ; =>This Inner Loop Header: Depth=1
	s_or_b32 s28, s35, 1
	v_cmp_le_u32_e64 s[28:29], s28, 7
	v_cmp_le_u32_e64 s[36:37], s35, 7
	s_and_saveexec_b64 s[30:31], s[36:37]
	s_cbranch_execz .LBB104_28
; %bb.27:                               ;   in Loop: Header=BB104_26 Depth=1
	v_lshlrev_b32_e32 v14, 2, v12
	ds_write_b32 v14, v16
.LBB104_28:                             ;   in Loop: Header=BB104_26 Depth=1
	s_or_b64 exec, exec, s[30:31]
	s_and_saveexec_b64 s[30:31], s[28:29]
	s_cbranch_execz .LBB104_25
; %bb.29:                               ;   in Loop: Header=BB104_26 Depth=1
	v_lshlrev_b32_e32 v14, 2, v13
	ds_write_b32 v14, v16
	s_branch .LBB104_25
.LBB104_30:
	s_or_b64 exec, exec, s[24:25]
	s_min_u32 s24, s33, 4
	s_lshl_b32 s24, -1, s24
	v_lshrrev_b16_e32 v12, 4, v27
	s_not_b32 s24, s24
	v_and_b32_e32 v12, 15, v12
	v_and_b32_sdwa v12, v12, s24 dst_sel:DWORD dst_unused:UNUSED_PAD src0_sel:WORD_0 src1_sel:DWORD
	v_lshlrev_b32_e32 v13, 4, v12
	s_movk_i32 s25, 0x70
	v_lshrrev_b32_e32 v12, 2, v12
	v_and_or_b32 v13, v13, s25, v0
	v_and_b32_e32 v12, 2, v12
	v_lshl_or_b32 v30, v13, 2, v12
	ds_read_u16 v29, v30
	s_waitcnt lgkmcnt(0)
	v_add_u16_e32 v12, 1, v29
	ds_write_b16 v30, v12
	v_lshrrev_b16_e32 v12, 4, v28
	v_and_b32_e32 v12, 15, v12
	v_and_b32_sdwa v12, v12, s24 dst_sel:DWORD dst_unused:UNUSED_PAD src0_sel:WORD_0 src1_sel:DWORD
	v_lshlrev_b32_e32 v13, 4, v12
	v_lshrrev_b32_e32 v12, 2, v12
	v_and_or_b32 v13, v13, s25, v0
	v_and_b32_e32 v12, 2, v12
	v_lshl_or_b32 v32, v13, 2, v12
	ds_read_u16 v31, v32
	s_waitcnt lgkmcnt(0)
	v_add_u16_e32 v12, 1, v31
	ds_write_b16 v32, v12
	s_waitcnt lgkmcnt(0)
	; wave barrier
	s_waitcnt lgkmcnt(0)
	ds_read2_b32 v[18:19], v23 offset1:1
	ds_read2_b32 v[16:17], v23 offset0:2 offset1:3
	ds_read2_b32 v[12:13], v23 offset0:4 offset1:5
	;; [unrolled: 1-line block ×3, first 2 shown]
	s_waitcnt lgkmcnt(3)
	v_add_u32_e32 v33, v19, v18
	s_waitcnt lgkmcnt(2)
	v_add3_u32 v33, v33, v16, v17
	s_waitcnt lgkmcnt(1)
	v_add3_u32 v33, v33, v12, v13
	;; [unrolled: 2-line block ×3, first 2 shown]
	s_nop 1
	v_mov_b32_dpp v33, v15 row_shr:1 row_mask:0xf bank_mask:0xf
	v_cndmask_b32_e64 v33, v33, 0, s[14:15]
	v_add_u32_e32 v15, v33, v15
	s_nop 1
	v_mov_b32_dpp v33, v15 row_shr:2 row_mask:0xf bank_mask:0xf
	v_cndmask_b32_e64 v33, 0, v33, s[12:13]
	v_add_u32_e32 v15, v15, v33
	;; [unrolled: 4-line block ×4, first 2 shown]
	s_and_saveexec_b64 s[24:25], s[6:7]
	s_cbranch_execz .LBB104_32
; %bb.31:
	v_mov_b32_e32 v33, 0
	ds_write_b32 v33, v15 offset:512
.LBB104_32:
	s_or_b64 exec, exec, s[24:25]
	ds_bpermute_b32 v15, v24, v15
	v_mov_b32_e32 v33, 0
	s_waitcnt lgkmcnt(0)
	; wave barrier
	s_waitcnt lgkmcnt(0)
	ds_read_b32 v33, v33 offset:512
	v_cndmask_b32_e64 v15, v15, 0, s[4:5]
	s_movk_i32 s24, 0x80
	s_waitcnt lgkmcnt(0)
	v_lshl_add_u32 v15, v33, 16, v15
	v_add_u32_e32 v18, v15, v18
	v_add_u32_e32 v19, v18, v19
	v_add_u32_e32 v16, v19, v16
	v_add_u32_e32 v17, v16, v17
	v_add_u32_e32 v12, v17, v12
	v_add_u32_e32 v13, v12, v13
	v_add_u32_e32 v14, v13, v14
	ds_write2_b32 v23, v15, v18 offset1:1
	ds_write2_b32 v23, v19, v16 offset0:2 offset1:3
	ds_write2_b32 v23, v17, v12 offset0:4 offset1:5
	;; [unrolled: 1-line block ×3, first 2 shown]
	s_waitcnt lgkmcnt(0)
	; wave barrier
	s_waitcnt lgkmcnt(0)
	ds_read_u16 v12, v32
	ds_read_u16 v13, v30
	s_waitcnt lgkmcnt(0)
	; wave barrier
	s_waitcnt lgkmcnt(0)
	v_add_u32_sdwa v12, v12, v31 dst_sel:DWORD dst_unused:UNUSED_PAD src0_sel:DWORD src1_sel:WORD_0
	v_add_u32_sdwa v13, v13, v29 dst_sel:DWORD dst_unused:UNUSED_PAD src0_sel:DWORD src1_sel:WORD_0
	ds_write_b8 v13, v27
	ds_write_b8 v12, v28
	s_waitcnt lgkmcnt(0)
	; wave barrier
	s_waitcnt lgkmcnt(0)
	ds_read_u8 v14, v21
	ds_read_u8 v15, v21 offset:1
	v_lshlrev_b32_e32 v13, 3, v13
	s_waitcnt lgkmcnt(0)
	; wave barrier
	s_waitcnt lgkmcnt(0)
	ds_write_b64 v13, v[6:7]
	v_lshlrev_b32_e32 v6, 3, v12
	ds_write_b64 v6, v[8:9]
	s_waitcnt lgkmcnt(0)
	; wave barrier
	s_waitcnt lgkmcnt(0)
	ds_read2_b64 v[6:9], v11 offset1:1
	v_xor_b32_e32 v12, 0x80, v14
	v_xor_b32_sdwa v13, v15, s24 dst_sel:BYTE_1 dst_unused:UNUSED_PAD src0_sel:DWORD src1_sel:DWORD
	v_or_b32_e32 v12, v12, v13
	v_and_b32_e32 v12, 0xffff, v12
	s_branch .LBB104_52
.LBB104_33:
	s_and_saveexec_b64 s[24:25], s[16:17]
	s_cbranch_execz .LBB104_40
; %bb.34:
	s_mov_b32 s35, 0
	s_mov_b64 s[26:27], 0
	s_waitcnt lgkmcnt(0)
	v_mov_b32_e32 v8, 0
	v_pk_mov_b32 v[6:7], v[0:1], v[0:1] op_sel:[0,1]
	s_branch .LBB104_36
.LBB104_35:                             ;   in Loop: Header=BB104_36 Depth=1
	s_or_b64 exec, exec, s[30:31]
	s_add_i32 s35, s35, 2
	v_cmp_eq_u32_e64 s[28:29], 8, s35
	v_add_u32_e32 v7, 32, v7
	s_or_b64 s[26:27], s[28:29], s[26:27]
	v_add_u32_e32 v6, 32, v6
	s_andn2_b64 exec, exec, s[26:27]
	s_cbranch_execz .LBB104_40
.LBB104_36:                             ; =>This Inner Loop Header: Depth=1
	s_or_b32 s28, s35, 1
	v_cmp_le_u32_e64 s[28:29], s28, 7
	v_cmp_le_u32_e64 s[36:37], s35, 7
	s_and_saveexec_b64 s[30:31], s[36:37]
	s_cbranch_execz .LBB104_38
; %bb.37:                               ;   in Loop: Header=BB104_36 Depth=1
	v_lshlrev_b32_e32 v9, 2, v6
	ds_write_b32 v9, v8
.LBB104_38:                             ;   in Loop: Header=BB104_36 Depth=1
	s_or_b64 exec, exec, s[30:31]
	s_and_saveexec_b64 s[30:31], s[28:29]
	s_cbranch_execz .LBB104_35
; %bb.39:                               ;   in Loop: Header=BB104_36 Depth=1
	v_lshlrev_b32_e32 v9, 2, v7
	ds_write_b32 v9, v8
	s_branch .LBB104_35
.LBB104_40:
	s_or_b64 exec, exec, s[24:25]
	s_lshl_b32 s24, -1, s34
	v_xor_b32_e32 v16, 0x7f, v26
	s_not_b32 s24, s24
	s_waitcnt lgkmcnt(0)
	v_and_b32_e32 v6, s24, v16
	v_bfe_u32 v7, v6, 3, 5
	v_lshlrev_b32_e32 v6, 4, v6
	s_movk_i32 s25, 0x70
	v_and_or_b32 v6, v6, s25, v0
	v_lshlrev_b32_e32 v6, 1, v6
	v_add_lshl_u32 v19, v6, v7, 1
	ds_read_u16 v18, v19
	v_xor_b32_e32 v17, 0x7f, v25
	s_waitcnt lgkmcnt(0)
	v_add_u16_e32 v6, 1, v18
	ds_write_b16 v19, v6
	v_and_b32_e32 v6, s24, v17
	v_bfe_u32 v7, v6, 3, 5
	v_lshlrev_b32_e32 v6, 4, v6
	v_and_or_b32 v6, v6, s25, v0
	v_lshlrev_b32_e32 v6, 1, v6
	v_add_lshl_u32 v26, v6, v7, 1
	ds_read_u16 v25, v26
	s_waitcnt lgkmcnt(0)
	v_add_u16_e32 v6, 1, v25
	ds_write_b16 v26, v6
	s_waitcnt lgkmcnt(0)
	; wave barrier
	s_waitcnt lgkmcnt(0)
	ds_read2_b32 v[14:15], v23 offset1:1
	ds_read2_b32 v[12:13], v23 offset0:2 offset1:3
	ds_read2_b32 v[6:7], v23 offset0:4 offset1:5
	;; [unrolled: 1-line block ×3, first 2 shown]
	s_waitcnt lgkmcnt(3)
	v_add_u32_e32 v27, v15, v14
	s_waitcnt lgkmcnt(2)
	v_add3_u32 v27, v27, v12, v13
	s_waitcnt lgkmcnt(1)
	v_add3_u32 v27, v27, v6, v7
	;; [unrolled: 2-line block ×3, first 2 shown]
	s_nop 1
	v_mov_b32_dpp v27, v9 row_shr:1 row_mask:0xf bank_mask:0xf
	v_cndmask_b32_e64 v27, v27, 0, s[14:15]
	v_add_u32_e32 v9, v27, v9
	s_nop 1
	v_mov_b32_dpp v27, v9 row_shr:2 row_mask:0xf bank_mask:0xf
	v_cndmask_b32_e64 v27, 0, v27, s[12:13]
	v_add_u32_e32 v9, v9, v27
	;; [unrolled: 4-line block ×4, first 2 shown]
	s_and_saveexec_b64 s[24:25], s[6:7]
	s_cbranch_execz .LBB104_42
; %bb.41:
	v_mov_b32_e32 v27, 0
	ds_write_b32 v27, v9 offset:512
.LBB104_42:
	s_or_b64 exec, exec, s[24:25]
	ds_bpermute_b32 v27, v24, v9
	v_mov_b32_e32 v9, 0
	s_waitcnt lgkmcnt(0)
	; wave barrier
	s_waitcnt lgkmcnt(0)
	ds_read_b32 v28, v9 offset:512
	v_cndmask_b32_e64 v27, v27, 0, s[4:5]
	s_mov_b32 s30, 0
	s_waitcnt lgkmcnt(0)
	v_lshl_add_u32 v27, v28, 16, v27
	v_add_u32_e32 v14, v27, v14
	v_add_u32_e32 v15, v14, v15
	;; [unrolled: 1-line block ×7, first 2 shown]
	ds_write2_b32 v23, v27, v14 offset1:1
	ds_write2_b32 v23, v15, v12 offset0:2 offset1:3
	ds_write2_b32 v23, v13, v6 offset0:4 offset1:5
	;; [unrolled: 1-line block ×3, first 2 shown]
	s_waitcnt lgkmcnt(0)
	; wave barrier
	s_waitcnt lgkmcnt(0)
	ds_read_u16 v6, v19
	ds_read_u16 v7, v26
	s_waitcnt lgkmcnt(0)
	; wave barrier
	s_waitcnt lgkmcnt(0)
	v_add_u32_sdwa v6, v6, v18 dst_sel:DWORD dst_unused:UNUSED_PAD src0_sel:DWORD src1_sel:WORD_0
	v_add_u32_sdwa v7, v7, v25 dst_sel:DWORD dst_unused:UNUSED_PAD src0_sel:DWORD src1_sel:WORD_0
	ds_write_b8 v6, v16
	ds_write_b8 v7, v17
	v_lshlrev_b32_e32 v6, 3, v6
	s_waitcnt lgkmcnt(0)
	; wave barrier
	s_waitcnt lgkmcnt(0)
	ds_read_u8 v16, v21
	ds_read_u8 v17, v21 offset:1
	s_waitcnt lgkmcnt(0)
	; wave barrier
	s_waitcnt lgkmcnt(0)
	ds_write_b64 v6, v[2:3]
	v_lshlrev_b32_e32 v2, 3, v7
	ds_write_b64 v2, v[4:5]
	s_waitcnt lgkmcnt(0)
	; wave barrier
	s_waitcnt lgkmcnt(0)
	ds_read2_b64 v[2:5], v11 offset1:1
	s_waitcnt lgkmcnt(0)
	; wave barrier
	s_waitcnt lgkmcnt(0)
	s_and_saveexec_b64 s[24:25], s[16:17]
	s_cbranch_execz .LBB104_49
; %bb.43:
	s_mov_b64 s[16:17], 0
	v_pk_mov_b32 v[6:7], v[0:1], v[0:1] op_sel:[0,1]
	s_branch .LBB104_45
.LBB104_44:                             ;   in Loop: Header=BB104_45 Depth=1
	s_or_b64 exec, exec, s[28:29]
	s_add_i32 s30, s30, 2
	v_cmp_eq_u32_e64 s[26:27], 8, s30
	v_add_u32_e32 v7, 32, v7
	s_or_b64 s[16:17], s[26:27], s[16:17]
	v_add_u32_e32 v6, 32, v6
	s_andn2_b64 exec, exec, s[16:17]
	s_cbranch_execz .LBB104_49
.LBB104_45:                             ; =>This Inner Loop Header: Depth=1
	s_or_b32 s26, s30, 1
	v_cmp_le_u32_e64 s[26:27], s26, 7
	v_cmp_le_u32_e64 s[34:35], s30, 7
	s_and_saveexec_b64 s[28:29], s[34:35]
	s_cbranch_execz .LBB104_47
; %bb.46:                               ;   in Loop: Header=BB104_45 Depth=1
	v_lshlrev_b32_e32 v1, 2, v6
	ds_write_b32 v1, v9
.LBB104_47:                             ;   in Loop: Header=BB104_45 Depth=1
	s_or_b64 exec, exec, s[28:29]
	s_and_saveexec_b64 s[28:29], s[26:27]
	s_cbranch_execz .LBB104_44
; %bb.48:                               ;   in Loop: Header=BB104_45 Depth=1
	v_lshlrev_b32_e32 v1, 2, v7
	ds_write_b32 v1, v9
	s_branch .LBB104_44
.LBB104_49:
	s_or_b64 exec, exec, s[24:25]
	s_min_u32 s16, s33, 4
	s_lshl_b32 s16, -1, s16
	v_lshrrev_b16_e32 v1, 4, v16
	s_not_b32 s16, s16
	v_and_b32_e32 v1, 15, v1
	v_and_b32_sdwa v1, v1, s16 dst_sel:DWORD dst_unused:UNUSED_PAD src0_sel:WORD_0 src1_sel:DWORD
	v_lshlrev_b32_e32 v6, 4, v1
	s_movk_i32 s17, 0x70
	v_lshrrev_b32_e32 v1, 2, v1
	v_and_or_b32 v6, v6, s17, v0
	v_and_b32_e32 v1, 2, v1
	v_lshl_or_b32 v18, v6, 2, v1
	ds_read_u16 v1, v18
	s_waitcnt lgkmcnt(0)
	v_add_u16_e32 v6, 1, v1
	ds_write_b16 v18, v6
	v_lshrrev_b16_e32 v6, 4, v17
	v_and_b32_e32 v6, 15, v6
	v_and_b32_sdwa v6, v6, s16 dst_sel:DWORD dst_unused:UNUSED_PAD src0_sel:WORD_0 src1_sel:DWORD
	v_lshlrev_b32_e32 v7, 4, v6
	v_lshrrev_b32_e32 v6, 2, v6
	v_and_or_b32 v7, v7, s17, v0
	v_and_b32_e32 v6, 2, v6
	v_lshl_or_b32 v25, v7, 2, v6
	ds_read_u16 v19, v25
	s_waitcnt lgkmcnt(0)
	v_add_u16_e32 v6, 1, v19
	ds_write_b16 v25, v6
	s_waitcnt lgkmcnt(0)
	; wave barrier
	s_waitcnt lgkmcnt(0)
	ds_read2_b32 v[14:15], v23 offset1:1
	ds_read2_b32 v[12:13], v23 offset0:2 offset1:3
	ds_read2_b32 v[6:7], v23 offset0:4 offset1:5
	;; [unrolled: 1-line block ×3, first 2 shown]
	s_waitcnt lgkmcnt(3)
	v_add_u32_e32 v26, v15, v14
	s_waitcnt lgkmcnt(2)
	v_add3_u32 v26, v26, v12, v13
	s_waitcnt lgkmcnt(1)
	v_add3_u32 v26, v26, v6, v7
	;; [unrolled: 2-line block ×3, first 2 shown]
	s_nop 1
	v_mov_b32_dpp v26, v9 row_shr:1 row_mask:0xf bank_mask:0xf
	v_cndmask_b32_e64 v26, v26, 0, s[14:15]
	v_add_u32_e32 v9, v26, v9
	s_nop 1
	v_mov_b32_dpp v26, v9 row_shr:2 row_mask:0xf bank_mask:0xf
	v_cndmask_b32_e64 v26, 0, v26, s[12:13]
	v_add_u32_e32 v9, v9, v26
	;; [unrolled: 4-line block ×4, first 2 shown]
	s_and_saveexec_b64 s[8:9], s[6:7]
	s_cbranch_execz .LBB104_51
; %bb.50:
	v_mov_b32_e32 v26, 0
	ds_write_b32 v26, v9 offset:512
.LBB104_51:
	s_or_b64 exec, exec, s[8:9]
	ds_bpermute_b32 v9, v24, v9
	v_mov_b32_e32 v24, 0
	s_waitcnt lgkmcnt(0)
	; wave barrier
	s_waitcnt lgkmcnt(0)
	ds_read_b32 v24, v24 offset:512
	v_cndmask_b32_e64 v9, v9, 0, s[4:5]
	s_movk_i32 s4, 0x7f
	s_waitcnt lgkmcnt(0)
	v_lshl_add_u32 v9, v24, 16, v9
	v_add_u32_e32 v14, v9, v14
	v_add_u32_e32 v15, v14, v15
	;; [unrolled: 1-line block ×7, first 2 shown]
	ds_write2_b32 v23, v9, v14 offset1:1
	ds_write2_b32 v23, v15, v12 offset0:2 offset1:3
	ds_write2_b32 v23, v13, v6 offset0:4 offset1:5
	ds_write2_b32 v23, v7, v8 offset0:6 offset1:7
	s_waitcnt lgkmcnt(0)
	; wave barrier
	s_waitcnt lgkmcnt(0)
	ds_read_u16 v6, v25
	ds_read_u16 v7, v18
	s_waitcnt lgkmcnt(0)
	; wave barrier
	s_waitcnt lgkmcnt(0)
	v_add_u32_sdwa v6, v6, v19 dst_sel:DWORD dst_unused:UNUSED_PAD src0_sel:DWORD src1_sel:WORD_0
	v_add_u32_sdwa v1, v7, v1 dst_sel:DWORD dst_unused:UNUSED_PAD src0_sel:DWORD src1_sel:WORD_0
	ds_write_b8 v1, v16
	ds_write_b8 v6, v17
	s_waitcnt lgkmcnt(0)
	; wave barrier
	s_waitcnt lgkmcnt(0)
	ds_read_u8 v12, v21
	ds_read_u8 v13, v21 offset:1
	v_lshlrev_b32_e32 v1, 3, v1
	s_waitcnt lgkmcnt(0)
	; wave barrier
	s_waitcnt lgkmcnt(0)
	ds_write_b64 v1, v[2:3]
	v_lshlrev_b32_e32 v1, 3, v6
	ds_write_b64 v1, v[4:5]
	s_waitcnt lgkmcnt(0)
	; wave barrier
	s_waitcnt lgkmcnt(0)
	ds_read2_b64 v[6:9], v11 offset1:1
	v_xor_b32_e32 v1, 0x7f, v12
	v_xor_b32_sdwa v2, v13, s4 dst_sel:BYTE_1 dst_unused:UNUSED_PAD src0_sel:DWORD src1_sel:DWORD
	v_or_b32_e32 v1, v1, v2
	v_and_b32_e32 v12, 0xffff, v1
.LBB104_52:
	v_lshrrev_b16_e32 v1, 8, v12
	s_waitcnt lgkmcnt(0)
	; wave barrier
	s_waitcnt lgkmcnt(0)
	ds_write_b8 v21, v12
	ds_write_b8 v21, v1 offset:1
	s_waitcnt lgkmcnt(0)
	; wave barrier
	s_waitcnt lgkmcnt(0)
	ds_read_u8 v1, v0 offset:16
	v_mov_b32_e32 v3, s23
	v_add_co_u32_e32 v2, vcc, s22, v20
	v_addc_co_u32_e32 v3, vcc, 0, v3, vcc
	s_and_saveexec_b64 s[4:5], s[0:1]
	s_cbranch_execz .LBB104_54
; %bb.53:
	ds_read_u8 v0, v0
	s_waitcnt lgkmcnt(0)
	global_store_byte v[2:3], v0, off
.LBB104_54:
	s_or_b64 exec, exec, s[4:5]
	s_and_saveexec_b64 s[4:5], s[2:3]
	s_cbranch_execz .LBB104_56
; %bb.55:
	s_lshl_b32 s6, s18, 4
	v_add_co_u32_e32 v2, vcc, s6, v2
	v_addc_co_u32_e32 v3, vcc, 0, v3, vcc
	s_waitcnt lgkmcnt(0)
	global_store_byte v[2:3], v1, off
.LBB104_56:
	s_or_b64 exec, exec, s[4:5]
	s_waitcnt lgkmcnt(0)
	; wave barrier
	s_waitcnt lgkmcnt(0)
	ds_write2_b64 v11, v[6:7], v[8:9] offset1:1
	s_waitcnt lgkmcnt(0)
	; wave barrier
	s_waitcnt lgkmcnt(0)
	ds_read_b64 v[0:1], v22 offset:128
	v_mov_b32_e32 v11, 0
	v_lshlrev_b64 v[2:3], 3, v[10:11]
	v_mov_b32_e32 v4, s21
	v_add_co_u32_e32 v2, vcc, s19, v2
	v_addc_co_u32_e32 v3, vcc, v4, v3, vcc
	s_and_saveexec_b64 s[4:5], s[0:1]
	s_cbranch_execz .LBB104_58
; %bb.57:
	ds_read_b64 v[4:5], v22
	s_waitcnt lgkmcnt(0)
	global_store_dwordx2 v[2:3], v[4:5], off
.LBB104_58:
	s_or_b64 exec, exec, s[4:5]
	s_and_saveexec_b64 s[0:1], s[2:3]
	s_cbranch_execz .LBB104_60
; %bb.59:
	s_lshl_b32 s0, s20, 4
	s_mov_b32 s1, 0
	s_lshl_b64 s[0:1], s[0:1], 3
	v_mov_b32_e32 v4, s1
	v_add_co_u32_e32 v2, vcc, s0, v2
	v_addc_co_u32_e32 v3, vcc, v3, v4, vcc
	s_waitcnt lgkmcnt(0)
	global_store_dwordx2 v[2:3], v[0:1], off
.LBB104_60:
	s_endpgm
	.section	.rodata,"a",@progbits
	.p2align	6, 0x0
	.amdhsa_kernel _ZN2at6native18radixSortKVInPlaceILin2ELin1ELi16ELi2EaljEEvNS_4cuda6detail10TensorInfoIT3_T5_EES6_S6_S6_NS4_IT4_S6_EES6_b
		.amdhsa_group_segment_fixed_size 528
		.amdhsa_private_segment_fixed_size 0
		.amdhsa_kernarg_size 712
		.amdhsa_user_sgpr_count 6
		.amdhsa_user_sgpr_private_segment_buffer 1
		.amdhsa_user_sgpr_dispatch_ptr 0
		.amdhsa_user_sgpr_queue_ptr 0
		.amdhsa_user_sgpr_kernarg_segment_ptr 1
		.amdhsa_user_sgpr_dispatch_id 0
		.amdhsa_user_sgpr_flat_scratch_init 0
		.amdhsa_user_sgpr_kernarg_preload_length 0
		.amdhsa_user_sgpr_kernarg_preload_offset 0
		.amdhsa_user_sgpr_private_segment_size 0
		.amdhsa_uses_dynamic_stack 0
		.amdhsa_system_sgpr_private_segment_wavefront_offset 0
		.amdhsa_system_sgpr_workgroup_id_x 1
		.amdhsa_system_sgpr_workgroup_id_y 1
		.amdhsa_system_sgpr_workgroup_id_z 1
		.amdhsa_system_sgpr_workgroup_info 0
		.amdhsa_system_vgpr_workitem_id 0
		.amdhsa_next_free_vgpr 34
		.amdhsa_next_free_sgpr 38
		.amdhsa_accum_offset 36
		.amdhsa_reserve_vcc 1
		.amdhsa_reserve_flat_scratch 0
		.amdhsa_float_round_mode_32 0
		.amdhsa_float_round_mode_16_64 0
		.amdhsa_float_denorm_mode_32 3
		.amdhsa_float_denorm_mode_16_64 3
		.amdhsa_dx10_clamp 1
		.amdhsa_ieee_mode 1
		.amdhsa_fp16_overflow 0
		.amdhsa_tg_split 0
		.amdhsa_exception_fp_ieee_invalid_op 0
		.amdhsa_exception_fp_denorm_src 0
		.amdhsa_exception_fp_ieee_div_zero 0
		.amdhsa_exception_fp_ieee_overflow 0
		.amdhsa_exception_fp_ieee_underflow 0
		.amdhsa_exception_fp_ieee_inexact 0
		.amdhsa_exception_int_div_zero 0
	.end_amdhsa_kernel
	.section	.text._ZN2at6native18radixSortKVInPlaceILin2ELin1ELi16ELi2EaljEEvNS_4cuda6detail10TensorInfoIT3_T5_EES6_S6_S6_NS4_IT4_S6_EES6_b,"axG",@progbits,_ZN2at6native18radixSortKVInPlaceILin2ELin1ELi16ELi2EaljEEvNS_4cuda6detail10TensorInfoIT3_T5_EES6_S6_S6_NS4_IT4_S6_EES6_b,comdat
.Lfunc_end104:
	.size	_ZN2at6native18radixSortKVInPlaceILin2ELin1ELi16ELi2EaljEEvNS_4cuda6detail10TensorInfoIT3_T5_EES6_S6_S6_NS4_IT4_S6_EES6_b, .Lfunc_end104-_ZN2at6native18radixSortKVInPlaceILin2ELin1ELi16ELi2EaljEEvNS_4cuda6detail10TensorInfoIT3_T5_EES6_S6_S6_NS4_IT4_S6_EES6_b
                                        ; -- End function
	.section	.AMDGPU.csdata,"",@progbits
; Kernel info:
; codeLenInByte = 4220
; NumSgprs: 42
; NumVgprs: 34
; NumAgprs: 0
; TotalNumVgprs: 34
; ScratchSize: 0
; MemoryBound: 0
; FloatMode: 240
; IeeeMode: 1
; LDSByteSize: 528 bytes/workgroup (compile time only)
; SGPRBlocks: 5
; VGPRBlocks: 4
; NumSGPRsForWavesPerEU: 42
; NumVGPRsForWavesPerEU: 34
; AccumOffset: 36
; Occupancy: 8
; WaveLimiterHint : 1
; COMPUTE_PGM_RSRC2:SCRATCH_EN: 0
; COMPUTE_PGM_RSRC2:USER_SGPR: 6
; COMPUTE_PGM_RSRC2:TRAP_HANDLER: 0
; COMPUTE_PGM_RSRC2:TGID_X_EN: 1
; COMPUTE_PGM_RSRC2:TGID_Y_EN: 1
; COMPUTE_PGM_RSRC2:TGID_Z_EN: 1
; COMPUTE_PGM_RSRC2:TIDIG_COMP_CNT: 0
; COMPUTE_PGM_RSRC3_GFX90A:ACCUM_OFFSET: 8
; COMPUTE_PGM_RSRC3_GFX90A:TG_SPLIT: 0
	.section	.text._ZN2at6native18radixSortKVInPlaceILi2ELin1ELi512ELi8EaljEEvNS_4cuda6detail10TensorInfoIT3_T5_EES6_S6_S6_NS4_IT4_S6_EES6_b,"axG",@progbits,_ZN2at6native18radixSortKVInPlaceILi2ELin1ELi512ELi8EaljEEvNS_4cuda6detail10TensorInfoIT3_T5_EES6_S6_S6_NS4_IT4_S6_EES6_b,comdat
	.protected	_ZN2at6native18radixSortKVInPlaceILi2ELin1ELi512ELi8EaljEEvNS_4cuda6detail10TensorInfoIT3_T5_EES6_S6_S6_NS4_IT4_S6_EES6_b ; -- Begin function _ZN2at6native18radixSortKVInPlaceILi2ELin1ELi512ELi8EaljEEvNS_4cuda6detail10TensorInfoIT3_T5_EES6_S6_S6_NS4_IT4_S6_EES6_b
	.globl	_ZN2at6native18radixSortKVInPlaceILi2ELin1ELi512ELi8EaljEEvNS_4cuda6detail10TensorInfoIT3_T5_EES6_S6_S6_NS4_IT4_S6_EES6_b
	.p2align	8
	.type	_ZN2at6native18radixSortKVInPlaceILi2ELin1ELi512ELi8EaljEEvNS_4cuda6detail10TensorInfoIT3_T5_EES6_S6_S6_NS4_IT4_S6_EES6_b,@function
_ZN2at6native18radixSortKVInPlaceILi2ELin1ELi512ELi8EaljEEvNS_4cuda6detail10TensorInfoIT3_T5_EES6_S6_S6_NS4_IT4_S6_EES6_b: ; @_ZN2at6native18radixSortKVInPlaceILi2ELin1ELi512ELi8EaljEEvNS_4cuda6detail10TensorInfoIT3_T5_EES6_S6_S6_NS4_IT4_S6_EES6_b
; %bb.0:
	s_load_dwordx2 s[0:1], s[4:5], 0x1c8
	s_load_dwordx4 s[36:39], s[4:5], 0xd8
	s_add_u32 s42, s4, 0x1c8
	s_addc_u32 s43, s5, 0
	s_waitcnt lgkmcnt(0)
	s_mul_i32 s1, s1, s8
	s_add_i32 s1, s1, s7
	s_mul_i32 s8, s1, s0
	s_add_i32 s8, s8, s6
	s_cmp_ge_u32 s8, s36
	s_cbranch_scc1 .LBB105_102
; %bb.1:
	s_load_dword s9, s[4:5], 0xc
	s_load_dwordx2 s[0:1], s[4:5], 0x6c
	s_load_dword s6, s[4:5], 0x1b8
	s_add_u32 s14, s4, 0xe8
	s_load_dwordx2 s[2:3], s[4:5], 0x0
	s_waitcnt lgkmcnt(0)
	v_cvt_f32_u32_e32 v1, s9
	s_addc_u32 s15, s5, 0
	s_sub_i32 s7, 0, s9
	s_mov_b32 s17, 0
	v_rcp_iflag_f32_e32 v1, v1
	s_mov_b32 s16, s8
	v_mul_f32_e32 v1, 0x4f7ffffe, v1
	v_cvt_u32_f32_e32 v1, v1
	v_readfirstlane_b32 s10, v1
	s_mul_i32 s7, s7, s10
	s_mul_hi_u32 s7, s10, s7
	s_add_i32 s10, s10, s7
	s_mul_hi_u32 s10, s8, s10
	s_cmp_lt_i32 s6, 2
	s_cbranch_scc1 .LBB105_4
; %bb.2:
	s_add_i32 s16, s6, -1
	s_add_i32 s11, s6, 1
	s_lshl_b64 s[6:7], s[16:17], 2
	s_add_u32 s6, s6, s14
	s_addc_u32 s7, s7, s15
	s_add_u32 s6, s6, 8
	s_addc_u32 s7, s7, 0
	s_mov_b32 s16, s8
.LBB105_3:                              ; =>This Inner Loop Header: Depth=1
	s_load_dword s12, s[6:7], 0x0
	s_load_dword s18, s[6:7], 0x64
	s_mov_b32 s13, s16
	s_waitcnt lgkmcnt(0)
	v_cvt_f32_u32_e32 v1, s12
	s_sub_i32 s16, 0, s12
	v_rcp_iflag_f32_e32 v1, v1
	v_mul_f32_e32 v1, 0x4f7ffffe, v1
	v_cvt_u32_f32_e32 v1, v1
	v_readfirstlane_b32 s19, v1
	s_mul_i32 s16, s16, s19
	s_mul_hi_u32 s16, s19, s16
	s_add_i32 s19, s19, s16
	s_mul_hi_u32 s16, s13, s19
	s_mul_i32 s19, s16, s12
	s_sub_i32 s19, s13, s19
	s_add_i32 s20, s16, 1
	s_sub_i32 s21, s19, s12
	s_cmp_ge_u32 s19, s12
	s_cselect_b32 s16, s20, s16
	s_cselect_b32 s19, s21, s19
	s_add_i32 s20, s16, 1
	s_cmp_ge_u32 s19, s12
	s_cselect_b32 s16, s20, s16
	s_mul_i32 s12, s16, s12
	s_sub_i32 s12, s13, s12
	s_mul_i32 s12, s18, s12
	s_add_i32 s11, s11, -1
	s_add_i32 s17, s12, s17
	s_add_u32 s6, s6, -4
	s_addc_u32 s7, s7, -1
	s_cmp_gt_u32 s11, 2
	s_cbranch_scc1 .LBB105_3
.LBB105_4:
	s_mul_i32 s6, s10, s9
	s_sub_i32 s6, s8, s6
	s_add_i32 s7, s10, 1
	s_sub_i32 s11, s6, s9
	s_cmp_ge_u32 s6, s9
	s_cselect_b32 s7, s7, s10
	s_cselect_b32 s6, s11, s6
	s_add_i32 s10, s7, 1
	s_cmp_ge_u32 s6, s9
	s_cselect_b32 s6, s10, s7
	s_load_dwordx2 s[34:35], s[4:5], 0x1c0
	s_mul_i32 s7, s6, s9
	s_sub_i32 s4, s8, s7
	s_mul_i32 s4, s4, s1
	s_mul_i32 s0, s6, s0
	s_add_i32 s4, s0, s4
	s_waitcnt lgkmcnt(0)
	s_bitcmp1_b32 s35, 0
	s_cselect_b64 s[44:45], -1, 0
	s_movk_i32 s5, 0x80
	s_and_b64 s[0:1], s[44:45], exec
	s_cselect_b32 s0, s5, 0x7f
	v_lshlrev_b16_e64 v2, 8, s0
	v_or_b32_e32 v2, s0, v2
	v_lshlrev_b32_e32 v3, 16, v2
	s_add_u32 s40, s2, s4
	v_and_b32_e32 v36, 0x3ff, v0
	v_or_b32_sdwa v2, v2, v3 dst_sel:DWORD dst_unused:UNUSED_PAD src0_sel:WORD_0 src1_sel:DWORD
	s_addc_u32 s41, s3, 0
	v_mov_b32_e32 v1, s0
	v_mov_b32_e32 v3, v2
	v_cmp_gt_u32_e64 s[0:1], s37, v36
	v_mul_lo_u32 v37, v36, s38
	s_and_saveexec_b64 s[2:3], s[0:1]
	s_cbranch_execz .LBB105_6
; %bb.5:
	global_load_ubyte v1, v37, s[40:41]
	s_mov_b32 s4, 0x3020104
	v_mov_b32_e32 v5, v2
	s_waitcnt vmcnt(0)
	v_perm_b32 v4, v1, v2, s4
	v_pk_mov_b32 v[2:3], v[4:5], v[4:5] op_sel:[0,1]
.LBB105_6:
	s_or_b64 exec, exec, s[2:3]
	v_add_u32_e32 v32, 0x200, v36
	v_cmp_gt_u32_e64 s[2:3], s37, v32
	s_and_saveexec_b64 s[4:5], s[2:3]
	s_cbranch_execz .LBB105_8
; %bb.7:
	v_mul_lo_u32 v4, v32, s38
	global_load_ubyte v4, v4, s[40:41]
	s_mov_b32 s6, 0x7060004
	s_waitcnt vmcnt(0)
	v_perm_b32 v2, v2, v4, s6
.LBB105_8:
	s_or_b64 exec, exec, s[4:5]
	v_or_b32_e32 v31, 0x400, v36
	v_cmp_gt_u32_e64 s[4:5], s37, v31
	s_and_saveexec_b64 s[6:7], s[4:5]
	s_cbranch_execz .LBB105_10
; %bb.9:
	v_mul_lo_u32 v4, v31, s38
	global_load_ubyte v4, v4, s[40:41]
	s_movk_i32 s8, 0xff00
	v_and_b32_sdwa v5, v2, s8 dst_sel:DWORD dst_unused:UNUSED_PAD src0_sel:WORD_1 src1_sel:DWORD
	s_mov_b32 s8, 0xffff
	s_waitcnt vmcnt(0)
	v_or_b32_sdwa v4, v4, v5 dst_sel:WORD_1 dst_unused:UNUSED_PAD src0_sel:DWORD src1_sel:DWORD
	v_and_or_b32 v2, v2, s8, v4
.LBB105_10:
	s_or_b64 exec, exec, s[6:7]
	v_add_u32_e32 v30, 0x600, v36
	v_cmp_gt_u32_e64 s[6:7], s37, v30
	s_and_saveexec_b64 s[8:9], s[6:7]
	s_cbranch_execz .LBB105_12
; %bb.11:
	v_mul_lo_u32 v4, v30, s38
	global_load_ubyte v4, v4, s[40:41]
	s_movk_i32 s10, 0xff
	v_and_b32_sdwa v5, v2, s10 dst_sel:DWORD dst_unused:UNUSED_PAD src0_sel:WORD_1 src1_sel:DWORD
	s_mov_b32 s10, 0xffff
	s_waitcnt vmcnt(0)
	v_lshlrev_b16_e32 v4, 8, v4
	v_or_b32_sdwa v4, v5, v4 dst_sel:WORD_1 dst_unused:UNUSED_PAD src0_sel:DWORD src1_sel:DWORD
	v_and_or_b32 v2, v2, s10, v4
.LBB105_12:
	s_or_b64 exec, exec, s[8:9]
	v_or_b32_e32 v29, 0x800, v36
	v_cmp_gt_u32_e64 s[8:9], s37, v29
	s_and_saveexec_b64 s[10:11], s[8:9]
	s_cbranch_execz .LBB105_14
; %bb.13:
	v_mul_lo_u32 v4, v29, s38
	global_load_ubyte v4, v4, s[40:41]
	s_mov_b32 s12, 0x3020104
	s_waitcnt vmcnt(0)
	v_perm_b32 v3, v4, v3, s12
.LBB105_14:
	s_or_b64 exec, exec, s[10:11]
	v_add_u32_e32 v28, 0xa00, v36
	v_cmp_gt_u32_e64 s[10:11], s37, v28
	s_and_saveexec_b64 s[12:13], s[10:11]
	s_cbranch_execz .LBB105_16
; %bb.15:
	v_mul_lo_u32 v4, v28, s38
	global_load_ubyte v4, v4, s[40:41]
	s_mov_b32 s18, 0x7060004
	s_waitcnt vmcnt(0)
	v_perm_b32 v3, v3, v4, s18
.LBB105_16:
	s_or_b64 exec, exec, s[12:13]
	s_load_dwordx2 s[18:19], s[14:15], 0x0
	v_or_b32_e32 v27, 0xc00, v36
	v_cmp_gt_u32_e64 s[12:13], s37, v27
	s_and_saveexec_b64 s[20:21], s[12:13]
	s_cbranch_execz .LBB105_18
; %bb.17:
	v_mul_lo_u32 v4, v27, s38
	global_load_ubyte v4, v4, s[40:41]
	s_mov_b32 s22, 0x7000504
	s_waitcnt vmcnt(0)
	v_perm_b32 v3, v3, v4, s22
.LBB105_18:
	s_or_b64 exec, exec, s[20:21]
	s_load_dword s22, s[14:15], 0x6c
	v_add_u32_e32 v22, 0xe00, v36
	v_cmp_gt_u32_e64 s[14:15], s37, v22
	s_and_saveexec_b64 s[20:21], s[14:15]
	s_cbranch_execz .LBB105_20
; %bb.19:
	v_mul_lo_u32 v4, v22, s38
	global_load_ubyte v4, v4, s[40:41]
	s_mov_b32 s23, 0x60504
	s_waitcnt vmcnt(0)
	v_perm_b32 v3, v3, v4, s23
.LBB105_20:
	s_or_b64 exec, exec, s[20:21]
	v_lshrrev_b32_e32 v26, 5, v36
	v_and_b32_e32 v4, 28, v26
	v_add_u32_e32 v44, v4, v36
	v_lshrrev_b32_e32 v25, 5, v32
	ds_write_b8 v44, v1
	v_and_b32_e32 v1, 60, v25
	v_lshrrev_b32_e32 v24, 5, v31
	v_add_u32_e32 v45, v1, v36
	v_and_b32_e32 v1, 60, v24
	v_lshrrev_b32_e32 v23, 5, v30
	v_add_u32_e32 v46, v1, v36
	;; [unrolled: 3-line block ×3, first 2 shown]
	v_and_b32_e32 v1, 0x5c, v21
	v_lshrrev_b32_e32 v19, 5, v28
	v_lshrrev_b32_e32 v4, 8, v2
	v_add_u32_e32 v48, v1, v36
	v_and_b32_e32 v1, 0x7c, v19
	v_lshrrev_b32_e32 v18, 5, v27
	ds_write_b8 v45, v4 offset:512
	ds_write_b8_d16_hi v46, v2 offset:1024
	v_lshrrev_b32_e32 v2, 24, v2
	v_add_u32_e32 v49, v1, v36
	v_and_b32_e32 v1, 0x7c, v18
	ds_write_b8 v47, v2 offset:1536
	v_lshrrev_b32_e32 v2, 8, v3
	v_add_u32_e32 v50, v1, v36
	v_lshrrev_b32_e32 v1, 5, v22
	ds_write_b8 v48, v3 offset:2048
	ds_write_b8 v49, v2 offset:2560
	v_and_b32_e32 v2, 0xfc, v1
	v_lshrrev_b32_e32 v20, 2, v36
	v_add_u32_e32 v51, v2, v36
	v_lshlrev_b32_e32 v53, 3, v36
	v_and_b32_e32 v2, 0xfc, v20
	s_waitcnt lgkmcnt(0)
	s_mul_i32 s16, s22, s16
	ds_write_b8_d16_hi v50, v3 offset:3072
	v_lshrrev_b32_e32 v3, 24, v3
	v_add_u32_e32 v52, v2, v53
	s_add_i32 s16, s16, s17
	s_mov_b32 s17, 0
	ds_write_b8 v51, v3 offset:3584
	s_waitcnt lgkmcnt(0)
	s_barrier
	ds_read_b64 v[38:39], v52
	s_lshl_b64 s[20:21], s[16:17], 3
	s_add_u32 s33, s18, s20
	s_mov_b32 s16, s17
	s_addc_u32 s35, s19, s21
	s_mov_b32 s18, s17
	s_mov_b32 s19, s17
	;; [unrolled: 1-line block ×14, first 2 shown]
	v_pk_mov_b32 v[2:3], s[16:17], s[16:17] op_sel:[0,1]
	v_pk_mov_b32 v[4:5], s[18:19], s[18:19] op_sel:[0,1]
	;; [unrolled: 1-line block ×8, first 2 shown]
	v_pk_mov_b32 v[2:3], 0, 0
	v_mul_lo_u32 v34, v36, s34
	s_waitcnt lgkmcnt(0)
	s_barrier
	s_and_saveexec_b64 s[16:17], s[0:1]
	s_cbranch_execnz .LBB105_53
; %bb.21:
	s_or_b64 exec, exec, s[16:17]
	s_and_saveexec_b64 s[16:17], s[2:3]
	s_cbranch_execnz .LBB105_54
.LBB105_22:
	s_or_b64 exec, exec, s[16:17]
	s_and_saveexec_b64 s[16:17], s[4:5]
	s_cbranch_execnz .LBB105_55
.LBB105_23:
	s_or_b64 exec, exec, s[16:17]
	s_and_saveexec_b64 s[16:17], s[6:7]
	s_cbranch_execnz .LBB105_56
.LBB105_24:
	s_or_b64 exec, exec, s[16:17]
	s_and_saveexec_b64 s[16:17], s[8:9]
	s_cbranch_execnz .LBB105_57
.LBB105_25:
	s_or_b64 exec, exec, s[16:17]
	s_and_saveexec_b64 s[16:17], s[10:11]
	s_cbranch_execnz .LBB105_58
.LBB105_26:
	s_or_b64 exec, exec, s[16:17]
	s_and_saveexec_b64 s[16:17], s[12:13]
	s_cbranch_execnz .LBB105_59
.LBB105_27:
	s_or_b64 exec, exec, s[16:17]
	s_xor_b64 s[16:17], s[44:45], -1
	s_and_saveexec_b64 s[18:19], s[14:15]
	s_cbranch_execz .LBB105_29
.LBB105_28:
	v_mul_lo_u32 v16, v22, s34
	v_mov_b32_e32 v17, 0
	v_lshlrev_b64 v[16:17], 3, v[16:17]
	v_mov_b32_e32 v22, s35
	v_add_co_u32_e32 v16, vcc, s33, v16
	v_addc_co_u32_e32 v17, vcc, v22, v17, vcc
	global_load_dwordx2 v[16:17], v[16:17], off
.LBB105_29:
	s_or_b64 exec, exec, s[18:19]
	v_lshrrev_b64 v[40:41], 24, v[38:39]
	v_add_lshl_u32 v41, v26, v36, 3
	v_add_lshl_u32 v35, v25, v36, 3
	;; [unrolled: 1-line block ×9, first 2 shown]
	s_waitcnt vmcnt(0)
	ds_write_b64 v41, v[2:3]
	ds_write_b64 v35, v[4:5] offset:4096
	ds_write_b64 v54, v[6:7] offset:8192
	;; [unrolled: 1-line block ×7, first 2 shown]
	s_waitcnt lgkmcnt(0)
	s_barrier
	ds_read2_b64 v[14:17], v60 offset1:1
	ds_read2_b64 v[10:13], v60 offset0:2 offset1:3
	ds_read2_b64 v[6:9], v60 offset0:4 offset1:5
	ds_read2_b64 v[2:5], v60 offset0:6 offset1:7
	v_mbcnt_lo_u32_b32 v1, -1, 0
	v_mbcnt_hi_u32_b32 v61, -1, v1
	v_and_b32_e32 v63, 0x3c0, v36
	s_movk_i32 s18, 0x1e00
	v_add_lshl_u32 v71, v61, v63, 3
	v_and_or_b32 v70, v53, s18, v61
	v_lshrrev_b32_e32 v64, 8, v38
	v_lshrrev_b32_e32 v67, 8, v39
	s_and_b64 vcc, exec, s[16:17]
	v_bfe_u32 v65, v0, 10, 10
	v_bfe_u32 v66, v0, 20, 10
	v_lshlrev_b32_e32 v69, 3, v71
	v_lshlrev_b32_e32 v68, 3, v70
	;; [unrolled: 1-line block ×3, first 2 shown]
	s_waitcnt lgkmcnt(0)
	s_barrier
	s_cbranch_vccz .LBB105_60
; %bb.30:
	s_movk_i32 s16, 0x80
	v_xor_b32_sdwa v0, v67, s16 dst_sel:BYTE_1 dst_unused:UNUSED_PAD src0_sel:DWORD src1_sel:DWORD
	v_xor_b32_e32 v1, 0x80, v39
	v_or_b32_sdwa v0, v1, v0 dst_sel:DWORD dst_unused:UNUSED_PAD src0_sel:BYTE_0 src1_sel:DWORD
	v_xor_b32_sdwa v1, v39, s16 dst_sel:DWORD dst_unused:UNUSED_PAD src0_sel:BYTE_3 src1_sel:DWORD
	v_lshlrev_b16_e32 v1, 8, v1
	v_xor_b32_sdwa v18, v39, s16 dst_sel:DWORD dst_unused:UNUSED_PAD src0_sel:WORD_1 src1_sel:DWORD
	v_or_b32_sdwa v1, v18, v1 dst_sel:WORD_1 dst_unused:UNUSED_PAD src0_sel:BYTE_0 src1_sel:DWORD
	v_or_b32_sdwa v1, v0, v1 dst_sel:DWORD dst_unused:UNUSED_PAD src0_sel:WORD_0 src1_sel:DWORD
	v_xor_b32_sdwa v0, v64, s16 dst_sel:BYTE_1 dst_unused:UNUSED_PAD src0_sel:DWORD src1_sel:DWORD
	v_xor_b32_e32 v18, 0x80, v38
	v_or_b32_sdwa v0, v18, v0 dst_sel:DWORD dst_unused:UNUSED_PAD src0_sel:BYTE_0 src1_sel:DWORD
	v_xor_b32_sdwa v18, v40, s16 dst_sel:BYTE_1 dst_unused:UNUSED_PAD src0_sel:DWORD src1_sel:DWORD
	v_xor_b32_sdwa v19, v38, s16 dst_sel:DWORD dst_unused:UNUSED_PAD src0_sel:WORD_1 src1_sel:DWORD
	v_or_b32_sdwa v18, v19, v18 dst_sel:WORD_1 dst_unused:UNUSED_PAD src0_sel:BYTE_0 src1_sel:DWORD
	v_or_b32_sdwa v0, v0, v18 dst_sel:DWORD dst_unused:UNUSED_PAD src0_sel:WORD_0 src1_sel:DWORD
	s_getpc_b64 s[16:17]
	s_add_u32 s16, s16, _ZN7rocprim17ROCPRIM_400000_NS16block_radix_sortIaLj512ELj8ElLj1ELj1ELj0ELNS0_26block_radix_rank_algorithmE1ELNS0_18block_padding_hintE2ELNS0_4arch9wavefront6targetE1EE19radix_bits_per_passE@rel32@lo+4
	s_addc_u32 s17, s17, _ZN7rocprim17ROCPRIM_400000_NS16block_radix_sortIaLj512ELj8ElLj1ELj1ELj0ELNS0_26block_radix_rank_algorithmE1ELNS0_18block_padding_hintE2ELNS0_4arch9wavefront6targetE1EE19radix_bits_per_passE@rel32@hi+12
	ds_write_b64 v71, v[0:1]
	; wave barrier
	ds_read_u8 v72, v70
	ds_read_u8 v73, v70 offset:64
	ds_read_u8 v74, v70 offset:128
	;; [unrolled: 1-line block ×7, first 2 shown]
	s_waitcnt lgkmcnt(0)
	s_barrier
	ds_write2_b64 v69, v[14:15], v[16:17] offset1:1
	ds_write2_b64 v69, v[10:11], v[12:13] offset0:2 offset1:3
	ds_write2_b64 v69, v[6:7], v[8:9] offset0:4 offset1:5
	;; [unrolled: 1-line block ×3, first 2 shown]
	; wave barrier
	ds_read2st64_b64 v[30:33], v68 offset1:1
	ds_read2st64_b64 v[26:29], v68 offset0:2 offset1:3
	ds_read2st64_b64 v[22:25], v68 offset0:4 offset1:5
	;; [unrolled: 1-line block ×3, first 2 shown]
	s_waitcnt lgkmcnt(0)
	s_barrier
	s_load_dword s18, s[16:17], 0x0
	s_load_dword s19, s[42:43], 0xc
	v_mov_b32_e32 v82, 3
	s_waitcnt lgkmcnt(0)
	s_min_u32 s18, s18, 8
	s_lshr_b32 s16, s19, 16
	s_and_b32 s17, s19, 0xffff
	v_mad_u32_u24 v0, v66, s16, v65
	v_mad_u64_u32 v[42:43], s[16:17], v0, s17, v[36:37]
	s_lshl_b32 s16, -1, s18
	s_not_b32 s18, s16
	v_lshrrev_b32_e32 v86, 6, v42
	v_and_b32_e32 v42, s18, v72
	v_lshlrev_b32_sdwa v1, v82, v42 dst_sel:DWORD dst_unused:UNUSED_PAD src0_sel:DWORD src1_sel:BYTE_0
	v_add_lshl_u32 v80, v86, v1, 2
	v_and_b32_e32 v1, 1, v42
	v_add_co_u32_e32 v43, vcc, -1, v1
	v_addc_co_u32_e64 v81, s[16:17], 0, -1, vcc
	v_cmp_ne_u32_e32 vcc, 0, v1
	v_xor_b32_e32 v1, vcc_hi, v81
	v_mov_b32_e32 v0, 0
	v_and_b32_e32 v81, exec_hi, v1
	v_lshlrev_b32_e32 v1, 30, v42
	v_xor_b32_e32 v43, vcc_lo, v43
	v_cmp_gt_i64_e32 vcc, 0, v[0:1]
	v_not_b32_e32 v1, v1
	v_ashrrev_i32_e32 v1, 31, v1
	v_and_b32_e32 v43, exec_lo, v43
	v_xor_b32_e32 v83, vcc_hi, v1
	v_xor_b32_e32 v1, vcc_lo, v1
	v_and_b32_e32 v43, v43, v1
	v_lshlrev_b32_e32 v1, 29, v42
	v_cmp_gt_i64_e32 vcc, 0, v[0:1]
	v_not_b32_e32 v1, v1
	v_ashrrev_i32_e32 v1, 31, v1
	v_and_b32_e32 v81, v81, v83
	v_xor_b32_e32 v83, vcc_hi, v1
	v_xor_b32_e32 v1, vcc_lo, v1
	v_and_b32_e32 v43, v43, v1
	v_lshlrev_b32_e32 v1, 28, v42
	v_cmp_gt_i64_e32 vcc, 0, v[0:1]
	v_not_b32_e32 v1, v1
	v_ashrrev_i32_e32 v1, 31, v1
	v_and_b32_e32 v81, v81, v83
	;; [unrolled: 8-line block ×5, first 2 shown]
	v_xor_b32_e32 v83, vcc_hi, v1
	v_xor_b32_e32 v1, vcc_lo, v1
	v_and_b32_e32 v81, v81, v83
	v_and_b32_e32 v83, v43, v1
	v_lshlrev_b32_e32 v1, 24, v42
	v_cmp_gt_i64_e32 vcc, 0, v[0:1]
	v_not_b32_e32 v1, v1
	v_ashrrev_i32_e32 v1, 31, v1
	v_xor_b32_e32 v42, vcc_hi, v1
	v_xor_b32_e32 v1, vcc_lo, v1
	v_and_b32_e32 v43, v81, v42
	v_and_b32_e32 v42, v83, v1
	v_mbcnt_lo_u32_b32 v1, v42, 0
	v_mbcnt_hi_u32_b32 v81, v43, v1
	v_cmp_eq_u32_e32 vcc, 0, v81
	v_cmp_ne_u64_e64 s[16:17], 0, v[42:43]
	s_and_b64 s[20:21], s[16:17], vcc
	ds_write2_b32 v62, v0, v0 offset0:8 offset1:9
	ds_write2_b32 v62, v0, v0 offset0:10 offset1:11
	s_waitcnt lgkmcnt(0)
	s_barrier
	s_waitcnt lgkmcnt(0)
	; wave barrier
	s_and_saveexec_b64 s[16:17], s[20:21]
	s_cbranch_execz .LBB105_32
; %bb.31:
	v_bcnt_u32_b32 v1, v42, 0
	v_bcnt_u32_b32 v1, v43, v1
	ds_write_b32 v80, v1 offset:32
.LBB105_32:
	s_or_b64 exec, exec, s[16:17]
	v_and_b32_e32 v42, s18, v73
	v_lshlrev_b32_sdwa v1, v82, v42 dst_sel:DWORD dst_unused:UNUSED_PAD src0_sel:DWORD src1_sel:BYTE_0
	v_add_lshl_u32 v83, v86, v1, 2
	v_and_b32_e32 v1, 1, v42
	v_add_co_u32_e32 v43, vcc, -1, v1
	v_addc_co_u32_e64 v84, s[16:17], 0, -1, vcc
	v_cmp_ne_u32_e32 vcc, 0, v1
	v_xor_b32_e32 v1, vcc_hi, v84
	v_and_b32_e32 v84, exec_hi, v1
	v_lshlrev_b32_e32 v1, 30, v42
	v_xor_b32_e32 v43, vcc_lo, v43
	v_cmp_gt_i64_e32 vcc, 0, v[0:1]
	v_not_b32_e32 v1, v1
	v_ashrrev_i32_e32 v1, 31, v1
	v_and_b32_e32 v43, exec_lo, v43
	v_xor_b32_e32 v85, vcc_hi, v1
	v_xor_b32_e32 v1, vcc_lo, v1
	v_and_b32_e32 v43, v43, v1
	v_lshlrev_b32_e32 v1, 29, v42
	v_cmp_gt_i64_e32 vcc, 0, v[0:1]
	v_not_b32_e32 v1, v1
	v_ashrrev_i32_e32 v1, 31, v1
	v_and_b32_e32 v84, v84, v85
	v_xor_b32_e32 v85, vcc_hi, v1
	v_xor_b32_e32 v1, vcc_lo, v1
	v_and_b32_e32 v43, v43, v1
	v_lshlrev_b32_e32 v1, 28, v42
	v_cmp_gt_i64_e32 vcc, 0, v[0:1]
	v_not_b32_e32 v1, v1
	v_ashrrev_i32_e32 v1, 31, v1
	v_and_b32_e32 v84, v84, v85
	;; [unrolled: 8-line block ×5, first 2 shown]
	v_xor_b32_e32 v85, vcc_hi, v1
	v_xor_b32_e32 v1, vcc_lo, v1
	v_and_b32_e32 v43, v43, v1
	v_lshlrev_b32_e32 v1, 24, v42
	v_cmp_gt_i64_e32 vcc, 0, v[0:1]
	v_not_b32_e32 v0, v1
	v_ashrrev_i32_e32 v0, 31, v0
	v_xor_b32_e32 v1, vcc_hi, v0
	v_xor_b32_e32 v0, vcc_lo, v0
	; wave barrier
	ds_read_b32 v82, v83 offset:32
	v_and_b32_e32 v84, v84, v85
	v_and_b32_e32 v0, v43, v0
	;; [unrolled: 1-line block ×3, first 2 shown]
	v_mbcnt_lo_u32_b32 v42, v0, 0
	v_mbcnt_hi_u32_b32 v84, v1, v42
	v_cmp_eq_u32_e32 vcc, 0, v84
	v_cmp_ne_u64_e64 s[16:17], 0, v[0:1]
	s_and_b64 s[20:21], s[16:17], vcc
	; wave barrier
	s_and_saveexec_b64 s[16:17], s[20:21]
	s_cbranch_execz .LBB105_34
; %bb.33:
	v_bcnt_u32_b32 v0, v0, 0
	v_bcnt_u32_b32 v0, v1, v0
	s_waitcnt lgkmcnt(0)
	v_add_u32_e32 v0, v82, v0
	ds_write_b32 v83, v0 offset:32
.LBB105_34:
	s_or_b64 exec, exec, s[16:17]
	v_and_b32_e32 v42, s18, v74
	v_and_b32_e32 v1, 1, v42
	v_add_co_u32_e32 v43, vcc, -1, v1
	v_mov_b32_e32 v89, 3
	v_addc_co_u32_e64 v88, s[16:17], 0, -1, vcc
	v_cmp_ne_u32_e32 vcc, 0, v1
	v_lshlrev_b32_sdwa v0, v89, v42 dst_sel:DWORD dst_unused:UNUSED_PAD src0_sel:DWORD src1_sel:BYTE_0
	v_xor_b32_e32 v1, vcc_hi, v88
	v_add_lshl_u32 v87, v86, v0, 2
	v_mov_b32_e32 v0, 0
	v_and_b32_e32 v88, exec_hi, v1
	v_lshlrev_b32_e32 v1, 30, v42
	v_xor_b32_e32 v43, vcc_lo, v43
	v_cmp_gt_i64_e32 vcc, 0, v[0:1]
	v_not_b32_e32 v1, v1
	v_ashrrev_i32_e32 v1, 31, v1
	v_and_b32_e32 v43, exec_lo, v43
	v_xor_b32_e32 v90, vcc_hi, v1
	v_xor_b32_e32 v1, vcc_lo, v1
	v_and_b32_e32 v43, v43, v1
	v_lshlrev_b32_e32 v1, 29, v42
	v_cmp_gt_i64_e32 vcc, 0, v[0:1]
	v_not_b32_e32 v1, v1
	v_ashrrev_i32_e32 v1, 31, v1
	v_and_b32_e32 v88, v88, v90
	v_xor_b32_e32 v90, vcc_hi, v1
	v_xor_b32_e32 v1, vcc_lo, v1
	v_and_b32_e32 v43, v43, v1
	v_lshlrev_b32_e32 v1, 28, v42
	v_cmp_gt_i64_e32 vcc, 0, v[0:1]
	v_not_b32_e32 v1, v1
	v_ashrrev_i32_e32 v1, 31, v1
	v_and_b32_e32 v88, v88, v90
	v_xor_b32_e32 v90, vcc_hi, v1
	v_xor_b32_e32 v1, vcc_lo, v1
	v_and_b32_e32 v43, v43, v1
	v_lshlrev_b32_e32 v1, 27, v42
	v_cmp_gt_i64_e32 vcc, 0, v[0:1]
	v_not_b32_e32 v1, v1
	v_ashrrev_i32_e32 v1, 31, v1
	v_and_b32_e32 v88, v88, v90
	v_xor_b32_e32 v90, vcc_hi, v1
	v_xor_b32_e32 v1, vcc_lo, v1
	v_and_b32_e32 v43, v43, v1
	v_lshlrev_b32_e32 v1, 26, v42
	v_cmp_gt_i64_e32 vcc, 0, v[0:1]
	v_not_b32_e32 v1, v1
	v_ashrrev_i32_e32 v1, 31, v1
	v_and_b32_e32 v88, v88, v90
	v_xor_b32_e32 v90, vcc_hi, v1
	v_xor_b32_e32 v1, vcc_lo, v1
	v_and_b32_e32 v43, v43, v1
	v_lshlrev_b32_e32 v1, 25, v42
	v_cmp_gt_i64_e32 vcc, 0, v[0:1]
	v_not_b32_e32 v1, v1
	v_ashrrev_i32_e32 v1, 31, v1
	v_and_b32_e32 v88, v88, v90
	v_xor_b32_e32 v90, vcc_hi, v1
	v_xor_b32_e32 v1, vcc_lo, v1
	v_and_b32_e32 v88, v88, v90
	v_and_b32_e32 v90, v43, v1
	v_lshlrev_b32_e32 v1, 24, v42
	v_cmp_gt_i64_e32 vcc, 0, v[0:1]
	v_not_b32_e32 v1, v1
	v_ashrrev_i32_e32 v1, 31, v1
	v_xor_b32_e32 v42, vcc_hi, v1
	v_xor_b32_e32 v1, vcc_lo, v1
	; wave barrier
	ds_read_b32 v85, v87 offset:32
	v_and_b32_e32 v43, v88, v42
	v_and_b32_e32 v42, v90, v1
	v_mbcnt_lo_u32_b32 v1, v42, 0
	v_mbcnt_hi_u32_b32 v88, v43, v1
	v_cmp_eq_u32_e32 vcc, 0, v88
	v_cmp_ne_u64_e64 s[16:17], 0, v[42:43]
	s_and_b64 s[20:21], s[16:17], vcc
	; wave barrier
	s_and_saveexec_b64 s[16:17], s[20:21]
	s_cbranch_execz .LBB105_36
; %bb.35:
	v_bcnt_u32_b32 v1, v42, 0
	v_bcnt_u32_b32 v1, v43, v1
	s_waitcnt lgkmcnt(0)
	v_add_u32_e32 v1, v85, v1
	ds_write_b32 v87, v1 offset:32
.LBB105_36:
	s_or_b64 exec, exec, s[16:17]
	v_and_b32_e32 v42, s18, v75
	v_lshlrev_b32_sdwa v1, v89, v42 dst_sel:DWORD dst_unused:UNUSED_PAD src0_sel:DWORD src1_sel:BYTE_0
	v_add_lshl_u32 v90, v86, v1, 2
	v_and_b32_e32 v1, 1, v42
	v_add_co_u32_e32 v43, vcc, -1, v1
	v_addc_co_u32_e64 v91, s[16:17], 0, -1, vcc
	v_cmp_ne_u32_e32 vcc, 0, v1
	v_xor_b32_e32 v1, vcc_hi, v91
	v_and_b32_e32 v91, exec_hi, v1
	v_lshlrev_b32_e32 v1, 30, v42
	v_xor_b32_e32 v43, vcc_lo, v43
	v_cmp_gt_i64_e32 vcc, 0, v[0:1]
	v_not_b32_e32 v1, v1
	v_ashrrev_i32_e32 v1, 31, v1
	v_and_b32_e32 v43, exec_lo, v43
	v_xor_b32_e32 v92, vcc_hi, v1
	v_xor_b32_e32 v1, vcc_lo, v1
	v_and_b32_e32 v43, v43, v1
	v_lshlrev_b32_e32 v1, 29, v42
	v_cmp_gt_i64_e32 vcc, 0, v[0:1]
	v_not_b32_e32 v1, v1
	v_ashrrev_i32_e32 v1, 31, v1
	v_and_b32_e32 v91, v91, v92
	v_xor_b32_e32 v92, vcc_hi, v1
	v_xor_b32_e32 v1, vcc_lo, v1
	v_and_b32_e32 v43, v43, v1
	v_lshlrev_b32_e32 v1, 28, v42
	v_cmp_gt_i64_e32 vcc, 0, v[0:1]
	v_not_b32_e32 v1, v1
	v_ashrrev_i32_e32 v1, 31, v1
	v_and_b32_e32 v91, v91, v92
	v_xor_b32_e32 v92, vcc_hi, v1
	v_xor_b32_e32 v1, vcc_lo, v1
	v_and_b32_e32 v43, v43, v1
	v_lshlrev_b32_e32 v1, 27, v42
	v_cmp_gt_i64_e32 vcc, 0, v[0:1]
	v_not_b32_e32 v1, v1
	v_ashrrev_i32_e32 v1, 31, v1
	v_and_b32_e32 v91, v91, v92
	v_xor_b32_e32 v92, vcc_hi, v1
	v_xor_b32_e32 v1, vcc_lo, v1
	v_and_b32_e32 v43, v43, v1
	v_lshlrev_b32_e32 v1, 26, v42
	v_cmp_gt_i64_e32 vcc, 0, v[0:1]
	v_not_b32_e32 v1, v1
	v_ashrrev_i32_e32 v1, 31, v1
	v_and_b32_e32 v91, v91, v92
	v_xor_b32_e32 v92, vcc_hi, v1
	v_xor_b32_e32 v1, vcc_lo, v1
	v_and_b32_e32 v43, v43, v1
	v_lshlrev_b32_e32 v1, 25, v42
	v_cmp_gt_i64_e32 vcc, 0, v[0:1]
	v_not_b32_e32 v1, v1
	v_ashrrev_i32_e32 v1, 31, v1
	v_and_b32_e32 v91, v91, v92
	v_xor_b32_e32 v92, vcc_hi, v1
	v_xor_b32_e32 v1, vcc_lo, v1
	v_and_b32_e32 v43, v43, v1
	v_lshlrev_b32_e32 v1, 24, v42
	v_cmp_gt_i64_e32 vcc, 0, v[0:1]
	v_not_b32_e32 v0, v1
	v_ashrrev_i32_e32 v0, 31, v0
	v_xor_b32_e32 v1, vcc_hi, v0
	v_xor_b32_e32 v0, vcc_lo, v0
	; wave barrier
	ds_read_b32 v89, v90 offset:32
	v_and_b32_e32 v91, v91, v92
	v_and_b32_e32 v0, v43, v0
	;; [unrolled: 1-line block ×3, first 2 shown]
	v_mbcnt_lo_u32_b32 v42, v0, 0
	v_mbcnt_hi_u32_b32 v91, v1, v42
	v_cmp_eq_u32_e32 vcc, 0, v91
	v_cmp_ne_u64_e64 s[16:17], 0, v[0:1]
	s_and_b64 s[20:21], s[16:17], vcc
	; wave barrier
	s_and_saveexec_b64 s[16:17], s[20:21]
	s_cbranch_execz .LBB105_38
; %bb.37:
	v_bcnt_u32_b32 v0, v0, 0
	v_bcnt_u32_b32 v0, v1, v0
	s_waitcnt lgkmcnt(0)
	v_add_u32_e32 v0, v89, v0
	ds_write_b32 v90, v0 offset:32
.LBB105_38:
	s_or_b64 exec, exec, s[16:17]
	v_and_b32_e32 v42, s18, v76
	v_and_b32_e32 v1, 1, v42
	v_add_co_u32_e32 v43, vcc, -1, v1
	v_mov_b32_e32 v95, 3
	v_addc_co_u32_e64 v94, s[16:17], 0, -1, vcc
	v_cmp_ne_u32_e32 vcc, 0, v1
	v_lshlrev_b32_sdwa v0, v95, v42 dst_sel:DWORD dst_unused:UNUSED_PAD src0_sel:DWORD src1_sel:BYTE_0
	v_xor_b32_e32 v1, vcc_hi, v94
	v_add_lshl_u32 v93, v86, v0, 2
	v_mov_b32_e32 v0, 0
	v_and_b32_e32 v94, exec_hi, v1
	v_lshlrev_b32_e32 v1, 30, v42
	v_xor_b32_e32 v43, vcc_lo, v43
	v_cmp_gt_i64_e32 vcc, 0, v[0:1]
	v_not_b32_e32 v1, v1
	v_ashrrev_i32_e32 v1, 31, v1
	v_and_b32_e32 v43, exec_lo, v43
	v_xor_b32_e32 v96, vcc_hi, v1
	v_xor_b32_e32 v1, vcc_lo, v1
	v_and_b32_e32 v43, v43, v1
	v_lshlrev_b32_e32 v1, 29, v42
	v_cmp_gt_i64_e32 vcc, 0, v[0:1]
	v_not_b32_e32 v1, v1
	v_ashrrev_i32_e32 v1, 31, v1
	v_and_b32_e32 v94, v94, v96
	v_xor_b32_e32 v96, vcc_hi, v1
	v_xor_b32_e32 v1, vcc_lo, v1
	v_and_b32_e32 v43, v43, v1
	v_lshlrev_b32_e32 v1, 28, v42
	v_cmp_gt_i64_e32 vcc, 0, v[0:1]
	v_not_b32_e32 v1, v1
	v_ashrrev_i32_e32 v1, 31, v1
	v_and_b32_e32 v94, v94, v96
	;; [unrolled: 8-line block ×5, first 2 shown]
	v_xor_b32_e32 v96, vcc_hi, v1
	v_xor_b32_e32 v1, vcc_lo, v1
	v_and_b32_e32 v94, v94, v96
	v_and_b32_e32 v96, v43, v1
	v_lshlrev_b32_e32 v1, 24, v42
	v_cmp_gt_i64_e32 vcc, 0, v[0:1]
	v_not_b32_e32 v1, v1
	v_ashrrev_i32_e32 v1, 31, v1
	v_xor_b32_e32 v42, vcc_hi, v1
	v_xor_b32_e32 v1, vcc_lo, v1
	; wave barrier
	ds_read_b32 v92, v93 offset:32
	v_and_b32_e32 v43, v94, v42
	v_and_b32_e32 v42, v96, v1
	v_mbcnt_lo_u32_b32 v1, v42, 0
	v_mbcnt_hi_u32_b32 v94, v43, v1
	v_cmp_eq_u32_e32 vcc, 0, v94
	v_cmp_ne_u64_e64 s[16:17], 0, v[42:43]
	s_and_b64 s[20:21], s[16:17], vcc
	; wave barrier
	s_and_saveexec_b64 s[16:17], s[20:21]
	s_cbranch_execz .LBB105_40
; %bb.39:
	v_bcnt_u32_b32 v1, v42, 0
	v_bcnt_u32_b32 v1, v43, v1
	s_waitcnt lgkmcnt(0)
	v_add_u32_e32 v1, v92, v1
	ds_write_b32 v93, v1 offset:32
.LBB105_40:
	s_or_b64 exec, exec, s[16:17]
	v_and_b32_e32 v42, s18, v77
	v_lshlrev_b32_sdwa v1, v95, v42 dst_sel:DWORD dst_unused:UNUSED_PAD src0_sel:DWORD src1_sel:BYTE_0
	v_add_lshl_u32 v96, v86, v1, 2
	v_and_b32_e32 v1, 1, v42
	v_add_co_u32_e32 v43, vcc, -1, v1
	v_addc_co_u32_e64 v97, s[16:17], 0, -1, vcc
	v_cmp_ne_u32_e32 vcc, 0, v1
	v_xor_b32_e32 v1, vcc_hi, v97
	v_and_b32_e32 v97, exec_hi, v1
	v_lshlrev_b32_e32 v1, 30, v42
	v_xor_b32_e32 v43, vcc_lo, v43
	v_cmp_gt_i64_e32 vcc, 0, v[0:1]
	v_not_b32_e32 v1, v1
	v_ashrrev_i32_e32 v1, 31, v1
	v_and_b32_e32 v43, exec_lo, v43
	v_xor_b32_e32 v98, vcc_hi, v1
	v_xor_b32_e32 v1, vcc_lo, v1
	v_and_b32_e32 v43, v43, v1
	v_lshlrev_b32_e32 v1, 29, v42
	v_cmp_gt_i64_e32 vcc, 0, v[0:1]
	v_not_b32_e32 v1, v1
	v_ashrrev_i32_e32 v1, 31, v1
	v_and_b32_e32 v97, v97, v98
	v_xor_b32_e32 v98, vcc_hi, v1
	v_xor_b32_e32 v1, vcc_lo, v1
	v_and_b32_e32 v43, v43, v1
	v_lshlrev_b32_e32 v1, 28, v42
	v_cmp_gt_i64_e32 vcc, 0, v[0:1]
	v_not_b32_e32 v1, v1
	v_ashrrev_i32_e32 v1, 31, v1
	v_and_b32_e32 v97, v97, v98
	;; [unrolled: 8-line block ×5, first 2 shown]
	v_xor_b32_e32 v98, vcc_hi, v1
	v_xor_b32_e32 v1, vcc_lo, v1
	v_and_b32_e32 v43, v43, v1
	v_lshlrev_b32_e32 v1, 24, v42
	v_cmp_gt_i64_e32 vcc, 0, v[0:1]
	v_not_b32_e32 v0, v1
	v_ashrrev_i32_e32 v0, 31, v0
	v_xor_b32_e32 v1, vcc_hi, v0
	v_xor_b32_e32 v0, vcc_lo, v0
	; wave barrier
	ds_read_b32 v95, v96 offset:32
	v_and_b32_e32 v97, v97, v98
	v_and_b32_e32 v0, v43, v0
	;; [unrolled: 1-line block ×3, first 2 shown]
	v_mbcnt_lo_u32_b32 v42, v0, 0
	v_mbcnt_hi_u32_b32 v97, v1, v42
	v_cmp_eq_u32_e32 vcc, 0, v97
	v_cmp_ne_u64_e64 s[16:17], 0, v[0:1]
	s_and_b64 s[20:21], s[16:17], vcc
	; wave barrier
	s_and_saveexec_b64 s[16:17], s[20:21]
	s_cbranch_execz .LBB105_42
; %bb.41:
	v_bcnt_u32_b32 v0, v0, 0
	v_bcnt_u32_b32 v0, v1, v0
	s_waitcnt lgkmcnt(0)
	v_add_u32_e32 v0, v95, v0
	ds_write_b32 v96, v0 offset:32
.LBB105_42:
	s_or_b64 exec, exec, s[16:17]
	v_and_b32_e32 v42, s18, v78
	v_and_b32_e32 v1, 1, v42
	v_add_co_u32_e32 v43, vcc, -1, v1
	v_mov_b32_e32 v101, 3
	v_addc_co_u32_e64 v100, s[16:17], 0, -1, vcc
	v_cmp_ne_u32_e32 vcc, 0, v1
	v_lshlrev_b32_sdwa v0, v101, v42 dst_sel:DWORD dst_unused:UNUSED_PAD src0_sel:DWORD src1_sel:BYTE_0
	v_xor_b32_e32 v1, vcc_hi, v100
	v_add_lshl_u32 v99, v86, v0, 2
	v_mov_b32_e32 v0, 0
	v_and_b32_e32 v100, exec_hi, v1
	v_lshlrev_b32_e32 v1, 30, v42
	v_xor_b32_e32 v43, vcc_lo, v43
	v_cmp_gt_i64_e32 vcc, 0, v[0:1]
	v_not_b32_e32 v1, v1
	v_ashrrev_i32_e32 v1, 31, v1
	v_and_b32_e32 v43, exec_lo, v43
	v_xor_b32_e32 v102, vcc_hi, v1
	v_xor_b32_e32 v1, vcc_lo, v1
	v_and_b32_e32 v43, v43, v1
	v_lshlrev_b32_e32 v1, 29, v42
	v_cmp_gt_i64_e32 vcc, 0, v[0:1]
	v_not_b32_e32 v1, v1
	v_ashrrev_i32_e32 v1, 31, v1
	v_and_b32_e32 v100, v100, v102
	v_xor_b32_e32 v102, vcc_hi, v1
	v_xor_b32_e32 v1, vcc_lo, v1
	v_and_b32_e32 v43, v43, v1
	v_lshlrev_b32_e32 v1, 28, v42
	v_cmp_gt_i64_e32 vcc, 0, v[0:1]
	v_not_b32_e32 v1, v1
	v_ashrrev_i32_e32 v1, 31, v1
	v_and_b32_e32 v100, v100, v102
	;; [unrolled: 8-line block ×5, first 2 shown]
	v_xor_b32_e32 v102, vcc_hi, v1
	v_xor_b32_e32 v1, vcc_lo, v1
	v_and_b32_e32 v100, v100, v102
	v_and_b32_e32 v102, v43, v1
	v_lshlrev_b32_e32 v1, 24, v42
	v_cmp_gt_i64_e32 vcc, 0, v[0:1]
	v_not_b32_e32 v1, v1
	v_ashrrev_i32_e32 v1, 31, v1
	v_xor_b32_e32 v42, vcc_hi, v1
	v_xor_b32_e32 v1, vcc_lo, v1
	; wave barrier
	ds_read_b32 v98, v99 offset:32
	v_and_b32_e32 v43, v100, v42
	v_and_b32_e32 v42, v102, v1
	v_mbcnt_lo_u32_b32 v1, v42, 0
	v_mbcnt_hi_u32_b32 v100, v43, v1
	v_cmp_eq_u32_e32 vcc, 0, v100
	v_cmp_ne_u64_e64 s[16:17], 0, v[42:43]
	s_and_b64 s[20:21], s[16:17], vcc
	; wave barrier
	s_and_saveexec_b64 s[16:17], s[20:21]
	s_cbranch_execz .LBB105_44
; %bb.43:
	v_bcnt_u32_b32 v1, v42, 0
	v_bcnt_u32_b32 v1, v43, v1
	s_waitcnt lgkmcnt(0)
	v_add_u32_e32 v1, v98, v1
	ds_write_b32 v99, v1 offset:32
.LBB105_44:
	s_or_b64 exec, exec, s[16:17]
	v_and_b32_e32 v42, s18, v79
	v_lshlrev_b32_sdwa v1, v101, v42 dst_sel:DWORD dst_unused:UNUSED_PAD src0_sel:DWORD src1_sel:BYTE_0
	v_add_lshl_u32 v101, v86, v1, 2
	v_and_b32_e32 v1, 1, v42
	v_add_co_u32_e32 v43, vcc, -1, v1
	v_addc_co_u32_e64 v103, s[16:17], 0, -1, vcc
	v_cmp_ne_u32_e32 vcc, 0, v1
	v_xor_b32_e32 v1, vcc_hi, v103
	v_and_b32_e32 v103, exec_hi, v1
	v_lshlrev_b32_e32 v1, 30, v42
	v_xor_b32_e32 v43, vcc_lo, v43
	v_cmp_gt_i64_e32 vcc, 0, v[0:1]
	v_not_b32_e32 v1, v1
	v_ashrrev_i32_e32 v1, 31, v1
	v_and_b32_e32 v43, exec_lo, v43
	v_xor_b32_e32 v104, vcc_hi, v1
	v_xor_b32_e32 v1, vcc_lo, v1
	v_and_b32_e32 v43, v43, v1
	v_lshlrev_b32_e32 v1, 29, v42
	v_cmp_gt_i64_e32 vcc, 0, v[0:1]
	v_not_b32_e32 v1, v1
	v_ashrrev_i32_e32 v1, 31, v1
	v_and_b32_e32 v103, v103, v104
	v_xor_b32_e32 v104, vcc_hi, v1
	v_xor_b32_e32 v1, vcc_lo, v1
	v_and_b32_e32 v43, v43, v1
	v_lshlrev_b32_e32 v1, 28, v42
	v_cmp_gt_i64_e32 vcc, 0, v[0:1]
	v_not_b32_e32 v1, v1
	v_ashrrev_i32_e32 v1, 31, v1
	v_and_b32_e32 v103, v103, v104
	;; [unrolled: 8-line block ×5, first 2 shown]
	v_xor_b32_e32 v104, vcc_hi, v1
	v_xor_b32_e32 v1, vcc_lo, v1
	v_and_b32_e32 v43, v43, v1
	v_lshlrev_b32_e32 v1, 24, v42
	v_cmp_gt_i64_e32 vcc, 0, v[0:1]
	v_not_b32_e32 v0, v1
	v_ashrrev_i32_e32 v0, 31, v0
	v_xor_b32_e32 v1, vcc_hi, v0
	v_xor_b32_e32 v0, vcc_lo, v0
	; wave barrier
	ds_read_b32 v86, v101 offset:32
	v_and_b32_e32 v103, v103, v104
	v_and_b32_e32 v0, v43, v0
	;; [unrolled: 1-line block ×3, first 2 shown]
	v_mbcnt_lo_u32_b32 v42, v0, 0
	v_mbcnt_hi_u32_b32 v103, v1, v42
	v_cmp_eq_u32_e32 vcc, 0, v103
	v_cmp_ne_u64_e64 s[16:17], 0, v[0:1]
	v_add_u32_e32 v102, 32, v62
	s_and_b64 s[18:19], s[16:17], vcc
	; wave barrier
	s_and_saveexec_b64 s[16:17], s[18:19]
	s_cbranch_execz .LBB105_46
; %bb.45:
	v_bcnt_u32_b32 v0, v0, 0
	v_bcnt_u32_b32 v0, v1, v0
	s_waitcnt lgkmcnt(0)
	v_add_u32_e32 v0, v86, v0
	ds_write_b32 v101, v0 offset:32
.LBB105_46:
	s_or_b64 exec, exec, s[16:17]
	; wave barrier
	s_waitcnt lgkmcnt(0)
	s_barrier
	ds_read2_b32 v[0:1], v62 offset0:8 offset1:9
	ds_read2_b32 v[42:43], v102 offset0:2 offset1:3
	s_waitcnt lgkmcnt(1)
	v_add_u32_e32 v104, v1, v0
	s_waitcnt lgkmcnt(0)
	v_add3_u32 v43, v104, v42, v43
	v_and_b32_e32 v104, 15, v61
	v_cmp_ne_u32_e32 vcc, 0, v104
	v_mov_b32_dpp v105, v43 row_shr:1 row_mask:0xf bank_mask:0xf
	v_cndmask_b32_e32 v105, 0, v105, vcc
	v_add_u32_e32 v43, v105, v43
	v_cmp_lt_u32_e32 vcc, 1, v104
	s_nop 0
	v_mov_b32_dpp v105, v43 row_shr:2 row_mask:0xf bank_mask:0xf
	v_cndmask_b32_e32 v105, 0, v105, vcc
	v_add_u32_e32 v43, v43, v105
	v_cmp_lt_u32_e32 vcc, 3, v104
	s_nop 0
	;; [unrolled: 5-line block ×3, first 2 shown]
	v_mov_b32_dpp v105, v43 row_shr:8 row_mask:0xf bank_mask:0xf
	v_cndmask_b32_e32 v104, 0, v105, vcc
	v_add_u32_e32 v43, v43, v104
	v_bfe_i32 v105, v61, 4, 1
	v_cmp_lt_u32_e32 vcc, 31, v61
	v_mov_b32_dpp v104, v43 row_bcast:15 row_mask:0xf bank_mask:0xf
	v_and_b32_e32 v104, v105, v104
	v_add_u32_e32 v43, v43, v104
	v_min_u32_e32 v105, 0x1c0, v63
	v_or_b32_e32 v105, 63, v105
	v_mov_b32_dpp v104, v43 row_bcast:31 row_mask:0xf bank_mask:0xf
	v_cndmask_b32_e32 v104, 0, v104, vcc
	v_add_u32_e32 v43, v43, v104
	v_lshrrev_b32_e32 v104, 6, v36
	v_cmp_eq_u32_e32 vcc, v105, v36
	s_and_saveexec_b64 s[16:17], vcc
	s_cbranch_execz .LBB105_48
; %bb.47:
	v_lshlrev_b32_e32 v105, 2, v104
	ds_write_b32 v105, v43
.LBB105_48:
	s_or_b64 exec, exec, s[16:17]
	v_cmp_gt_u32_e32 vcc, 8, v36
	s_waitcnt lgkmcnt(0)
	s_barrier
	s_and_saveexec_b64 s[16:17], vcc
	s_cbranch_execz .LBB105_50
; %bb.49:
	v_lshlrev_b32_e32 v105, 2, v36
	ds_read_b32 v106, v105
	v_and_b32_e32 v107, 7, v61
	v_cmp_ne_u32_e32 vcc, 0, v107
	s_waitcnt lgkmcnt(0)
	v_mov_b32_dpp v108, v106 row_shr:1 row_mask:0xf bank_mask:0xf
	v_cndmask_b32_e32 v108, 0, v108, vcc
	v_add_u32_e32 v106, v108, v106
	v_cmp_lt_u32_e32 vcc, 1, v107
	s_nop 0
	v_mov_b32_dpp v108, v106 row_shr:2 row_mask:0xf bank_mask:0xf
	v_cndmask_b32_e32 v108, 0, v108, vcc
	v_add_u32_e32 v106, v106, v108
	v_cmp_lt_u32_e32 vcc, 3, v107
	s_nop 0
	v_mov_b32_dpp v108, v106 row_shr:4 row_mask:0xf bank_mask:0xf
	v_cndmask_b32_e32 v107, 0, v108, vcc
	v_add_u32_e32 v106, v106, v107
	ds_write_b32 v105, v106
.LBB105_50:
	s_or_b64 exec, exec, s[16:17]
	v_cmp_lt_u32_e32 vcc, 63, v36
	v_mov_b32_e32 v105, 0
	s_waitcnt lgkmcnt(0)
	s_barrier
	s_and_saveexec_b64 s[16:17], vcc
	s_cbranch_execz .LBB105_52
; %bb.51:
	v_lshl_add_u32 v104, v104, 2, -4
	ds_read_b32 v105, v104
.LBB105_52:
	s_or_b64 exec, exec, s[16:17]
	v_add_u32_e32 v104, -1, v61
	v_and_b32_e32 v106, 64, v61
	v_cmp_lt_i32_e32 vcc, v104, v106
	v_cndmask_b32_e32 v104, v104, v61, vcc
	s_waitcnt lgkmcnt(0)
	v_add_u32_e32 v43, v105, v43
	v_lshlrev_b32_e32 v104, 2, v104
	ds_bpermute_b32 v43, v104, v43
	v_cmp_eq_u32_e32 vcc, 0, v61
	s_movk_i32 s16, 0x80
	s_waitcnt lgkmcnt(0)
	v_cndmask_b32_e32 v43, v43, v105, vcc
	v_cmp_ne_u32_e32 vcc, 0, v36
	v_cndmask_b32_e32 v43, 0, v43, vcc
	v_add_u32_e32 v0, v43, v0
	v_add_u32_e32 v1, v0, v1
	;; [unrolled: 1-line block ×3, first 2 shown]
	ds_write2_b32 v62, v43, v0 offset0:8 offset1:9
	ds_write2_b32 v102, v1, v42 offset0:2 offset1:3
	s_waitcnt lgkmcnt(0)
	s_barrier
	ds_read_b32 v0, v80 offset:32
	ds_read_b32 v1, v83 offset:32
	;; [unrolled: 1-line block ×8, first 2 shown]
	s_waitcnt lgkmcnt(7)
	v_add_u32_e32 v81, v0, v81
	s_waitcnt lgkmcnt(6)
	v_add3_u32 v82, v84, v82, v1
	s_waitcnt lgkmcnt(5)
	v_add3_u32 v42, v88, v85, v42
	;; [unrolled: 2-line block ×7, first 2 shown]
	s_barrier
	ds_write_b8 v81, v72
	ds_write_b8 v82, v73
	;; [unrolled: 1-line block ×8, first 2 shown]
	v_lshlrev_b32_e32 v74, 3, v81
	s_waitcnt lgkmcnt(0)
	s_barrier
	ds_read_b64 v[0:1], v53
	s_waitcnt lgkmcnt(0)
	s_barrier
	ds_write_b64 v74, v[30:31]
	v_lshlrev_b32_e32 v30, 3, v82
	ds_write_b64 v30, v[32:33]
	v_lshlrev_b32_e32 v30, 3, v42
	;; [unrolled: 2-line block ×7, first 2 shown]
	v_lshlrev_b32_e32 v30, 3, v53
	ds_write_b64 v18, v[20:21]
	s_waitcnt lgkmcnt(0)
	s_barrier
	ds_read2_b64 v[18:21], v30 offset1:1
	ds_read2_b64 v[22:25], v30 offset0:2 offset1:3
	ds_read2_b64 v[26:29], v30 offset0:4 offset1:5
	;; [unrolled: 1-line block ×3, first 2 shown]
	v_lshrrev_b32_e32 v72, 8, v0
	v_lshrrev_b32_e32 v73, 8, v1
	v_xor_b32_e32 v42, 0x80, v0
	v_xor_b32_sdwa v43, v72, s16 dst_sel:BYTE_1 dst_unused:UNUSED_PAD src0_sel:DWORD src1_sel:DWORD
	v_xor_b32_sdwa v72, v0, s16 dst_sel:DWORD dst_unused:UNUSED_PAD src0_sel:WORD_1 src1_sel:DWORD
	v_xor_b32_sdwa v0, v0, s16 dst_sel:BYTE_1 dst_unused:UNUSED_PAD src0_sel:BYTE_3 src1_sel:DWORD
	v_xor_b32_e32 v74, 0x80, v1
	v_xor_b32_sdwa v73, v73, s16 dst_sel:BYTE_1 dst_unused:UNUSED_PAD src0_sel:DWORD src1_sel:DWORD
	v_xor_b32_sdwa v75, v1, s16 dst_sel:DWORD dst_unused:UNUSED_PAD src0_sel:WORD_1 src1_sel:DWORD
	v_xor_b32_sdwa v1, v1, s16 dst_sel:BYTE_1 dst_unused:UNUSED_PAD src0_sel:BYTE_3 src1_sel:DWORD
	v_or_b32_sdwa v42, v42, v43 dst_sel:DWORD dst_unused:UNUSED_PAD src0_sel:BYTE_0 src1_sel:DWORD
	v_or_b32_sdwa v0, v72, v0 dst_sel:WORD_1 dst_unused:UNUSED_PAD src0_sel:BYTE_0 src1_sel:DWORD
	v_or_b32_sdwa v0, v42, v0 dst_sel:DWORD dst_unused:UNUSED_PAD src0_sel:WORD_0 src1_sel:DWORD
	v_or_b32_sdwa v42, v74, v73 dst_sel:DWORD dst_unused:UNUSED_PAD src0_sel:BYTE_0 src1_sel:DWORD
	v_or_b32_sdwa v1, v75, v1 dst_sel:WORD_1 dst_unused:UNUSED_PAD src0_sel:BYTE_0 src1_sel:DWORD
	v_or_b32_sdwa v1, v42, v1 dst_sel:DWORD dst_unused:UNUSED_PAD src0_sel:WORD_0 src1_sel:DWORD
	s_branch .LBB105_84
.LBB105_53:
	v_mov_b32_e32 v35, 0
	v_lshlrev_b64 v[2:3], 3, v[34:35]
	v_mov_b32_e32 v4, s35
	v_add_co_u32_e32 v2, vcc, s33, v2
	v_addc_co_u32_e32 v3, vcc, v4, v3, vcc
	global_load_dwordx2 v[2:3], v[2:3], off
	v_mov_b32_e32 v4, v35
	v_mov_b32_e32 v5, v35
	;; [unrolled: 1-line block ×14, first 2 shown]
	s_or_b64 exec, exec, s[16:17]
	s_and_saveexec_b64 s[16:17], s[2:3]
	s_cbranch_execz .LBB105_22
.LBB105_54:
	v_mul_lo_u32 v4, v32, s34
	v_mov_b32_e32 v5, 0
	v_lshlrev_b64 v[4:5], 3, v[4:5]
	v_mov_b32_e32 v32, s35
	v_add_co_u32_e32 v4, vcc, s33, v4
	v_addc_co_u32_e32 v5, vcc, v32, v5, vcc
	global_load_dwordx2 v[4:5], v[4:5], off
	s_or_b64 exec, exec, s[16:17]
	s_and_saveexec_b64 s[16:17], s[4:5]
	s_cbranch_execz .LBB105_23
.LBB105_55:
	v_mul_lo_u32 v6, v31, s34
	v_mov_b32_e32 v7, 0
	v_lshlrev_b64 v[6:7], 3, v[6:7]
	v_mov_b32_e32 v31, s35
	v_add_co_u32_e32 v6, vcc, s33, v6
	v_addc_co_u32_e32 v7, vcc, v31, v7, vcc
	global_load_dwordx2 v[6:7], v[6:7], off
	s_or_b64 exec, exec, s[16:17]
	s_and_saveexec_b64 s[16:17], s[6:7]
	s_cbranch_execz .LBB105_24
.LBB105_56:
	v_mul_lo_u32 v8, v30, s34
	v_mov_b32_e32 v9, 0
	v_lshlrev_b64 v[8:9], 3, v[8:9]
	v_mov_b32_e32 v30, s35
	v_add_co_u32_e32 v8, vcc, s33, v8
	v_addc_co_u32_e32 v9, vcc, v30, v9, vcc
	global_load_dwordx2 v[8:9], v[8:9], off
	s_or_b64 exec, exec, s[16:17]
	s_and_saveexec_b64 s[16:17], s[8:9]
	s_cbranch_execz .LBB105_25
.LBB105_57:
	v_mul_lo_u32 v10, v29, s34
	v_mov_b32_e32 v11, 0
	v_lshlrev_b64 v[10:11], 3, v[10:11]
	v_mov_b32_e32 v29, s35
	v_add_co_u32_e32 v10, vcc, s33, v10
	v_addc_co_u32_e32 v11, vcc, v29, v11, vcc
	global_load_dwordx2 v[10:11], v[10:11], off
	s_or_b64 exec, exec, s[16:17]
	s_and_saveexec_b64 s[16:17], s[10:11]
	s_cbranch_execz .LBB105_26
.LBB105_58:
	v_mul_lo_u32 v12, v28, s34
	v_mov_b32_e32 v13, 0
	v_lshlrev_b64 v[12:13], 3, v[12:13]
	v_mov_b32_e32 v28, s35
	v_add_co_u32_e32 v12, vcc, s33, v12
	v_addc_co_u32_e32 v13, vcc, v28, v13, vcc
	global_load_dwordx2 v[12:13], v[12:13], off
	s_or_b64 exec, exec, s[16:17]
	s_and_saveexec_b64 s[16:17], s[12:13]
	s_cbranch_execz .LBB105_27
.LBB105_59:
	v_mul_lo_u32 v14, v27, s34
	v_mov_b32_e32 v15, 0
	v_lshlrev_b64 v[14:15], 3, v[14:15]
	v_mov_b32_e32 v27, s35
	v_add_co_u32_e32 v14, vcc, s33, v14
	v_addc_co_u32_e32 v15, vcc, v27, v15, vcc
	global_load_dwordx2 v[14:15], v[14:15], off
	s_or_b64 exec, exec, s[16:17]
	s_xor_b64 s[16:17], s[44:45], -1
	s_and_saveexec_b64 s[18:19], s[14:15]
	s_cbranch_execnz .LBB105_28
	s_branch .LBB105_29
.LBB105_60:
                                        ; implicit-def: $vgpr1
                                        ; implicit-def: $vgpr32_vgpr33
                                        ; implicit-def: $vgpr28_vgpr29
                                        ; implicit-def: $vgpr24_vgpr25
                                        ; implicit-def: $vgpr20_vgpr21
	s_cbranch_execz .LBB105_84
; %bb.61:
	s_movk_i32 s16, 0x7f
	v_xor_b32_sdwa v0, v67, s16 dst_sel:BYTE_1 dst_unused:UNUSED_PAD src0_sel:DWORD src1_sel:DWORD
	v_xor_b32_e32 v1, 0x7f, v39
	v_or_b32_sdwa v0, v1, v0 dst_sel:DWORD dst_unused:UNUSED_PAD src0_sel:BYTE_0 src1_sel:DWORD
	v_xor_b32_sdwa v1, v39, s16 dst_sel:DWORD dst_unused:UNUSED_PAD src0_sel:BYTE_3 src1_sel:DWORD
	v_lshlrev_b16_e32 v1, 8, v1
	s_waitcnt lgkmcnt(3)
	v_xor_b32_sdwa v18, v39, s16 dst_sel:DWORD dst_unused:UNUSED_PAD src0_sel:WORD_1 src1_sel:DWORD
	v_or_b32_sdwa v1, v18, v1 dst_sel:WORD_1 dst_unused:UNUSED_PAD src0_sel:BYTE_0 src1_sel:DWORD
	v_or_b32_sdwa v1, v0, v1 dst_sel:DWORD dst_unused:UNUSED_PAD src0_sel:WORD_0 src1_sel:DWORD
	v_xor_b32_sdwa v0, v64, s16 dst_sel:BYTE_1 dst_unused:UNUSED_PAD src0_sel:DWORD src1_sel:DWORD
	v_xor_b32_e32 v18, 0x7f, v38
	v_or_b32_sdwa v0, v18, v0 dst_sel:DWORD dst_unused:UNUSED_PAD src0_sel:BYTE_0 src1_sel:DWORD
	v_xor_b32_sdwa v18, v40, s16 dst_sel:BYTE_1 dst_unused:UNUSED_PAD src0_sel:DWORD src1_sel:DWORD
	v_xor_b32_sdwa v19, v38, s16 dst_sel:DWORD dst_unused:UNUSED_PAD src0_sel:WORD_1 src1_sel:DWORD
	v_or_b32_sdwa v18, v19, v18 dst_sel:WORD_1 dst_unused:UNUSED_PAD src0_sel:BYTE_0 src1_sel:DWORD
	v_or_b32_sdwa v0, v0, v18 dst_sel:DWORD dst_unused:UNUSED_PAD src0_sel:WORD_0 src1_sel:DWORD
	s_getpc_b64 s[16:17]
	s_add_u32 s16, s16, _ZN7rocprim17ROCPRIM_400000_NS16block_radix_sortIaLj512ELj8ElLj1ELj1ELj0ELNS0_26block_radix_rank_algorithmE1ELNS0_18block_padding_hintE2ELNS0_4arch9wavefront6targetE1EE19radix_bits_per_passE@rel32@lo+4
	s_addc_u32 s17, s17, _ZN7rocprim17ROCPRIM_400000_NS16block_radix_sortIaLj512ELj8ElLj1ELj1ELj0ELNS0_26block_radix_rank_algorithmE1ELNS0_18block_padding_hintE2ELNS0_4arch9wavefront6targetE1EE19radix_bits_per_passE@rel32@hi+12
	ds_write_b64 v71, v[0:1]
	; wave barrier
	ds_read_u8 v20, v70
	ds_read_u8 v21, v70 offset:64
	s_waitcnt lgkmcnt(5)
	ds_read_u8 v22, v70 offset:128
	ds_read_u8 v23, v70 offset:192
	;; [unrolled: 1-line block ×4, first 2 shown]
	s_waitcnt lgkmcnt(8)
	ds_read_u8 v26, v70 offset:384
	ds_read_u8 v27, v70 offset:448
	s_waitcnt lgkmcnt(0)
	s_barrier
	ds_write2_b64 v69, v[14:15], v[16:17] offset1:1
	ds_write2_b64 v69, v[10:11], v[12:13] offset0:2 offset1:3
	ds_write2_b64 v69, v[6:7], v[8:9] offset0:4 offset1:5
	;; [unrolled: 1-line block ×3, first 2 shown]
	; wave barrier
	ds_read2st64_b64 v[12:15], v68 offset1:1
	ds_read2st64_b64 v[8:11], v68 offset0:2 offset1:3
	ds_read2st64_b64 v[4:7], v68 offset0:4 offset1:5
	;; [unrolled: 1-line block ×3, first 2 shown]
	s_waitcnt lgkmcnt(0)
	s_barrier
	s_load_dword s18, s[16:17], 0x0
	s_load_dword s19, s[42:43], 0xc
	v_mov_b32_e32 v30, 3
	s_waitcnt lgkmcnt(0)
	s_min_u32 s18, s18, 8
	s_lshr_b32 s16, s19, 16
	s_and_b32 s17, s19, 0xffff
	v_mad_u32_u24 v16, v66, s16, v65
	v_mad_u64_u32 v[18:19], s[16:17], v16, s17, v[36:37]
	s_lshl_b32 s16, -1, s18
	s_not_b32 s18, s16
	v_lshrrev_b32_e32 v38, 6, v18
	v_and_b32_e32 v18, s18, v20
	v_lshlrev_b32_sdwa v17, v30, v18 dst_sel:DWORD dst_unused:UNUSED_PAD src0_sel:DWORD src1_sel:BYTE_0
	v_add_lshl_u32 v28, v38, v17, 2
	v_and_b32_e32 v17, 1, v18
	v_add_co_u32_e32 v19, vcc, -1, v17
	v_addc_co_u32_e64 v29, s[16:17], 0, -1, vcc
	v_cmp_ne_u32_e32 vcc, 0, v17
	v_xor_b32_e32 v17, vcc_hi, v29
	v_mov_b32_e32 v16, 0
	v_and_b32_e32 v29, exec_hi, v17
	v_lshlrev_b32_e32 v17, 30, v18
	v_xor_b32_e32 v19, vcc_lo, v19
	v_cmp_gt_i64_e32 vcc, 0, v[16:17]
	v_not_b32_e32 v17, v17
	v_ashrrev_i32_e32 v17, 31, v17
	v_and_b32_e32 v19, exec_lo, v19
	v_xor_b32_e32 v31, vcc_hi, v17
	v_xor_b32_e32 v17, vcc_lo, v17
	v_and_b32_e32 v19, v19, v17
	v_lshlrev_b32_e32 v17, 29, v18
	v_cmp_gt_i64_e32 vcc, 0, v[16:17]
	v_not_b32_e32 v17, v17
	v_ashrrev_i32_e32 v17, 31, v17
	v_and_b32_e32 v29, v29, v31
	v_xor_b32_e32 v31, vcc_hi, v17
	v_xor_b32_e32 v17, vcc_lo, v17
	v_and_b32_e32 v19, v19, v17
	v_lshlrev_b32_e32 v17, 28, v18
	v_cmp_gt_i64_e32 vcc, 0, v[16:17]
	v_not_b32_e32 v17, v17
	v_ashrrev_i32_e32 v17, 31, v17
	v_and_b32_e32 v29, v29, v31
	;; [unrolled: 8-line block ×5, first 2 shown]
	v_xor_b32_e32 v31, vcc_hi, v17
	v_xor_b32_e32 v17, vcc_lo, v17
	v_and_b32_e32 v29, v29, v31
	v_and_b32_e32 v31, v19, v17
	v_lshlrev_b32_e32 v17, 24, v18
	v_cmp_gt_i64_e32 vcc, 0, v[16:17]
	v_not_b32_e32 v17, v17
	v_ashrrev_i32_e32 v17, 31, v17
	v_xor_b32_e32 v18, vcc_hi, v17
	v_xor_b32_e32 v17, vcc_lo, v17
	v_and_b32_e32 v19, v29, v18
	v_and_b32_e32 v18, v31, v17
	v_mbcnt_lo_u32_b32 v17, v18, 0
	v_mbcnt_hi_u32_b32 v29, v19, v17
	v_cmp_eq_u32_e32 vcc, 0, v29
	v_cmp_ne_u64_e64 s[16:17], 0, v[18:19]
	s_and_b64 s[20:21], s[16:17], vcc
	ds_write2_b32 v62, v16, v16 offset0:8 offset1:9
	ds_write2_b32 v62, v16, v16 offset0:10 offset1:11
	s_waitcnt lgkmcnt(0)
	s_barrier
	s_waitcnt lgkmcnt(0)
	; wave barrier
	s_and_saveexec_b64 s[16:17], s[20:21]
	s_cbranch_execz .LBB105_63
; %bb.62:
	v_bcnt_u32_b32 v17, v18, 0
	v_bcnt_u32_b32 v17, v19, v17
	ds_write_b32 v28, v17 offset:32
.LBB105_63:
	s_or_b64 exec, exec, s[16:17]
	v_and_b32_e32 v18, s18, v21
	v_lshlrev_b32_sdwa v17, v30, v18 dst_sel:DWORD dst_unused:UNUSED_PAD src0_sel:DWORD src1_sel:BYTE_0
	v_add_lshl_u32 v31, v38, v17, 2
	v_and_b32_e32 v17, 1, v18
	v_add_co_u32_e32 v19, vcc, -1, v17
	v_addc_co_u32_e64 v32, s[16:17], 0, -1, vcc
	v_cmp_ne_u32_e32 vcc, 0, v17
	v_xor_b32_e32 v17, vcc_hi, v32
	v_and_b32_e32 v32, exec_hi, v17
	v_lshlrev_b32_e32 v17, 30, v18
	v_xor_b32_e32 v19, vcc_lo, v19
	v_cmp_gt_i64_e32 vcc, 0, v[16:17]
	v_not_b32_e32 v17, v17
	v_ashrrev_i32_e32 v17, 31, v17
	v_and_b32_e32 v19, exec_lo, v19
	v_xor_b32_e32 v33, vcc_hi, v17
	v_xor_b32_e32 v17, vcc_lo, v17
	v_and_b32_e32 v19, v19, v17
	v_lshlrev_b32_e32 v17, 29, v18
	v_cmp_gt_i64_e32 vcc, 0, v[16:17]
	v_not_b32_e32 v17, v17
	v_ashrrev_i32_e32 v17, 31, v17
	v_and_b32_e32 v32, v32, v33
	v_xor_b32_e32 v33, vcc_hi, v17
	v_xor_b32_e32 v17, vcc_lo, v17
	v_and_b32_e32 v19, v19, v17
	v_lshlrev_b32_e32 v17, 28, v18
	v_cmp_gt_i64_e32 vcc, 0, v[16:17]
	v_not_b32_e32 v17, v17
	v_ashrrev_i32_e32 v17, 31, v17
	v_and_b32_e32 v32, v32, v33
	;; [unrolled: 8-line block ×5, first 2 shown]
	v_xor_b32_e32 v33, vcc_hi, v17
	v_xor_b32_e32 v17, vcc_lo, v17
	v_and_b32_e32 v19, v19, v17
	v_lshlrev_b32_e32 v17, 24, v18
	v_cmp_gt_i64_e32 vcc, 0, v[16:17]
	v_not_b32_e32 v16, v17
	v_ashrrev_i32_e32 v16, 31, v16
	v_xor_b32_e32 v17, vcc_hi, v16
	v_xor_b32_e32 v16, vcc_lo, v16
	; wave barrier
	ds_read_b32 v30, v31 offset:32
	v_and_b32_e32 v32, v32, v33
	v_and_b32_e32 v16, v19, v16
	;; [unrolled: 1-line block ×3, first 2 shown]
	v_mbcnt_lo_u32_b32 v18, v16, 0
	v_mbcnt_hi_u32_b32 v32, v17, v18
	v_cmp_eq_u32_e32 vcc, 0, v32
	v_cmp_ne_u64_e64 s[16:17], 0, v[16:17]
	s_and_b64 s[20:21], s[16:17], vcc
	; wave barrier
	s_and_saveexec_b64 s[16:17], s[20:21]
	s_cbranch_execz .LBB105_65
; %bb.64:
	v_bcnt_u32_b32 v16, v16, 0
	v_bcnt_u32_b32 v16, v17, v16
	s_waitcnt lgkmcnt(0)
	v_add_u32_e32 v16, v30, v16
	ds_write_b32 v31, v16 offset:32
.LBB105_65:
	s_or_b64 exec, exec, s[16:17]
	v_and_b32_e32 v18, s18, v22
	v_and_b32_e32 v17, 1, v18
	v_add_co_u32_e32 v19, vcc, -1, v17
	v_mov_b32_e32 v42, 3
	v_addc_co_u32_e64 v40, s[16:17], 0, -1, vcc
	v_cmp_ne_u32_e32 vcc, 0, v17
	v_lshlrev_b32_sdwa v16, v42, v18 dst_sel:DWORD dst_unused:UNUSED_PAD src0_sel:DWORD src1_sel:BYTE_0
	v_xor_b32_e32 v17, vcc_hi, v40
	v_add_lshl_u32 v39, v38, v16, 2
	v_mov_b32_e32 v16, 0
	v_and_b32_e32 v40, exec_hi, v17
	v_lshlrev_b32_e32 v17, 30, v18
	v_xor_b32_e32 v19, vcc_lo, v19
	v_cmp_gt_i64_e32 vcc, 0, v[16:17]
	v_not_b32_e32 v17, v17
	v_ashrrev_i32_e32 v17, 31, v17
	v_and_b32_e32 v19, exec_lo, v19
	v_xor_b32_e32 v43, vcc_hi, v17
	v_xor_b32_e32 v17, vcc_lo, v17
	v_and_b32_e32 v19, v19, v17
	v_lshlrev_b32_e32 v17, 29, v18
	v_cmp_gt_i64_e32 vcc, 0, v[16:17]
	v_not_b32_e32 v17, v17
	v_ashrrev_i32_e32 v17, 31, v17
	v_and_b32_e32 v40, v40, v43
	v_xor_b32_e32 v43, vcc_hi, v17
	v_xor_b32_e32 v17, vcc_lo, v17
	v_and_b32_e32 v19, v19, v17
	v_lshlrev_b32_e32 v17, 28, v18
	v_cmp_gt_i64_e32 vcc, 0, v[16:17]
	v_not_b32_e32 v17, v17
	v_ashrrev_i32_e32 v17, 31, v17
	v_and_b32_e32 v40, v40, v43
	;; [unrolled: 8-line block ×5, first 2 shown]
	v_xor_b32_e32 v43, vcc_hi, v17
	v_xor_b32_e32 v17, vcc_lo, v17
	v_and_b32_e32 v40, v40, v43
	v_and_b32_e32 v43, v19, v17
	v_lshlrev_b32_e32 v17, 24, v18
	v_cmp_gt_i64_e32 vcc, 0, v[16:17]
	v_not_b32_e32 v17, v17
	v_ashrrev_i32_e32 v17, 31, v17
	v_xor_b32_e32 v18, vcc_hi, v17
	v_xor_b32_e32 v17, vcc_lo, v17
	; wave barrier
	ds_read_b32 v33, v39 offset:32
	v_and_b32_e32 v19, v40, v18
	v_and_b32_e32 v18, v43, v17
	v_mbcnt_lo_u32_b32 v17, v18, 0
	v_mbcnt_hi_u32_b32 v40, v19, v17
	v_cmp_eq_u32_e32 vcc, 0, v40
	v_cmp_ne_u64_e64 s[16:17], 0, v[18:19]
	s_and_b64 s[20:21], s[16:17], vcc
	; wave barrier
	s_and_saveexec_b64 s[16:17], s[20:21]
	s_cbranch_execz .LBB105_67
; %bb.66:
	v_bcnt_u32_b32 v17, v18, 0
	v_bcnt_u32_b32 v17, v19, v17
	s_waitcnt lgkmcnt(0)
	v_add_u32_e32 v17, v33, v17
	ds_write_b32 v39, v17 offset:32
.LBB105_67:
	s_or_b64 exec, exec, s[16:17]
	v_and_b32_e32 v18, s18, v23
	v_lshlrev_b32_sdwa v17, v42, v18 dst_sel:DWORD dst_unused:UNUSED_PAD src0_sel:DWORD src1_sel:BYTE_0
	v_add_lshl_u32 v43, v38, v17, 2
	v_and_b32_e32 v17, 1, v18
	v_add_co_u32_e32 v19, vcc, -1, v17
	v_addc_co_u32_e64 v64, s[16:17], 0, -1, vcc
	v_cmp_ne_u32_e32 vcc, 0, v17
	v_xor_b32_e32 v17, vcc_hi, v64
	v_and_b32_e32 v64, exec_hi, v17
	v_lshlrev_b32_e32 v17, 30, v18
	v_xor_b32_e32 v19, vcc_lo, v19
	v_cmp_gt_i64_e32 vcc, 0, v[16:17]
	v_not_b32_e32 v17, v17
	v_ashrrev_i32_e32 v17, 31, v17
	v_and_b32_e32 v19, exec_lo, v19
	v_xor_b32_e32 v65, vcc_hi, v17
	v_xor_b32_e32 v17, vcc_lo, v17
	v_and_b32_e32 v19, v19, v17
	v_lshlrev_b32_e32 v17, 29, v18
	v_cmp_gt_i64_e32 vcc, 0, v[16:17]
	v_not_b32_e32 v17, v17
	v_ashrrev_i32_e32 v17, 31, v17
	v_and_b32_e32 v64, v64, v65
	v_xor_b32_e32 v65, vcc_hi, v17
	v_xor_b32_e32 v17, vcc_lo, v17
	v_and_b32_e32 v19, v19, v17
	v_lshlrev_b32_e32 v17, 28, v18
	v_cmp_gt_i64_e32 vcc, 0, v[16:17]
	v_not_b32_e32 v17, v17
	v_ashrrev_i32_e32 v17, 31, v17
	v_and_b32_e32 v64, v64, v65
	;; [unrolled: 8-line block ×5, first 2 shown]
	v_xor_b32_e32 v65, vcc_hi, v17
	v_xor_b32_e32 v17, vcc_lo, v17
	v_and_b32_e32 v19, v19, v17
	v_lshlrev_b32_e32 v17, 24, v18
	v_cmp_gt_i64_e32 vcc, 0, v[16:17]
	v_not_b32_e32 v16, v17
	v_ashrrev_i32_e32 v16, 31, v16
	v_xor_b32_e32 v17, vcc_hi, v16
	v_xor_b32_e32 v16, vcc_lo, v16
	; wave barrier
	ds_read_b32 v42, v43 offset:32
	v_and_b32_e32 v64, v64, v65
	v_and_b32_e32 v16, v19, v16
	;; [unrolled: 1-line block ×3, first 2 shown]
	v_mbcnt_lo_u32_b32 v18, v16, 0
	v_mbcnt_hi_u32_b32 v64, v17, v18
	v_cmp_eq_u32_e32 vcc, 0, v64
	v_cmp_ne_u64_e64 s[16:17], 0, v[16:17]
	s_and_b64 s[20:21], s[16:17], vcc
	; wave barrier
	s_and_saveexec_b64 s[16:17], s[20:21]
	s_cbranch_execz .LBB105_69
; %bb.68:
	v_bcnt_u32_b32 v16, v16, 0
	v_bcnt_u32_b32 v16, v17, v16
	s_waitcnt lgkmcnt(0)
	v_add_u32_e32 v16, v42, v16
	ds_write_b32 v43, v16 offset:32
.LBB105_69:
	s_or_b64 exec, exec, s[16:17]
	v_and_b32_e32 v18, s18, v24
	v_and_b32_e32 v17, 1, v18
	v_add_co_u32_e32 v19, vcc, -1, v17
	v_mov_b32_e32 v68, 3
	v_addc_co_u32_e64 v67, s[16:17], 0, -1, vcc
	v_cmp_ne_u32_e32 vcc, 0, v17
	v_lshlrev_b32_sdwa v16, v68, v18 dst_sel:DWORD dst_unused:UNUSED_PAD src0_sel:DWORD src1_sel:BYTE_0
	v_xor_b32_e32 v17, vcc_hi, v67
	v_add_lshl_u32 v66, v38, v16, 2
	v_mov_b32_e32 v16, 0
	v_and_b32_e32 v67, exec_hi, v17
	v_lshlrev_b32_e32 v17, 30, v18
	v_xor_b32_e32 v19, vcc_lo, v19
	v_cmp_gt_i64_e32 vcc, 0, v[16:17]
	v_not_b32_e32 v17, v17
	v_ashrrev_i32_e32 v17, 31, v17
	v_and_b32_e32 v19, exec_lo, v19
	v_xor_b32_e32 v69, vcc_hi, v17
	v_xor_b32_e32 v17, vcc_lo, v17
	v_and_b32_e32 v19, v19, v17
	v_lshlrev_b32_e32 v17, 29, v18
	v_cmp_gt_i64_e32 vcc, 0, v[16:17]
	v_not_b32_e32 v17, v17
	v_ashrrev_i32_e32 v17, 31, v17
	v_and_b32_e32 v67, v67, v69
	v_xor_b32_e32 v69, vcc_hi, v17
	v_xor_b32_e32 v17, vcc_lo, v17
	v_and_b32_e32 v19, v19, v17
	v_lshlrev_b32_e32 v17, 28, v18
	v_cmp_gt_i64_e32 vcc, 0, v[16:17]
	v_not_b32_e32 v17, v17
	v_ashrrev_i32_e32 v17, 31, v17
	v_and_b32_e32 v67, v67, v69
	;; [unrolled: 8-line block ×5, first 2 shown]
	v_xor_b32_e32 v69, vcc_hi, v17
	v_xor_b32_e32 v17, vcc_lo, v17
	v_and_b32_e32 v67, v67, v69
	v_and_b32_e32 v69, v19, v17
	v_lshlrev_b32_e32 v17, 24, v18
	v_cmp_gt_i64_e32 vcc, 0, v[16:17]
	v_not_b32_e32 v17, v17
	v_ashrrev_i32_e32 v17, 31, v17
	v_xor_b32_e32 v18, vcc_hi, v17
	v_xor_b32_e32 v17, vcc_lo, v17
	; wave barrier
	ds_read_b32 v65, v66 offset:32
	v_and_b32_e32 v19, v67, v18
	v_and_b32_e32 v18, v69, v17
	v_mbcnt_lo_u32_b32 v17, v18, 0
	v_mbcnt_hi_u32_b32 v67, v19, v17
	v_cmp_eq_u32_e32 vcc, 0, v67
	v_cmp_ne_u64_e64 s[16:17], 0, v[18:19]
	s_and_b64 s[20:21], s[16:17], vcc
	; wave barrier
	s_and_saveexec_b64 s[16:17], s[20:21]
	s_cbranch_execz .LBB105_71
; %bb.70:
	v_bcnt_u32_b32 v17, v18, 0
	v_bcnt_u32_b32 v17, v19, v17
	s_waitcnt lgkmcnt(0)
	v_add_u32_e32 v17, v65, v17
	ds_write_b32 v66, v17 offset:32
.LBB105_71:
	s_or_b64 exec, exec, s[16:17]
	v_and_b32_e32 v18, s18, v25
	v_lshlrev_b32_sdwa v17, v68, v18 dst_sel:DWORD dst_unused:UNUSED_PAD src0_sel:DWORD src1_sel:BYTE_0
	v_add_lshl_u32 v69, v38, v17, 2
	v_and_b32_e32 v17, 1, v18
	v_add_co_u32_e32 v19, vcc, -1, v17
	v_addc_co_u32_e64 v70, s[16:17], 0, -1, vcc
	v_cmp_ne_u32_e32 vcc, 0, v17
	v_xor_b32_e32 v17, vcc_hi, v70
	v_and_b32_e32 v70, exec_hi, v17
	v_lshlrev_b32_e32 v17, 30, v18
	v_xor_b32_e32 v19, vcc_lo, v19
	v_cmp_gt_i64_e32 vcc, 0, v[16:17]
	v_not_b32_e32 v17, v17
	v_ashrrev_i32_e32 v17, 31, v17
	v_and_b32_e32 v19, exec_lo, v19
	v_xor_b32_e32 v71, vcc_hi, v17
	v_xor_b32_e32 v17, vcc_lo, v17
	v_and_b32_e32 v19, v19, v17
	v_lshlrev_b32_e32 v17, 29, v18
	v_cmp_gt_i64_e32 vcc, 0, v[16:17]
	v_not_b32_e32 v17, v17
	v_ashrrev_i32_e32 v17, 31, v17
	v_and_b32_e32 v70, v70, v71
	v_xor_b32_e32 v71, vcc_hi, v17
	v_xor_b32_e32 v17, vcc_lo, v17
	v_and_b32_e32 v19, v19, v17
	v_lshlrev_b32_e32 v17, 28, v18
	v_cmp_gt_i64_e32 vcc, 0, v[16:17]
	v_not_b32_e32 v17, v17
	v_ashrrev_i32_e32 v17, 31, v17
	v_and_b32_e32 v70, v70, v71
	;; [unrolled: 8-line block ×5, first 2 shown]
	v_xor_b32_e32 v71, vcc_hi, v17
	v_xor_b32_e32 v17, vcc_lo, v17
	v_and_b32_e32 v19, v19, v17
	v_lshlrev_b32_e32 v17, 24, v18
	v_cmp_gt_i64_e32 vcc, 0, v[16:17]
	v_not_b32_e32 v16, v17
	v_ashrrev_i32_e32 v16, 31, v16
	v_xor_b32_e32 v17, vcc_hi, v16
	v_xor_b32_e32 v16, vcc_lo, v16
	; wave barrier
	ds_read_b32 v68, v69 offset:32
	v_and_b32_e32 v70, v70, v71
	v_and_b32_e32 v16, v19, v16
	;; [unrolled: 1-line block ×3, first 2 shown]
	v_mbcnt_lo_u32_b32 v18, v16, 0
	v_mbcnt_hi_u32_b32 v70, v17, v18
	v_cmp_eq_u32_e32 vcc, 0, v70
	v_cmp_ne_u64_e64 s[16:17], 0, v[16:17]
	s_and_b64 s[20:21], s[16:17], vcc
	; wave barrier
	s_and_saveexec_b64 s[16:17], s[20:21]
	s_cbranch_execz .LBB105_73
; %bb.72:
	v_bcnt_u32_b32 v16, v16, 0
	v_bcnt_u32_b32 v16, v17, v16
	s_waitcnt lgkmcnt(0)
	v_add_u32_e32 v16, v68, v16
	ds_write_b32 v69, v16 offset:32
.LBB105_73:
	s_or_b64 exec, exec, s[16:17]
	v_and_b32_e32 v18, s18, v26
	v_and_b32_e32 v17, 1, v18
	v_add_co_u32_e32 v19, vcc, -1, v17
	v_mov_b32_e32 v74, 3
	v_addc_co_u32_e64 v73, s[16:17], 0, -1, vcc
	v_cmp_ne_u32_e32 vcc, 0, v17
	v_lshlrev_b32_sdwa v16, v74, v18 dst_sel:DWORD dst_unused:UNUSED_PAD src0_sel:DWORD src1_sel:BYTE_0
	v_xor_b32_e32 v17, vcc_hi, v73
	v_add_lshl_u32 v72, v38, v16, 2
	v_mov_b32_e32 v16, 0
	v_and_b32_e32 v73, exec_hi, v17
	v_lshlrev_b32_e32 v17, 30, v18
	v_xor_b32_e32 v19, vcc_lo, v19
	v_cmp_gt_i64_e32 vcc, 0, v[16:17]
	v_not_b32_e32 v17, v17
	v_ashrrev_i32_e32 v17, 31, v17
	v_and_b32_e32 v19, exec_lo, v19
	v_xor_b32_e32 v75, vcc_hi, v17
	v_xor_b32_e32 v17, vcc_lo, v17
	v_and_b32_e32 v19, v19, v17
	v_lshlrev_b32_e32 v17, 29, v18
	v_cmp_gt_i64_e32 vcc, 0, v[16:17]
	v_not_b32_e32 v17, v17
	v_ashrrev_i32_e32 v17, 31, v17
	v_and_b32_e32 v73, v73, v75
	v_xor_b32_e32 v75, vcc_hi, v17
	v_xor_b32_e32 v17, vcc_lo, v17
	v_and_b32_e32 v19, v19, v17
	v_lshlrev_b32_e32 v17, 28, v18
	v_cmp_gt_i64_e32 vcc, 0, v[16:17]
	v_not_b32_e32 v17, v17
	v_ashrrev_i32_e32 v17, 31, v17
	v_and_b32_e32 v73, v73, v75
	;; [unrolled: 8-line block ×5, first 2 shown]
	v_xor_b32_e32 v75, vcc_hi, v17
	v_xor_b32_e32 v17, vcc_lo, v17
	v_and_b32_e32 v73, v73, v75
	v_and_b32_e32 v75, v19, v17
	v_lshlrev_b32_e32 v17, 24, v18
	v_cmp_gt_i64_e32 vcc, 0, v[16:17]
	v_not_b32_e32 v17, v17
	v_ashrrev_i32_e32 v17, 31, v17
	v_xor_b32_e32 v18, vcc_hi, v17
	v_xor_b32_e32 v17, vcc_lo, v17
	; wave barrier
	ds_read_b32 v71, v72 offset:32
	v_and_b32_e32 v19, v73, v18
	v_and_b32_e32 v18, v75, v17
	v_mbcnt_lo_u32_b32 v17, v18, 0
	v_mbcnt_hi_u32_b32 v73, v19, v17
	v_cmp_eq_u32_e32 vcc, 0, v73
	v_cmp_ne_u64_e64 s[16:17], 0, v[18:19]
	s_and_b64 s[20:21], s[16:17], vcc
	; wave barrier
	s_and_saveexec_b64 s[16:17], s[20:21]
	s_cbranch_execz .LBB105_75
; %bb.74:
	v_bcnt_u32_b32 v17, v18, 0
	v_bcnt_u32_b32 v17, v19, v17
	s_waitcnt lgkmcnt(0)
	v_add_u32_e32 v17, v71, v17
	ds_write_b32 v72, v17 offset:32
.LBB105_75:
	s_or_b64 exec, exec, s[16:17]
	v_and_b32_e32 v18, s18, v27
	v_lshlrev_b32_sdwa v17, v74, v18 dst_sel:DWORD dst_unused:UNUSED_PAD src0_sel:DWORD src1_sel:BYTE_0
	v_add_lshl_u32 v74, v38, v17, 2
	v_and_b32_e32 v17, 1, v18
	v_add_co_u32_e32 v19, vcc, -1, v17
	v_addc_co_u32_e64 v76, s[16:17], 0, -1, vcc
	v_cmp_ne_u32_e32 vcc, 0, v17
	v_xor_b32_e32 v17, vcc_hi, v76
	v_and_b32_e32 v76, exec_hi, v17
	v_lshlrev_b32_e32 v17, 30, v18
	v_xor_b32_e32 v19, vcc_lo, v19
	v_cmp_gt_i64_e32 vcc, 0, v[16:17]
	v_not_b32_e32 v17, v17
	v_ashrrev_i32_e32 v17, 31, v17
	v_and_b32_e32 v19, exec_lo, v19
	v_xor_b32_e32 v77, vcc_hi, v17
	v_xor_b32_e32 v17, vcc_lo, v17
	v_and_b32_e32 v19, v19, v17
	v_lshlrev_b32_e32 v17, 29, v18
	v_cmp_gt_i64_e32 vcc, 0, v[16:17]
	v_not_b32_e32 v17, v17
	v_ashrrev_i32_e32 v17, 31, v17
	v_and_b32_e32 v76, v76, v77
	v_xor_b32_e32 v77, vcc_hi, v17
	v_xor_b32_e32 v17, vcc_lo, v17
	v_and_b32_e32 v19, v19, v17
	v_lshlrev_b32_e32 v17, 28, v18
	v_cmp_gt_i64_e32 vcc, 0, v[16:17]
	v_not_b32_e32 v17, v17
	v_ashrrev_i32_e32 v17, 31, v17
	v_and_b32_e32 v76, v76, v77
	;; [unrolled: 8-line block ×5, first 2 shown]
	v_xor_b32_e32 v77, vcc_hi, v17
	v_xor_b32_e32 v17, vcc_lo, v17
	v_and_b32_e32 v19, v19, v17
	v_lshlrev_b32_e32 v17, 24, v18
	v_cmp_gt_i64_e32 vcc, 0, v[16:17]
	v_not_b32_e32 v16, v17
	v_ashrrev_i32_e32 v16, 31, v16
	v_xor_b32_e32 v17, vcc_hi, v16
	v_xor_b32_e32 v16, vcc_lo, v16
	; wave barrier
	ds_read_b32 v38, v74 offset:32
	v_and_b32_e32 v76, v76, v77
	v_and_b32_e32 v16, v19, v16
	;; [unrolled: 1-line block ×3, first 2 shown]
	v_mbcnt_lo_u32_b32 v18, v16, 0
	v_mbcnt_hi_u32_b32 v76, v17, v18
	v_cmp_eq_u32_e32 vcc, 0, v76
	v_cmp_ne_u64_e64 s[16:17], 0, v[16:17]
	v_add_u32_e32 v75, 32, v62
	s_and_b64 s[18:19], s[16:17], vcc
	; wave barrier
	s_and_saveexec_b64 s[16:17], s[18:19]
	s_cbranch_execz .LBB105_77
; %bb.76:
	v_bcnt_u32_b32 v16, v16, 0
	v_bcnt_u32_b32 v16, v17, v16
	s_waitcnt lgkmcnt(0)
	v_add_u32_e32 v16, v38, v16
	ds_write_b32 v74, v16 offset:32
.LBB105_77:
	s_or_b64 exec, exec, s[16:17]
	; wave barrier
	s_waitcnt lgkmcnt(0)
	s_barrier
	ds_read2_b32 v[16:17], v62 offset0:8 offset1:9
	ds_read2_b32 v[18:19], v75 offset0:2 offset1:3
	v_min_u32_e32 v63, 0x1c0, v63
	v_or_b32_e32 v63, 63, v63
	s_waitcnt lgkmcnt(1)
	v_add_u32_e32 v77, v17, v16
	s_waitcnt lgkmcnt(0)
	v_add3_u32 v19, v77, v18, v19
	v_and_b32_e32 v77, 15, v61
	v_cmp_ne_u32_e32 vcc, 0, v77
	v_mov_b32_dpp v78, v19 row_shr:1 row_mask:0xf bank_mask:0xf
	v_cndmask_b32_e32 v78, 0, v78, vcc
	v_add_u32_e32 v19, v78, v19
	v_cmp_lt_u32_e32 vcc, 1, v77
	s_nop 0
	v_mov_b32_dpp v78, v19 row_shr:2 row_mask:0xf bank_mask:0xf
	v_cndmask_b32_e32 v78, 0, v78, vcc
	v_add_u32_e32 v19, v19, v78
	v_cmp_lt_u32_e32 vcc, 3, v77
	s_nop 0
	;; [unrolled: 5-line block ×3, first 2 shown]
	v_mov_b32_dpp v78, v19 row_shr:8 row_mask:0xf bank_mask:0xf
	v_cndmask_b32_e32 v77, 0, v78, vcc
	v_add_u32_e32 v19, v19, v77
	v_bfe_i32 v78, v61, 4, 1
	v_cmp_lt_u32_e32 vcc, 31, v61
	v_mov_b32_dpp v77, v19 row_bcast:15 row_mask:0xf bank_mask:0xf
	v_and_b32_e32 v77, v78, v77
	v_add_u32_e32 v19, v19, v77
	s_nop 1
	v_mov_b32_dpp v77, v19 row_bcast:31 row_mask:0xf bank_mask:0xf
	v_cndmask_b32_e32 v77, 0, v77, vcc
	v_add_u32_e32 v19, v19, v77
	v_lshrrev_b32_e32 v77, 6, v36
	v_cmp_eq_u32_e32 vcc, v63, v36
	s_and_saveexec_b64 s[16:17], vcc
	s_cbranch_execz .LBB105_79
; %bb.78:
	v_lshlrev_b32_e32 v63, 2, v77
	ds_write_b32 v63, v19
.LBB105_79:
	s_or_b64 exec, exec, s[16:17]
	v_cmp_gt_u32_e32 vcc, 8, v36
	s_waitcnt lgkmcnt(0)
	s_barrier
	s_and_saveexec_b64 s[16:17], vcc
	s_cbranch_execz .LBB105_81
; %bb.80:
	v_lshlrev_b32_e32 v63, 2, v36
	ds_read_b32 v78, v63
	v_and_b32_e32 v79, 7, v61
	v_cmp_ne_u32_e32 vcc, 0, v79
	s_waitcnt lgkmcnt(0)
	v_mov_b32_dpp v80, v78 row_shr:1 row_mask:0xf bank_mask:0xf
	v_cndmask_b32_e32 v80, 0, v80, vcc
	v_add_u32_e32 v78, v80, v78
	v_cmp_lt_u32_e32 vcc, 1, v79
	s_nop 0
	v_mov_b32_dpp v80, v78 row_shr:2 row_mask:0xf bank_mask:0xf
	v_cndmask_b32_e32 v80, 0, v80, vcc
	v_add_u32_e32 v78, v78, v80
	v_cmp_lt_u32_e32 vcc, 3, v79
	s_nop 0
	v_mov_b32_dpp v80, v78 row_shr:4 row_mask:0xf bank_mask:0xf
	v_cndmask_b32_e32 v79, 0, v80, vcc
	v_add_u32_e32 v78, v78, v79
	ds_write_b32 v63, v78
.LBB105_81:
	s_or_b64 exec, exec, s[16:17]
	v_cmp_lt_u32_e32 vcc, 63, v36
	v_mov_b32_e32 v63, 0
	s_waitcnt lgkmcnt(0)
	s_barrier
	s_and_saveexec_b64 s[16:17], vcc
	s_cbranch_execz .LBB105_83
; %bb.82:
	v_lshl_add_u32 v63, v77, 2, -4
	ds_read_b32 v63, v63
.LBB105_83:
	s_or_b64 exec, exec, s[16:17]
	v_add_u32_e32 v77, -1, v61
	v_and_b32_e32 v78, 64, v61
	v_cmp_lt_i32_e32 vcc, v77, v78
	v_cndmask_b32_e32 v77, v77, v61, vcc
	s_waitcnt lgkmcnt(0)
	v_add_u32_e32 v19, v63, v19
	v_lshlrev_b32_e32 v77, 2, v77
	ds_bpermute_b32 v19, v77, v19
	v_cmp_eq_u32_e32 vcc, 0, v61
	s_movk_i32 s16, 0x7f
	s_waitcnt lgkmcnt(0)
	v_cndmask_b32_e32 v19, v19, v63, vcc
	v_cmp_ne_u32_e32 vcc, 0, v36
	v_cndmask_b32_e32 v19, 0, v19, vcc
	v_add_u32_e32 v16, v19, v16
	v_add_u32_e32 v17, v16, v17
	;; [unrolled: 1-line block ×3, first 2 shown]
	ds_write2_b32 v62, v19, v16 offset0:8 offset1:9
	ds_write2_b32 v75, v17, v18 offset0:2 offset1:3
	s_waitcnt lgkmcnt(0)
	s_barrier
	ds_read_b32 v16, v28 offset:32
	ds_read_b32 v17, v31 offset:32
	;; [unrolled: 1-line block ×8, first 2 shown]
	s_waitcnt lgkmcnt(7)
	v_add_u32_e32 v29, v16, v29
	s_waitcnt lgkmcnt(6)
	v_add3_u32 v30, v32, v30, v17
	s_waitcnt lgkmcnt(5)
	v_add3_u32 v18, v40, v33, v18
	s_waitcnt lgkmcnt(4)
	v_add3_u32 v19, v64, v42, v19
	s_waitcnt lgkmcnt(3)
	v_add3_u32 v28, v67, v65, v28
	s_waitcnt lgkmcnt(2)
	v_add3_u32 v31, v70, v68, v31
	s_waitcnt lgkmcnt(1)
	v_add3_u32 v32, v73, v71, v36
	s_waitcnt lgkmcnt(0)
	v_add3_u32 v33, v76, v38, v39
	s_barrier
	ds_write_b8 v29, v20
	ds_write_b8 v30, v21
	ds_write_b8 v18, v22
	ds_write_b8 v19, v23
	ds_write_b8 v28, v24
	ds_write_b8 v31, v25
	ds_write_b8 v32, v26
	ds_write_b8 v33, v27
	v_lshlrev_b32_e32 v20, 3, v29
	s_waitcnt lgkmcnt(0)
	s_barrier
	ds_read_b64 v[16:17], v53
	s_waitcnt lgkmcnt(0)
	s_barrier
	ds_write_b64 v20, v[12:13]
	v_lshlrev_b32_e32 v12, 3, v30
	ds_write_b64 v12, v[14:15]
	v_lshlrev_b32_e32 v12, 3, v18
	;; [unrolled: 2-line block ×8, first 2 shown]
	s_waitcnt lgkmcnt(0)
	s_barrier
	ds_read2_b64 v[18:21], v0 offset1:1
	ds_read2_b64 v[22:25], v0 offset0:2 offset1:3
	ds_read2_b64 v[26:29], v0 offset0:4 offset1:5
	;; [unrolled: 1-line block ×3, first 2 shown]
	v_lshrrev_b32_e32 v36, 8, v16
	v_lshrrev_b32_e32 v38, 8, v17
	v_xor_b32_e32 v0, 0x7f, v16
	v_xor_b32_sdwa v1, v36, s16 dst_sel:BYTE_1 dst_unused:UNUSED_PAD src0_sel:DWORD src1_sel:DWORD
	v_xor_b32_sdwa v2, v16, s16 dst_sel:DWORD dst_unused:UNUSED_PAD src0_sel:WORD_1 src1_sel:DWORD
	v_xor_b32_sdwa v3, v16, s16 dst_sel:BYTE_1 dst_unused:UNUSED_PAD src0_sel:BYTE_3 src1_sel:DWORD
	v_xor_b32_e32 v4, 0x7f, v17
	v_xor_b32_sdwa v5, v38, s16 dst_sel:BYTE_1 dst_unused:UNUSED_PAD src0_sel:DWORD src1_sel:DWORD
	v_xor_b32_sdwa v6, v17, s16 dst_sel:DWORD dst_unused:UNUSED_PAD src0_sel:WORD_1 src1_sel:DWORD
	v_xor_b32_sdwa v7, v17, s16 dst_sel:BYTE_1 dst_unused:UNUSED_PAD src0_sel:BYTE_3 src1_sel:DWORD
	v_or_b32_sdwa v0, v0, v1 dst_sel:DWORD dst_unused:UNUSED_PAD src0_sel:BYTE_0 src1_sel:DWORD
	v_or_b32_sdwa v1, v2, v3 dst_sel:WORD_1 dst_unused:UNUSED_PAD src0_sel:BYTE_0 src1_sel:DWORD
	v_or_b32_sdwa v0, v0, v1 dst_sel:DWORD dst_unused:UNUSED_PAD src0_sel:WORD_0 src1_sel:DWORD
	v_or_b32_sdwa v1, v4, v5 dst_sel:DWORD dst_unused:UNUSED_PAD src0_sel:BYTE_0 src1_sel:DWORD
	v_or_b32_sdwa v2, v6, v7 dst_sel:WORD_1 dst_unused:UNUSED_PAD src0_sel:BYTE_0 src1_sel:DWORD
	v_or_b32_sdwa v1, v1, v2 dst_sel:DWORD dst_unused:UNUSED_PAD src0_sel:WORD_0 src1_sel:DWORD
.LBB105_84:
	s_waitcnt lgkmcnt(0)
	s_barrier
	ds_write_b64 v52, v[0:1]
	s_waitcnt lgkmcnt(0)
	s_barrier
	ds_read_u8 v8, v45 offset:512
	ds_read_u8 v7, v46 offset:1024
	ds_read_u8 v6, v47 offset:1536
	ds_read_u8 v5, v48 offset:2048
	ds_read_u8 v4, v49 offset:2560
	ds_read_u8 v3, v50 offset:3072
	ds_read_u8 v2, v51 offset:3584
	v_mov_b32_e32 v1, s41
	v_add_co_u32_e32 v0, vcc, s40, v37
	v_addc_co_u32_e32 v1, vcc, 0, v1, vcc
	s_and_saveexec_b64 s[16:17], s[0:1]
	s_cbranch_execnz .LBB105_103
; %bb.85:
	s_or_b64 exec, exec, s[16:17]
	s_and_saveexec_b64 s[16:17], s[2:3]
	s_cbranch_execnz .LBB105_104
.LBB105_86:
	s_or_b64 exec, exec, s[16:17]
	s_and_saveexec_b64 s[16:17], s[4:5]
	s_cbranch_execnz .LBB105_105
.LBB105_87:
	s_or_b64 exec, exec, s[16:17]
	s_and_saveexec_b64 s[16:17], s[6:7]
	s_cbranch_execnz .LBB105_106
.LBB105_88:
	s_or_b64 exec, exec, s[16:17]
	s_and_saveexec_b64 s[16:17], s[8:9]
	s_cbranch_execnz .LBB105_107
.LBB105_89:
	s_or_b64 exec, exec, s[16:17]
	s_and_saveexec_b64 s[16:17], s[10:11]
	s_cbranch_execnz .LBB105_108
.LBB105_90:
	s_or_b64 exec, exec, s[16:17]
	s_and_saveexec_b64 s[16:17], s[12:13]
	s_cbranch_execnz .LBB105_109
.LBB105_91:
	s_or_b64 exec, exec, s[16:17]
	s_and_saveexec_b64 s[16:17], s[14:15]
	s_cbranch_execz .LBB105_93
.LBB105_92:
	s_mul_i32 s18, s38, 0xe00
	v_add_co_u32_e32 v0, vcc, s18, v0
	v_addc_co_u32_e32 v1, vcc, 0, v1, vcc
	s_waitcnt lgkmcnt(0)
	global_store_byte v[0:1], v2, off
.LBB105_93:
	s_or_b64 exec, exec, s[16:17]
	s_waitcnt lgkmcnt(0)
	s_barrier
	ds_write2_b64 v60, v[18:19], v[20:21] offset1:1
	ds_write2_b64 v60, v[22:23], v[24:25] offset0:2 offset1:3
	ds_write2_b64 v60, v[26:27], v[28:29] offset0:4 offset1:5
	ds_write2_b64 v60, v[30:31], v[32:33] offset0:6 offset1:7
	s_waitcnt lgkmcnt(0)
	s_barrier
	ds_read_b64 v[14:15], v35 offset:4096
	ds_read_b64 v[12:13], v54 offset:8192
	;; [unrolled: 1-line block ×7, first 2 shown]
	v_mov_b32_e32 v35, 0
	v_lshlrev_b64 v[2:3], 3, v[34:35]
	v_mov_b32_e32 v16, s35
	v_add_co_u32_e32 v2, vcc, s33, v2
	v_addc_co_u32_e32 v3, vcc, v16, v3, vcc
	s_and_saveexec_b64 s[16:17], s[0:1]
	s_cbranch_execnz .LBB105_110
; %bb.94:
	s_or_b64 exec, exec, s[16:17]
	s_and_saveexec_b64 s[0:1], s[2:3]
	s_cbranch_execnz .LBB105_111
.LBB105_95:
	s_or_b64 exec, exec, s[0:1]
	s_and_saveexec_b64 s[0:1], s[4:5]
	s_cbranch_execnz .LBB105_112
.LBB105_96:
	s_or_b64 exec, exec, s[0:1]
	s_and_saveexec_b64 s[0:1], s[6:7]
	s_cbranch_execnz .LBB105_113
.LBB105_97:
	s_or_b64 exec, exec, s[0:1]
	s_and_saveexec_b64 s[0:1], s[8:9]
	s_cbranch_execnz .LBB105_114
.LBB105_98:
	s_or_b64 exec, exec, s[0:1]
	s_and_saveexec_b64 s[0:1], s[10:11]
	s_cbranch_execnz .LBB105_115
.LBB105_99:
	s_or_b64 exec, exec, s[0:1]
	s_and_saveexec_b64 s[0:1], s[12:13]
	s_cbranch_execnz .LBB105_116
.LBB105_100:
	s_or_b64 exec, exec, s[0:1]
	s_and_saveexec_b64 s[0:1], s[14:15]
	s_cbranch_execz .LBB105_102
.LBB105_101:
	s_mul_i32 s0, s34, 0xe00
	s_mov_b32 s1, 0
	s_lshl_b64 s[0:1], s[0:1], 3
	s_waitcnt lgkmcnt(1)
	v_mov_b32_e32 v4, s1
	v_add_co_u32_e32 v2, vcc, s0, v2
	v_addc_co_u32_e32 v3, vcc, v3, v4, vcc
	s_waitcnt lgkmcnt(0)
	global_store_dwordx2 v[2:3], v[0:1], off
.LBB105_102:
	s_endpgm
.LBB105_103:
	ds_read_u8 v9, v44
	s_waitcnt lgkmcnt(0)
	global_store_byte v[0:1], v9, off
	s_or_b64 exec, exec, s[16:17]
	s_and_saveexec_b64 s[16:17], s[2:3]
	s_cbranch_execz .LBB105_86
.LBB105_104:
	s_lshl_b32 s18, s38, 9
	v_add_co_u32_e32 v10, vcc, s18, v0
	v_addc_co_u32_e32 v11, vcc, 0, v1, vcc
	s_waitcnt lgkmcnt(6)
	global_store_byte v[10:11], v8, off
	s_or_b64 exec, exec, s[16:17]
	s_and_saveexec_b64 s[16:17], s[4:5]
	s_cbranch_execz .LBB105_87
.LBB105_105:
	s_lshl_b32 s18, s38, 10
	s_waitcnt lgkmcnt(6)
	v_add_co_u32_e32 v8, vcc, s18, v0
	v_addc_co_u32_e32 v9, vcc, 0, v1, vcc
	s_waitcnt lgkmcnt(5)
	global_store_byte v[8:9], v7, off
	s_or_b64 exec, exec, s[16:17]
	s_and_saveexec_b64 s[16:17], s[6:7]
	s_cbranch_execz .LBB105_88
.LBB105_106:
	s_mul_i32 s18, s38, 0x600
	s_waitcnt lgkmcnt(6)
	v_add_co_u32_e32 v8, vcc, s18, v0
	v_addc_co_u32_e32 v9, vcc, 0, v1, vcc
	s_waitcnt lgkmcnt(4)
	global_store_byte v[8:9], v6, off
	s_or_b64 exec, exec, s[16:17]
	s_and_saveexec_b64 s[16:17], s[8:9]
	s_cbranch_execz .LBB105_89
.LBB105_107:
	s_lshl_b32 s18, s38, 11
	s_waitcnt lgkmcnt(4)
	v_add_co_u32_e32 v6, vcc, s18, v0
	v_addc_co_u32_e32 v7, vcc, 0, v1, vcc
	s_waitcnt lgkmcnt(3)
	global_store_byte v[6:7], v5, off
	s_or_b64 exec, exec, s[16:17]
	s_and_saveexec_b64 s[16:17], s[10:11]
	s_cbranch_execz .LBB105_90
.LBB105_108:
	s_mul_i32 s18, s38, 0xa00
	s_waitcnt lgkmcnt(4)
	v_add_co_u32_e32 v6, vcc, s18, v0
	v_addc_co_u32_e32 v7, vcc, 0, v1, vcc
	s_waitcnt lgkmcnt(2)
	global_store_byte v[6:7], v4, off
	s_or_b64 exec, exec, s[16:17]
	s_and_saveexec_b64 s[16:17], s[12:13]
	s_cbranch_execz .LBB105_91
.LBB105_109:
	s_mul_i32 s18, s38, 0xc00
	s_waitcnt lgkmcnt(2)
	v_add_co_u32_e32 v4, vcc, s18, v0
	v_addc_co_u32_e32 v5, vcc, 0, v1, vcc
	s_waitcnt lgkmcnt(1)
	global_store_byte v[4:5], v3, off
	s_or_b64 exec, exec, s[16:17]
	s_and_saveexec_b64 s[16:17], s[14:15]
	s_cbranch_execnz .LBB105_92
	s_branch .LBB105_93
.LBB105_110:
	ds_read_b64 v[16:17], v41
	s_waitcnt lgkmcnt(0)
	global_store_dwordx2 v[2:3], v[16:17], off
	s_or_b64 exec, exec, s[16:17]
	s_and_saveexec_b64 s[0:1], s[2:3]
	s_cbranch_execz .LBB105_95
.LBB105_111:
	s_lshl_b32 s2, s34, 9
	s_mov_b32 s3, 0
	s_lshl_b64 s[2:3], s[2:3], 3
	v_mov_b32_e32 v17, s3
	v_add_co_u32_e32 v16, vcc, s2, v2
	v_addc_co_u32_e32 v17, vcc, v3, v17, vcc
	s_waitcnt lgkmcnt(6)
	global_store_dwordx2 v[16:17], v[14:15], off
	s_or_b64 exec, exec, s[0:1]
	s_and_saveexec_b64 s[0:1], s[4:5]
	s_cbranch_execz .LBB105_96
.LBB105_112:
	s_lshl_b32 s2, s34, 10
	s_mov_b32 s3, 0
	s_lshl_b64 s[2:3], s[2:3], 3
	s_waitcnt lgkmcnt(6)
	v_mov_b32_e32 v15, s3
	v_add_co_u32_e32 v14, vcc, s2, v2
	v_addc_co_u32_e32 v15, vcc, v3, v15, vcc
	s_waitcnt lgkmcnt(5)
	global_store_dwordx2 v[14:15], v[12:13], off
	s_or_b64 exec, exec, s[0:1]
	s_and_saveexec_b64 s[0:1], s[6:7]
	s_cbranch_execz .LBB105_97
.LBB105_113:
	s_mul_i32 s2, s34, 0x600
	s_mov_b32 s3, 0
	s_lshl_b64 s[2:3], s[2:3], 3
	s_waitcnt lgkmcnt(5)
	v_mov_b32_e32 v13, s3
	v_add_co_u32_e32 v12, vcc, s2, v2
	v_addc_co_u32_e32 v13, vcc, v3, v13, vcc
	s_waitcnt lgkmcnt(4)
	global_store_dwordx2 v[12:13], v[10:11], off
	s_or_b64 exec, exec, s[0:1]
	s_and_saveexec_b64 s[0:1], s[8:9]
	s_cbranch_execz .LBB105_98
.LBB105_114:
	s_lshl_b32 s2, s34, 11
	s_mov_b32 s3, 0
	s_lshl_b64 s[2:3], s[2:3], 3
	s_waitcnt lgkmcnt(4)
	v_mov_b32_e32 v11, s3
	v_add_co_u32_e32 v10, vcc, s2, v2
	v_addc_co_u32_e32 v11, vcc, v3, v11, vcc
	s_waitcnt lgkmcnt(3)
	global_store_dwordx2 v[10:11], v[8:9], off
	s_or_b64 exec, exec, s[0:1]
	s_and_saveexec_b64 s[0:1], s[10:11]
	s_cbranch_execz .LBB105_99
.LBB105_115:
	s_mul_i32 s2, s34, 0xa00
	s_mov_b32 s3, 0
	s_lshl_b64 s[2:3], s[2:3], 3
	s_waitcnt lgkmcnt(3)
	v_mov_b32_e32 v9, s3
	v_add_co_u32_e32 v8, vcc, s2, v2
	v_addc_co_u32_e32 v9, vcc, v3, v9, vcc
	s_waitcnt lgkmcnt(2)
	global_store_dwordx2 v[8:9], v[6:7], off
	s_or_b64 exec, exec, s[0:1]
	s_and_saveexec_b64 s[0:1], s[12:13]
	s_cbranch_execz .LBB105_100
.LBB105_116:
	s_mul_i32 s2, s34, 0xc00
	s_mov_b32 s3, 0
	s_lshl_b64 s[2:3], s[2:3], 3
	s_waitcnt lgkmcnt(2)
	v_mov_b32_e32 v7, s3
	v_add_co_u32_e32 v6, vcc, s2, v2
	v_addc_co_u32_e32 v7, vcc, v3, v7, vcc
	s_waitcnt lgkmcnt(1)
	global_store_dwordx2 v[6:7], v[4:5], off
	s_or_b64 exec, exec, s[0:1]
	s_and_saveexec_b64 s[0:1], s[14:15]
	s_cbranch_execnz .LBB105_101
	s_branch .LBB105_102
	.section	.rodata,"a",@progbits
	.p2align	6, 0x0
	.amdhsa_kernel _ZN2at6native18radixSortKVInPlaceILi2ELin1ELi512ELi8EaljEEvNS_4cuda6detail10TensorInfoIT3_T5_EES6_S6_S6_NS4_IT4_S6_EES6_b
		.amdhsa_group_segment_fixed_size 33792
		.amdhsa_private_segment_fixed_size 0
		.amdhsa_kernarg_size 712
		.amdhsa_user_sgpr_count 6
		.amdhsa_user_sgpr_private_segment_buffer 1
		.amdhsa_user_sgpr_dispatch_ptr 0
		.amdhsa_user_sgpr_queue_ptr 0
		.amdhsa_user_sgpr_kernarg_segment_ptr 1
		.amdhsa_user_sgpr_dispatch_id 0
		.amdhsa_user_sgpr_flat_scratch_init 0
		.amdhsa_user_sgpr_kernarg_preload_length 0
		.amdhsa_user_sgpr_kernarg_preload_offset 0
		.amdhsa_user_sgpr_private_segment_size 0
		.amdhsa_uses_dynamic_stack 0
		.amdhsa_system_sgpr_private_segment_wavefront_offset 0
		.amdhsa_system_sgpr_workgroup_id_x 1
		.amdhsa_system_sgpr_workgroup_id_y 1
		.amdhsa_system_sgpr_workgroup_id_z 1
		.amdhsa_system_sgpr_workgroup_info 0
		.amdhsa_system_vgpr_workitem_id 2
		.amdhsa_next_free_vgpr 109
		.amdhsa_next_free_sgpr 46
		.amdhsa_accum_offset 112
		.amdhsa_reserve_vcc 1
		.amdhsa_reserve_flat_scratch 0
		.amdhsa_float_round_mode_32 0
		.amdhsa_float_round_mode_16_64 0
		.amdhsa_float_denorm_mode_32 3
		.amdhsa_float_denorm_mode_16_64 3
		.amdhsa_dx10_clamp 1
		.amdhsa_ieee_mode 1
		.amdhsa_fp16_overflow 0
		.amdhsa_tg_split 0
		.amdhsa_exception_fp_ieee_invalid_op 0
		.amdhsa_exception_fp_denorm_src 0
		.amdhsa_exception_fp_ieee_div_zero 0
		.amdhsa_exception_fp_ieee_overflow 0
		.amdhsa_exception_fp_ieee_underflow 0
		.amdhsa_exception_fp_ieee_inexact 0
		.amdhsa_exception_int_div_zero 0
	.end_amdhsa_kernel
	.section	.text._ZN2at6native18radixSortKVInPlaceILi2ELin1ELi512ELi8EaljEEvNS_4cuda6detail10TensorInfoIT3_T5_EES6_S6_S6_NS4_IT4_S6_EES6_b,"axG",@progbits,_ZN2at6native18radixSortKVInPlaceILi2ELin1ELi512ELi8EaljEEvNS_4cuda6detail10TensorInfoIT3_T5_EES6_S6_S6_NS4_IT4_S6_EES6_b,comdat
.Lfunc_end105:
	.size	_ZN2at6native18radixSortKVInPlaceILi2ELin1ELi512ELi8EaljEEvNS_4cuda6detail10TensorInfoIT3_T5_EES6_S6_S6_NS4_IT4_S6_EES6_b, .Lfunc_end105-_ZN2at6native18radixSortKVInPlaceILi2ELin1ELi512ELi8EaljEEvNS_4cuda6detail10TensorInfoIT3_T5_EES6_S6_S6_NS4_IT4_S6_EES6_b
                                        ; -- End function
	.section	.AMDGPU.csdata,"",@progbits
; Kernel info:
; codeLenInByte = 12084
; NumSgprs: 50
; NumVgprs: 109
; NumAgprs: 0
; TotalNumVgprs: 109
; ScratchSize: 0
; MemoryBound: 0
; FloatMode: 240
; IeeeMode: 1
; LDSByteSize: 33792 bytes/workgroup (compile time only)
; SGPRBlocks: 6
; VGPRBlocks: 13
; NumSGPRsForWavesPerEU: 50
; NumVGPRsForWavesPerEU: 109
; AccumOffset: 112
; Occupancy: 2
; WaveLimiterHint : 1
; COMPUTE_PGM_RSRC2:SCRATCH_EN: 0
; COMPUTE_PGM_RSRC2:USER_SGPR: 6
; COMPUTE_PGM_RSRC2:TRAP_HANDLER: 0
; COMPUTE_PGM_RSRC2:TGID_X_EN: 1
; COMPUTE_PGM_RSRC2:TGID_Y_EN: 1
; COMPUTE_PGM_RSRC2:TGID_Z_EN: 1
; COMPUTE_PGM_RSRC2:TIDIG_COMP_CNT: 2
; COMPUTE_PGM_RSRC3_GFX90A:ACCUM_OFFSET: 27
; COMPUTE_PGM_RSRC3_GFX90A:TG_SPLIT: 0
	.section	.text._ZN2at6native18radixSortKVInPlaceILi2ELin1ELi256ELi8EaljEEvNS_4cuda6detail10TensorInfoIT3_T5_EES6_S6_S6_NS4_IT4_S6_EES6_b,"axG",@progbits,_ZN2at6native18radixSortKVInPlaceILi2ELin1ELi256ELi8EaljEEvNS_4cuda6detail10TensorInfoIT3_T5_EES6_S6_S6_NS4_IT4_S6_EES6_b,comdat
	.protected	_ZN2at6native18radixSortKVInPlaceILi2ELin1ELi256ELi8EaljEEvNS_4cuda6detail10TensorInfoIT3_T5_EES6_S6_S6_NS4_IT4_S6_EES6_b ; -- Begin function _ZN2at6native18radixSortKVInPlaceILi2ELin1ELi256ELi8EaljEEvNS_4cuda6detail10TensorInfoIT3_T5_EES6_S6_S6_NS4_IT4_S6_EES6_b
	.globl	_ZN2at6native18radixSortKVInPlaceILi2ELin1ELi256ELi8EaljEEvNS_4cuda6detail10TensorInfoIT3_T5_EES6_S6_S6_NS4_IT4_S6_EES6_b
	.p2align	8
	.type	_ZN2at6native18radixSortKVInPlaceILi2ELin1ELi256ELi8EaljEEvNS_4cuda6detail10TensorInfoIT3_T5_EES6_S6_S6_NS4_IT4_S6_EES6_b,@function
_ZN2at6native18radixSortKVInPlaceILi2ELin1ELi256ELi8EaljEEvNS_4cuda6detail10TensorInfoIT3_T5_EES6_S6_S6_NS4_IT4_S6_EES6_b: ; @_ZN2at6native18radixSortKVInPlaceILi2ELin1ELi256ELi8EaljEEvNS_4cuda6detail10TensorInfoIT3_T5_EES6_S6_S6_NS4_IT4_S6_EES6_b
; %bb.0:
	s_load_dwordx2 s[0:1], s[4:5], 0x1c8
	s_load_dwordx4 s[36:39], s[4:5], 0xd8
	s_add_u32 s42, s4, 0x1c8
	s_addc_u32 s43, s5, 0
	s_waitcnt lgkmcnt(0)
	s_mul_i32 s1, s1, s8
	s_add_i32 s1, s1, s7
	s_mul_i32 s8, s1, s0
	s_add_i32 s8, s8, s6
	s_cmp_ge_u32 s8, s36
	s_cbranch_scc1 .LBB106_102
; %bb.1:
	s_load_dword s9, s[4:5], 0xc
	s_load_dwordx2 s[0:1], s[4:5], 0x6c
	s_load_dword s6, s[4:5], 0x1b8
	s_add_u32 s14, s4, 0xe8
	s_load_dwordx2 s[2:3], s[4:5], 0x0
	s_waitcnt lgkmcnt(0)
	v_cvt_f32_u32_e32 v1, s9
	s_addc_u32 s15, s5, 0
	s_sub_i32 s7, 0, s9
	s_mov_b32 s17, 0
	v_rcp_iflag_f32_e32 v1, v1
	s_mov_b32 s16, s8
	v_mul_f32_e32 v1, 0x4f7ffffe, v1
	v_cvt_u32_f32_e32 v1, v1
	v_readfirstlane_b32 s10, v1
	s_mul_i32 s7, s7, s10
	s_mul_hi_u32 s7, s10, s7
	s_add_i32 s10, s10, s7
	s_mul_hi_u32 s10, s8, s10
	s_cmp_lt_i32 s6, 2
	s_cbranch_scc1 .LBB106_4
; %bb.2:
	s_add_i32 s16, s6, -1
	s_add_i32 s11, s6, 1
	s_lshl_b64 s[6:7], s[16:17], 2
	s_add_u32 s6, s6, s14
	s_addc_u32 s7, s7, s15
	s_add_u32 s6, s6, 8
	s_addc_u32 s7, s7, 0
	s_mov_b32 s16, s8
.LBB106_3:                              ; =>This Inner Loop Header: Depth=1
	s_load_dword s12, s[6:7], 0x0
	s_load_dword s18, s[6:7], 0x64
	s_mov_b32 s13, s16
	s_waitcnt lgkmcnt(0)
	v_cvt_f32_u32_e32 v1, s12
	s_sub_i32 s16, 0, s12
	v_rcp_iflag_f32_e32 v1, v1
	v_mul_f32_e32 v1, 0x4f7ffffe, v1
	v_cvt_u32_f32_e32 v1, v1
	v_readfirstlane_b32 s19, v1
	s_mul_i32 s16, s16, s19
	s_mul_hi_u32 s16, s19, s16
	s_add_i32 s19, s19, s16
	s_mul_hi_u32 s16, s13, s19
	s_mul_i32 s19, s16, s12
	s_sub_i32 s19, s13, s19
	s_add_i32 s20, s16, 1
	s_sub_i32 s21, s19, s12
	s_cmp_ge_u32 s19, s12
	s_cselect_b32 s16, s20, s16
	s_cselect_b32 s19, s21, s19
	s_add_i32 s20, s16, 1
	s_cmp_ge_u32 s19, s12
	s_cselect_b32 s16, s20, s16
	s_mul_i32 s12, s16, s12
	s_sub_i32 s12, s13, s12
	s_mul_i32 s12, s18, s12
	s_add_i32 s11, s11, -1
	s_add_i32 s17, s12, s17
	s_add_u32 s6, s6, -4
	s_addc_u32 s7, s7, -1
	s_cmp_gt_u32 s11, 2
	s_cbranch_scc1 .LBB106_3
.LBB106_4:
	s_mul_i32 s6, s10, s9
	s_sub_i32 s6, s8, s6
	s_add_i32 s7, s10, 1
	s_sub_i32 s11, s6, s9
	s_cmp_ge_u32 s6, s9
	s_cselect_b32 s7, s7, s10
	s_cselect_b32 s6, s11, s6
	s_add_i32 s10, s7, 1
	s_cmp_ge_u32 s6, s9
	s_cselect_b32 s6, s10, s7
	s_load_dwordx2 s[34:35], s[4:5], 0x1c0
	s_mul_i32 s7, s6, s9
	s_sub_i32 s4, s8, s7
	s_mul_i32 s4, s4, s1
	s_mul_i32 s0, s6, s0
	s_add_i32 s4, s0, s4
	s_waitcnt lgkmcnt(0)
	s_bitcmp1_b32 s35, 0
	s_cselect_b64 s[44:45], -1, 0
	s_movk_i32 s5, 0x80
	s_and_b64 s[0:1], s[44:45], exec
	s_cselect_b32 s0, s5, 0x7f
	v_lshlrev_b16_e64 v2, 8, s0
	v_or_b32_e32 v2, s0, v2
	v_lshlrev_b32_e32 v3, 16, v2
	s_add_u32 s40, s2, s4
	v_and_b32_e32 v36, 0x3ff, v0
	v_or_b32_sdwa v2, v2, v3 dst_sel:DWORD dst_unused:UNUSED_PAD src0_sel:WORD_0 src1_sel:DWORD
	s_addc_u32 s41, s3, 0
	v_mov_b32_e32 v1, s0
	v_mov_b32_e32 v3, v2
	v_cmp_gt_u32_e64 s[0:1], s37, v36
	v_mul_lo_u32 v37, v36, s38
	s_and_saveexec_b64 s[2:3], s[0:1]
	s_cbranch_execz .LBB106_6
; %bb.5:
	global_load_ubyte v1, v37, s[40:41]
	s_mov_b32 s4, 0x3020104
	v_mov_b32_e32 v5, v2
	s_waitcnt vmcnt(0)
	v_perm_b32 v4, v1, v2, s4
	v_pk_mov_b32 v[2:3], v[4:5], v[4:5] op_sel:[0,1]
.LBB106_6:
	s_or_b64 exec, exec, s[2:3]
	v_add_u32_e32 v32, 0x100, v36
	v_cmp_gt_u32_e64 s[2:3], s37, v32
	s_and_saveexec_b64 s[4:5], s[2:3]
	s_cbranch_execz .LBB106_8
; %bb.7:
	v_mul_lo_u32 v4, v32, s38
	global_load_ubyte v4, v4, s[40:41]
	s_mov_b32 s6, 0x7060004
	s_waitcnt vmcnt(0)
	v_perm_b32 v2, v2, v4, s6
.LBB106_8:
	s_or_b64 exec, exec, s[4:5]
	v_add_u32_e32 v31, 0x200, v36
	v_cmp_gt_u32_e64 s[4:5], s37, v31
	s_and_saveexec_b64 s[6:7], s[4:5]
	s_cbranch_execz .LBB106_10
; %bb.9:
	v_mul_lo_u32 v4, v31, s38
	global_load_ubyte v4, v4, s[40:41]
	s_movk_i32 s8, 0xff00
	v_and_b32_sdwa v5, v2, s8 dst_sel:DWORD dst_unused:UNUSED_PAD src0_sel:WORD_1 src1_sel:DWORD
	s_mov_b32 s8, 0xffff
	s_waitcnt vmcnt(0)
	v_or_b32_sdwa v4, v4, v5 dst_sel:WORD_1 dst_unused:UNUSED_PAD src0_sel:DWORD src1_sel:DWORD
	v_and_or_b32 v2, v2, s8, v4
.LBB106_10:
	s_or_b64 exec, exec, s[6:7]
	v_add_u32_e32 v30, 0x300, v36
	v_cmp_gt_u32_e64 s[6:7], s37, v30
	s_and_saveexec_b64 s[8:9], s[6:7]
	s_cbranch_execz .LBB106_12
; %bb.11:
	v_mul_lo_u32 v4, v30, s38
	global_load_ubyte v4, v4, s[40:41]
	s_movk_i32 s10, 0xff
	v_and_b32_sdwa v5, v2, s10 dst_sel:DWORD dst_unused:UNUSED_PAD src0_sel:WORD_1 src1_sel:DWORD
	s_mov_b32 s10, 0xffff
	s_waitcnt vmcnt(0)
	v_lshlrev_b16_e32 v4, 8, v4
	v_or_b32_sdwa v4, v5, v4 dst_sel:WORD_1 dst_unused:UNUSED_PAD src0_sel:DWORD src1_sel:DWORD
	v_and_or_b32 v2, v2, s10, v4
.LBB106_12:
	s_or_b64 exec, exec, s[8:9]
	v_or_b32_e32 v29, 0x400, v36
	v_cmp_gt_u32_e64 s[8:9], s37, v29
	s_and_saveexec_b64 s[10:11], s[8:9]
	s_cbranch_execz .LBB106_14
; %bb.13:
	v_mul_lo_u32 v4, v29, s38
	global_load_ubyte v4, v4, s[40:41]
	s_mov_b32 s12, 0x3020104
	s_waitcnt vmcnt(0)
	v_perm_b32 v3, v4, v3, s12
.LBB106_14:
	s_or_b64 exec, exec, s[10:11]
	v_add_u32_e32 v28, 0x500, v36
	v_cmp_gt_u32_e64 s[10:11], s37, v28
	s_and_saveexec_b64 s[12:13], s[10:11]
	s_cbranch_execz .LBB106_16
; %bb.15:
	v_mul_lo_u32 v4, v28, s38
	global_load_ubyte v4, v4, s[40:41]
	s_mov_b32 s18, 0x7060004
	s_waitcnt vmcnt(0)
	v_perm_b32 v3, v3, v4, s18
.LBB106_16:
	s_or_b64 exec, exec, s[12:13]
	s_load_dwordx2 s[18:19], s[14:15], 0x0
	v_add_u32_e32 v27, 0x600, v36
	v_cmp_gt_u32_e64 s[12:13], s37, v27
	s_and_saveexec_b64 s[20:21], s[12:13]
	s_cbranch_execz .LBB106_18
; %bb.17:
	v_mul_lo_u32 v4, v27, s38
	global_load_ubyte v4, v4, s[40:41]
	s_mov_b32 s22, 0x7000504
	s_waitcnt vmcnt(0)
	v_perm_b32 v3, v3, v4, s22
.LBB106_18:
	s_or_b64 exec, exec, s[20:21]
	s_load_dword s22, s[14:15], 0x6c
	v_add_u32_e32 v22, 0x700, v36
	v_cmp_gt_u32_e64 s[14:15], s37, v22
	s_and_saveexec_b64 s[20:21], s[14:15]
	s_cbranch_execz .LBB106_20
; %bb.19:
	v_mul_lo_u32 v4, v22, s38
	global_load_ubyte v4, v4, s[40:41]
	s_mov_b32 s23, 0x60504
	s_waitcnt vmcnt(0)
	v_perm_b32 v3, v3, v4, s23
.LBB106_20:
	s_or_b64 exec, exec, s[20:21]
	v_lshrrev_b32_e32 v26, 5, v36
	v_and_b32_e32 v4, 28, v26
	v_add_u32_e32 v44, v4, v36
	v_lshrrev_b32_e32 v25, 5, v32
	ds_write_b8 v44, v1
	v_and_b32_e32 v1, 60, v25
	v_lshrrev_b32_e32 v24, 5, v31
	v_add_u32_e32 v45, v1, v36
	v_and_b32_e32 v1, 60, v24
	v_lshrrev_b32_e32 v23, 5, v30
	v_add_u32_e32 v46, v1, v36
	v_and_b32_e32 v1, 60, v23
	v_lshrrev_b32_e32 v21, 5, v29
	v_add_u32_e32 v47, v1, v36
	v_and_b32_e32 v1, 60, v21
	v_lshrrev_b32_e32 v19, 5, v28
	v_lshrrev_b32_e32 v4, 8, v2
	v_add_u32_e32 v48, v1, v36
	v_and_b32_e32 v1, 0x7c, v19
	v_lshrrev_b32_e32 v18, 5, v27
	ds_write_b8 v45, v4 offset:256
	ds_write_b8_d16_hi v46, v2 offset:512
	v_lshrrev_b32_e32 v2, 24, v2
	v_add_u32_e32 v49, v1, v36
	v_and_b32_e32 v1, 0x7c, v18
	ds_write_b8 v47, v2 offset:768
	v_lshrrev_b32_e32 v2, 8, v3
	v_add_u32_e32 v50, v1, v36
	v_lshrrev_b32_e32 v1, 5, v22
	ds_write_b8 v48, v3 offset:1024
	ds_write_b8 v49, v2 offset:1280
	v_and_b32_e32 v2, 0x7c, v1
	v_lshrrev_b32_e32 v20, 2, v36
	v_add_u32_e32 v51, v2, v36
	v_lshlrev_b32_e32 v53, 3, v36
	v_and_b32_e32 v2, 0xfc, v20
	s_waitcnt lgkmcnt(0)
	s_mul_i32 s16, s22, s16
	ds_write_b8_d16_hi v50, v3 offset:1536
	v_lshrrev_b32_e32 v3, 24, v3
	v_add_u32_e32 v52, v2, v53
	s_add_i32 s16, s16, s17
	s_mov_b32 s17, 0
	ds_write_b8 v51, v3 offset:1792
	s_waitcnt lgkmcnt(0)
	s_barrier
	ds_read_b64 v[38:39], v52
	s_lshl_b64 s[20:21], s[16:17], 3
	s_add_u32 s33, s18, s20
	s_mov_b32 s16, s17
	s_addc_u32 s35, s19, s21
	s_mov_b32 s18, s17
	s_mov_b32 s19, s17
	;; [unrolled: 1-line block ×14, first 2 shown]
	v_pk_mov_b32 v[2:3], s[16:17], s[16:17] op_sel:[0,1]
	v_pk_mov_b32 v[4:5], s[18:19], s[18:19] op_sel:[0,1]
	;; [unrolled: 1-line block ×8, first 2 shown]
	v_pk_mov_b32 v[2:3], 0, 0
	v_mul_lo_u32 v34, v36, s34
	s_waitcnt lgkmcnt(0)
	s_barrier
	s_and_saveexec_b64 s[16:17], s[0:1]
	s_cbranch_execnz .LBB106_53
; %bb.21:
	s_or_b64 exec, exec, s[16:17]
	s_and_saveexec_b64 s[16:17], s[2:3]
	s_cbranch_execnz .LBB106_54
.LBB106_22:
	s_or_b64 exec, exec, s[16:17]
	s_and_saveexec_b64 s[16:17], s[4:5]
	s_cbranch_execnz .LBB106_55
.LBB106_23:
	s_or_b64 exec, exec, s[16:17]
	s_and_saveexec_b64 s[16:17], s[6:7]
	s_cbranch_execnz .LBB106_56
.LBB106_24:
	s_or_b64 exec, exec, s[16:17]
	s_and_saveexec_b64 s[16:17], s[8:9]
	s_cbranch_execnz .LBB106_57
.LBB106_25:
	s_or_b64 exec, exec, s[16:17]
	s_and_saveexec_b64 s[16:17], s[10:11]
	s_cbranch_execnz .LBB106_58
.LBB106_26:
	s_or_b64 exec, exec, s[16:17]
	s_and_saveexec_b64 s[16:17], s[12:13]
	s_cbranch_execnz .LBB106_59
.LBB106_27:
	s_or_b64 exec, exec, s[16:17]
	s_xor_b64 s[16:17], s[44:45], -1
	s_and_saveexec_b64 s[18:19], s[14:15]
	s_cbranch_execz .LBB106_29
.LBB106_28:
	v_mul_lo_u32 v16, v22, s34
	v_mov_b32_e32 v17, 0
	v_lshlrev_b64 v[16:17], 3, v[16:17]
	v_mov_b32_e32 v22, s35
	v_add_co_u32_e32 v16, vcc, s33, v16
	v_addc_co_u32_e32 v17, vcc, v22, v17, vcc
	global_load_dwordx2 v[16:17], v[16:17], off
.LBB106_29:
	s_or_b64 exec, exec, s[18:19]
	v_lshrrev_b64 v[40:41], 24, v[38:39]
	v_add_lshl_u32 v41, v26, v36, 3
	v_add_lshl_u32 v35, v25, v36, 3
	;; [unrolled: 1-line block ×9, first 2 shown]
	s_waitcnt vmcnt(0)
	ds_write_b64 v41, v[2:3]
	ds_write_b64 v35, v[4:5] offset:2048
	ds_write_b64 v54, v[6:7] offset:4096
	;; [unrolled: 1-line block ×7, first 2 shown]
	s_waitcnt lgkmcnt(0)
	s_barrier
	ds_read2_b64 v[14:17], v60 offset1:1
	ds_read2_b64 v[10:13], v60 offset0:2 offset1:3
	ds_read2_b64 v[6:9], v60 offset0:4 offset1:5
	;; [unrolled: 1-line block ×3, first 2 shown]
	v_mbcnt_lo_u32_b32 v1, -1, 0
	v_mbcnt_hi_u32_b32 v61, -1, v1
	v_and_b32_e32 v63, 0x3c0, v36
	s_movk_i32 s18, 0x1e00
	v_add_lshl_u32 v71, v61, v63, 3
	v_and_or_b32 v70, v53, s18, v61
	v_lshrrev_b32_e32 v64, 8, v38
	v_lshrrev_b32_e32 v67, 8, v39
	s_and_b64 vcc, exec, s[16:17]
	v_bfe_u32 v65, v0, 10, 10
	v_bfe_u32 v66, v0, 20, 10
	v_lshlrev_b32_e32 v69, 3, v71
	v_lshlrev_b32_e32 v68, 3, v70
	;; [unrolled: 1-line block ×3, first 2 shown]
	s_waitcnt lgkmcnt(0)
	s_barrier
	s_cbranch_vccz .LBB106_60
; %bb.30:
	s_movk_i32 s16, 0x80
	v_xor_b32_sdwa v0, v67, s16 dst_sel:BYTE_1 dst_unused:UNUSED_PAD src0_sel:DWORD src1_sel:DWORD
	v_xor_b32_e32 v1, 0x80, v39
	v_or_b32_sdwa v0, v1, v0 dst_sel:DWORD dst_unused:UNUSED_PAD src0_sel:BYTE_0 src1_sel:DWORD
	v_xor_b32_sdwa v1, v39, s16 dst_sel:DWORD dst_unused:UNUSED_PAD src0_sel:BYTE_3 src1_sel:DWORD
	v_lshlrev_b16_e32 v1, 8, v1
	v_xor_b32_sdwa v18, v39, s16 dst_sel:DWORD dst_unused:UNUSED_PAD src0_sel:WORD_1 src1_sel:DWORD
	v_or_b32_sdwa v1, v18, v1 dst_sel:WORD_1 dst_unused:UNUSED_PAD src0_sel:BYTE_0 src1_sel:DWORD
	v_or_b32_sdwa v1, v0, v1 dst_sel:DWORD dst_unused:UNUSED_PAD src0_sel:WORD_0 src1_sel:DWORD
	v_xor_b32_sdwa v0, v64, s16 dst_sel:BYTE_1 dst_unused:UNUSED_PAD src0_sel:DWORD src1_sel:DWORD
	v_xor_b32_e32 v18, 0x80, v38
	v_or_b32_sdwa v0, v18, v0 dst_sel:DWORD dst_unused:UNUSED_PAD src0_sel:BYTE_0 src1_sel:DWORD
	v_xor_b32_sdwa v18, v40, s16 dst_sel:BYTE_1 dst_unused:UNUSED_PAD src0_sel:DWORD src1_sel:DWORD
	v_xor_b32_sdwa v19, v38, s16 dst_sel:DWORD dst_unused:UNUSED_PAD src0_sel:WORD_1 src1_sel:DWORD
	v_or_b32_sdwa v18, v19, v18 dst_sel:WORD_1 dst_unused:UNUSED_PAD src0_sel:BYTE_0 src1_sel:DWORD
	v_or_b32_sdwa v0, v0, v18 dst_sel:DWORD dst_unused:UNUSED_PAD src0_sel:WORD_0 src1_sel:DWORD
	s_getpc_b64 s[16:17]
	s_add_u32 s16, s16, _ZN7rocprim17ROCPRIM_400000_NS16block_radix_sortIaLj256ELj8ElLj1ELj1ELj0ELNS0_26block_radix_rank_algorithmE1ELNS0_18block_padding_hintE2ELNS0_4arch9wavefront6targetE1EE19radix_bits_per_passE@rel32@lo+4
	s_addc_u32 s17, s17, _ZN7rocprim17ROCPRIM_400000_NS16block_radix_sortIaLj256ELj8ElLj1ELj1ELj0ELNS0_26block_radix_rank_algorithmE1ELNS0_18block_padding_hintE2ELNS0_4arch9wavefront6targetE1EE19radix_bits_per_passE@rel32@hi+12
	ds_write_b64 v71, v[0:1]
	; wave barrier
	ds_read_u8 v72, v70
	ds_read_u8 v73, v70 offset:64
	ds_read_u8 v74, v70 offset:128
	;; [unrolled: 1-line block ×7, first 2 shown]
	s_waitcnt lgkmcnt(0)
	s_barrier
	ds_write2_b64 v69, v[14:15], v[16:17] offset1:1
	ds_write2_b64 v69, v[10:11], v[12:13] offset0:2 offset1:3
	ds_write2_b64 v69, v[6:7], v[8:9] offset0:4 offset1:5
	;; [unrolled: 1-line block ×3, first 2 shown]
	; wave barrier
	ds_read2st64_b64 v[30:33], v68 offset1:1
	ds_read2st64_b64 v[26:29], v68 offset0:2 offset1:3
	ds_read2st64_b64 v[22:25], v68 offset0:4 offset1:5
	;; [unrolled: 1-line block ×3, first 2 shown]
	s_waitcnt lgkmcnt(0)
	s_barrier
	s_load_dword s18, s[16:17], 0x0
	s_load_dword s19, s[42:43], 0xc
	v_mov_b32_e32 v82, 2
	s_waitcnt lgkmcnt(0)
	s_min_u32 s18, s18, 8
	s_lshr_b32 s16, s19, 16
	s_and_b32 s17, s19, 0xffff
	v_mad_u32_u24 v0, v66, s16, v65
	v_mad_u64_u32 v[42:43], s[16:17], v0, s17, v[36:37]
	s_lshl_b32 s16, -1, s18
	s_not_b32 s18, s16
	v_lshrrev_b32_e32 v86, 6, v42
	v_and_b32_e32 v42, s18, v72
	v_lshlrev_b32_sdwa v1, v82, v42 dst_sel:DWORD dst_unused:UNUSED_PAD src0_sel:DWORD src1_sel:BYTE_0
	v_add_lshl_u32 v80, v86, v1, 2
	v_and_b32_e32 v1, 1, v42
	v_add_co_u32_e32 v43, vcc, -1, v1
	v_addc_co_u32_e64 v81, s[16:17], 0, -1, vcc
	v_cmp_ne_u32_e32 vcc, 0, v1
	v_xor_b32_e32 v1, vcc_hi, v81
	v_mov_b32_e32 v0, 0
	v_and_b32_e32 v81, exec_hi, v1
	v_lshlrev_b32_e32 v1, 30, v42
	v_xor_b32_e32 v43, vcc_lo, v43
	v_cmp_gt_i64_e32 vcc, 0, v[0:1]
	v_not_b32_e32 v1, v1
	v_ashrrev_i32_e32 v1, 31, v1
	v_and_b32_e32 v43, exec_lo, v43
	v_xor_b32_e32 v83, vcc_hi, v1
	v_xor_b32_e32 v1, vcc_lo, v1
	v_and_b32_e32 v43, v43, v1
	v_lshlrev_b32_e32 v1, 29, v42
	v_cmp_gt_i64_e32 vcc, 0, v[0:1]
	v_not_b32_e32 v1, v1
	v_ashrrev_i32_e32 v1, 31, v1
	v_and_b32_e32 v81, v81, v83
	v_xor_b32_e32 v83, vcc_hi, v1
	v_xor_b32_e32 v1, vcc_lo, v1
	v_and_b32_e32 v43, v43, v1
	v_lshlrev_b32_e32 v1, 28, v42
	v_cmp_gt_i64_e32 vcc, 0, v[0:1]
	v_not_b32_e32 v1, v1
	v_ashrrev_i32_e32 v1, 31, v1
	v_and_b32_e32 v81, v81, v83
	;; [unrolled: 8-line block ×5, first 2 shown]
	v_xor_b32_e32 v83, vcc_hi, v1
	v_xor_b32_e32 v1, vcc_lo, v1
	v_and_b32_e32 v81, v81, v83
	v_and_b32_e32 v83, v43, v1
	v_lshlrev_b32_e32 v1, 24, v42
	v_cmp_gt_i64_e32 vcc, 0, v[0:1]
	v_not_b32_e32 v1, v1
	v_ashrrev_i32_e32 v1, 31, v1
	v_xor_b32_e32 v42, vcc_hi, v1
	v_xor_b32_e32 v1, vcc_lo, v1
	v_and_b32_e32 v43, v81, v42
	v_and_b32_e32 v42, v83, v1
	v_mbcnt_lo_u32_b32 v1, v42, 0
	v_mbcnt_hi_u32_b32 v81, v43, v1
	v_cmp_eq_u32_e32 vcc, 0, v81
	v_cmp_ne_u64_e64 s[16:17], 0, v[42:43]
	s_and_b64 s[20:21], s[16:17], vcc
	ds_write2_b32 v62, v0, v0 offset0:4 offset1:5
	ds_write2_b32 v62, v0, v0 offset0:6 offset1:7
	s_waitcnt lgkmcnt(0)
	s_barrier
	s_waitcnt lgkmcnt(0)
	; wave barrier
	s_and_saveexec_b64 s[16:17], s[20:21]
	s_cbranch_execz .LBB106_32
; %bb.31:
	v_bcnt_u32_b32 v1, v42, 0
	v_bcnt_u32_b32 v1, v43, v1
	ds_write_b32 v80, v1 offset:16
.LBB106_32:
	s_or_b64 exec, exec, s[16:17]
	v_and_b32_e32 v42, s18, v73
	v_lshlrev_b32_sdwa v1, v82, v42 dst_sel:DWORD dst_unused:UNUSED_PAD src0_sel:DWORD src1_sel:BYTE_0
	v_add_lshl_u32 v83, v86, v1, 2
	v_and_b32_e32 v1, 1, v42
	v_add_co_u32_e32 v43, vcc, -1, v1
	v_addc_co_u32_e64 v84, s[16:17], 0, -1, vcc
	v_cmp_ne_u32_e32 vcc, 0, v1
	v_xor_b32_e32 v1, vcc_hi, v84
	v_and_b32_e32 v84, exec_hi, v1
	v_lshlrev_b32_e32 v1, 30, v42
	v_xor_b32_e32 v43, vcc_lo, v43
	v_cmp_gt_i64_e32 vcc, 0, v[0:1]
	v_not_b32_e32 v1, v1
	v_ashrrev_i32_e32 v1, 31, v1
	v_and_b32_e32 v43, exec_lo, v43
	v_xor_b32_e32 v85, vcc_hi, v1
	v_xor_b32_e32 v1, vcc_lo, v1
	v_and_b32_e32 v43, v43, v1
	v_lshlrev_b32_e32 v1, 29, v42
	v_cmp_gt_i64_e32 vcc, 0, v[0:1]
	v_not_b32_e32 v1, v1
	v_ashrrev_i32_e32 v1, 31, v1
	v_and_b32_e32 v84, v84, v85
	v_xor_b32_e32 v85, vcc_hi, v1
	v_xor_b32_e32 v1, vcc_lo, v1
	v_and_b32_e32 v43, v43, v1
	v_lshlrev_b32_e32 v1, 28, v42
	v_cmp_gt_i64_e32 vcc, 0, v[0:1]
	v_not_b32_e32 v1, v1
	v_ashrrev_i32_e32 v1, 31, v1
	v_and_b32_e32 v84, v84, v85
	;; [unrolled: 8-line block ×5, first 2 shown]
	v_xor_b32_e32 v85, vcc_hi, v1
	v_xor_b32_e32 v1, vcc_lo, v1
	v_and_b32_e32 v43, v43, v1
	v_lshlrev_b32_e32 v1, 24, v42
	v_cmp_gt_i64_e32 vcc, 0, v[0:1]
	v_not_b32_e32 v0, v1
	v_ashrrev_i32_e32 v0, 31, v0
	v_xor_b32_e32 v1, vcc_hi, v0
	v_xor_b32_e32 v0, vcc_lo, v0
	; wave barrier
	ds_read_b32 v82, v83 offset:16
	v_and_b32_e32 v84, v84, v85
	v_and_b32_e32 v0, v43, v0
	;; [unrolled: 1-line block ×3, first 2 shown]
	v_mbcnt_lo_u32_b32 v42, v0, 0
	v_mbcnt_hi_u32_b32 v84, v1, v42
	v_cmp_eq_u32_e32 vcc, 0, v84
	v_cmp_ne_u64_e64 s[16:17], 0, v[0:1]
	s_and_b64 s[20:21], s[16:17], vcc
	; wave barrier
	s_and_saveexec_b64 s[16:17], s[20:21]
	s_cbranch_execz .LBB106_34
; %bb.33:
	v_bcnt_u32_b32 v0, v0, 0
	v_bcnt_u32_b32 v0, v1, v0
	s_waitcnt lgkmcnt(0)
	v_add_u32_e32 v0, v82, v0
	ds_write_b32 v83, v0 offset:16
.LBB106_34:
	s_or_b64 exec, exec, s[16:17]
	v_and_b32_e32 v42, s18, v74
	v_and_b32_e32 v1, 1, v42
	v_add_co_u32_e32 v43, vcc, -1, v1
	v_mov_b32_e32 v89, 2
	v_addc_co_u32_e64 v88, s[16:17], 0, -1, vcc
	v_cmp_ne_u32_e32 vcc, 0, v1
	v_lshlrev_b32_sdwa v0, v89, v42 dst_sel:DWORD dst_unused:UNUSED_PAD src0_sel:DWORD src1_sel:BYTE_0
	v_xor_b32_e32 v1, vcc_hi, v88
	v_add_lshl_u32 v87, v86, v0, 2
	v_mov_b32_e32 v0, 0
	v_and_b32_e32 v88, exec_hi, v1
	v_lshlrev_b32_e32 v1, 30, v42
	v_xor_b32_e32 v43, vcc_lo, v43
	v_cmp_gt_i64_e32 vcc, 0, v[0:1]
	v_not_b32_e32 v1, v1
	v_ashrrev_i32_e32 v1, 31, v1
	v_and_b32_e32 v43, exec_lo, v43
	v_xor_b32_e32 v90, vcc_hi, v1
	v_xor_b32_e32 v1, vcc_lo, v1
	v_and_b32_e32 v43, v43, v1
	v_lshlrev_b32_e32 v1, 29, v42
	v_cmp_gt_i64_e32 vcc, 0, v[0:1]
	v_not_b32_e32 v1, v1
	v_ashrrev_i32_e32 v1, 31, v1
	v_and_b32_e32 v88, v88, v90
	v_xor_b32_e32 v90, vcc_hi, v1
	v_xor_b32_e32 v1, vcc_lo, v1
	v_and_b32_e32 v43, v43, v1
	v_lshlrev_b32_e32 v1, 28, v42
	v_cmp_gt_i64_e32 vcc, 0, v[0:1]
	v_not_b32_e32 v1, v1
	v_ashrrev_i32_e32 v1, 31, v1
	v_and_b32_e32 v88, v88, v90
	;; [unrolled: 8-line block ×5, first 2 shown]
	v_xor_b32_e32 v90, vcc_hi, v1
	v_xor_b32_e32 v1, vcc_lo, v1
	v_and_b32_e32 v88, v88, v90
	v_and_b32_e32 v90, v43, v1
	v_lshlrev_b32_e32 v1, 24, v42
	v_cmp_gt_i64_e32 vcc, 0, v[0:1]
	v_not_b32_e32 v1, v1
	v_ashrrev_i32_e32 v1, 31, v1
	v_xor_b32_e32 v42, vcc_hi, v1
	v_xor_b32_e32 v1, vcc_lo, v1
	; wave barrier
	ds_read_b32 v85, v87 offset:16
	v_and_b32_e32 v43, v88, v42
	v_and_b32_e32 v42, v90, v1
	v_mbcnt_lo_u32_b32 v1, v42, 0
	v_mbcnt_hi_u32_b32 v88, v43, v1
	v_cmp_eq_u32_e32 vcc, 0, v88
	v_cmp_ne_u64_e64 s[16:17], 0, v[42:43]
	s_and_b64 s[20:21], s[16:17], vcc
	; wave barrier
	s_and_saveexec_b64 s[16:17], s[20:21]
	s_cbranch_execz .LBB106_36
; %bb.35:
	v_bcnt_u32_b32 v1, v42, 0
	v_bcnt_u32_b32 v1, v43, v1
	s_waitcnt lgkmcnt(0)
	v_add_u32_e32 v1, v85, v1
	ds_write_b32 v87, v1 offset:16
.LBB106_36:
	s_or_b64 exec, exec, s[16:17]
	v_and_b32_e32 v42, s18, v75
	v_lshlrev_b32_sdwa v1, v89, v42 dst_sel:DWORD dst_unused:UNUSED_PAD src0_sel:DWORD src1_sel:BYTE_0
	v_add_lshl_u32 v90, v86, v1, 2
	v_and_b32_e32 v1, 1, v42
	v_add_co_u32_e32 v43, vcc, -1, v1
	v_addc_co_u32_e64 v91, s[16:17], 0, -1, vcc
	v_cmp_ne_u32_e32 vcc, 0, v1
	v_xor_b32_e32 v1, vcc_hi, v91
	v_and_b32_e32 v91, exec_hi, v1
	v_lshlrev_b32_e32 v1, 30, v42
	v_xor_b32_e32 v43, vcc_lo, v43
	v_cmp_gt_i64_e32 vcc, 0, v[0:1]
	v_not_b32_e32 v1, v1
	v_ashrrev_i32_e32 v1, 31, v1
	v_and_b32_e32 v43, exec_lo, v43
	v_xor_b32_e32 v92, vcc_hi, v1
	v_xor_b32_e32 v1, vcc_lo, v1
	v_and_b32_e32 v43, v43, v1
	v_lshlrev_b32_e32 v1, 29, v42
	v_cmp_gt_i64_e32 vcc, 0, v[0:1]
	v_not_b32_e32 v1, v1
	v_ashrrev_i32_e32 v1, 31, v1
	v_and_b32_e32 v91, v91, v92
	v_xor_b32_e32 v92, vcc_hi, v1
	v_xor_b32_e32 v1, vcc_lo, v1
	v_and_b32_e32 v43, v43, v1
	v_lshlrev_b32_e32 v1, 28, v42
	v_cmp_gt_i64_e32 vcc, 0, v[0:1]
	v_not_b32_e32 v1, v1
	v_ashrrev_i32_e32 v1, 31, v1
	v_and_b32_e32 v91, v91, v92
	;; [unrolled: 8-line block ×5, first 2 shown]
	v_xor_b32_e32 v92, vcc_hi, v1
	v_xor_b32_e32 v1, vcc_lo, v1
	v_and_b32_e32 v43, v43, v1
	v_lshlrev_b32_e32 v1, 24, v42
	v_cmp_gt_i64_e32 vcc, 0, v[0:1]
	v_not_b32_e32 v0, v1
	v_ashrrev_i32_e32 v0, 31, v0
	v_xor_b32_e32 v1, vcc_hi, v0
	v_xor_b32_e32 v0, vcc_lo, v0
	; wave barrier
	ds_read_b32 v89, v90 offset:16
	v_and_b32_e32 v91, v91, v92
	v_and_b32_e32 v0, v43, v0
	;; [unrolled: 1-line block ×3, first 2 shown]
	v_mbcnt_lo_u32_b32 v42, v0, 0
	v_mbcnt_hi_u32_b32 v91, v1, v42
	v_cmp_eq_u32_e32 vcc, 0, v91
	v_cmp_ne_u64_e64 s[16:17], 0, v[0:1]
	s_and_b64 s[20:21], s[16:17], vcc
	; wave barrier
	s_and_saveexec_b64 s[16:17], s[20:21]
	s_cbranch_execz .LBB106_38
; %bb.37:
	v_bcnt_u32_b32 v0, v0, 0
	v_bcnt_u32_b32 v0, v1, v0
	s_waitcnt lgkmcnt(0)
	v_add_u32_e32 v0, v89, v0
	ds_write_b32 v90, v0 offset:16
.LBB106_38:
	s_or_b64 exec, exec, s[16:17]
	v_and_b32_e32 v42, s18, v76
	v_and_b32_e32 v1, 1, v42
	v_add_co_u32_e32 v43, vcc, -1, v1
	v_mov_b32_e32 v95, 2
	v_addc_co_u32_e64 v94, s[16:17], 0, -1, vcc
	v_cmp_ne_u32_e32 vcc, 0, v1
	v_lshlrev_b32_sdwa v0, v95, v42 dst_sel:DWORD dst_unused:UNUSED_PAD src0_sel:DWORD src1_sel:BYTE_0
	v_xor_b32_e32 v1, vcc_hi, v94
	v_add_lshl_u32 v93, v86, v0, 2
	v_mov_b32_e32 v0, 0
	v_and_b32_e32 v94, exec_hi, v1
	v_lshlrev_b32_e32 v1, 30, v42
	v_xor_b32_e32 v43, vcc_lo, v43
	v_cmp_gt_i64_e32 vcc, 0, v[0:1]
	v_not_b32_e32 v1, v1
	v_ashrrev_i32_e32 v1, 31, v1
	v_and_b32_e32 v43, exec_lo, v43
	v_xor_b32_e32 v96, vcc_hi, v1
	v_xor_b32_e32 v1, vcc_lo, v1
	v_and_b32_e32 v43, v43, v1
	v_lshlrev_b32_e32 v1, 29, v42
	v_cmp_gt_i64_e32 vcc, 0, v[0:1]
	v_not_b32_e32 v1, v1
	v_ashrrev_i32_e32 v1, 31, v1
	v_and_b32_e32 v94, v94, v96
	v_xor_b32_e32 v96, vcc_hi, v1
	v_xor_b32_e32 v1, vcc_lo, v1
	v_and_b32_e32 v43, v43, v1
	v_lshlrev_b32_e32 v1, 28, v42
	v_cmp_gt_i64_e32 vcc, 0, v[0:1]
	v_not_b32_e32 v1, v1
	v_ashrrev_i32_e32 v1, 31, v1
	v_and_b32_e32 v94, v94, v96
	;; [unrolled: 8-line block ×5, first 2 shown]
	v_xor_b32_e32 v96, vcc_hi, v1
	v_xor_b32_e32 v1, vcc_lo, v1
	v_and_b32_e32 v94, v94, v96
	v_and_b32_e32 v96, v43, v1
	v_lshlrev_b32_e32 v1, 24, v42
	v_cmp_gt_i64_e32 vcc, 0, v[0:1]
	v_not_b32_e32 v1, v1
	v_ashrrev_i32_e32 v1, 31, v1
	v_xor_b32_e32 v42, vcc_hi, v1
	v_xor_b32_e32 v1, vcc_lo, v1
	; wave barrier
	ds_read_b32 v92, v93 offset:16
	v_and_b32_e32 v43, v94, v42
	v_and_b32_e32 v42, v96, v1
	v_mbcnt_lo_u32_b32 v1, v42, 0
	v_mbcnt_hi_u32_b32 v94, v43, v1
	v_cmp_eq_u32_e32 vcc, 0, v94
	v_cmp_ne_u64_e64 s[16:17], 0, v[42:43]
	s_and_b64 s[20:21], s[16:17], vcc
	; wave barrier
	s_and_saveexec_b64 s[16:17], s[20:21]
	s_cbranch_execz .LBB106_40
; %bb.39:
	v_bcnt_u32_b32 v1, v42, 0
	v_bcnt_u32_b32 v1, v43, v1
	s_waitcnt lgkmcnt(0)
	v_add_u32_e32 v1, v92, v1
	ds_write_b32 v93, v1 offset:16
.LBB106_40:
	s_or_b64 exec, exec, s[16:17]
	v_and_b32_e32 v42, s18, v77
	v_lshlrev_b32_sdwa v1, v95, v42 dst_sel:DWORD dst_unused:UNUSED_PAD src0_sel:DWORD src1_sel:BYTE_0
	v_add_lshl_u32 v96, v86, v1, 2
	v_and_b32_e32 v1, 1, v42
	v_add_co_u32_e32 v43, vcc, -1, v1
	v_addc_co_u32_e64 v97, s[16:17], 0, -1, vcc
	v_cmp_ne_u32_e32 vcc, 0, v1
	v_xor_b32_e32 v1, vcc_hi, v97
	v_and_b32_e32 v97, exec_hi, v1
	v_lshlrev_b32_e32 v1, 30, v42
	v_xor_b32_e32 v43, vcc_lo, v43
	v_cmp_gt_i64_e32 vcc, 0, v[0:1]
	v_not_b32_e32 v1, v1
	v_ashrrev_i32_e32 v1, 31, v1
	v_and_b32_e32 v43, exec_lo, v43
	v_xor_b32_e32 v98, vcc_hi, v1
	v_xor_b32_e32 v1, vcc_lo, v1
	v_and_b32_e32 v43, v43, v1
	v_lshlrev_b32_e32 v1, 29, v42
	v_cmp_gt_i64_e32 vcc, 0, v[0:1]
	v_not_b32_e32 v1, v1
	v_ashrrev_i32_e32 v1, 31, v1
	v_and_b32_e32 v97, v97, v98
	v_xor_b32_e32 v98, vcc_hi, v1
	v_xor_b32_e32 v1, vcc_lo, v1
	v_and_b32_e32 v43, v43, v1
	v_lshlrev_b32_e32 v1, 28, v42
	v_cmp_gt_i64_e32 vcc, 0, v[0:1]
	v_not_b32_e32 v1, v1
	v_ashrrev_i32_e32 v1, 31, v1
	v_and_b32_e32 v97, v97, v98
	;; [unrolled: 8-line block ×5, first 2 shown]
	v_xor_b32_e32 v98, vcc_hi, v1
	v_xor_b32_e32 v1, vcc_lo, v1
	v_and_b32_e32 v43, v43, v1
	v_lshlrev_b32_e32 v1, 24, v42
	v_cmp_gt_i64_e32 vcc, 0, v[0:1]
	v_not_b32_e32 v0, v1
	v_ashrrev_i32_e32 v0, 31, v0
	v_xor_b32_e32 v1, vcc_hi, v0
	v_xor_b32_e32 v0, vcc_lo, v0
	; wave barrier
	ds_read_b32 v95, v96 offset:16
	v_and_b32_e32 v97, v97, v98
	v_and_b32_e32 v0, v43, v0
	;; [unrolled: 1-line block ×3, first 2 shown]
	v_mbcnt_lo_u32_b32 v42, v0, 0
	v_mbcnt_hi_u32_b32 v97, v1, v42
	v_cmp_eq_u32_e32 vcc, 0, v97
	v_cmp_ne_u64_e64 s[16:17], 0, v[0:1]
	s_and_b64 s[20:21], s[16:17], vcc
	; wave barrier
	s_and_saveexec_b64 s[16:17], s[20:21]
	s_cbranch_execz .LBB106_42
; %bb.41:
	v_bcnt_u32_b32 v0, v0, 0
	v_bcnt_u32_b32 v0, v1, v0
	s_waitcnt lgkmcnt(0)
	v_add_u32_e32 v0, v95, v0
	ds_write_b32 v96, v0 offset:16
.LBB106_42:
	s_or_b64 exec, exec, s[16:17]
	v_and_b32_e32 v42, s18, v78
	v_and_b32_e32 v1, 1, v42
	v_add_co_u32_e32 v43, vcc, -1, v1
	v_mov_b32_e32 v101, 2
	v_addc_co_u32_e64 v100, s[16:17], 0, -1, vcc
	v_cmp_ne_u32_e32 vcc, 0, v1
	v_lshlrev_b32_sdwa v0, v101, v42 dst_sel:DWORD dst_unused:UNUSED_PAD src0_sel:DWORD src1_sel:BYTE_0
	v_xor_b32_e32 v1, vcc_hi, v100
	v_add_lshl_u32 v99, v86, v0, 2
	v_mov_b32_e32 v0, 0
	v_and_b32_e32 v100, exec_hi, v1
	v_lshlrev_b32_e32 v1, 30, v42
	v_xor_b32_e32 v43, vcc_lo, v43
	v_cmp_gt_i64_e32 vcc, 0, v[0:1]
	v_not_b32_e32 v1, v1
	v_ashrrev_i32_e32 v1, 31, v1
	v_and_b32_e32 v43, exec_lo, v43
	v_xor_b32_e32 v102, vcc_hi, v1
	v_xor_b32_e32 v1, vcc_lo, v1
	v_and_b32_e32 v43, v43, v1
	v_lshlrev_b32_e32 v1, 29, v42
	v_cmp_gt_i64_e32 vcc, 0, v[0:1]
	v_not_b32_e32 v1, v1
	v_ashrrev_i32_e32 v1, 31, v1
	v_and_b32_e32 v100, v100, v102
	v_xor_b32_e32 v102, vcc_hi, v1
	v_xor_b32_e32 v1, vcc_lo, v1
	v_and_b32_e32 v43, v43, v1
	v_lshlrev_b32_e32 v1, 28, v42
	v_cmp_gt_i64_e32 vcc, 0, v[0:1]
	v_not_b32_e32 v1, v1
	v_ashrrev_i32_e32 v1, 31, v1
	v_and_b32_e32 v100, v100, v102
	;; [unrolled: 8-line block ×5, first 2 shown]
	v_xor_b32_e32 v102, vcc_hi, v1
	v_xor_b32_e32 v1, vcc_lo, v1
	v_and_b32_e32 v100, v100, v102
	v_and_b32_e32 v102, v43, v1
	v_lshlrev_b32_e32 v1, 24, v42
	v_cmp_gt_i64_e32 vcc, 0, v[0:1]
	v_not_b32_e32 v1, v1
	v_ashrrev_i32_e32 v1, 31, v1
	v_xor_b32_e32 v42, vcc_hi, v1
	v_xor_b32_e32 v1, vcc_lo, v1
	; wave barrier
	ds_read_b32 v98, v99 offset:16
	v_and_b32_e32 v43, v100, v42
	v_and_b32_e32 v42, v102, v1
	v_mbcnt_lo_u32_b32 v1, v42, 0
	v_mbcnt_hi_u32_b32 v100, v43, v1
	v_cmp_eq_u32_e32 vcc, 0, v100
	v_cmp_ne_u64_e64 s[16:17], 0, v[42:43]
	s_and_b64 s[20:21], s[16:17], vcc
	; wave barrier
	s_and_saveexec_b64 s[16:17], s[20:21]
	s_cbranch_execz .LBB106_44
; %bb.43:
	v_bcnt_u32_b32 v1, v42, 0
	v_bcnt_u32_b32 v1, v43, v1
	s_waitcnt lgkmcnt(0)
	v_add_u32_e32 v1, v98, v1
	ds_write_b32 v99, v1 offset:16
.LBB106_44:
	s_or_b64 exec, exec, s[16:17]
	v_and_b32_e32 v42, s18, v79
	v_lshlrev_b32_sdwa v1, v101, v42 dst_sel:DWORD dst_unused:UNUSED_PAD src0_sel:DWORD src1_sel:BYTE_0
	v_add_lshl_u32 v101, v86, v1, 2
	v_and_b32_e32 v1, 1, v42
	v_add_co_u32_e32 v43, vcc, -1, v1
	v_addc_co_u32_e64 v103, s[16:17], 0, -1, vcc
	v_cmp_ne_u32_e32 vcc, 0, v1
	v_xor_b32_e32 v1, vcc_hi, v103
	v_and_b32_e32 v103, exec_hi, v1
	v_lshlrev_b32_e32 v1, 30, v42
	v_xor_b32_e32 v43, vcc_lo, v43
	v_cmp_gt_i64_e32 vcc, 0, v[0:1]
	v_not_b32_e32 v1, v1
	v_ashrrev_i32_e32 v1, 31, v1
	v_and_b32_e32 v43, exec_lo, v43
	v_xor_b32_e32 v104, vcc_hi, v1
	v_xor_b32_e32 v1, vcc_lo, v1
	v_and_b32_e32 v43, v43, v1
	v_lshlrev_b32_e32 v1, 29, v42
	v_cmp_gt_i64_e32 vcc, 0, v[0:1]
	v_not_b32_e32 v1, v1
	v_ashrrev_i32_e32 v1, 31, v1
	v_and_b32_e32 v103, v103, v104
	v_xor_b32_e32 v104, vcc_hi, v1
	v_xor_b32_e32 v1, vcc_lo, v1
	v_and_b32_e32 v43, v43, v1
	v_lshlrev_b32_e32 v1, 28, v42
	v_cmp_gt_i64_e32 vcc, 0, v[0:1]
	v_not_b32_e32 v1, v1
	v_ashrrev_i32_e32 v1, 31, v1
	v_and_b32_e32 v103, v103, v104
	;; [unrolled: 8-line block ×5, first 2 shown]
	v_xor_b32_e32 v104, vcc_hi, v1
	v_xor_b32_e32 v1, vcc_lo, v1
	v_and_b32_e32 v43, v43, v1
	v_lshlrev_b32_e32 v1, 24, v42
	v_cmp_gt_i64_e32 vcc, 0, v[0:1]
	v_not_b32_e32 v0, v1
	v_ashrrev_i32_e32 v0, 31, v0
	v_xor_b32_e32 v1, vcc_hi, v0
	v_xor_b32_e32 v0, vcc_lo, v0
	; wave barrier
	ds_read_b32 v86, v101 offset:16
	v_and_b32_e32 v103, v103, v104
	v_and_b32_e32 v0, v43, v0
	v_and_b32_e32 v1, v103, v1
	v_mbcnt_lo_u32_b32 v42, v0, 0
	v_mbcnt_hi_u32_b32 v103, v1, v42
	v_cmp_eq_u32_e32 vcc, 0, v103
	v_cmp_ne_u64_e64 s[16:17], 0, v[0:1]
	v_add_u32_e32 v102, 16, v62
	s_and_b64 s[18:19], s[16:17], vcc
	; wave barrier
	s_and_saveexec_b64 s[16:17], s[18:19]
	s_cbranch_execz .LBB106_46
; %bb.45:
	v_bcnt_u32_b32 v0, v0, 0
	v_bcnt_u32_b32 v0, v1, v0
	s_waitcnt lgkmcnt(0)
	v_add_u32_e32 v0, v86, v0
	ds_write_b32 v101, v0 offset:16
.LBB106_46:
	s_or_b64 exec, exec, s[16:17]
	; wave barrier
	s_waitcnt lgkmcnt(0)
	s_barrier
	ds_read2_b32 v[0:1], v62 offset0:4 offset1:5
	ds_read2_b32 v[42:43], v102 offset0:2 offset1:3
	s_waitcnt lgkmcnt(1)
	v_add_u32_e32 v104, v1, v0
	s_waitcnt lgkmcnt(0)
	v_add3_u32 v43, v104, v42, v43
	v_and_b32_e32 v104, 15, v61
	v_cmp_ne_u32_e32 vcc, 0, v104
	v_mov_b32_dpp v105, v43 row_shr:1 row_mask:0xf bank_mask:0xf
	v_cndmask_b32_e32 v105, 0, v105, vcc
	v_add_u32_e32 v43, v105, v43
	v_cmp_lt_u32_e32 vcc, 1, v104
	s_nop 0
	v_mov_b32_dpp v105, v43 row_shr:2 row_mask:0xf bank_mask:0xf
	v_cndmask_b32_e32 v105, 0, v105, vcc
	v_add_u32_e32 v43, v43, v105
	v_cmp_lt_u32_e32 vcc, 3, v104
	s_nop 0
	;; [unrolled: 5-line block ×3, first 2 shown]
	v_mov_b32_dpp v105, v43 row_shr:8 row_mask:0xf bank_mask:0xf
	v_cndmask_b32_e32 v104, 0, v105, vcc
	v_add_u32_e32 v43, v43, v104
	v_bfe_i32 v105, v61, 4, 1
	v_cmp_lt_u32_e32 vcc, 31, v61
	v_mov_b32_dpp v104, v43 row_bcast:15 row_mask:0xf bank_mask:0xf
	v_and_b32_e32 v104, v105, v104
	v_add_u32_e32 v43, v43, v104
	v_min_u32_e32 v105, 0xc0, v63
	v_or_b32_e32 v105, 63, v105
	v_mov_b32_dpp v104, v43 row_bcast:31 row_mask:0xf bank_mask:0xf
	v_cndmask_b32_e32 v104, 0, v104, vcc
	v_add_u32_e32 v43, v43, v104
	v_lshrrev_b32_e32 v104, 6, v36
	v_cmp_eq_u32_e32 vcc, v105, v36
	s_and_saveexec_b64 s[16:17], vcc
	s_cbranch_execz .LBB106_48
; %bb.47:
	v_lshlrev_b32_e32 v105, 2, v104
	ds_write_b32 v105, v43
.LBB106_48:
	s_or_b64 exec, exec, s[16:17]
	v_cmp_gt_u32_e32 vcc, 4, v36
	s_waitcnt lgkmcnt(0)
	s_barrier
	s_and_saveexec_b64 s[16:17], vcc
	s_cbranch_execz .LBB106_50
; %bb.49:
	v_lshlrev_b32_e32 v105, 2, v36
	ds_read_b32 v106, v105
	v_and_b32_e32 v107, 3, v61
	v_cmp_ne_u32_e32 vcc, 0, v107
	s_waitcnt lgkmcnt(0)
	v_mov_b32_dpp v108, v106 row_shr:1 row_mask:0xf bank_mask:0xf
	v_cndmask_b32_e32 v108, 0, v108, vcc
	v_add_u32_e32 v106, v108, v106
	v_cmp_lt_u32_e32 vcc, 1, v107
	s_nop 0
	v_mov_b32_dpp v108, v106 row_shr:2 row_mask:0xf bank_mask:0xf
	v_cndmask_b32_e32 v107, 0, v108, vcc
	v_add_u32_e32 v106, v106, v107
	ds_write_b32 v105, v106
.LBB106_50:
	s_or_b64 exec, exec, s[16:17]
	v_cmp_lt_u32_e32 vcc, 63, v36
	v_mov_b32_e32 v105, 0
	s_waitcnt lgkmcnt(0)
	s_barrier
	s_and_saveexec_b64 s[16:17], vcc
	s_cbranch_execz .LBB106_52
; %bb.51:
	v_lshl_add_u32 v104, v104, 2, -4
	ds_read_b32 v105, v104
.LBB106_52:
	s_or_b64 exec, exec, s[16:17]
	v_add_u32_e32 v104, -1, v61
	v_and_b32_e32 v106, 64, v61
	v_cmp_lt_i32_e32 vcc, v104, v106
	v_cndmask_b32_e32 v104, v104, v61, vcc
	s_waitcnt lgkmcnt(0)
	v_add_u32_e32 v43, v105, v43
	v_lshlrev_b32_e32 v104, 2, v104
	ds_bpermute_b32 v43, v104, v43
	v_cmp_eq_u32_e32 vcc, 0, v61
	s_movk_i32 s16, 0x80
	s_waitcnt lgkmcnt(0)
	v_cndmask_b32_e32 v43, v43, v105, vcc
	v_cmp_ne_u32_e32 vcc, 0, v36
	v_cndmask_b32_e32 v43, 0, v43, vcc
	v_add_u32_e32 v0, v43, v0
	v_add_u32_e32 v1, v0, v1
	v_add_u32_e32 v42, v1, v42
	ds_write2_b32 v62, v43, v0 offset0:4 offset1:5
	ds_write2_b32 v102, v1, v42 offset0:2 offset1:3
	s_waitcnt lgkmcnt(0)
	s_barrier
	ds_read_b32 v0, v80 offset:16
	ds_read_b32 v1, v83 offset:16
	;; [unrolled: 1-line block ×8, first 2 shown]
	s_waitcnt lgkmcnt(7)
	v_add_u32_e32 v81, v0, v81
	s_waitcnt lgkmcnt(6)
	v_add3_u32 v82, v84, v82, v1
	s_waitcnt lgkmcnt(5)
	v_add3_u32 v42, v88, v85, v42
	;; [unrolled: 2-line block ×7, first 2 shown]
	s_barrier
	ds_write_b8 v81, v72
	ds_write_b8 v82, v73
	ds_write_b8 v42, v74
	ds_write_b8 v43, v75
	ds_write_b8 v80, v76
	ds_write_b8 v83, v77
	ds_write_b8 v84, v78
	ds_write_b8 v85, v79
	v_lshlrev_b32_e32 v74, 3, v81
	s_waitcnt lgkmcnt(0)
	s_barrier
	ds_read_b64 v[0:1], v53
	s_waitcnt lgkmcnt(0)
	s_barrier
	ds_write_b64 v74, v[30:31]
	v_lshlrev_b32_e32 v30, 3, v82
	ds_write_b64 v30, v[32:33]
	v_lshlrev_b32_e32 v30, 3, v42
	ds_write_b64 v30, v[26:27]
	v_lshlrev_b32_e32 v26, 3, v43
	ds_write_b64 v26, v[28:29]
	v_lshlrev_b32_e32 v26, 3, v80
	ds_write_b64 v26, v[22:23]
	v_lshlrev_b32_e32 v22, 3, v83
	ds_write_b64 v22, v[24:25]
	v_lshlrev_b32_e32 v22, 3, v84
	ds_write_b64 v22, v[18:19]
	v_lshlrev_b32_e32 v18, 3, v85
	v_lshlrev_b32_e32 v30, 3, v53
	ds_write_b64 v18, v[20:21]
	s_waitcnt lgkmcnt(0)
	s_barrier
	ds_read2_b64 v[18:21], v30 offset1:1
	ds_read2_b64 v[22:25], v30 offset0:2 offset1:3
	ds_read2_b64 v[26:29], v30 offset0:4 offset1:5
	;; [unrolled: 1-line block ×3, first 2 shown]
	v_lshrrev_b32_e32 v72, 8, v0
	v_lshrrev_b32_e32 v73, 8, v1
	v_xor_b32_e32 v42, 0x80, v0
	v_xor_b32_sdwa v43, v72, s16 dst_sel:BYTE_1 dst_unused:UNUSED_PAD src0_sel:DWORD src1_sel:DWORD
	v_xor_b32_sdwa v72, v0, s16 dst_sel:DWORD dst_unused:UNUSED_PAD src0_sel:WORD_1 src1_sel:DWORD
	v_xor_b32_sdwa v0, v0, s16 dst_sel:BYTE_1 dst_unused:UNUSED_PAD src0_sel:BYTE_3 src1_sel:DWORD
	v_xor_b32_e32 v74, 0x80, v1
	v_xor_b32_sdwa v73, v73, s16 dst_sel:BYTE_1 dst_unused:UNUSED_PAD src0_sel:DWORD src1_sel:DWORD
	v_xor_b32_sdwa v75, v1, s16 dst_sel:DWORD dst_unused:UNUSED_PAD src0_sel:WORD_1 src1_sel:DWORD
	v_xor_b32_sdwa v1, v1, s16 dst_sel:BYTE_1 dst_unused:UNUSED_PAD src0_sel:BYTE_3 src1_sel:DWORD
	v_or_b32_sdwa v42, v42, v43 dst_sel:DWORD dst_unused:UNUSED_PAD src0_sel:BYTE_0 src1_sel:DWORD
	v_or_b32_sdwa v0, v72, v0 dst_sel:WORD_1 dst_unused:UNUSED_PAD src0_sel:BYTE_0 src1_sel:DWORD
	v_or_b32_sdwa v0, v42, v0 dst_sel:DWORD dst_unused:UNUSED_PAD src0_sel:WORD_0 src1_sel:DWORD
	v_or_b32_sdwa v42, v74, v73 dst_sel:DWORD dst_unused:UNUSED_PAD src0_sel:BYTE_0 src1_sel:DWORD
	v_or_b32_sdwa v1, v75, v1 dst_sel:WORD_1 dst_unused:UNUSED_PAD src0_sel:BYTE_0 src1_sel:DWORD
	v_or_b32_sdwa v1, v42, v1 dst_sel:DWORD dst_unused:UNUSED_PAD src0_sel:WORD_0 src1_sel:DWORD
	s_branch .LBB106_84
.LBB106_53:
	v_mov_b32_e32 v35, 0
	v_lshlrev_b64 v[2:3], 3, v[34:35]
	v_mov_b32_e32 v4, s35
	v_add_co_u32_e32 v2, vcc, s33, v2
	v_addc_co_u32_e32 v3, vcc, v4, v3, vcc
	global_load_dwordx2 v[2:3], v[2:3], off
	v_mov_b32_e32 v4, v35
	v_mov_b32_e32 v5, v35
	;; [unrolled: 1-line block ×14, first 2 shown]
	s_or_b64 exec, exec, s[16:17]
	s_and_saveexec_b64 s[16:17], s[2:3]
	s_cbranch_execz .LBB106_22
.LBB106_54:
	v_mul_lo_u32 v4, v32, s34
	v_mov_b32_e32 v5, 0
	v_lshlrev_b64 v[4:5], 3, v[4:5]
	v_mov_b32_e32 v32, s35
	v_add_co_u32_e32 v4, vcc, s33, v4
	v_addc_co_u32_e32 v5, vcc, v32, v5, vcc
	global_load_dwordx2 v[4:5], v[4:5], off
	s_or_b64 exec, exec, s[16:17]
	s_and_saveexec_b64 s[16:17], s[4:5]
	s_cbranch_execz .LBB106_23
.LBB106_55:
	v_mul_lo_u32 v6, v31, s34
	v_mov_b32_e32 v7, 0
	v_lshlrev_b64 v[6:7], 3, v[6:7]
	v_mov_b32_e32 v31, s35
	v_add_co_u32_e32 v6, vcc, s33, v6
	v_addc_co_u32_e32 v7, vcc, v31, v7, vcc
	global_load_dwordx2 v[6:7], v[6:7], off
	s_or_b64 exec, exec, s[16:17]
	s_and_saveexec_b64 s[16:17], s[6:7]
	s_cbranch_execz .LBB106_24
.LBB106_56:
	v_mul_lo_u32 v8, v30, s34
	v_mov_b32_e32 v9, 0
	v_lshlrev_b64 v[8:9], 3, v[8:9]
	v_mov_b32_e32 v30, s35
	v_add_co_u32_e32 v8, vcc, s33, v8
	v_addc_co_u32_e32 v9, vcc, v30, v9, vcc
	global_load_dwordx2 v[8:9], v[8:9], off
	s_or_b64 exec, exec, s[16:17]
	s_and_saveexec_b64 s[16:17], s[8:9]
	s_cbranch_execz .LBB106_25
.LBB106_57:
	v_mul_lo_u32 v10, v29, s34
	v_mov_b32_e32 v11, 0
	v_lshlrev_b64 v[10:11], 3, v[10:11]
	v_mov_b32_e32 v29, s35
	v_add_co_u32_e32 v10, vcc, s33, v10
	v_addc_co_u32_e32 v11, vcc, v29, v11, vcc
	global_load_dwordx2 v[10:11], v[10:11], off
	s_or_b64 exec, exec, s[16:17]
	s_and_saveexec_b64 s[16:17], s[10:11]
	s_cbranch_execz .LBB106_26
.LBB106_58:
	v_mul_lo_u32 v12, v28, s34
	v_mov_b32_e32 v13, 0
	v_lshlrev_b64 v[12:13], 3, v[12:13]
	v_mov_b32_e32 v28, s35
	v_add_co_u32_e32 v12, vcc, s33, v12
	v_addc_co_u32_e32 v13, vcc, v28, v13, vcc
	global_load_dwordx2 v[12:13], v[12:13], off
	s_or_b64 exec, exec, s[16:17]
	s_and_saveexec_b64 s[16:17], s[12:13]
	s_cbranch_execz .LBB106_27
.LBB106_59:
	v_mul_lo_u32 v14, v27, s34
	v_mov_b32_e32 v15, 0
	v_lshlrev_b64 v[14:15], 3, v[14:15]
	v_mov_b32_e32 v27, s35
	v_add_co_u32_e32 v14, vcc, s33, v14
	v_addc_co_u32_e32 v15, vcc, v27, v15, vcc
	global_load_dwordx2 v[14:15], v[14:15], off
	s_or_b64 exec, exec, s[16:17]
	s_xor_b64 s[16:17], s[44:45], -1
	s_and_saveexec_b64 s[18:19], s[14:15]
	s_cbranch_execnz .LBB106_28
	s_branch .LBB106_29
.LBB106_60:
                                        ; implicit-def: $vgpr1
                                        ; implicit-def: $vgpr32_vgpr33
                                        ; implicit-def: $vgpr28_vgpr29
                                        ; implicit-def: $vgpr24_vgpr25
                                        ; implicit-def: $vgpr20_vgpr21
	s_cbranch_execz .LBB106_84
; %bb.61:
	s_movk_i32 s16, 0x7f
	v_xor_b32_sdwa v0, v67, s16 dst_sel:BYTE_1 dst_unused:UNUSED_PAD src0_sel:DWORD src1_sel:DWORD
	v_xor_b32_e32 v1, 0x7f, v39
	v_or_b32_sdwa v0, v1, v0 dst_sel:DWORD dst_unused:UNUSED_PAD src0_sel:BYTE_0 src1_sel:DWORD
	v_xor_b32_sdwa v1, v39, s16 dst_sel:DWORD dst_unused:UNUSED_PAD src0_sel:BYTE_3 src1_sel:DWORD
	v_lshlrev_b16_e32 v1, 8, v1
	s_waitcnt lgkmcnt(3)
	v_xor_b32_sdwa v18, v39, s16 dst_sel:DWORD dst_unused:UNUSED_PAD src0_sel:WORD_1 src1_sel:DWORD
	v_or_b32_sdwa v1, v18, v1 dst_sel:WORD_1 dst_unused:UNUSED_PAD src0_sel:BYTE_0 src1_sel:DWORD
	v_or_b32_sdwa v1, v0, v1 dst_sel:DWORD dst_unused:UNUSED_PAD src0_sel:WORD_0 src1_sel:DWORD
	v_xor_b32_sdwa v0, v64, s16 dst_sel:BYTE_1 dst_unused:UNUSED_PAD src0_sel:DWORD src1_sel:DWORD
	v_xor_b32_e32 v18, 0x7f, v38
	v_or_b32_sdwa v0, v18, v0 dst_sel:DWORD dst_unused:UNUSED_PAD src0_sel:BYTE_0 src1_sel:DWORD
	v_xor_b32_sdwa v18, v40, s16 dst_sel:BYTE_1 dst_unused:UNUSED_PAD src0_sel:DWORD src1_sel:DWORD
	v_xor_b32_sdwa v19, v38, s16 dst_sel:DWORD dst_unused:UNUSED_PAD src0_sel:WORD_1 src1_sel:DWORD
	v_or_b32_sdwa v18, v19, v18 dst_sel:WORD_1 dst_unused:UNUSED_PAD src0_sel:BYTE_0 src1_sel:DWORD
	v_or_b32_sdwa v0, v0, v18 dst_sel:DWORD dst_unused:UNUSED_PAD src0_sel:WORD_0 src1_sel:DWORD
	s_getpc_b64 s[16:17]
	s_add_u32 s16, s16, _ZN7rocprim17ROCPRIM_400000_NS16block_radix_sortIaLj256ELj8ElLj1ELj1ELj0ELNS0_26block_radix_rank_algorithmE1ELNS0_18block_padding_hintE2ELNS0_4arch9wavefront6targetE1EE19radix_bits_per_passE@rel32@lo+4
	s_addc_u32 s17, s17, _ZN7rocprim17ROCPRIM_400000_NS16block_radix_sortIaLj256ELj8ElLj1ELj1ELj0ELNS0_26block_radix_rank_algorithmE1ELNS0_18block_padding_hintE2ELNS0_4arch9wavefront6targetE1EE19radix_bits_per_passE@rel32@hi+12
	ds_write_b64 v71, v[0:1]
	; wave barrier
	ds_read_u8 v20, v70
	ds_read_u8 v21, v70 offset:64
	s_waitcnt lgkmcnt(5)
	ds_read_u8 v22, v70 offset:128
	ds_read_u8 v23, v70 offset:192
	;; [unrolled: 1-line block ×4, first 2 shown]
	s_waitcnt lgkmcnt(8)
	ds_read_u8 v26, v70 offset:384
	ds_read_u8 v27, v70 offset:448
	s_waitcnt lgkmcnt(0)
	s_barrier
	ds_write2_b64 v69, v[14:15], v[16:17] offset1:1
	ds_write2_b64 v69, v[10:11], v[12:13] offset0:2 offset1:3
	ds_write2_b64 v69, v[6:7], v[8:9] offset0:4 offset1:5
	;; [unrolled: 1-line block ×3, first 2 shown]
	; wave barrier
	ds_read2st64_b64 v[12:15], v68 offset1:1
	ds_read2st64_b64 v[8:11], v68 offset0:2 offset1:3
	ds_read2st64_b64 v[4:7], v68 offset0:4 offset1:5
	;; [unrolled: 1-line block ×3, first 2 shown]
	s_waitcnt lgkmcnt(0)
	s_barrier
	s_load_dword s18, s[16:17], 0x0
	s_load_dword s19, s[42:43], 0xc
	v_mov_b32_e32 v30, 2
	s_waitcnt lgkmcnt(0)
	s_min_u32 s18, s18, 8
	s_lshr_b32 s16, s19, 16
	s_and_b32 s17, s19, 0xffff
	v_mad_u32_u24 v16, v66, s16, v65
	v_mad_u64_u32 v[18:19], s[16:17], v16, s17, v[36:37]
	s_lshl_b32 s16, -1, s18
	s_not_b32 s18, s16
	v_lshrrev_b32_e32 v38, 6, v18
	v_and_b32_e32 v18, s18, v20
	v_lshlrev_b32_sdwa v17, v30, v18 dst_sel:DWORD dst_unused:UNUSED_PAD src0_sel:DWORD src1_sel:BYTE_0
	v_add_lshl_u32 v28, v38, v17, 2
	v_and_b32_e32 v17, 1, v18
	v_add_co_u32_e32 v19, vcc, -1, v17
	v_addc_co_u32_e64 v29, s[16:17], 0, -1, vcc
	v_cmp_ne_u32_e32 vcc, 0, v17
	v_xor_b32_e32 v17, vcc_hi, v29
	v_mov_b32_e32 v16, 0
	v_and_b32_e32 v29, exec_hi, v17
	v_lshlrev_b32_e32 v17, 30, v18
	v_xor_b32_e32 v19, vcc_lo, v19
	v_cmp_gt_i64_e32 vcc, 0, v[16:17]
	v_not_b32_e32 v17, v17
	v_ashrrev_i32_e32 v17, 31, v17
	v_and_b32_e32 v19, exec_lo, v19
	v_xor_b32_e32 v31, vcc_hi, v17
	v_xor_b32_e32 v17, vcc_lo, v17
	v_and_b32_e32 v19, v19, v17
	v_lshlrev_b32_e32 v17, 29, v18
	v_cmp_gt_i64_e32 vcc, 0, v[16:17]
	v_not_b32_e32 v17, v17
	v_ashrrev_i32_e32 v17, 31, v17
	v_and_b32_e32 v29, v29, v31
	v_xor_b32_e32 v31, vcc_hi, v17
	v_xor_b32_e32 v17, vcc_lo, v17
	v_and_b32_e32 v19, v19, v17
	v_lshlrev_b32_e32 v17, 28, v18
	v_cmp_gt_i64_e32 vcc, 0, v[16:17]
	v_not_b32_e32 v17, v17
	v_ashrrev_i32_e32 v17, 31, v17
	v_and_b32_e32 v29, v29, v31
	;; [unrolled: 8-line block ×5, first 2 shown]
	v_xor_b32_e32 v31, vcc_hi, v17
	v_xor_b32_e32 v17, vcc_lo, v17
	v_and_b32_e32 v29, v29, v31
	v_and_b32_e32 v31, v19, v17
	v_lshlrev_b32_e32 v17, 24, v18
	v_cmp_gt_i64_e32 vcc, 0, v[16:17]
	v_not_b32_e32 v17, v17
	v_ashrrev_i32_e32 v17, 31, v17
	v_xor_b32_e32 v18, vcc_hi, v17
	v_xor_b32_e32 v17, vcc_lo, v17
	v_and_b32_e32 v19, v29, v18
	v_and_b32_e32 v18, v31, v17
	v_mbcnt_lo_u32_b32 v17, v18, 0
	v_mbcnt_hi_u32_b32 v29, v19, v17
	v_cmp_eq_u32_e32 vcc, 0, v29
	v_cmp_ne_u64_e64 s[16:17], 0, v[18:19]
	s_and_b64 s[20:21], s[16:17], vcc
	ds_write2_b32 v62, v16, v16 offset0:4 offset1:5
	ds_write2_b32 v62, v16, v16 offset0:6 offset1:7
	s_waitcnt lgkmcnt(0)
	s_barrier
	s_waitcnt lgkmcnt(0)
	; wave barrier
	s_and_saveexec_b64 s[16:17], s[20:21]
	s_cbranch_execz .LBB106_63
; %bb.62:
	v_bcnt_u32_b32 v17, v18, 0
	v_bcnt_u32_b32 v17, v19, v17
	ds_write_b32 v28, v17 offset:16
.LBB106_63:
	s_or_b64 exec, exec, s[16:17]
	v_and_b32_e32 v18, s18, v21
	v_lshlrev_b32_sdwa v17, v30, v18 dst_sel:DWORD dst_unused:UNUSED_PAD src0_sel:DWORD src1_sel:BYTE_0
	v_add_lshl_u32 v31, v38, v17, 2
	v_and_b32_e32 v17, 1, v18
	v_add_co_u32_e32 v19, vcc, -1, v17
	v_addc_co_u32_e64 v32, s[16:17], 0, -1, vcc
	v_cmp_ne_u32_e32 vcc, 0, v17
	v_xor_b32_e32 v17, vcc_hi, v32
	v_and_b32_e32 v32, exec_hi, v17
	v_lshlrev_b32_e32 v17, 30, v18
	v_xor_b32_e32 v19, vcc_lo, v19
	v_cmp_gt_i64_e32 vcc, 0, v[16:17]
	v_not_b32_e32 v17, v17
	v_ashrrev_i32_e32 v17, 31, v17
	v_and_b32_e32 v19, exec_lo, v19
	v_xor_b32_e32 v33, vcc_hi, v17
	v_xor_b32_e32 v17, vcc_lo, v17
	v_and_b32_e32 v19, v19, v17
	v_lshlrev_b32_e32 v17, 29, v18
	v_cmp_gt_i64_e32 vcc, 0, v[16:17]
	v_not_b32_e32 v17, v17
	v_ashrrev_i32_e32 v17, 31, v17
	v_and_b32_e32 v32, v32, v33
	v_xor_b32_e32 v33, vcc_hi, v17
	v_xor_b32_e32 v17, vcc_lo, v17
	v_and_b32_e32 v19, v19, v17
	v_lshlrev_b32_e32 v17, 28, v18
	v_cmp_gt_i64_e32 vcc, 0, v[16:17]
	v_not_b32_e32 v17, v17
	v_ashrrev_i32_e32 v17, 31, v17
	v_and_b32_e32 v32, v32, v33
	;; [unrolled: 8-line block ×5, first 2 shown]
	v_xor_b32_e32 v33, vcc_hi, v17
	v_xor_b32_e32 v17, vcc_lo, v17
	v_and_b32_e32 v19, v19, v17
	v_lshlrev_b32_e32 v17, 24, v18
	v_cmp_gt_i64_e32 vcc, 0, v[16:17]
	v_not_b32_e32 v16, v17
	v_ashrrev_i32_e32 v16, 31, v16
	v_xor_b32_e32 v17, vcc_hi, v16
	v_xor_b32_e32 v16, vcc_lo, v16
	; wave barrier
	ds_read_b32 v30, v31 offset:16
	v_and_b32_e32 v32, v32, v33
	v_and_b32_e32 v16, v19, v16
	v_and_b32_e32 v17, v32, v17
	v_mbcnt_lo_u32_b32 v18, v16, 0
	v_mbcnt_hi_u32_b32 v32, v17, v18
	v_cmp_eq_u32_e32 vcc, 0, v32
	v_cmp_ne_u64_e64 s[16:17], 0, v[16:17]
	s_and_b64 s[20:21], s[16:17], vcc
	; wave barrier
	s_and_saveexec_b64 s[16:17], s[20:21]
	s_cbranch_execz .LBB106_65
; %bb.64:
	v_bcnt_u32_b32 v16, v16, 0
	v_bcnt_u32_b32 v16, v17, v16
	s_waitcnt lgkmcnt(0)
	v_add_u32_e32 v16, v30, v16
	ds_write_b32 v31, v16 offset:16
.LBB106_65:
	s_or_b64 exec, exec, s[16:17]
	v_and_b32_e32 v18, s18, v22
	v_and_b32_e32 v17, 1, v18
	v_add_co_u32_e32 v19, vcc, -1, v17
	v_mov_b32_e32 v42, 2
	v_addc_co_u32_e64 v40, s[16:17], 0, -1, vcc
	v_cmp_ne_u32_e32 vcc, 0, v17
	v_lshlrev_b32_sdwa v16, v42, v18 dst_sel:DWORD dst_unused:UNUSED_PAD src0_sel:DWORD src1_sel:BYTE_0
	v_xor_b32_e32 v17, vcc_hi, v40
	v_add_lshl_u32 v39, v38, v16, 2
	v_mov_b32_e32 v16, 0
	v_and_b32_e32 v40, exec_hi, v17
	v_lshlrev_b32_e32 v17, 30, v18
	v_xor_b32_e32 v19, vcc_lo, v19
	v_cmp_gt_i64_e32 vcc, 0, v[16:17]
	v_not_b32_e32 v17, v17
	v_ashrrev_i32_e32 v17, 31, v17
	v_and_b32_e32 v19, exec_lo, v19
	v_xor_b32_e32 v43, vcc_hi, v17
	v_xor_b32_e32 v17, vcc_lo, v17
	v_and_b32_e32 v19, v19, v17
	v_lshlrev_b32_e32 v17, 29, v18
	v_cmp_gt_i64_e32 vcc, 0, v[16:17]
	v_not_b32_e32 v17, v17
	v_ashrrev_i32_e32 v17, 31, v17
	v_and_b32_e32 v40, v40, v43
	v_xor_b32_e32 v43, vcc_hi, v17
	v_xor_b32_e32 v17, vcc_lo, v17
	v_and_b32_e32 v19, v19, v17
	v_lshlrev_b32_e32 v17, 28, v18
	v_cmp_gt_i64_e32 vcc, 0, v[16:17]
	v_not_b32_e32 v17, v17
	v_ashrrev_i32_e32 v17, 31, v17
	v_and_b32_e32 v40, v40, v43
	;; [unrolled: 8-line block ×5, first 2 shown]
	v_xor_b32_e32 v43, vcc_hi, v17
	v_xor_b32_e32 v17, vcc_lo, v17
	v_and_b32_e32 v40, v40, v43
	v_and_b32_e32 v43, v19, v17
	v_lshlrev_b32_e32 v17, 24, v18
	v_cmp_gt_i64_e32 vcc, 0, v[16:17]
	v_not_b32_e32 v17, v17
	v_ashrrev_i32_e32 v17, 31, v17
	v_xor_b32_e32 v18, vcc_hi, v17
	v_xor_b32_e32 v17, vcc_lo, v17
	; wave barrier
	ds_read_b32 v33, v39 offset:16
	v_and_b32_e32 v19, v40, v18
	v_and_b32_e32 v18, v43, v17
	v_mbcnt_lo_u32_b32 v17, v18, 0
	v_mbcnt_hi_u32_b32 v40, v19, v17
	v_cmp_eq_u32_e32 vcc, 0, v40
	v_cmp_ne_u64_e64 s[16:17], 0, v[18:19]
	s_and_b64 s[20:21], s[16:17], vcc
	; wave barrier
	s_and_saveexec_b64 s[16:17], s[20:21]
	s_cbranch_execz .LBB106_67
; %bb.66:
	v_bcnt_u32_b32 v17, v18, 0
	v_bcnt_u32_b32 v17, v19, v17
	s_waitcnt lgkmcnt(0)
	v_add_u32_e32 v17, v33, v17
	ds_write_b32 v39, v17 offset:16
.LBB106_67:
	s_or_b64 exec, exec, s[16:17]
	v_and_b32_e32 v18, s18, v23
	v_lshlrev_b32_sdwa v17, v42, v18 dst_sel:DWORD dst_unused:UNUSED_PAD src0_sel:DWORD src1_sel:BYTE_0
	v_add_lshl_u32 v43, v38, v17, 2
	v_and_b32_e32 v17, 1, v18
	v_add_co_u32_e32 v19, vcc, -1, v17
	v_addc_co_u32_e64 v64, s[16:17], 0, -1, vcc
	v_cmp_ne_u32_e32 vcc, 0, v17
	v_xor_b32_e32 v17, vcc_hi, v64
	v_and_b32_e32 v64, exec_hi, v17
	v_lshlrev_b32_e32 v17, 30, v18
	v_xor_b32_e32 v19, vcc_lo, v19
	v_cmp_gt_i64_e32 vcc, 0, v[16:17]
	v_not_b32_e32 v17, v17
	v_ashrrev_i32_e32 v17, 31, v17
	v_and_b32_e32 v19, exec_lo, v19
	v_xor_b32_e32 v65, vcc_hi, v17
	v_xor_b32_e32 v17, vcc_lo, v17
	v_and_b32_e32 v19, v19, v17
	v_lshlrev_b32_e32 v17, 29, v18
	v_cmp_gt_i64_e32 vcc, 0, v[16:17]
	v_not_b32_e32 v17, v17
	v_ashrrev_i32_e32 v17, 31, v17
	v_and_b32_e32 v64, v64, v65
	v_xor_b32_e32 v65, vcc_hi, v17
	v_xor_b32_e32 v17, vcc_lo, v17
	v_and_b32_e32 v19, v19, v17
	v_lshlrev_b32_e32 v17, 28, v18
	v_cmp_gt_i64_e32 vcc, 0, v[16:17]
	v_not_b32_e32 v17, v17
	v_ashrrev_i32_e32 v17, 31, v17
	v_and_b32_e32 v64, v64, v65
	;; [unrolled: 8-line block ×5, first 2 shown]
	v_xor_b32_e32 v65, vcc_hi, v17
	v_xor_b32_e32 v17, vcc_lo, v17
	v_and_b32_e32 v19, v19, v17
	v_lshlrev_b32_e32 v17, 24, v18
	v_cmp_gt_i64_e32 vcc, 0, v[16:17]
	v_not_b32_e32 v16, v17
	v_ashrrev_i32_e32 v16, 31, v16
	v_xor_b32_e32 v17, vcc_hi, v16
	v_xor_b32_e32 v16, vcc_lo, v16
	; wave barrier
	ds_read_b32 v42, v43 offset:16
	v_and_b32_e32 v64, v64, v65
	v_and_b32_e32 v16, v19, v16
	;; [unrolled: 1-line block ×3, first 2 shown]
	v_mbcnt_lo_u32_b32 v18, v16, 0
	v_mbcnt_hi_u32_b32 v64, v17, v18
	v_cmp_eq_u32_e32 vcc, 0, v64
	v_cmp_ne_u64_e64 s[16:17], 0, v[16:17]
	s_and_b64 s[20:21], s[16:17], vcc
	; wave barrier
	s_and_saveexec_b64 s[16:17], s[20:21]
	s_cbranch_execz .LBB106_69
; %bb.68:
	v_bcnt_u32_b32 v16, v16, 0
	v_bcnt_u32_b32 v16, v17, v16
	s_waitcnt lgkmcnt(0)
	v_add_u32_e32 v16, v42, v16
	ds_write_b32 v43, v16 offset:16
.LBB106_69:
	s_or_b64 exec, exec, s[16:17]
	v_and_b32_e32 v18, s18, v24
	v_and_b32_e32 v17, 1, v18
	v_add_co_u32_e32 v19, vcc, -1, v17
	v_mov_b32_e32 v68, 2
	v_addc_co_u32_e64 v67, s[16:17], 0, -1, vcc
	v_cmp_ne_u32_e32 vcc, 0, v17
	v_lshlrev_b32_sdwa v16, v68, v18 dst_sel:DWORD dst_unused:UNUSED_PAD src0_sel:DWORD src1_sel:BYTE_0
	v_xor_b32_e32 v17, vcc_hi, v67
	v_add_lshl_u32 v66, v38, v16, 2
	v_mov_b32_e32 v16, 0
	v_and_b32_e32 v67, exec_hi, v17
	v_lshlrev_b32_e32 v17, 30, v18
	v_xor_b32_e32 v19, vcc_lo, v19
	v_cmp_gt_i64_e32 vcc, 0, v[16:17]
	v_not_b32_e32 v17, v17
	v_ashrrev_i32_e32 v17, 31, v17
	v_and_b32_e32 v19, exec_lo, v19
	v_xor_b32_e32 v69, vcc_hi, v17
	v_xor_b32_e32 v17, vcc_lo, v17
	v_and_b32_e32 v19, v19, v17
	v_lshlrev_b32_e32 v17, 29, v18
	v_cmp_gt_i64_e32 vcc, 0, v[16:17]
	v_not_b32_e32 v17, v17
	v_ashrrev_i32_e32 v17, 31, v17
	v_and_b32_e32 v67, v67, v69
	v_xor_b32_e32 v69, vcc_hi, v17
	v_xor_b32_e32 v17, vcc_lo, v17
	v_and_b32_e32 v19, v19, v17
	v_lshlrev_b32_e32 v17, 28, v18
	v_cmp_gt_i64_e32 vcc, 0, v[16:17]
	v_not_b32_e32 v17, v17
	v_ashrrev_i32_e32 v17, 31, v17
	v_and_b32_e32 v67, v67, v69
	;; [unrolled: 8-line block ×5, first 2 shown]
	v_xor_b32_e32 v69, vcc_hi, v17
	v_xor_b32_e32 v17, vcc_lo, v17
	v_and_b32_e32 v67, v67, v69
	v_and_b32_e32 v69, v19, v17
	v_lshlrev_b32_e32 v17, 24, v18
	v_cmp_gt_i64_e32 vcc, 0, v[16:17]
	v_not_b32_e32 v17, v17
	v_ashrrev_i32_e32 v17, 31, v17
	v_xor_b32_e32 v18, vcc_hi, v17
	v_xor_b32_e32 v17, vcc_lo, v17
	; wave barrier
	ds_read_b32 v65, v66 offset:16
	v_and_b32_e32 v19, v67, v18
	v_and_b32_e32 v18, v69, v17
	v_mbcnt_lo_u32_b32 v17, v18, 0
	v_mbcnt_hi_u32_b32 v67, v19, v17
	v_cmp_eq_u32_e32 vcc, 0, v67
	v_cmp_ne_u64_e64 s[16:17], 0, v[18:19]
	s_and_b64 s[20:21], s[16:17], vcc
	; wave barrier
	s_and_saveexec_b64 s[16:17], s[20:21]
	s_cbranch_execz .LBB106_71
; %bb.70:
	v_bcnt_u32_b32 v17, v18, 0
	v_bcnt_u32_b32 v17, v19, v17
	s_waitcnt lgkmcnt(0)
	v_add_u32_e32 v17, v65, v17
	ds_write_b32 v66, v17 offset:16
.LBB106_71:
	s_or_b64 exec, exec, s[16:17]
	v_and_b32_e32 v18, s18, v25
	v_lshlrev_b32_sdwa v17, v68, v18 dst_sel:DWORD dst_unused:UNUSED_PAD src0_sel:DWORD src1_sel:BYTE_0
	v_add_lshl_u32 v69, v38, v17, 2
	v_and_b32_e32 v17, 1, v18
	v_add_co_u32_e32 v19, vcc, -1, v17
	v_addc_co_u32_e64 v70, s[16:17], 0, -1, vcc
	v_cmp_ne_u32_e32 vcc, 0, v17
	v_xor_b32_e32 v17, vcc_hi, v70
	v_and_b32_e32 v70, exec_hi, v17
	v_lshlrev_b32_e32 v17, 30, v18
	v_xor_b32_e32 v19, vcc_lo, v19
	v_cmp_gt_i64_e32 vcc, 0, v[16:17]
	v_not_b32_e32 v17, v17
	v_ashrrev_i32_e32 v17, 31, v17
	v_and_b32_e32 v19, exec_lo, v19
	v_xor_b32_e32 v71, vcc_hi, v17
	v_xor_b32_e32 v17, vcc_lo, v17
	v_and_b32_e32 v19, v19, v17
	v_lshlrev_b32_e32 v17, 29, v18
	v_cmp_gt_i64_e32 vcc, 0, v[16:17]
	v_not_b32_e32 v17, v17
	v_ashrrev_i32_e32 v17, 31, v17
	v_and_b32_e32 v70, v70, v71
	v_xor_b32_e32 v71, vcc_hi, v17
	v_xor_b32_e32 v17, vcc_lo, v17
	v_and_b32_e32 v19, v19, v17
	v_lshlrev_b32_e32 v17, 28, v18
	v_cmp_gt_i64_e32 vcc, 0, v[16:17]
	v_not_b32_e32 v17, v17
	v_ashrrev_i32_e32 v17, 31, v17
	v_and_b32_e32 v70, v70, v71
	;; [unrolled: 8-line block ×5, first 2 shown]
	v_xor_b32_e32 v71, vcc_hi, v17
	v_xor_b32_e32 v17, vcc_lo, v17
	v_and_b32_e32 v19, v19, v17
	v_lshlrev_b32_e32 v17, 24, v18
	v_cmp_gt_i64_e32 vcc, 0, v[16:17]
	v_not_b32_e32 v16, v17
	v_ashrrev_i32_e32 v16, 31, v16
	v_xor_b32_e32 v17, vcc_hi, v16
	v_xor_b32_e32 v16, vcc_lo, v16
	; wave barrier
	ds_read_b32 v68, v69 offset:16
	v_and_b32_e32 v70, v70, v71
	v_and_b32_e32 v16, v19, v16
	;; [unrolled: 1-line block ×3, first 2 shown]
	v_mbcnt_lo_u32_b32 v18, v16, 0
	v_mbcnt_hi_u32_b32 v70, v17, v18
	v_cmp_eq_u32_e32 vcc, 0, v70
	v_cmp_ne_u64_e64 s[16:17], 0, v[16:17]
	s_and_b64 s[20:21], s[16:17], vcc
	; wave barrier
	s_and_saveexec_b64 s[16:17], s[20:21]
	s_cbranch_execz .LBB106_73
; %bb.72:
	v_bcnt_u32_b32 v16, v16, 0
	v_bcnt_u32_b32 v16, v17, v16
	s_waitcnt lgkmcnt(0)
	v_add_u32_e32 v16, v68, v16
	ds_write_b32 v69, v16 offset:16
.LBB106_73:
	s_or_b64 exec, exec, s[16:17]
	v_and_b32_e32 v18, s18, v26
	v_and_b32_e32 v17, 1, v18
	v_add_co_u32_e32 v19, vcc, -1, v17
	v_mov_b32_e32 v74, 2
	v_addc_co_u32_e64 v73, s[16:17], 0, -1, vcc
	v_cmp_ne_u32_e32 vcc, 0, v17
	v_lshlrev_b32_sdwa v16, v74, v18 dst_sel:DWORD dst_unused:UNUSED_PAD src0_sel:DWORD src1_sel:BYTE_0
	v_xor_b32_e32 v17, vcc_hi, v73
	v_add_lshl_u32 v72, v38, v16, 2
	v_mov_b32_e32 v16, 0
	v_and_b32_e32 v73, exec_hi, v17
	v_lshlrev_b32_e32 v17, 30, v18
	v_xor_b32_e32 v19, vcc_lo, v19
	v_cmp_gt_i64_e32 vcc, 0, v[16:17]
	v_not_b32_e32 v17, v17
	v_ashrrev_i32_e32 v17, 31, v17
	v_and_b32_e32 v19, exec_lo, v19
	v_xor_b32_e32 v75, vcc_hi, v17
	v_xor_b32_e32 v17, vcc_lo, v17
	v_and_b32_e32 v19, v19, v17
	v_lshlrev_b32_e32 v17, 29, v18
	v_cmp_gt_i64_e32 vcc, 0, v[16:17]
	v_not_b32_e32 v17, v17
	v_ashrrev_i32_e32 v17, 31, v17
	v_and_b32_e32 v73, v73, v75
	v_xor_b32_e32 v75, vcc_hi, v17
	v_xor_b32_e32 v17, vcc_lo, v17
	v_and_b32_e32 v19, v19, v17
	v_lshlrev_b32_e32 v17, 28, v18
	v_cmp_gt_i64_e32 vcc, 0, v[16:17]
	v_not_b32_e32 v17, v17
	v_ashrrev_i32_e32 v17, 31, v17
	v_and_b32_e32 v73, v73, v75
	;; [unrolled: 8-line block ×5, first 2 shown]
	v_xor_b32_e32 v75, vcc_hi, v17
	v_xor_b32_e32 v17, vcc_lo, v17
	v_and_b32_e32 v73, v73, v75
	v_and_b32_e32 v75, v19, v17
	v_lshlrev_b32_e32 v17, 24, v18
	v_cmp_gt_i64_e32 vcc, 0, v[16:17]
	v_not_b32_e32 v17, v17
	v_ashrrev_i32_e32 v17, 31, v17
	v_xor_b32_e32 v18, vcc_hi, v17
	v_xor_b32_e32 v17, vcc_lo, v17
	; wave barrier
	ds_read_b32 v71, v72 offset:16
	v_and_b32_e32 v19, v73, v18
	v_and_b32_e32 v18, v75, v17
	v_mbcnt_lo_u32_b32 v17, v18, 0
	v_mbcnt_hi_u32_b32 v73, v19, v17
	v_cmp_eq_u32_e32 vcc, 0, v73
	v_cmp_ne_u64_e64 s[16:17], 0, v[18:19]
	s_and_b64 s[20:21], s[16:17], vcc
	; wave barrier
	s_and_saveexec_b64 s[16:17], s[20:21]
	s_cbranch_execz .LBB106_75
; %bb.74:
	v_bcnt_u32_b32 v17, v18, 0
	v_bcnt_u32_b32 v17, v19, v17
	s_waitcnt lgkmcnt(0)
	v_add_u32_e32 v17, v71, v17
	ds_write_b32 v72, v17 offset:16
.LBB106_75:
	s_or_b64 exec, exec, s[16:17]
	v_and_b32_e32 v18, s18, v27
	v_lshlrev_b32_sdwa v17, v74, v18 dst_sel:DWORD dst_unused:UNUSED_PAD src0_sel:DWORD src1_sel:BYTE_0
	v_add_lshl_u32 v74, v38, v17, 2
	v_and_b32_e32 v17, 1, v18
	v_add_co_u32_e32 v19, vcc, -1, v17
	v_addc_co_u32_e64 v76, s[16:17], 0, -1, vcc
	v_cmp_ne_u32_e32 vcc, 0, v17
	v_xor_b32_e32 v17, vcc_hi, v76
	v_and_b32_e32 v76, exec_hi, v17
	v_lshlrev_b32_e32 v17, 30, v18
	v_xor_b32_e32 v19, vcc_lo, v19
	v_cmp_gt_i64_e32 vcc, 0, v[16:17]
	v_not_b32_e32 v17, v17
	v_ashrrev_i32_e32 v17, 31, v17
	v_and_b32_e32 v19, exec_lo, v19
	v_xor_b32_e32 v77, vcc_hi, v17
	v_xor_b32_e32 v17, vcc_lo, v17
	v_and_b32_e32 v19, v19, v17
	v_lshlrev_b32_e32 v17, 29, v18
	v_cmp_gt_i64_e32 vcc, 0, v[16:17]
	v_not_b32_e32 v17, v17
	v_ashrrev_i32_e32 v17, 31, v17
	v_and_b32_e32 v76, v76, v77
	v_xor_b32_e32 v77, vcc_hi, v17
	v_xor_b32_e32 v17, vcc_lo, v17
	v_and_b32_e32 v19, v19, v17
	v_lshlrev_b32_e32 v17, 28, v18
	v_cmp_gt_i64_e32 vcc, 0, v[16:17]
	v_not_b32_e32 v17, v17
	v_ashrrev_i32_e32 v17, 31, v17
	v_and_b32_e32 v76, v76, v77
	;; [unrolled: 8-line block ×5, first 2 shown]
	v_xor_b32_e32 v77, vcc_hi, v17
	v_xor_b32_e32 v17, vcc_lo, v17
	v_and_b32_e32 v19, v19, v17
	v_lshlrev_b32_e32 v17, 24, v18
	v_cmp_gt_i64_e32 vcc, 0, v[16:17]
	v_not_b32_e32 v16, v17
	v_ashrrev_i32_e32 v16, 31, v16
	v_xor_b32_e32 v17, vcc_hi, v16
	v_xor_b32_e32 v16, vcc_lo, v16
	; wave barrier
	ds_read_b32 v38, v74 offset:16
	v_and_b32_e32 v76, v76, v77
	v_and_b32_e32 v16, v19, v16
	;; [unrolled: 1-line block ×3, first 2 shown]
	v_mbcnt_lo_u32_b32 v18, v16, 0
	v_mbcnt_hi_u32_b32 v76, v17, v18
	v_cmp_eq_u32_e32 vcc, 0, v76
	v_cmp_ne_u64_e64 s[16:17], 0, v[16:17]
	v_add_u32_e32 v75, 16, v62
	s_and_b64 s[18:19], s[16:17], vcc
	; wave barrier
	s_and_saveexec_b64 s[16:17], s[18:19]
	s_cbranch_execz .LBB106_77
; %bb.76:
	v_bcnt_u32_b32 v16, v16, 0
	v_bcnt_u32_b32 v16, v17, v16
	s_waitcnt lgkmcnt(0)
	v_add_u32_e32 v16, v38, v16
	ds_write_b32 v74, v16 offset:16
.LBB106_77:
	s_or_b64 exec, exec, s[16:17]
	; wave barrier
	s_waitcnt lgkmcnt(0)
	s_barrier
	ds_read2_b32 v[16:17], v62 offset0:4 offset1:5
	ds_read2_b32 v[18:19], v75 offset0:2 offset1:3
	v_min_u32_e32 v63, 0xc0, v63
	v_or_b32_e32 v63, 63, v63
	s_waitcnt lgkmcnt(1)
	v_add_u32_e32 v77, v17, v16
	s_waitcnt lgkmcnt(0)
	v_add3_u32 v19, v77, v18, v19
	v_and_b32_e32 v77, 15, v61
	v_cmp_ne_u32_e32 vcc, 0, v77
	v_mov_b32_dpp v78, v19 row_shr:1 row_mask:0xf bank_mask:0xf
	v_cndmask_b32_e32 v78, 0, v78, vcc
	v_add_u32_e32 v19, v78, v19
	v_cmp_lt_u32_e32 vcc, 1, v77
	s_nop 0
	v_mov_b32_dpp v78, v19 row_shr:2 row_mask:0xf bank_mask:0xf
	v_cndmask_b32_e32 v78, 0, v78, vcc
	v_add_u32_e32 v19, v19, v78
	v_cmp_lt_u32_e32 vcc, 3, v77
	s_nop 0
	;; [unrolled: 5-line block ×3, first 2 shown]
	v_mov_b32_dpp v78, v19 row_shr:8 row_mask:0xf bank_mask:0xf
	v_cndmask_b32_e32 v77, 0, v78, vcc
	v_add_u32_e32 v19, v19, v77
	v_bfe_i32 v78, v61, 4, 1
	v_cmp_lt_u32_e32 vcc, 31, v61
	v_mov_b32_dpp v77, v19 row_bcast:15 row_mask:0xf bank_mask:0xf
	v_and_b32_e32 v77, v78, v77
	v_add_u32_e32 v19, v19, v77
	s_nop 1
	v_mov_b32_dpp v77, v19 row_bcast:31 row_mask:0xf bank_mask:0xf
	v_cndmask_b32_e32 v77, 0, v77, vcc
	v_add_u32_e32 v19, v19, v77
	v_lshrrev_b32_e32 v77, 6, v36
	v_cmp_eq_u32_e32 vcc, v63, v36
	s_and_saveexec_b64 s[16:17], vcc
	s_cbranch_execz .LBB106_79
; %bb.78:
	v_lshlrev_b32_e32 v63, 2, v77
	ds_write_b32 v63, v19
.LBB106_79:
	s_or_b64 exec, exec, s[16:17]
	v_cmp_gt_u32_e32 vcc, 4, v36
	s_waitcnt lgkmcnt(0)
	s_barrier
	s_and_saveexec_b64 s[16:17], vcc
	s_cbranch_execz .LBB106_81
; %bb.80:
	v_lshlrev_b32_e32 v63, 2, v36
	ds_read_b32 v78, v63
	v_and_b32_e32 v79, 3, v61
	v_cmp_ne_u32_e32 vcc, 0, v79
	s_waitcnt lgkmcnt(0)
	v_mov_b32_dpp v80, v78 row_shr:1 row_mask:0xf bank_mask:0xf
	v_cndmask_b32_e32 v80, 0, v80, vcc
	v_add_u32_e32 v78, v80, v78
	v_cmp_lt_u32_e32 vcc, 1, v79
	s_nop 0
	v_mov_b32_dpp v80, v78 row_shr:2 row_mask:0xf bank_mask:0xf
	v_cndmask_b32_e32 v79, 0, v80, vcc
	v_add_u32_e32 v78, v78, v79
	ds_write_b32 v63, v78
.LBB106_81:
	s_or_b64 exec, exec, s[16:17]
	v_cmp_lt_u32_e32 vcc, 63, v36
	v_mov_b32_e32 v63, 0
	s_waitcnt lgkmcnt(0)
	s_barrier
	s_and_saveexec_b64 s[16:17], vcc
	s_cbranch_execz .LBB106_83
; %bb.82:
	v_lshl_add_u32 v63, v77, 2, -4
	ds_read_b32 v63, v63
.LBB106_83:
	s_or_b64 exec, exec, s[16:17]
	v_add_u32_e32 v77, -1, v61
	v_and_b32_e32 v78, 64, v61
	v_cmp_lt_i32_e32 vcc, v77, v78
	v_cndmask_b32_e32 v77, v77, v61, vcc
	s_waitcnt lgkmcnt(0)
	v_add_u32_e32 v19, v63, v19
	v_lshlrev_b32_e32 v77, 2, v77
	ds_bpermute_b32 v19, v77, v19
	v_cmp_eq_u32_e32 vcc, 0, v61
	s_movk_i32 s16, 0x7f
	s_waitcnt lgkmcnt(0)
	v_cndmask_b32_e32 v19, v19, v63, vcc
	v_cmp_ne_u32_e32 vcc, 0, v36
	v_cndmask_b32_e32 v19, 0, v19, vcc
	v_add_u32_e32 v16, v19, v16
	v_add_u32_e32 v17, v16, v17
	;; [unrolled: 1-line block ×3, first 2 shown]
	ds_write2_b32 v62, v19, v16 offset0:4 offset1:5
	ds_write2_b32 v75, v17, v18 offset0:2 offset1:3
	s_waitcnt lgkmcnt(0)
	s_barrier
	ds_read_b32 v16, v28 offset:16
	ds_read_b32 v17, v31 offset:16
	;; [unrolled: 1-line block ×8, first 2 shown]
	s_waitcnt lgkmcnt(7)
	v_add_u32_e32 v29, v16, v29
	s_waitcnt lgkmcnt(6)
	v_add3_u32 v30, v32, v30, v17
	s_waitcnt lgkmcnt(5)
	v_add3_u32 v18, v40, v33, v18
	;; [unrolled: 2-line block ×7, first 2 shown]
	s_barrier
	ds_write_b8 v29, v20
	ds_write_b8 v30, v21
	;; [unrolled: 1-line block ×8, first 2 shown]
	v_lshlrev_b32_e32 v20, 3, v29
	s_waitcnt lgkmcnt(0)
	s_barrier
	ds_read_b64 v[16:17], v53
	s_waitcnt lgkmcnt(0)
	s_barrier
	ds_write_b64 v20, v[12:13]
	v_lshlrev_b32_e32 v12, 3, v30
	ds_write_b64 v12, v[14:15]
	v_lshlrev_b32_e32 v12, 3, v18
	;; [unrolled: 2-line block ×8, first 2 shown]
	s_waitcnt lgkmcnt(0)
	s_barrier
	ds_read2_b64 v[18:21], v0 offset1:1
	ds_read2_b64 v[22:25], v0 offset0:2 offset1:3
	ds_read2_b64 v[26:29], v0 offset0:4 offset1:5
	;; [unrolled: 1-line block ×3, first 2 shown]
	v_lshrrev_b32_e32 v36, 8, v16
	v_lshrrev_b32_e32 v38, 8, v17
	v_xor_b32_e32 v0, 0x7f, v16
	v_xor_b32_sdwa v1, v36, s16 dst_sel:BYTE_1 dst_unused:UNUSED_PAD src0_sel:DWORD src1_sel:DWORD
	v_xor_b32_sdwa v2, v16, s16 dst_sel:DWORD dst_unused:UNUSED_PAD src0_sel:WORD_1 src1_sel:DWORD
	v_xor_b32_sdwa v3, v16, s16 dst_sel:BYTE_1 dst_unused:UNUSED_PAD src0_sel:BYTE_3 src1_sel:DWORD
	v_xor_b32_e32 v4, 0x7f, v17
	v_xor_b32_sdwa v5, v38, s16 dst_sel:BYTE_1 dst_unused:UNUSED_PAD src0_sel:DWORD src1_sel:DWORD
	v_xor_b32_sdwa v6, v17, s16 dst_sel:DWORD dst_unused:UNUSED_PAD src0_sel:WORD_1 src1_sel:DWORD
	v_xor_b32_sdwa v7, v17, s16 dst_sel:BYTE_1 dst_unused:UNUSED_PAD src0_sel:BYTE_3 src1_sel:DWORD
	v_or_b32_sdwa v0, v0, v1 dst_sel:DWORD dst_unused:UNUSED_PAD src0_sel:BYTE_0 src1_sel:DWORD
	v_or_b32_sdwa v1, v2, v3 dst_sel:WORD_1 dst_unused:UNUSED_PAD src0_sel:BYTE_0 src1_sel:DWORD
	v_or_b32_sdwa v0, v0, v1 dst_sel:DWORD dst_unused:UNUSED_PAD src0_sel:WORD_0 src1_sel:DWORD
	v_or_b32_sdwa v1, v4, v5 dst_sel:DWORD dst_unused:UNUSED_PAD src0_sel:BYTE_0 src1_sel:DWORD
	v_or_b32_sdwa v2, v6, v7 dst_sel:WORD_1 dst_unused:UNUSED_PAD src0_sel:BYTE_0 src1_sel:DWORD
	v_or_b32_sdwa v1, v1, v2 dst_sel:DWORD dst_unused:UNUSED_PAD src0_sel:WORD_0 src1_sel:DWORD
.LBB106_84:
	s_waitcnt lgkmcnt(0)
	s_barrier
	ds_write_b64 v52, v[0:1]
	s_waitcnt lgkmcnt(0)
	s_barrier
	ds_read_u8 v8, v45 offset:256
	ds_read_u8 v7, v46 offset:512
	;; [unrolled: 1-line block ×7, first 2 shown]
	v_mov_b32_e32 v1, s41
	v_add_co_u32_e32 v0, vcc, s40, v37
	v_addc_co_u32_e32 v1, vcc, 0, v1, vcc
	s_and_saveexec_b64 s[16:17], s[0:1]
	s_cbranch_execnz .LBB106_103
; %bb.85:
	s_or_b64 exec, exec, s[16:17]
	s_and_saveexec_b64 s[16:17], s[2:3]
	s_cbranch_execnz .LBB106_104
.LBB106_86:
	s_or_b64 exec, exec, s[16:17]
	s_and_saveexec_b64 s[16:17], s[4:5]
	s_cbranch_execnz .LBB106_105
.LBB106_87:
	s_or_b64 exec, exec, s[16:17]
	s_and_saveexec_b64 s[16:17], s[6:7]
	s_cbranch_execnz .LBB106_106
.LBB106_88:
	s_or_b64 exec, exec, s[16:17]
	s_and_saveexec_b64 s[16:17], s[8:9]
	s_cbranch_execnz .LBB106_107
.LBB106_89:
	s_or_b64 exec, exec, s[16:17]
	s_and_saveexec_b64 s[16:17], s[10:11]
	s_cbranch_execnz .LBB106_108
.LBB106_90:
	s_or_b64 exec, exec, s[16:17]
	s_and_saveexec_b64 s[16:17], s[12:13]
	s_cbranch_execnz .LBB106_109
.LBB106_91:
	s_or_b64 exec, exec, s[16:17]
	s_and_saveexec_b64 s[16:17], s[14:15]
	s_cbranch_execz .LBB106_93
.LBB106_92:
	s_mul_i32 s18, s38, 0x700
	v_add_co_u32_e32 v0, vcc, s18, v0
	v_addc_co_u32_e32 v1, vcc, 0, v1, vcc
	s_waitcnt lgkmcnt(0)
	global_store_byte v[0:1], v2, off
.LBB106_93:
	s_or_b64 exec, exec, s[16:17]
	s_waitcnt lgkmcnt(0)
	s_barrier
	ds_write2_b64 v60, v[18:19], v[20:21] offset1:1
	ds_write2_b64 v60, v[22:23], v[24:25] offset0:2 offset1:3
	ds_write2_b64 v60, v[26:27], v[28:29] offset0:4 offset1:5
	;; [unrolled: 1-line block ×3, first 2 shown]
	s_waitcnt lgkmcnt(0)
	s_barrier
	ds_read_b64 v[14:15], v35 offset:2048
	ds_read_b64 v[12:13], v54 offset:4096
	ds_read_b64 v[10:11], v55 offset:6144
	ds_read_b64 v[8:9], v56 offset:8192
	ds_read_b64 v[6:7], v57 offset:10240
	ds_read_b64 v[4:5], v58 offset:12288
	ds_read_b64 v[0:1], v59 offset:14336
	v_mov_b32_e32 v35, 0
	v_lshlrev_b64 v[2:3], 3, v[34:35]
	v_mov_b32_e32 v16, s35
	v_add_co_u32_e32 v2, vcc, s33, v2
	v_addc_co_u32_e32 v3, vcc, v16, v3, vcc
	s_and_saveexec_b64 s[16:17], s[0:1]
	s_cbranch_execnz .LBB106_110
; %bb.94:
	s_or_b64 exec, exec, s[16:17]
	s_and_saveexec_b64 s[0:1], s[2:3]
	s_cbranch_execnz .LBB106_111
.LBB106_95:
	s_or_b64 exec, exec, s[0:1]
	s_and_saveexec_b64 s[0:1], s[4:5]
	s_cbranch_execnz .LBB106_112
.LBB106_96:
	s_or_b64 exec, exec, s[0:1]
	s_and_saveexec_b64 s[0:1], s[6:7]
	s_cbranch_execnz .LBB106_113
.LBB106_97:
	s_or_b64 exec, exec, s[0:1]
	s_and_saveexec_b64 s[0:1], s[8:9]
	s_cbranch_execnz .LBB106_114
.LBB106_98:
	s_or_b64 exec, exec, s[0:1]
	s_and_saveexec_b64 s[0:1], s[10:11]
	s_cbranch_execnz .LBB106_115
.LBB106_99:
	s_or_b64 exec, exec, s[0:1]
	s_and_saveexec_b64 s[0:1], s[12:13]
	s_cbranch_execnz .LBB106_116
.LBB106_100:
	s_or_b64 exec, exec, s[0:1]
	s_and_saveexec_b64 s[0:1], s[14:15]
	s_cbranch_execz .LBB106_102
.LBB106_101:
	s_mul_i32 s0, s34, 0x700
	s_mov_b32 s1, 0
	s_lshl_b64 s[0:1], s[0:1], 3
	s_waitcnt lgkmcnt(1)
	v_mov_b32_e32 v4, s1
	v_add_co_u32_e32 v2, vcc, s0, v2
	v_addc_co_u32_e32 v3, vcc, v3, v4, vcc
	s_waitcnt lgkmcnt(0)
	global_store_dwordx2 v[2:3], v[0:1], off
.LBB106_102:
	s_endpgm
.LBB106_103:
	ds_read_u8 v9, v44
	s_waitcnt lgkmcnt(0)
	global_store_byte v[0:1], v9, off
	s_or_b64 exec, exec, s[16:17]
	s_and_saveexec_b64 s[16:17], s[2:3]
	s_cbranch_execz .LBB106_86
.LBB106_104:
	s_lshl_b32 s18, s38, 8
	v_add_co_u32_e32 v10, vcc, s18, v0
	v_addc_co_u32_e32 v11, vcc, 0, v1, vcc
	s_waitcnt lgkmcnt(6)
	global_store_byte v[10:11], v8, off
	s_or_b64 exec, exec, s[16:17]
	s_and_saveexec_b64 s[16:17], s[4:5]
	s_cbranch_execz .LBB106_87
.LBB106_105:
	s_lshl_b32 s18, s38, 9
	s_waitcnt lgkmcnt(6)
	v_add_co_u32_e32 v8, vcc, s18, v0
	v_addc_co_u32_e32 v9, vcc, 0, v1, vcc
	s_waitcnt lgkmcnt(5)
	global_store_byte v[8:9], v7, off
	s_or_b64 exec, exec, s[16:17]
	s_and_saveexec_b64 s[16:17], s[6:7]
	s_cbranch_execz .LBB106_88
.LBB106_106:
	s_mul_i32 s18, s38, 0x300
	s_waitcnt lgkmcnt(6)
	v_add_co_u32_e32 v8, vcc, s18, v0
	v_addc_co_u32_e32 v9, vcc, 0, v1, vcc
	s_waitcnt lgkmcnt(4)
	global_store_byte v[8:9], v6, off
	s_or_b64 exec, exec, s[16:17]
	s_and_saveexec_b64 s[16:17], s[8:9]
	s_cbranch_execz .LBB106_89
.LBB106_107:
	s_lshl_b32 s18, s38, 10
	s_waitcnt lgkmcnt(4)
	v_add_co_u32_e32 v6, vcc, s18, v0
	v_addc_co_u32_e32 v7, vcc, 0, v1, vcc
	s_waitcnt lgkmcnt(3)
	global_store_byte v[6:7], v5, off
	s_or_b64 exec, exec, s[16:17]
	s_and_saveexec_b64 s[16:17], s[10:11]
	s_cbranch_execz .LBB106_90
.LBB106_108:
	s_mul_i32 s18, s38, 0x500
	s_waitcnt lgkmcnt(4)
	v_add_co_u32_e32 v6, vcc, s18, v0
	v_addc_co_u32_e32 v7, vcc, 0, v1, vcc
	s_waitcnt lgkmcnt(2)
	global_store_byte v[6:7], v4, off
	s_or_b64 exec, exec, s[16:17]
	s_and_saveexec_b64 s[16:17], s[12:13]
	s_cbranch_execz .LBB106_91
.LBB106_109:
	s_mul_i32 s18, s38, 0x600
	s_waitcnt lgkmcnt(2)
	v_add_co_u32_e32 v4, vcc, s18, v0
	v_addc_co_u32_e32 v5, vcc, 0, v1, vcc
	s_waitcnt lgkmcnt(1)
	global_store_byte v[4:5], v3, off
	s_or_b64 exec, exec, s[16:17]
	s_and_saveexec_b64 s[16:17], s[14:15]
	s_cbranch_execnz .LBB106_92
	s_branch .LBB106_93
.LBB106_110:
	ds_read_b64 v[16:17], v41
	s_waitcnt lgkmcnt(0)
	global_store_dwordx2 v[2:3], v[16:17], off
	s_or_b64 exec, exec, s[16:17]
	s_and_saveexec_b64 s[0:1], s[2:3]
	s_cbranch_execz .LBB106_95
.LBB106_111:
	s_lshl_b32 s2, s34, 8
	s_mov_b32 s3, 0
	s_lshl_b64 s[2:3], s[2:3], 3
	v_mov_b32_e32 v17, s3
	v_add_co_u32_e32 v16, vcc, s2, v2
	v_addc_co_u32_e32 v17, vcc, v3, v17, vcc
	s_waitcnt lgkmcnt(6)
	global_store_dwordx2 v[16:17], v[14:15], off
	s_or_b64 exec, exec, s[0:1]
	s_and_saveexec_b64 s[0:1], s[4:5]
	s_cbranch_execz .LBB106_96
.LBB106_112:
	s_lshl_b32 s2, s34, 9
	s_mov_b32 s3, 0
	s_lshl_b64 s[2:3], s[2:3], 3
	s_waitcnt lgkmcnt(6)
	v_mov_b32_e32 v15, s3
	v_add_co_u32_e32 v14, vcc, s2, v2
	v_addc_co_u32_e32 v15, vcc, v3, v15, vcc
	s_waitcnt lgkmcnt(5)
	global_store_dwordx2 v[14:15], v[12:13], off
	s_or_b64 exec, exec, s[0:1]
	s_and_saveexec_b64 s[0:1], s[6:7]
	s_cbranch_execz .LBB106_97
.LBB106_113:
	s_mul_i32 s2, s34, 0x300
	s_mov_b32 s3, 0
	s_lshl_b64 s[2:3], s[2:3], 3
	s_waitcnt lgkmcnt(5)
	v_mov_b32_e32 v13, s3
	v_add_co_u32_e32 v12, vcc, s2, v2
	v_addc_co_u32_e32 v13, vcc, v3, v13, vcc
	s_waitcnt lgkmcnt(4)
	global_store_dwordx2 v[12:13], v[10:11], off
	s_or_b64 exec, exec, s[0:1]
	s_and_saveexec_b64 s[0:1], s[8:9]
	s_cbranch_execz .LBB106_98
.LBB106_114:
	s_lshl_b32 s2, s34, 10
	s_mov_b32 s3, 0
	s_lshl_b64 s[2:3], s[2:3], 3
	s_waitcnt lgkmcnt(4)
	v_mov_b32_e32 v11, s3
	v_add_co_u32_e32 v10, vcc, s2, v2
	v_addc_co_u32_e32 v11, vcc, v3, v11, vcc
	s_waitcnt lgkmcnt(3)
	global_store_dwordx2 v[10:11], v[8:9], off
	s_or_b64 exec, exec, s[0:1]
	s_and_saveexec_b64 s[0:1], s[10:11]
	s_cbranch_execz .LBB106_99
.LBB106_115:
	s_mul_i32 s2, s34, 0x500
	s_mov_b32 s3, 0
	s_lshl_b64 s[2:3], s[2:3], 3
	s_waitcnt lgkmcnt(3)
	v_mov_b32_e32 v9, s3
	v_add_co_u32_e32 v8, vcc, s2, v2
	v_addc_co_u32_e32 v9, vcc, v3, v9, vcc
	s_waitcnt lgkmcnt(2)
	global_store_dwordx2 v[8:9], v[6:7], off
	s_or_b64 exec, exec, s[0:1]
	s_and_saveexec_b64 s[0:1], s[12:13]
	s_cbranch_execz .LBB106_100
.LBB106_116:
	s_mul_i32 s2, s34, 0x600
	s_mov_b32 s3, 0
	s_lshl_b64 s[2:3], s[2:3], 3
	s_waitcnt lgkmcnt(2)
	v_mov_b32_e32 v7, s3
	v_add_co_u32_e32 v6, vcc, s2, v2
	v_addc_co_u32_e32 v7, vcc, v3, v7, vcc
	s_waitcnt lgkmcnt(1)
	global_store_dwordx2 v[6:7], v[4:5], off
	s_or_b64 exec, exec, s[0:1]
	s_and_saveexec_b64 s[0:1], s[14:15]
	s_cbranch_execnz .LBB106_101
	s_branch .LBB106_102
	.section	.rodata,"a",@progbits
	.p2align	6, 0x0
	.amdhsa_kernel _ZN2at6native18radixSortKVInPlaceILi2ELin1ELi256ELi8EaljEEvNS_4cuda6detail10TensorInfoIT3_T5_EES6_S6_S6_NS4_IT4_S6_EES6_b
		.amdhsa_group_segment_fixed_size 16896
		.amdhsa_private_segment_fixed_size 0
		.amdhsa_kernarg_size 712
		.amdhsa_user_sgpr_count 6
		.amdhsa_user_sgpr_private_segment_buffer 1
		.amdhsa_user_sgpr_dispatch_ptr 0
		.amdhsa_user_sgpr_queue_ptr 0
		.amdhsa_user_sgpr_kernarg_segment_ptr 1
		.amdhsa_user_sgpr_dispatch_id 0
		.amdhsa_user_sgpr_flat_scratch_init 0
		.amdhsa_user_sgpr_kernarg_preload_length 0
		.amdhsa_user_sgpr_kernarg_preload_offset 0
		.amdhsa_user_sgpr_private_segment_size 0
		.amdhsa_uses_dynamic_stack 0
		.amdhsa_system_sgpr_private_segment_wavefront_offset 0
		.amdhsa_system_sgpr_workgroup_id_x 1
		.amdhsa_system_sgpr_workgroup_id_y 1
		.amdhsa_system_sgpr_workgroup_id_z 1
		.amdhsa_system_sgpr_workgroup_info 0
		.amdhsa_system_vgpr_workitem_id 2
		.amdhsa_next_free_vgpr 109
		.amdhsa_next_free_sgpr 46
		.amdhsa_accum_offset 112
		.amdhsa_reserve_vcc 1
		.amdhsa_reserve_flat_scratch 0
		.amdhsa_float_round_mode_32 0
		.amdhsa_float_round_mode_16_64 0
		.amdhsa_float_denorm_mode_32 3
		.amdhsa_float_denorm_mode_16_64 3
		.amdhsa_dx10_clamp 1
		.amdhsa_ieee_mode 1
		.amdhsa_fp16_overflow 0
		.amdhsa_tg_split 0
		.amdhsa_exception_fp_ieee_invalid_op 0
		.amdhsa_exception_fp_denorm_src 0
		.amdhsa_exception_fp_ieee_div_zero 0
		.amdhsa_exception_fp_ieee_overflow 0
		.amdhsa_exception_fp_ieee_underflow 0
		.amdhsa_exception_fp_ieee_inexact 0
		.amdhsa_exception_int_div_zero 0
	.end_amdhsa_kernel
	.section	.text._ZN2at6native18radixSortKVInPlaceILi2ELin1ELi256ELi8EaljEEvNS_4cuda6detail10TensorInfoIT3_T5_EES6_S6_S6_NS4_IT4_S6_EES6_b,"axG",@progbits,_ZN2at6native18radixSortKVInPlaceILi2ELin1ELi256ELi8EaljEEvNS_4cuda6detail10TensorInfoIT3_T5_EES6_S6_S6_NS4_IT4_S6_EES6_b,comdat
.Lfunc_end106:
	.size	_ZN2at6native18radixSortKVInPlaceILi2ELin1ELi256ELi8EaljEEvNS_4cuda6detail10TensorInfoIT3_T5_EES6_S6_S6_NS4_IT4_S6_EES6_b, .Lfunc_end106-_ZN2at6native18radixSortKVInPlaceILi2ELin1ELi256ELi8EaljEEvNS_4cuda6detail10TensorInfoIT3_T5_EES6_S6_S6_NS4_IT4_S6_EES6_b
                                        ; -- End function
	.section	.AMDGPU.csdata,"",@progbits
; Kernel info:
; codeLenInByte = 12028
; NumSgprs: 50
; NumVgprs: 109
; NumAgprs: 0
; TotalNumVgprs: 109
; ScratchSize: 0
; MemoryBound: 0
; FloatMode: 240
; IeeeMode: 1
; LDSByteSize: 16896 bytes/workgroup (compile time only)
; SGPRBlocks: 6
; VGPRBlocks: 13
; NumSGPRsForWavesPerEU: 50
; NumVGPRsForWavesPerEU: 109
; AccumOffset: 112
; Occupancy: 3
; WaveLimiterHint : 1
; COMPUTE_PGM_RSRC2:SCRATCH_EN: 0
; COMPUTE_PGM_RSRC2:USER_SGPR: 6
; COMPUTE_PGM_RSRC2:TRAP_HANDLER: 0
; COMPUTE_PGM_RSRC2:TGID_X_EN: 1
; COMPUTE_PGM_RSRC2:TGID_Y_EN: 1
; COMPUTE_PGM_RSRC2:TGID_Z_EN: 1
; COMPUTE_PGM_RSRC2:TIDIG_COMP_CNT: 2
; COMPUTE_PGM_RSRC3_GFX90A:ACCUM_OFFSET: 27
; COMPUTE_PGM_RSRC3_GFX90A:TG_SPLIT: 0
	.section	.text._ZN2at6native18radixSortKVInPlaceILi2ELin1ELi128ELi8EaljEEvNS_4cuda6detail10TensorInfoIT3_T5_EES6_S6_S6_NS4_IT4_S6_EES6_b,"axG",@progbits,_ZN2at6native18radixSortKVInPlaceILi2ELin1ELi128ELi8EaljEEvNS_4cuda6detail10TensorInfoIT3_T5_EES6_S6_S6_NS4_IT4_S6_EES6_b,comdat
	.protected	_ZN2at6native18radixSortKVInPlaceILi2ELin1ELi128ELi8EaljEEvNS_4cuda6detail10TensorInfoIT3_T5_EES6_S6_S6_NS4_IT4_S6_EES6_b ; -- Begin function _ZN2at6native18radixSortKVInPlaceILi2ELin1ELi128ELi8EaljEEvNS_4cuda6detail10TensorInfoIT3_T5_EES6_S6_S6_NS4_IT4_S6_EES6_b
	.globl	_ZN2at6native18radixSortKVInPlaceILi2ELin1ELi128ELi8EaljEEvNS_4cuda6detail10TensorInfoIT3_T5_EES6_S6_S6_NS4_IT4_S6_EES6_b
	.p2align	8
	.type	_ZN2at6native18radixSortKVInPlaceILi2ELin1ELi128ELi8EaljEEvNS_4cuda6detail10TensorInfoIT3_T5_EES6_S6_S6_NS4_IT4_S6_EES6_b,@function
_ZN2at6native18radixSortKVInPlaceILi2ELin1ELi128ELi8EaljEEvNS_4cuda6detail10TensorInfoIT3_T5_EES6_S6_S6_NS4_IT4_S6_EES6_b: ; @_ZN2at6native18radixSortKVInPlaceILi2ELin1ELi128ELi8EaljEEvNS_4cuda6detail10TensorInfoIT3_T5_EES6_S6_S6_NS4_IT4_S6_EES6_b
; %bb.0:
	s_load_dwordx2 s[0:1], s[4:5], 0x1c8
	s_load_dwordx4 s[36:39], s[4:5], 0xd8
	s_add_u32 s42, s4, 0x1c8
	s_addc_u32 s43, s5, 0
	s_waitcnt lgkmcnt(0)
	s_mul_i32 s1, s1, s8
	s_add_i32 s1, s1, s7
	s_mul_i32 s8, s1, s0
	s_add_i32 s8, s8, s6
	s_cmp_ge_u32 s8, s36
	s_cbranch_scc1 .LBB107_102
; %bb.1:
	s_load_dword s9, s[4:5], 0xc
	s_load_dwordx2 s[0:1], s[4:5], 0x6c
	s_load_dword s6, s[4:5], 0x1b8
	s_add_u32 s14, s4, 0xe8
	s_load_dwordx2 s[2:3], s[4:5], 0x0
	s_waitcnt lgkmcnt(0)
	v_cvt_f32_u32_e32 v1, s9
	s_addc_u32 s15, s5, 0
	s_sub_i32 s7, 0, s9
	s_mov_b32 s17, 0
	v_rcp_iflag_f32_e32 v1, v1
	s_mov_b32 s16, s8
	v_mul_f32_e32 v1, 0x4f7ffffe, v1
	v_cvt_u32_f32_e32 v1, v1
	v_readfirstlane_b32 s10, v1
	s_mul_i32 s7, s7, s10
	s_mul_hi_u32 s7, s10, s7
	s_add_i32 s10, s10, s7
	s_mul_hi_u32 s10, s8, s10
	s_cmp_lt_i32 s6, 2
	s_cbranch_scc1 .LBB107_4
; %bb.2:
	s_add_i32 s16, s6, -1
	s_add_i32 s11, s6, 1
	s_lshl_b64 s[6:7], s[16:17], 2
	s_add_u32 s6, s6, s14
	s_addc_u32 s7, s7, s15
	s_add_u32 s6, s6, 8
	s_addc_u32 s7, s7, 0
	s_mov_b32 s16, s8
.LBB107_3:                              ; =>This Inner Loop Header: Depth=1
	s_load_dword s12, s[6:7], 0x0
	s_load_dword s18, s[6:7], 0x64
	s_mov_b32 s13, s16
	s_waitcnt lgkmcnt(0)
	v_cvt_f32_u32_e32 v1, s12
	s_sub_i32 s16, 0, s12
	v_rcp_iflag_f32_e32 v1, v1
	v_mul_f32_e32 v1, 0x4f7ffffe, v1
	v_cvt_u32_f32_e32 v1, v1
	v_readfirstlane_b32 s19, v1
	s_mul_i32 s16, s16, s19
	s_mul_hi_u32 s16, s19, s16
	s_add_i32 s19, s19, s16
	s_mul_hi_u32 s16, s13, s19
	s_mul_i32 s19, s16, s12
	s_sub_i32 s19, s13, s19
	s_add_i32 s20, s16, 1
	s_sub_i32 s21, s19, s12
	s_cmp_ge_u32 s19, s12
	s_cselect_b32 s16, s20, s16
	s_cselect_b32 s19, s21, s19
	s_add_i32 s20, s16, 1
	s_cmp_ge_u32 s19, s12
	s_cselect_b32 s16, s20, s16
	s_mul_i32 s12, s16, s12
	s_sub_i32 s12, s13, s12
	s_mul_i32 s12, s18, s12
	s_add_i32 s11, s11, -1
	s_add_i32 s17, s12, s17
	s_add_u32 s6, s6, -4
	s_addc_u32 s7, s7, -1
	s_cmp_gt_u32 s11, 2
	s_cbranch_scc1 .LBB107_3
.LBB107_4:
	s_mul_i32 s6, s10, s9
	s_sub_i32 s6, s8, s6
	s_add_i32 s7, s10, 1
	s_sub_i32 s11, s6, s9
	s_cmp_ge_u32 s6, s9
	s_cselect_b32 s7, s7, s10
	s_cselect_b32 s6, s11, s6
	s_add_i32 s10, s7, 1
	s_cmp_ge_u32 s6, s9
	s_cselect_b32 s6, s10, s7
	s_load_dwordx2 s[34:35], s[4:5], 0x1c0
	s_mul_i32 s7, s6, s9
	s_sub_i32 s4, s8, s7
	s_mul_i32 s4, s4, s1
	s_mul_i32 s0, s6, s0
	s_add_i32 s4, s0, s4
	s_waitcnt lgkmcnt(0)
	s_bitcmp1_b32 s35, 0
	s_cselect_b64 s[44:45], -1, 0
	s_movk_i32 s5, 0x80
	s_and_b64 s[0:1], s[44:45], exec
	s_cselect_b32 s0, s5, 0x7f
	v_lshlrev_b16_e64 v2, 8, s0
	v_or_b32_e32 v2, s0, v2
	v_lshlrev_b32_e32 v3, 16, v2
	s_add_u32 s40, s2, s4
	v_and_b32_e32 v36, 0x3ff, v0
	v_or_b32_sdwa v2, v2, v3 dst_sel:DWORD dst_unused:UNUSED_PAD src0_sel:WORD_0 src1_sel:DWORD
	s_addc_u32 s41, s3, 0
	v_mov_b32_e32 v1, s0
	v_mov_b32_e32 v3, v2
	v_cmp_gt_u32_e64 s[0:1], s37, v36
	v_mul_lo_u32 v37, v36, s38
	s_and_saveexec_b64 s[2:3], s[0:1]
	s_cbranch_execz .LBB107_6
; %bb.5:
	global_load_ubyte v1, v37, s[40:41]
	s_mov_b32 s4, 0x3020104
	v_mov_b32_e32 v5, v2
	s_waitcnt vmcnt(0)
	v_perm_b32 v4, v1, v2, s4
	v_pk_mov_b32 v[2:3], v[4:5], v[4:5] op_sel:[0,1]
.LBB107_6:
	s_or_b64 exec, exec, s[2:3]
	v_add_u32_e32 v32, 0x80, v36
	v_cmp_gt_u32_e64 s[2:3], s37, v32
	s_and_saveexec_b64 s[4:5], s[2:3]
	s_cbranch_execz .LBB107_8
; %bb.7:
	v_mul_lo_u32 v4, v32, s38
	global_load_ubyte v4, v4, s[40:41]
	s_mov_b32 s6, 0x7060004
	s_waitcnt vmcnt(0)
	v_perm_b32 v2, v2, v4, s6
.LBB107_8:
	s_or_b64 exec, exec, s[4:5]
	v_add_u32_e32 v31, 0x100, v36
	v_cmp_gt_u32_e64 s[4:5], s37, v31
	s_and_saveexec_b64 s[6:7], s[4:5]
	s_cbranch_execz .LBB107_10
; %bb.9:
	v_mul_lo_u32 v4, v31, s38
	global_load_ubyte v4, v4, s[40:41]
	s_movk_i32 s8, 0xff00
	v_and_b32_sdwa v5, v2, s8 dst_sel:DWORD dst_unused:UNUSED_PAD src0_sel:WORD_1 src1_sel:DWORD
	s_mov_b32 s8, 0xffff
	s_waitcnt vmcnt(0)
	v_or_b32_sdwa v4, v4, v5 dst_sel:WORD_1 dst_unused:UNUSED_PAD src0_sel:DWORD src1_sel:DWORD
	v_and_or_b32 v2, v2, s8, v4
.LBB107_10:
	s_or_b64 exec, exec, s[6:7]
	v_add_u32_e32 v30, 0x180, v36
	v_cmp_gt_u32_e64 s[6:7], s37, v30
	s_and_saveexec_b64 s[8:9], s[6:7]
	s_cbranch_execz .LBB107_12
; %bb.11:
	v_mul_lo_u32 v4, v30, s38
	global_load_ubyte v4, v4, s[40:41]
	s_movk_i32 s10, 0xff
	v_and_b32_sdwa v5, v2, s10 dst_sel:DWORD dst_unused:UNUSED_PAD src0_sel:WORD_1 src1_sel:DWORD
	s_mov_b32 s10, 0xffff
	s_waitcnt vmcnt(0)
	v_lshlrev_b16_e32 v4, 8, v4
	v_or_b32_sdwa v4, v5, v4 dst_sel:WORD_1 dst_unused:UNUSED_PAD src0_sel:DWORD src1_sel:DWORD
	v_and_or_b32 v2, v2, s10, v4
.LBB107_12:
	s_or_b64 exec, exec, s[8:9]
	v_add_u32_e32 v29, 0x200, v36
	v_cmp_gt_u32_e64 s[8:9], s37, v29
	s_and_saveexec_b64 s[10:11], s[8:9]
	s_cbranch_execz .LBB107_14
; %bb.13:
	v_mul_lo_u32 v4, v29, s38
	global_load_ubyte v4, v4, s[40:41]
	s_mov_b32 s12, 0x3020104
	s_waitcnt vmcnt(0)
	v_perm_b32 v3, v4, v3, s12
.LBB107_14:
	s_or_b64 exec, exec, s[10:11]
	v_add_u32_e32 v28, 0x280, v36
	v_cmp_gt_u32_e64 s[10:11], s37, v28
	s_and_saveexec_b64 s[12:13], s[10:11]
	s_cbranch_execz .LBB107_16
; %bb.15:
	v_mul_lo_u32 v4, v28, s38
	global_load_ubyte v4, v4, s[40:41]
	s_mov_b32 s18, 0x7060004
	s_waitcnt vmcnt(0)
	v_perm_b32 v3, v3, v4, s18
.LBB107_16:
	s_or_b64 exec, exec, s[12:13]
	s_load_dwordx2 s[18:19], s[14:15], 0x0
	v_add_u32_e32 v27, 0x300, v36
	v_cmp_gt_u32_e64 s[12:13], s37, v27
	s_and_saveexec_b64 s[20:21], s[12:13]
	s_cbranch_execz .LBB107_18
; %bb.17:
	v_mul_lo_u32 v4, v27, s38
	global_load_ubyte v4, v4, s[40:41]
	s_mov_b32 s22, 0x7000504
	s_waitcnt vmcnt(0)
	v_perm_b32 v3, v3, v4, s22
.LBB107_18:
	s_or_b64 exec, exec, s[20:21]
	s_load_dword s22, s[14:15], 0x6c
	v_add_u32_e32 v22, 0x380, v36
	v_cmp_gt_u32_e64 s[14:15], s37, v22
	s_and_saveexec_b64 s[20:21], s[14:15]
	s_cbranch_execz .LBB107_20
; %bb.19:
	v_mul_lo_u32 v4, v22, s38
	global_load_ubyte v4, v4, s[40:41]
	s_mov_b32 s23, 0x60504
	s_waitcnt vmcnt(0)
	v_perm_b32 v3, v3, v4, s23
.LBB107_20:
	s_or_b64 exec, exec, s[20:21]
	v_lshrrev_b32_e32 v26, 5, v36
	v_and_b32_e32 v4, 28, v26
	v_add_u32_e32 v44, v4, v36
	v_lshrrev_b32_e32 v25, 5, v32
	ds_write_b8 v44, v1
	v_and_b32_e32 v1, 60, v25
	v_lshrrev_b32_e32 v24, 5, v31
	v_add_u32_e32 v45, v1, v36
	v_and_b32_e32 v1, 60, v24
	v_lshrrev_b32_e32 v23, 5, v30
	v_add_u32_e32 v46, v1, v36
	;; [unrolled: 3-line block ×3, first 2 shown]
	v_and_b32_e32 v1, 60, v21
	v_lshrrev_b32_e32 v19, 5, v28
	v_lshrrev_b32_e32 v4, 8, v2
	v_add_u32_e32 v48, v1, v36
	v_and_b32_e32 v1, 60, v19
	v_lshrrev_b32_e32 v18, 5, v27
	ds_write_b8 v45, v4 offset:128
	ds_write_b8_d16_hi v46, v2 offset:256
	v_lshrrev_b32_e32 v2, 24, v2
	v_add_u32_e32 v49, v1, v36
	v_and_b32_e32 v1, 60, v18
	ds_write_b8 v47, v2 offset:384
	v_lshrrev_b32_e32 v2, 8, v3
	v_add_u32_e32 v50, v1, v36
	v_lshrrev_b32_e32 v1, 5, v22
	ds_write_b8 v48, v3 offset:512
	ds_write_b8 v49, v2 offset:640
	v_and_b32_e32 v2, 60, v1
	v_lshrrev_b32_e32 v20, 2, v36
	v_add_u32_e32 v51, v2, v36
	v_lshlrev_b32_e32 v53, 3, v36
	v_and_b32_e32 v2, 0xfc, v20
	s_waitcnt lgkmcnt(0)
	s_mul_i32 s16, s22, s16
	ds_write_b8_d16_hi v50, v3 offset:768
	v_lshrrev_b32_e32 v3, 24, v3
	v_add_u32_e32 v52, v2, v53
	s_add_i32 s16, s16, s17
	s_mov_b32 s17, 0
	ds_write_b8 v51, v3 offset:896
	s_waitcnt lgkmcnt(0)
	s_barrier
	ds_read_b64 v[38:39], v52
	s_lshl_b64 s[20:21], s[16:17], 3
	s_add_u32 s33, s18, s20
	s_mov_b32 s16, s17
	s_addc_u32 s35, s19, s21
	s_mov_b32 s18, s17
	s_mov_b32 s19, s17
	;; [unrolled: 1-line block ×14, first 2 shown]
	v_pk_mov_b32 v[2:3], s[16:17], s[16:17] op_sel:[0,1]
	v_pk_mov_b32 v[4:5], s[18:19], s[18:19] op_sel:[0,1]
	;; [unrolled: 1-line block ×8, first 2 shown]
	v_pk_mov_b32 v[2:3], 0, 0
	v_mul_lo_u32 v34, v36, s34
	s_waitcnt lgkmcnt(0)
	s_barrier
	s_and_saveexec_b64 s[16:17], s[0:1]
	s_cbranch_execnz .LBB107_53
; %bb.21:
	s_or_b64 exec, exec, s[16:17]
	s_and_saveexec_b64 s[16:17], s[2:3]
	s_cbranch_execnz .LBB107_54
.LBB107_22:
	s_or_b64 exec, exec, s[16:17]
	s_and_saveexec_b64 s[16:17], s[4:5]
	s_cbranch_execnz .LBB107_55
.LBB107_23:
	s_or_b64 exec, exec, s[16:17]
	s_and_saveexec_b64 s[16:17], s[6:7]
	s_cbranch_execnz .LBB107_56
.LBB107_24:
	s_or_b64 exec, exec, s[16:17]
	s_and_saveexec_b64 s[16:17], s[8:9]
	s_cbranch_execnz .LBB107_57
.LBB107_25:
	s_or_b64 exec, exec, s[16:17]
	s_and_saveexec_b64 s[16:17], s[10:11]
	s_cbranch_execnz .LBB107_58
.LBB107_26:
	s_or_b64 exec, exec, s[16:17]
	s_and_saveexec_b64 s[16:17], s[12:13]
	s_cbranch_execnz .LBB107_59
.LBB107_27:
	s_or_b64 exec, exec, s[16:17]
	s_xor_b64 s[16:17], s[44:45], -1
	s_and_saveexec_b64 s[18:19], s[14:15]
	s_cbranch_execz .LBB107_29
.LBB107_28:
	v_mul_lo_u32 v16, v22, s34
	v_mov_b32_e32 v17, 0
	v_lshlrev_b64 v[16:17], 3, v[16:17]
	v_mov_b32_e32 v22, s35
	v_add_co_u32_e32 v16, vcc, s33, v16
	v_addc_co_u32_e32 v17, vcc, v22, v17, vcc
	global_load_dwordx2 v[16:17], v[16:17], off
.LBB107_29:
	s_or_b64 exec, exec, s[18:19]
	v_lshrrev_b64 v[40:41], 24, v[38:39]
	v_add_lshl_u32 v41, v26, v36, 3
	v_add_lshl_u32 v35, v25, v36, 3
	;; [unrolled: 1-line block ×9, first 2 shown]
	s_waitcnt vmcnt(0)
	ds_write_b64 v41, v[2:3]
	ds_write_b64 v35, v[4:5] offset:1024
	ds_write_b64 v54, v[6:7] offset:2048
	ds_write_b64 v55, v[8:9] offset:3072
	ds_write_b64 v56, v[10:11] offset:4096
	ds_write_b64 v57, v[12:13] offset:5120
	ds_write_b64 v58, v[14:15] offset:6144
	ds_write_b64 v59, v[16:17] offset:7168
	s_waitcnt lgkmcnt(0)
	s_barrier
	ds_read2_b64 v[14:17], v60 offset1:1
	ds_read2_b64 v[10:13], v60 offset0:2 offset1:3
	ds_read2_b64 v[6:9], v60 offset0:4 offset1:5
	;; [unrolled: 1-line block ×3, first 2 shown]
	v_mbcnt_lo_u32_b32 v1, -1, 0
	v_mbcnt_hi_u32_b32 v61, -1, v1
	v_and_b32_e32 v63, 0x3c0, v36
	s_movk_i32 s18, 0x1e00
	v_add_lshl_u32 v71, v61, v63, 3
	v_and_or_b32 v70, v53, s18, v61
	v_lshrrev_b32_e32 v64, 8, v38
	v_lshrrev_b32_e32 v67, 8, v39
	s_and_b64 vcc, exec, s[16:17]
	v_bfe_u32 v65, v0, 10, 10
	v_bfe_u32 v66, v0, 20, 10
	v_lshlrev_b32_e32 v69, 3, v71
	v_lshlrev_b32_e32 v68, 3, v70
	;; [unrolled: 1-line block ×3, first 2 shown]
	s_waitcnt lgkmcnt(0)
	s_barrier
	s_cbranch_vccz .LBB107_60
; %bb.30:
	s_movk_i32 s16, 0x80
	v_xor_b32_sdwa v0, v67, s16 dst_sel:BYTE_1 dst_unused:UNUSED_PAD src0_sel:DWORD src1_sel:DWORD
	v_xor_b32_e32 v1, 0x80, v39
	v_or_b32_sdwa v0, v1, v0 dst_sel:DWORD dst_unused:UNUSED_PAD src0_sel:BYTE_0 src1_sel:DWORD
	v_xor_b32_sdwa v1, v39, s16 dst_sel:DWORD dst_unused:UNUSED_PAD src0_sel:BYTE_3 src1_sel:DWORD
	v_lshlrev_b16_e32 v1, 8, v1
	v_xor_b32_sdwa v18, v39, s16 dst_sel:DWORD dst_unused:UNUSED_PAD src0_sel:WORD_1 src1_sel:DWORD
	v_or_b32_sdwa v1, v18, v1 dst_sel:WORD_1 dst_unused:UNUSED_PAD src0_sel:BYTE_0 src1_sel:DWORD
	v_or_b32_sdwa v1, v0, v1 dst_sel:DWORD dst_unused:UNUSED_PAD src0_sel:WORD_0 src1_sel:DWORD
	v_xor_b32_sdwa v0, v64, s16 dst_sel:BYTE_1 dst_unused:UNUSED_PAD src0_sel:DWORD src1_sel:DWORD
	v_xor_b32_e32 v18, 0x80, v38
	v_or_b32_sdwa v0, v18, v0 dst_sel:DWORD dst_unused:UNUSED_PAD src0_sel:BYTE_0 src1_sel:DWORD
	v_xor_b32_sdwa v18, v40, s16 dst_sel:BYTE_1 dst_unused:UNUSED_PAD src0_sel:DWORD src1_sel:DWORD
	v_xor_b32_sdwa v19, v38, s16 dst_sel:DWORD dst_unused:UNUSED_PAD src0_sel:WORD_1 src1_sel:DWORD
	v_or_b32_sdwa v18, v19, v18 dst_sel:WORD_1 dst_unused:UNUSED_PAD src0_sel:BYTE_0 src1_sel:DWORD
	v_or_b32_sdwa v0, v0, v18 dst_sel:DWORD dst_unused:UNUSED_PAD src0_sel:WORD_0 src1_sel:DWORD
	s_getpc_b64 s[16:17]
	s_add_u32 s16, s16, _ZN7rocprim17ROCPRIM_400000_NS16block_radix_sortIaLj128ELj8ElLj1ELj1ELj0ELNS0_26block_radix_rank_algorithmE1ELNS0_18block_padding_hintE2ELNS0_4arch9wavefront6targetE1EE19radix_bits_per_passE@rel32@lo+4
	s_addc_u32 s17, s17, _ZN7rocprim17ROCPRIM_400000_NS16block_radix_sortIaLj128ELj8ElLj1ELj1ELj0ELNS0_26block_radix_rank_algorithmE1ELNS0_18block_padding_hintE2ELNS0_4arch9wavefront6targetE1EE19radix_bits_per_passE@rel32@hi+12
	ds_write_b64 v71, v[0:1]
	; wave barrier
	ds_read_u8 v72, v70
	ds_read_u8 v73, v70 offset:64
	ds_read_u8 v74, v70 offset:128
	;; [unrolled: 1-line block ×7, first 2 shown]
	s_waitcnt lgkmcnt(0)
	s_barrier
	ds_write2_b64 v69, v[14:15], v[16:17] offset1:1
	ds_write2_b64 v69, v[10:11], v[12:13] offset0:2 offset1:3
	ds_write2_b64 v69, v[6:7], v[8:9] offset0:4 offset1:5
	;; [unrolled: 1-line block ×3, first 2 shown]
	; wave barrier
	ds_read2st64_b64 v[30:33], v68 offset1:1
	ds_read2st64_b64 v[26:29], v68 offset0:2 offset1:3
	ds_read2st64_b64 v[22:25], v68 offset0:4 offset1:5
	;; [unrolled: 1-line block ×3, first 2 shown]
	s_waitcnt lgkmcnt(0)
	s_barrier
	s_load_dword s18, s[16:17], 0x0
	s_load_dword s19, s[42:43], 0xc
	v_mov_b32_e32 v82, 1
	s_waitcnt lgkmcnt(0)
	s_min_u32 s18, s18, 8
	s_lshr_b32 s16, s19, 16
	s_and_b32 s17, s19, 0xffff
	v_mad_u32_u24 v0, v66, s16, v65
	v_mad_u64_u32 v[42:43], s[16:17], v0, s17, v[36:37]
	s_lshl_b32 s16, -1, s18
	s_not_b32 s18, s16
	v_lshrrev_b32_e32 v85, 6, v42
	v_and_b32_e32 v42, s18, v72
	v_lshlrev_b32_sdwa v1, v82, v42 dst_sel:DWORD dst_unused:UNUSED_PAD src0_sel:DWORD src1_sel:BYTE_0
	v_add_lshl_u32 v80, v85, v1, 2
	v_and_b32_e32 v1, 1, v42
	v_add_co_u32_e32 v43, vcc, -1, v1
	v_addc_co_u32_e64 v81, s[16:17], 0, -1, vcc
	v_cmp_ne_u32_e32 vcc, 0, v1
	v_xor_b32_e32 v1, vcc_hi, v81
	v_mov_b32_e32 v0, 0
	v_and_b32_e32 v81, exec_hi, v1
	v_lshlrev_b32_e32 v1, 30, v42
	v_xor_b32_e32 v43, vcc_lo, v43
	v_cmp_gt_i64_e32 vcc, 0, v[0:1]
	v_not_b32_e32 v1, v1
	v_ashrrev_i32_e32 v1, 31, v1
	v_and_b32_e32 v43, exec_lo, v43
	v_xor_b32_e32 v83, vcc_hi, v1
	v_xor_b32_e32 v1, vcc_lo, v1
	v_and_b32_e32 v43, v43, v1
	v_lshlrev_b32_e32 v1, 29, v42
	v_cmp_gt_i64_e32 vcc, 0, v[0:1]
	v_not_b32_e32 v1, v1
	v_ashrrev_i32_e32 v1, 31, v1
	v_and_b32_e32 v81, v81, v83
	v_xor_b32_e32 v83, vcc_hi, v1
	v_xor_b32_e32 v1, vcc_lo, v1
	v_and_b32_e32 v43, v43, v1
	v_lshlrev_b32_e32 v1, 28, v42
	v_cmp_gt_i64_e32 vcc, 0, v[0:1]
	v_not_b32_e32 v1, v1
	v_ashrrev_i32_e32 v1, 31, v1
	v_and_b32_e32 v81, v81, v83
	;; [unrolled: 8-line block ×5, first 2 shown]
	v_xor_b32_e32 v83, vcc_hi, v1
	v_xor_b32_e32 v1, vcc_lo, v1
	v_and_b32_e32 v81, v81, v83
	v_and_b32_e32 v83, v43, v1
	v_lshlrev_b32_e32 v1, 24, v42
	v_cmp_gt_i64_e32 vcc, 0, v[0:1]
	v_not_b32_e32 v1, v1
	v_ashrrev_i32_e32 v1, 31, v1
	v_xor_b32_e32 v42, vcc_hi, v1
	v_xor_b32_e32 v1, vcc_lo, v1
	v_and_b32_e32 v43, v81, v42
	v_and_b32_e32 v42, v83, v1
	v_mbcnt_lo_u32_b32 v1, v42, 0
	v_mbcnt_hi_u32_b32 v81, v43, v1
	v_cmp_eq_u32_e32 vcc, 0, v81
	v_cmp_ne_u64_e64 s[16:17], 0, v[42:43]
	s_and_b64 s[20:21], s[16:17], vcc
	ds_write2_b32 v62, v0, v0 offset0:2 offset1:3
	ds_write2_b32 v62, v0, v0 offset0:4 offset1:5
	s_waitcnt lgkmcnt(0)
	s_barrier
	s_waitcnt lgkmcnt(0)
	; wave barrier
	s_and_saveexec_b64 s[16:17], s[20:21]
	s_cbranch_execz .LBB107_32
; %bb.31:
	v_bcnt_u32_b32 v1, v42, 0
	v_bcnt_u32_b32 v1, v43, v1
	ds_write_b32 v80, v1 offset:8
.LBB107_32:
	s_or_b64 exec, exec, s[16:17]
	v_and_b32_e32 v42, s18, v73
	v_lshlrev_b32_sdwa v1, v82, v42 dst_sel:DWORD dst_unused:UNUSED_PAD src0_sel:DWORD src1_sel:BYTE_0
	v_add_lshl_u32 v83, v85, v1, 2
	v_and_b32_e32 v1, 1, v42
	v_add_co_u32_e32 v43, vcc, -1, v1
	v_addc_co_u32_e64 v84, s[16:17], 0, -1, vcc
	v_cmp_ne_u32_e32 vcc, 0, v1
	v_xor_b32_e32 v1, vcc_hi, v84
	v_and_b32_e32 v84, exec_hi, v1
	v_lshlrev_b32_e32 v1, 30, v42
	v_xor_b32_e32 v43, vcc_lo, v43
	v_cmp_gt_i64_e32 vcc, 0, v[0:1]
	v_not_b32_e32 v1, v1
	v_ashrrev_i32_e32 v1, 31, v1
	v_and_b32_e32 v43, exec_lo, v43
	v_xor_b32_e32 v86, vcc_hi, v1
	v_xor_b32_e32 v1, vcc_lo, v1
	v_and_b32_e32 v43, v43, v1
	v_lshlrev_b32_e32 v1, 29, v42
	v_cmp_gt_i64_e32 vcc, 0, v[0:1]
	v_not_b32_e32 v1, v1
	v_ashrrev_i32_e32 v1, 31, v1
	v_and_b32_e32 v84, v84, v86
	v_xor_b32_e32 v86, vcc_hi, v1
	v_xor_b32_e32 v1, vcc_lo, v1
	v_and_b32_e32 v43, v43, v1
	v_lshlrev_b32_e32 v1, 28, v42
	v_cmp_gt_i64_e32 vcc, 0, v[0:1]
	v_not_b32_e32 v1, v1
	v_ashrrev_i32_e32 v1, 31, v1
	v_and_b32_e32 v84, v84, v86
	;; [unrolled: 8-line block ×5, first 2 shown]
	v_xor_b32_e32 v86, vcc_hi, v1
	v_xor_b32_e32 v1, vcc_lo, v1
	v_and_b32_e32 v43, v43, v1
	v_lshlrev_b32_e32 v1, 24, v42
	v_cmp_gt_i64_e32 vcc, 0, v[0:1]
	v_not_b32_e32 v0, v1
	v_ashrrev_i32_e32 v0, 31, v0
	v_xor_b32_e32 v1, vcc_hi, v0
	v_xor_b32_e32 v0, vcc_lo, v0
	; wave barrier
	ds_read_b32 v82, v83 offset:8
	v_and_b32_e32 v84, v84, v86
	v_and_b32_e32 v0, v43, v0
	;; [unrolled: 1-line block ×3, first 2 shown]
	v_mbcnt_lo_u32_b32 v42, v0, 0
	v_mbcnt_hi_u32_b32 v84, v1, v42
	v_cmp_eq_u32_e32 vcc, 0, v84
	v_cmp_ne_u64_e64 s[16:17], 0, v[0:1]
	s_and_b64 s[20:21], s[16:17], vcc
	; wave barrier
	s_and_saveexec_b64 s[16:17], s[20:21]
	s_cbranch_execz .LBB107_34
; %bb.33:
	v_bcnt_u32_b32 v0, v0, 0
	v_bcnt_u32_b32 v0, v1, v0
	s_waitcnt lgkmcnt(0)
	v_add_u32_e32 v0, v82, v0
	ds_write_b32 v83, v0 offset:8
.LBB107_34:
	s_or_b64 exec, exec, s[16:17]
	v_and_b32_e32 v42, s18, v74
	v_and_b32_e32 v1, 1, v42
	v_add_co_u32_e32 v43, vcc, -1, v1
	v_mov_b32_e32 v89, 1
	v_addc_co_u32_e64 v88, s[16:17], 0, -1, vcc
	v_cmp_ne_u32_e32 vcc, 0, v1
	v_lshlrev_b32_sdwa v0, v89, v42 dst_sel:DWORD dst_unused:UNUSED_PAD src0_sel:DWORD src1_sel:BYTE_0
	v_xor_b32_e32 v1, vcc_hi, v88
	v_add_lshl_u32 v87, v85, v0, 2
	v_mov_b32_e32 v0, 0
	v_and_b32_e32 v88, exec_hi, v1
	v_lshlrev_b32_e32 v1, 30, v42
	v_xor_b32_e32 v43, vcc_lo, v43
	v_cmp_gt_i64_e32 vcc, 0, v[0:1]
	v_not_b32_e32 v1, v1
	v_ashrrev_i32_e32 v1, 31, v1
	v_and_b32_e32 v43, exec_lo, v43
	v_xor_b32_e32 v90, vcc_hi, v1
	v_xor_b32_e32 v1, vcc_lo, v1
	v_and_b32_e32 v43, v43, v1
	v_lshlrev_b32_e32 v1, 29, v42
	v_cmp_gt_i64_e32 vcc, 0, v[0:1]
	v_not_b32_e32 v1, v1
	v_ashrrev_i32_e32 v1, 31, v1
	v_and_b32_e32 v88, v88, v90
	v_xor_b32_e32 v90, vcc_hi, v1
	v_xor_b32_e32 v1, vcc_lo, v1
	v_and_b32_e32 v43, v43, v1
	v_lshlrev_b32_e32 v1, 28, v42
	v_cmp_gt_i64_e32 vcc, 0, v[0:1]
	v_not_b32_e32 v1, v1
	v_ashrrev_i32_e32 v1, 31, v1
	v_and_b32_e32 v88, v88, v90
	;; [unrolled: 8-line block ×5, first 2 shown]
	v_xor_b32_e32 v90, vcc_hi, v1
	v_xor_b32_e32 v1, vcc_lo, v1
	v_and_b32_e32 v88, v88, v90
	v_and_b32_e32 v90, v43, v1
	v_lshlrev_b32_e32 v1, 24, v42
	v_cmp_gt_i64_e32 vcc, 0, v[0:1]
	v_not_b32_e32 v1, v1
	v_ashrrev_i32_e32 v1, 31, v1
	v_xor_b32_e32 v42, vcc_hi, v1
	v_xor_b32_e32 v1, vcc_lo, v1
	; wave barrier
	ds_read_b32 v86, v87 offset:8
	v_and_b32_e32 v43, v88, v42
	v_and_b32_e32 v42, v90, v1
	v_mbcnt_lo_u32_b32 v1, v42, 0
	v_mbcnt_hi_u32_b32 v88, v43, v1
	v_cmp_eq_u32_e32 vcc, 0, v88
	v_cmp_ne_u64_e64 s[16:17], 0, v[42:43]
	s_and_b64 s[20:21], s[16:17], vcc
	; wave barrier
	s_and_saveexec_b64 s[16:17], s[20:21]
	s_cbranch_execz .LBB107_36
; %bb.35:
	v_bcnt_u32_b32 v1, v42, 0
	v_bcnt_u32_b32 v1, v43, v1
	s_waitcnt lgkmcnt(0)
	v_add_u32_e32 v1, v86, v1
	ds_write_b32 v87, v1 offset:8
.LBB107_36:
	s_or_b64 exec, exec, s[16:17]
	v_and_b32_e32 v42, s18, v75
	v_lshlrev_b32_sdwa v1, v89, v42 dst_sel:DWORD dst_unused:UNUSED_PAD src0_sel:DWORD src1_sel:BYTE_0
	v_add_lshl_u32 v90, v85, v1, 2
	v_and_b32_e32 v1, 1, v42
	v_add_co_u32_e32 v43, vcc, -1, v1
	v_addc_co_u32_e64 v91, s[16:17], 0, -1, vcc
	v_cmp_ne_u32_e32 vcc, 0, v1
	v_xor_b32_e32 v1, vcc_hi, v91
	v_and_b32_e32 v91, exec_hi, v1
	v_lshlrev_b32_e32 v1, 30, v42
	v_xor_b32_e32 v43, vcc_lo, v43
	v_cmp_gt_i64_e32 vcc, 0, v[0:1]
	v_not_b32_e32 v1, v1
	v_ashrrev_i32_e32 v1, 31, v1
	v_and_b32_e32 v43, exec_lo, v43
	v_xor_b32_e32 v92, vcc_hi, v1
	v_xor_b32_e32 v1, vcc_lo, v1
	v_and_b32_e32 v43, v43, v1
	v_lshlrev_b32_e32 v1, 29, v42
	v_cmp_gt_i64_e32 vcc, 0, v[0:1]
	v_not_b32_e32 v1, v1
	v_ashrrev_i32_e32 v1, 31, v1
	v_and_b32_e32 v91, v91, v92
	v_xor_b32_e32 v92, vcc_hi, v1
	v_xor_b32_e32 v1, vcc_lo, v1
	v_and_b32_e32 v43, v43, v1
	v_lshlrev_b32_e32 v1, 28, v42
	v_cmp_gt_i64_e32 vcc, 0, v[0:1]
	v_not_b32_e32 v1, v1
	v_ashrrev_i32_e32 v1, 31, v1
	v_and_b32_e32 v91, v91, v92
	;; [unrolled: 8-line block ×5, first 2 shown]
	v_xor_b32_e32 v92, vcc_hi, v1
	v_xor_b32_e32 v1, vcc_lo, v1
	v_and_b32_e32 v43, v43, v1
	v_lshlrev_b32_e32 v1, 24, v42
	v_cmp_gt_i64_e32 vcc, 0, v[0:1]
	v_not_b32_e32 v0, v1
	v_ashrrev_i32_e32 v0, 31, v0
	v_xor_b32_e32 v1, vcc_hi, v0
	v_xor_b32_e32 v0, vcc_lo, v0
	; wave barrier
	ds_read_b32 v89, v90 offset:8
	v_and_b32_e32 v91, v91, v92
	v_and_b32_e32 v0, v43, v0
	;; [unrolled: 1-line block ×3, first 2 shown]
	v_mbcnt_lo_u32_b32 v42, v0, 0
	v_mbcnt_hi_u32_b32 v91, v1, v42
	v_cmp_eq_u32_e32 vcc, 0, v91
	v_cmp_ne_u64_e64 s[16:17], 0, v[0:1]
	s_and_b64 s[20:21], s[16:17], vcc
	; wave barrier
	s_and_saveexec_b64 s[16:17], s[20:21]
	s_cbranch_execz .LBB107_38
; %bb.37:
	v_bcnt_u32_b32 v0, v0, 0
	v_bcnt_u32_b32 v0, v1, v0
	s_waitcnt lgkmcnt(0)
	v_add_u32_e32 v0, v89, v0
	ds_write_b32 v90, v0 offset:8
.LBB107_38:
	s_or_b64 exec, exec, s[16:17]
	v_and_b32_e32 v42, s18, v76
	v_and_b32_e32 v1, 1, v42
	v_add_co_u32_e32 v43, vcc, -1, v1
	v_mov_b32_e32 v95, 1
	v_addc_co_u32_e64 v94, s[16:17], 0, -1, vcc
	v_cmp_ne_u32_e32 vcc, 0, v1
	v_lshlrev_b32_sdwa v0, v95, v42 dst_sel:DWORD dst_unused:UNUSED_PAD src0_sel:DWORD src1_sel:BYTE_0
	v_xor_b32_e32 v1, vcc_hi, v94
	v_add_lshl_u32 v93, v85, v0, 2
	v_mov_b32_e32 v0, 0
	v_and_b32_e32 v94, exec_hi, v1
	v_lshlrev_b32_e32 v1, 30, v42
	v_xor_b32_e32 v43, vcc_lo, v43
	v_cmp_gt_i64_e32 vcc, 0, v[0:1]
	v_not_b32_e32 v1, v1
	v_ashrrev_i32_e32 v1, 31, v1
	v_and_b32_e32 v43, exec_lo, v43
	v_xor_b32_e32 v96, vcc_hi, v1
	v_xor_b32_e32 v1, vcc_lo, v1
	v_and_b32_e32 v43, v43, v1
	v_lshlrev_b32_e32 v1, 29, v42
	v_cmp_gt_i64_e32 vcc, 0, v[0:1]
	v_not_b32_e32 v1, v1
	v_ashrrev_i32_e32 v1, 31, v1
	v_and_b32_e32 v94, v94, v96
	v_xor_b32_e32 v96, vcc_hi, v1
	v_xor_b32_e32 v1, vcc_lo, v1
	v_and_b32_e32 v43, v43, v1
	v_lshlrev_b32_e32 v1, 28, v42
	v_cmp_gt_i64_e32 vcc, 0, v[0:1]
	v_not_b32_e32 v1, v1
	v_ashrrev_i32_e32 v1, 31, v1
	v_and_b32_e32 v94, v94, v96
	;; [unrolled: 8-line block ×5, first 2 shown]
	v_xor_b32_e32 v96, vcc_hi, v1
	v_xor_b32_e32 v1, vcc_lo, v1
	v_and_b32_e32 v94, v94, v96
	v_and_b32_e32 v96, v43, v1
	v_lshlrev_b32_e32 v1, 24, v42
	v_cmp_gt_i64_e32 vcc, 0, v[0:1]
	v_not_b32_e32 v1, v1
	v_ashrrev_i32_e32 v1, 31, v1
	v_xor_b32_e32 v42, vcc_hi, v1
	v_xor_b32_e32 v1, vcc_lo, v1
	; wave barrier
	ds_read_b32 v92, v93 offset:8
	v_and_b32_e32 v43, v94, v42
	v_and_b32_e32 v42, v96, v1
	v_mbcnt_lo_u32_b32 v1, v42, 0
	v_mbcnt_hi_u32_b32 v94, v43, v1
	v_cmp_eq_u32_e32 vcc, 0, v94
	v_cmp_ne_u64_e64 s[16:17], 0, v[42:43]
	s_and_b64 s[20:21], s[16:17], vcc
	; wave barrier
	s_and_saveexec_b64 s[16:17], s[20:21]
	s_cbranch_execz .LBB107_40
; %bb.39:
	v_bcnt_u32_b32 v1, v42, 0
	v_bcnt_u32_b32 v1, v43, v1
	s_waitcnt lgkmcnt(0)
	v_add_u32_e32 v1, v92, v1
	ds_write_b32 v93, v1 offset:8
.LBB107_40:
	s_or_b64 exec, exec, s[16:17]
	v_and_b32_e32 v42, s18, v77
	v_lshlrev_b32_sdwa v1, v95, v42 dst_sel:DWORD dst_unused:UNUSED_PAD src0_sel:DWORD src1_sel:BYTE_0
	v_add_lshl_u32 v96, v85, v1, 2
	v_and_b32_e32 v1, 1, v42
	v_add_co_u32_e32 v43, vcc, -1, v1
	v_addc_co_u32_e64 v97, s[16:17], 0, -1, vcc
	v_cmp_ne_u32_e32 vcc, 0, v1
	v_xor_b32_e32 v1, vcc_hi, v97
	v_and_b32_e32 v97, exec_hi, v1
	v_lshlrev_b32_e32 v1, 30, v42
	v_xor_b32_e32 v43, vcc_lo, v43
	v_cmp_gt_i64_e32 vcc, 0, v[0:1]
	v_not_b32_e32 v1, v1
	v_ashrrev_i32_e32 v1, 31, v1
	v_and_b32_e32 v43, exec_lo, v43
	v_xor_b32_e32 v98, vcc_hi, v1
	v_xor_b32_e32 v1, vcc_lo, v1
	v_and_b32_e32 v43, v43, v1
	v_lshlrev_b32_e32 v1, 29, v42
	v_cmp_gt_i64_e32 vcc, 0, v[0:1]
	v_not_b32_e32 v1, v1
	v_ashrrev_i32_e32 v1, 31, v1
	v_and_b32_e32 v97, v97, v98
	v_xor_b32_e32 v98, vcc_hi, v1
	v_xor_b32_e32 v1, vcc_lo, v1
	v_and_b32_e32 v43, v43, v1
	v_lshlrev_b32_e32 v1, 28, v42
	v_cmp_gt_i64_e32 vcc, 0, v[0:1]
	v_not_b32_e32 v1, v1
	v_ashrrev_i32_e32 v1, 31, v1
	v_and_b32_e32 v97, v97, v98
	;; [unrolled: 8-line block ×5, first 2 shown]
	v_xor_b32_e32 v98, vcc_hi, v1
	v_xor_b32_e32 v1, vcc_lo, v1
	v_and_b32_e32 v43, v43, v1
	v_lshlrev_b32_e32 v1, 24, v42
	v_cmp_gt_i64_e32 vcc, 0, v[0:1]
	v_not_b32_e32 v0, v1
	v_ashrrev_i32_e32 v0, 31, v0
	v_xor_b32_e32 v1, vcc_hi, v0
	v_xor_b32_e32 v0, vcc_lo, v0
	; wave barrier
	ds_read_b32 v95, v96 offset:8
	v_and_b32_e32 v97, v97, v98
	v_and_b32_e32 v0, v43, v0
	;; [unrolled: 1-line block ×3, first 2 shown]
	v_mbcnt_lo_u32_b32 v42, v0, 0
	v_mbcnt_hi_u32_b32 v97, v1, v42
	v_cmp_eq_u32_e32 vcc, 0, v97
	v_cmp_ne_u64_e64 s[16:17], 0, v[0:1]
	s_and_b64 s[20:21], s[16:17], vcc
	; wave barrier
	s_and_saveexec_b64 s[16:17], s[20:21]
	s_cbranch_execz .LBB107_42
; %bb.41:
	v_bcnt_u32_b32 v0, v0, 0
	v_bcnt_u32_b32 v0, v1, v0
	s_waitcnt lgkmcnt(0)
	v_add_u32_e32 v0, v95, v0
	ds_write_b32 v96, v0 offset:8
.LBB107_42:
	s_or_b64 exec, exec, s[16:17]
	v_and_b32_e32 v42, s18, v78
	v_and_b32_e32 v1, 1, v42
	v_add_co_u32_e32 v43, vcc, -1, v1
	v_mov_b32_e32 v101, 1
	v_addc_co_u32_e64 v100, s[16:17], 0, -1, vcc
	v_cmp_ne_u32_e32 vcc, 0, v1
	v_lshlrev_b32_sdwa v0, v101, v42 dst_sel:DWORD dst_unused:UNUSED_PAD src0_sel:DWORD src1_sel:BYTE_0
	v_xor_b32_e32 v1, vcc_hi, v100
	v_add_lshl_u32 v99, v85, v0, 2
	v_mov_b32_e32 v0, 0
	v_and_b32_e32 v100, exec_hi, v1
	v_lshlrev_b32_e32 v1, 30, v42
	v_xor_b32_e32 v43, vcc_lo, v43
	v_cmp_gt_i64_e32 vcc, 0, v[0:1]
	v_not_b32_e32 v1, v1
	v_ashrrev_i32_e32 v1, 31, v1
	v_and_b32_e32 v43, exec_lo, v43
	v_xor_b32_e32 v102, vcc_hi, v1
	v_xor_b32_e32 v1, vcc_lo, v1
	v_and_b32_e32 v43, v43, v1
	v_lshlrev_b32_e32 v1, 29, v42
	v_cmp_gt_i64_e32 vcc, 0, v[0:1]
	v_not_b32_e32 v1, v1
	v_ashrrev_i32_e32 v1, 31, v1
	v_and_b32_e32 v100, v100, v102
	v_xor_b32_e32 v102, vcc_hi, v1
	v_xor_b32_e32 v1, vcc_lo, v1
	v_and_b32_e32 v43, v43, v1
	v_lshlrev_b32_e32 v1, 28, v42
	v_cmp_gt_i64_e32 vcc, 0, v[0:1]
	v_not_b32_e32 v1, v1
	v_ashrrev_i32_e32 v1, 31, v1
	v_and_b32_e32 v100, v100, v102
	;; [unrolled: 8-line block ×5, first 2 shown]
	v_xor_b32_e32 v102, vcc_hi, v1
	v_xor_b32_e32 v1, vcc_lo, v1
	v_and_b32_e32 v100, v100, v102
	v_and_b32_e32 v102, v43, v1
	v_lshlrev_b32_e32 v1, 24, v42
	v_cmp_gt_i64_e32 vcc, 0, v[0:1]
	v_not_b32_e32 v1, v1
	v_ashrrev_i32_e32 v1, 31, v1
	v_xor_b32_e32 v42, vcc_hi, v1
	v_xor_b32_e32 v1, vcc_lo, v1
	; wave barrier
	ds_read_b32 v98, v99 offset:8
	v_and_b32_e32 v43, v100, v42
	v_and_b32_e32 v42, v102, v1
	v_mbcnt_lo_u32_b32 v1, v42, 0
	v_mbcnt_hi_u32_b32 v100, v43, v1
	v_cmp_eq_u32_e32 vcc, 0, v100
	v_cmp_ne_u64_e64 s[16:17], 0, v[42:43]
	s_and_b64 s[20:21], s[16:17], vcc
	; wave barrier
	s_and_saveexec_b64 s[16:17], s[20:21]
	s_cbranch_execz .LBB107_44
; %bb.43:
	v_bcnt_u32_b32 v1, v42, 0
	v_bcnt_u32_b32 v1, v43, v1
	s_waitcnt lgkmcnt(0)
	v_add_u32_e32 v1, v98, v1
	ds_write_b32 v99, v1 offset:8
.LBB107_44:
	s_or_b64 exec, exec, s[16:17]
	v_and_b32_e32 v42, s18, v79
	v_lshlrev_b32_sdwa v1, v101, v42 dst_sel:DWORD dst_unused:UNUSED_PAD src0_sel:DWORD src1_sel:BYTE_0
	v_add_lshl_u32 v101, v85, v1, 2
	v_and_b32_e32 v1, 1, v42
	v_add_co_u32_e32 v43, vcc, -1, v1
	v_addc_co_u32_e64 v103, s[16:17], 0, -1, vcc
	v_cmp_ne_u32_e32 vcc, 0, v1
	v_xor_b32_e32 v1, vcc_hi, v103
	v_and_b32_e32 v103, exec_hi, v1
	v_lshlrev_b32_e32 v1, 30, v42
	v_xor_b32_e32 v43, vcc_lo, v43
	v_cmp_gt_i64_e32 vcc, 0, v[0:1]
	v_not_b32_e32 v1, v1
	v_ashrrev_i32_e32 v1, 31, v1
	v_and_b32_e32 v43, exec_lo, v43
	v_xor_b32_e32 v104, vcc_hi, v1
	v_xor_b32_e32 v1, vcc_lo, v1
	v_and_b32_e32 v43, v43, v1
	v_lshlrev_b32_e32 v1, 29, v42
	v_cmp_gt_i64_e32 vcc, 0, v[0:1]
	v_not_b32_e32 v1, v1
	v_ashrrev_i32_e32 v1, 31, v1
	v_and_b32_e32 v103, v103, v104
	v_xor_b32_e32 v104, vcc_hi, v1
	v_xor_b32_e32 v1, vcc_lo, v1
	v_and_b32_e32 v43, v43, v1
	v_lshlrev_b32_e32 v1, 28, v42
	v_cmp_gt_i64_e32 vcc, 0, v[0:1]
	v_not_b32_e32 v1, v1
	v_ashrrev_i32_e32 v1, 31, v1
	v_and_b32_e32 v103, v103, v104
	;; [unrolled: 8-line block ×5, first 2 shown]
	v_xor_b32_e32 v104, vcc_hi, v1
	v_xor_b32_e32 v1, vcc_lo, v1
	v_and_b32_e32 v43, v43, v1
	v_lshlrev_b32_e32 v1, 24, v42
	v_cmp_gt_i64_e32 vcc, 0, v[0:1]
	v_not_b32_e32 v0, v1
	v_ashrrev_i32_e32 v0, 31, v0
	v_xor_b32_e32 v1, vcc_hi, v0
	v_xor_b32_e32 v0, vcc_lo, v0
	; wave barrier
	ds_read_b32 v85, v101 offset:8
	v_and_b32_e32 v103, v103, v104
	v_and_b32_e32 v0, v43, v0
	;; [unrolled: 1-line block ×3, first 2 shown]
	v_mbcnt_lo_u32_b32 v42, v0, 0
	v_mbcnt_hi_u32_b32 v103, v1, v42
	v_cmp_eq_u32_e32 vcc, 0, v103
	v_cmp_ne_u64_e64 s[16:17], 0, v[0:1]
	v_or_b32_e32 v102, 8, v62
	s_and_b64 s[18:19], s[16:17], vcc
	; wave barrier
	s_and_saveexec_b64 s[16:17], s[18:19]
	s_cbranch_execz .LBB107_46
; %bb.45:
	v_bcnt_u32_b32 v0, v0, 0
	v_bcnt_u32_b32 v0, v1, v0
	s_waitcnt lgkmcnt(0)
	v_add_u32_e32 v0, v85, v0
	ds_write_b32 v101, v0 offset:8
.LBB107_46:
	s_or_b64 exec, exec, s[16:17]
	; wave barrier
	s_waitcnt lgkmcnt(0)
	s_barrier
	ds_read2_b32 v[0:1], v62 offset0:2 offset1:3
	ds_read2_b32 v[42:43], v102 offset0:2 offset1:3
	s_waitcnt lgkmcnt(1)
	v_add_u32_e32 v104, v1, v0
	s_waitcnt lgkmcnt(0)
	v_add3_u32 v43, v104, v42, v43
	v_and_b32_e32 v104, 15, v61
	v_cmp_ne_u32_e32 vcc, 0, v104
	v_mov_b32_dpp v105, v43 row_shr:1 row_mask:0xf bank_mask:0xf
	v_cndmask_b32_e32 v105, 0, v105, vcc
	v_add_u32_e32 v43, v105, v43
	v_cmp_lt_u32_e32 vcc, 1, v104
	s_nop 0
	v_mov_b32_dpp v105, v43 row_shr:2 row_mask:0xf bank_mask:0xf
	v_cndmask_b32_e32 v105, 0, v105, vcc
	v_add_u32_e32 v43, v43, v105
	v_cmp_lt_u32_e32 vcc, 3, v104
	s_nop 0
	;; [unrolled: 5-line block ×3, first 2 shown]
	v_mov_b32_dpp v105, v43 row_shr:8 row_mask:0xf bank_mask:0xf
	v_cndmask_b32_e32 v104, 0, v105, vcc
	v_add_u32_e32 v43, v43, v104
	v_bfe_i32 v105, v61, 4, 1
	v_cmp_lt_u32_e32 vcc, 31, v61
	v_mov_b32_dpp v104, v43 row_bcast:15 row_mask:0xf bank_mask:0xf
	v_and_b32_e32 v104, v105, v104
	v_add_u32_e32 v43, v43, v104
	v_min_u32_e32 v105, 64, v63
	v_or_b32_e32 v105, 63, v105
	v_mov_b32_dpp v104, v43 row_bcast:31 row_mask:0xf bank_mask:0xf
	v_cndmask_b32_e32 v104, 0, v104, vcc
	v_add_u32_e32 v43, v43, v104
	v_lshrrev_b32_e32 v104, 6, v36
	v_cmp_eq_u32_e32 vcc, v105, v36
	s_and_saveexec_b64 s[16:17], vcc
	s_cbranch_execz .LBB107_48
; %bb.47:
	v_lshlrev_b32_e32 v105, 2, v104
	ds_write_b32 v105, v43
.LBB107_48:
	s_or_b64 exec, exec, s[16:17]
	v_cmp_gt_u32_e32 vcc, 2, v36
	s_waitcnt lgkmcnt(0)
	s_barrier
	s_and_saveexec_b64 s[16:17], vcc
	s_cbranch_execz .LBB107_50
; %bb.49:
	v_lshlrev_b32_e32 v105, 2, v36
	ds_read_b32 v106, v105
	v_bfe_i32 v107, v61, 0, 1
	s_waitcnt lgkmcnt(0)
	v_mov_b32_dpp v108, v106 row_shr:1 row_mask:0xf bank_mask:0xf
	v_and_b32_e32 v107, v107, v108
	v_add_u32_e32 v106, v107, v106
	ds_write_b32 v105, v106
.LBB107_50:
	s_or_b64 exec, exec, s[16:17]
	v_cmp_lt_u32_e32 vcc, 63, v36
	v_mov_b32_e32 v105, 0
	s_waitcnt lgkmcnt(0)
	s_barrier
	s_and_saveexec_b64 s[16:17], vcc
	s_cbranch_execz .LBB107_52
; %bb.51:
	v_lshl_add_u32 v104, v104, 2, -4
	ds_read_b32 v105, v104
.LBB107_52:
	s_or_b64 exec, exec, s[16:17]
	v_add_u32_e32 v104, -1, v61
	v_and_b32_e32 v106, 64, v61
	v_cmp_lt_i32_e32 vcc, v104, v106
	v_cndmask_b32_e32 v104, v104, v61, vcc
	s_waitcnt lgkmcnt(0)
	v_add_u32_e32 v43, v105, v43
	v_lshlrev_b32_e32 v104, 2, v104
	ds_bpermute_b32 v43, v104, v43
	v_cmp_eq_u32_e32 vcc, 0, v61
	s_movk_i32 s16, 0x80
	s_waitcnt lgkmcnt(0)
	v_cndmask_b32_e32 v43, v43, v105, vcc
	v_cmp_ne_u32_e32 vcc, 0, v36
	v_cndmask_b32_e32 v43, 0, v43, vcc
	v_add_u32_e32 v0, v43, v0
	v_add_u32_e32 v1, v0, v1
	;; [unrolled: 1-line block ×3, first 2 shown]
	ds_write2_b32 v62, v43, v0 offset0:2 offset1:3
	ds_write2_b32 v102, v1, v42 offset0:2 offset1:3
	s_waitcnt lgkmcnt(0)
	s_barrier
	ds_read_b32 v0, v80 offset:8
	ds_read_b32 v1, v83 offset:8
	;; [unrolled: 1-line block ×8, first 2 shown]
	s_waitcnt lgkmcnt(7)
	v_add_u32_e32 v81, v0, v81
	s_waitcnt lgkmcnt(6)
	v_add3_u32 v82, v84, v82, v1
	s_waitcnt lgkmcnt(5)
	v_add3_u32 v42, v88, v86, v42
	;; [unrolled: 2-line block ×7, first 2 shown]
	s_barrier
	ds_write_b8 v81, v72
	ds_write_b8 v82, v73
	;; [unrolled: 1-line block ×8, first 2 shown]
	v_lshlrev_b32_e32 v74, 3, v81
	s_waitcnt lgkmcnt(0)
	s_barrier
	ds_read_b64 v[0:1], v53
	s_waitcnt lgkmcnt(0)
	s_barrier
	ds_write_b64 v74, v[30:31]
	v_lshlrev_b32_e32 v30, 3, v82
	ds_write_b64 v30, v[32:33]
	v_lshlrev_b32_e32 v30, 3, v42
	;; [unrolled: 2-line block ×7, first 2 shown]
	v_lshlrev_b32_e32 v30, 3, v53
	ds_write_b64 v18, v[20:21]
	s_waitcnt lgkmcnt(0)
	s_barrier
	ds_read2_b64 v[18:21], v30 offset1:1
	ds_read2_b64 v[22:25], v30 offset0:2 offset1:3
	ds_read2_b64 v[26:29], v30 offset0:4 offset1:5
	;; [unrolled: 1-line block ×3, first 2 shown]
	v_lshrrev_b32_e32 v72, 8, v0
	v_lshrrev_b32_e32 v73, 8, v1
	v_xor_b32_e32 v42, 0x80, v0
	v_xor_b32_sdwa v43, v72, s16 dst_sel:BYTE_1 dst_unused:UNUSED_PAD src0_sel:DWORD src1_sel:DWORD
	v_xor_b32_sdwa v72, v0, s16 dst_sel:DWORD dst_unused:UNUSED_PAD src0_sel:WORD_1 src1_sel:DWORD
	v_xor_b32_sdwa v0, v0, s16 dst_sel:BYTE_1 dst_unused:UNUSED_PAD src0_sel:BYTE_3 src1_sel:DWORD
	v_xor_b32_e32 v74, 0x80, v1
	v_xor_b32_sdwa v73, v73, s16 dst_sel:BYTE_1 dst_unused:UNUSED_PAD src0_sel:DWORD src1_sel:DWORD
	v_xor_b32_sdwa v75, v1, s16 dst_sel:DWORD dst_unused:UNUSED_PAD src0_sel:WORD_1 src1_sel:DWORD
	v_xor_b32_sdwa v1, v1, s16 dst_sel:BYTE_1 dst_unused:UNUSED_PAD src0_sel:BYTE_3 src1_sel:DWORD
	v_or_b32_sdwa v42, v42, v43 dst_sel:DWORD dst_unused:UNUSED_PAD src0_sel:BYTE_0 src1_sel:DWORD
	v_or_b32_sdwa v0, v72, v0 dst_sel:WORD_1 dst_unused:UNUSED_PAD src0_sel:BYTE_0 src1_sel:DWORD
	v_or_b32_sdwa v0, v42, v0 dst_sel:DWORD dst_unused:UNUSED_PAD src0_sel:WORD_0 src1_sel:DWORD
	v_or_b32_sdwa v42, v74, v73 dst_sel:DWORD dst_unused:UNUSED_PAD src0_sel:BYTE_0 src1_sel:DWORD
	v_or_b32_sdwa v1, v75, v1 dst_sel:WORD_1 dst_unused:UNUSED_PAD src0_sel:BYTE_0 src1_sel:DWORD
	v_or_b32_sdwa v1, v42, v1 dst_sel:DWORD dst_unused:UNUSED_PAD src0_sel:WORD_0 src1_sel:DWORD
	s_branch .LBB107_84
.LBB107_53:
	v_mov_b32_e32 v35, 0
	v_lshlrev_b64 v[2:3], 3, v[34:35]
	v_mov_b32_e32 v4, s35
	v_add_co_u32_e32 v2, vcc, s33, v2
	v_addc_co_u32_e32 v3, vcc, v4, v3, vcc
	global_load_dwordx2 v[2:3], v[2:3], off
	v_mov_b32_e32 v4, v35
	v_mov_b32_e32 v5, v35
	;; [unrolled: 1-line block ×14, first 2 shown]
	s_or_b64 exec, exec, s[16:17]
	s_and_saveexec_b64 s[16:17], s[2:3]
	s_cbranch_execz .LBB107_22
.LBB107_54:
	v_mul_lo_u32 v4, v32, s34
	v_mov_b32_e32 v5, 0
	v_lshlrev_b64 v[4:5], 3, v[4:5]
	v_mov_b32_e32 v32, s35
	v_add_co_u32_e32 v4, vcc, s33, v4
	v_addc_co_u32_e32 v5, vcc, v32, v5, vcc
	global_load_dwordx2 v[4:5], v[4:5], off
	s_or_b64 exec, exec, s[16:17]
	s_and_saveexec_b64 s[16:17], s[4:5]
	s_cbranch_execz .LBB107_23
.LBB107_55:
	v_mul_lo_u32 v6, v31, s34
	v_mov_b32_e32 v7, 0
	v_lshlrev_b64 v[6:7], 3, v[6:7]
	v_mov_b32_e32 v31, s35
	v_add_co_u32_e32 v6, vcc, s33, v6
	v_addc_co_u32_e32 v7, vcc, v31, v7, vcc
	global_load_dwordx2 v[6:7], v[6:7], off
	s_or_b64 exec, exec, s[16:17]
	s_and_saveexec_b64 s[16:17], s[6:7]
	s_cbranch_execz .LBB107_24
.LBB107_56:
	v_mul_lo_u32 v8, v30, s34
	v_mov_b32_e32 v9, 0
	v_lshlrev_b64 v[8:9], 3, v[8:9]
	v_mov_b32_e32 v30, s35
	v_add_co_u32_e32 v8, vcc, s33, v8
	v_addc_co_u32_e32 v9, vcc, v30, v9, vcc
	global_load_dwordx2 v[8:9], v[8:9], off
	s_or_b64 exec, exec, s[16:17]
	s_and_saveexec_b64 s[16:17], s[8:9]
	s_cbranch_execz .LBB107_25
.LBB107_57:
	v_mul_lo_u32 v10, v29, s34
	v_mov_b32_e32 v11, 0
	v_lshlrev_b64 v[10:11], 3, v[10:11]
	v_mov_b32_e32 v29, s35
	v_add_co_u32_e32 v10, vcc, s33, v10
	v_addc_co_u32_e32 v11, vcc, v29, v11, vcc
	global_load_dwordx2 v[10:11], v[10:11], off
	s_or_b64 exec, exec, s[16:17]
	s_and_saveexec_b64 s[16:17], s[10:11]
	s_cbranch_execz .LBB107_26
.LBB107_58:
	v_mul_lo_u32 v12, v28, s34
	v_mov_b32_e32 v13, 0
	v_lshlrev_b64 v[12:13], 3, v[12:13]
	v_mov_b32_e32 v28, s35
	v_add_co_u32_e32 v12, vcc, s33, v12
	v_addc_co_u32_e32 v13, vcc, v28, v13, vcc
	global_load_dwordx2 v[12:13], v[12:13], off
	s_or_b64 exec, exec, s[16:17]
	s_and_saveexec_b64 s[16:17], s[12:13]
	s_cbranch_execz .LBB107_27
.LBB107_59:
	v_mul_lo_u32 v14, v27, s34
	v_mov_b32_e32 v15, 0
	v_lshlrev_b64 v[14:15], 3, v[14:15]
	v_mov_b32_e32 v27, s35
	v_add_co_u32_e32 v14, vcc, s33, v14
	v_addc_co_u32_e32 v15, vcc, v27, v15, vcc
	global_load_dwordx2 v[14:15], v[14:15], off
	s_or_b64 exec, exec, s[16:17]
	s_xor_b64 s[16:17], s[44:45], -1
	s_and_saveexec_b64 s[18:19], s[14:15]
	s_cbranch_execnz .LBB107_28
	s_branch .LBB107_29
.LBB107_60:
                                        ; implicit-def: $vgpr1
                                        ; implicit-def: $vgpr32_vgpr33
                                        ; implicit-def: $vgpr28_vgpr29
                                        ; implicit-def: $vgpr24_vgpr25
                                        ; implicit-def: $vgpr20_vgpr21
	s_cbranch_execz .LBB107_84
; %bb.61:
	s_movk_i32 s16, 0x7f
	v_xor_b32_sdwa v0, v67, s16 dst_sel:BYTE_1 dst_unused:UNUSED_PAD src0_sel:DWORD src1_sel:DWORD
	v_xor_b32_e32 v1, 0x7f, v39
	v_or_b32_sdwa v0, v1, v0 dst_sel:DWORD dst_unused:UNUSED_PAD src0_sel:BYTE_0 src1_sel:DWORD
	v_xor_b32_sdwa v1, v39, s16 dst_sel:DWORD dst_unused:UNUSED_PAD src0_sel:BYTE_3 src1_sel:DWORD
	v_lshlrev_b16_e32 v1, 8, v1
	s_waitcnt lgkmcnt(3)
	v_xor_b32_sdwa v18, v39, s16 dst_sel:DWORD dst_unused:UNUSED_PAD src0_sel:WORD_1 src1_sel:DWORD
	v_or_b32_sdwa v1, v18, v1 dst_sel:WORD_1 dst_unused:UNUSED_PAD src0_sel:BYTE_0 src1_sel:DWORD
	v_or_b32_sdwa v1, v0, v1 dst_sel:DWORD dst_unused:UNUSED_PAD src0_sel:WORD_0 src1_sel:DWORD
	v_xor_b32_sdwa v0, v64, s16 dst_sel:BYTE_1 dst_unused:UNUSED_PAD src0_sel:DWORD src1_sel:DWORD
	v_xor_b32_e32 v18, 0x7f, v38
	v_or_b32_sdwa v0, v18, v0 dst_sel:DWORD dst_unused:UNUSED_PAD src0_sel:BYTE_0 src1_sel:DWORD
	v_xor_b32_sdwa v18, v40, s16 dst_sel:BYTE_1 dst_unused:UNUSED_PAD src0_sel:DWORD src1_sel:DWORD
	v_xor_b32_sdwa v19, v38, s16 dst_sel:DWORD dst_unused:UNUSED_PAD src0_sel:WORD_1 src1_sel:DWORD
	v_or_b32_sdwa v18, v19, v18 dst_sel:WORD_1 dst_unused:UNUSED_PAD src0_sel:BYTE_0 src1_sel:DWORD
	v_or_b32_sdwa v0, v0, v18 dst_sel:DWORD dst_unused:UNUSED_PAD src0_sel:WORD_0 src1_sel:DWORD
	s_getpc_b64 s[16:17]
	s_add_u32 s16, s16, _ZN7rocprim17ROCPRIM_400000_NS16block_radix_sortIaLj128ELj8ElLj1ELj1ELj0ELNS0_26block_radix_rank_algorithmE1ELNS0_18block_padding_hintE2ELNS0_4arch9wavefront6targetE1EE19radix_bits_per_passE@rel32@lo+4
	s_addc_u32 s17, s17, _ZN7rocprim17ROCPRIM_400000_NS16block_radix_sortIaLj128ELj8ElLj1ELj1ELj0ELNS0_26block_radix_rank_algorithmE1ELNS0_18block_padding_hintE2ELNS0_4arch9wavefront6targetE1EE19radix_bits_per_passE@rel32@hi+12
	ds_write_b64 v71, v[0:1]
	; wave barrier
	ds_read_u8 v20, v70
	ds_read_u8 v21, v70 offset:64
	s_waitcnt lgkmcnt(5)
	ds_read_u8 v22, v70 offset:128
	ds_read_u8 v23, v70 offset:192
	ds_read_u8 v24, v70 offset:256
	ds_read_u8 v25, v70 offset:320
	s_waitcnt lgkmcnt(8)
	ds_read_u8 v26, v70 offset:384
	ds_read_u8 v27, v70 offset:448
	s_waitcnt lgkmcnt(0)
	s_barrier
	ds_write2_b64 v69, v[14:15], v[16:17] offset1:1
	ds_write2_b64 v69, v[10:11], v[12:13] offset0:2 offset1:3
	ds_write2_b64 v69, v[6:7], v[8:9] offset0:4 offset1:5
	;; [unrolled: 1-line block ×3, first 2 shown]
	; wave barrier
	ds_read2st64_b64 v[12:15], v68 offset1:1
	ds_read2st64_b64 v[8:11], v68 offset0:2 offset1:3
	ds_read2st64_b64 v[4:7], v68 offset0:4 offset1:5
	ds_read2st64_b64 v[0:3], v68 offset0:6 offset1:7
	s_waitcnt lgkmcnt(0)
	s_barrier
	s_load_dword s18, s[16:17], 0x0
	s_load_dword s19, s[42:43], 0xc
	v_mov_b32_e32 v30, 1
	s_waitcnt lgkmcnt(0)
	s_min_u32 s18, s18, 8
	s_lshr_b32 s16, s19, 16
	s_and_b32 s17, s19, 0xffff
	v_mad_u32_u24 v16, v66, s16, v65
	v_mad_u64_u32 v[18:19], s[16:17], v16, s17, v[36:37]
	s_lshl_b32 s16, -1, s18
	s_not_b32 s18, s16
	v_lshrrev_b32_e32 v33, 6, v18
	v_and_b32_e32 v18, s18, v20
	v_lshlrev_b32_sdwa v17, v30, v18 dst_sel:DWORD dst_unused:UNUSED_PAD src0_sel:DWORD src1_sel:BYTE_0
	v_add_lshl_u32 v28, v33, v17, 2
	v_and_b32_e32 v17, 1, v18
	v_add_co_u32_e32 v19, vcc, -1, v17
	v_addc_co_u32_e64 v29, s[16:17], 0, -1, vcc
	v_cmp_ne_u32_e32 vcc, 0, v17
	v_xor_b32_e32 v17, vcc_hi, v29
	v_mov_b32_e32 v16, 0
	v_and_b32_e32 v29, exec_hi, v17
	v_lshlrev_b32_e32 v17, 30, v18
	v_xor_b32_e32 v19, vcc_lo, v19
	v_cmp_gt_i64_e32 vcc, 0, v[16:17]
	v_not_b32_e32 v17, v17
	v_ashrrev_i32_e32 v17, 31, v17
	v_and_b32_e32 v19, exec_lo, v19
	v_xor_b32_e32 v31, vcc_hi, v17
	v_xor_b32_e32 v17, vcc_lo, v17
	v_and_b32_e32 v19, v19, v17
	v_lshlrev_b32_e32 v17, 29, v18
	v_cmp_gt_i64_e32 vcc, 0, v[16:17]
	v_not_b32_e32 v17, v17
	v_ashrrev_i32_e32 v17, 31, v17
	v_and_b32_e32 v29, v29, v31
	v_xor_b32_e32 v31, vcc_hi, v17
	v_xor_b32_e32 v17, vcc_lo, v17
	v_and_b32_e32 v19, v19, v17
	v_lshlrev_b32_e32 v17, 28, v18
	v_cmp_gt_i64_e32 vcc, 0, v[16:17]
	v_not_b32_e32 v17, v17
	v_ashrrev_i32_e32 v17, 31, v17
	v_and_b32_e32 v29, v29, v31
	;; [unrolled: 8-line block ×5, first 2 shown]
	v_xor_b32_e32 v31, vcc_hi, v17
	v_xor_b32_e32 v17, vcc_lo, v17
	v_and_b32_e32 v29, v29, v31
	v_and_b32_e32 v31, v19, v17
	v_lshlrev_b32_e32 v17, 24, v18
	v_cmp_gt_i64_e32 vcc, 0, v[16:17]
	v_not_b32_e32 v17, v17
	v_ashrrev_i32_e32 v17, 31, v17
	v_xor_b32_e32 v18, vcc_hi, v17
	v_xor_b32_e32 v17, vcc_lo, v17
	v_and_b32_e32 v19, v29, v18
	v_and_b32_e32 v18, v31, v17
	v_mbcnt_lo_u32_b32 v17, v18, 0
	v_mbcnt_hi_u32_b32 v29, v19, v17
	v_cmp_eq_u32_e32 vcc, 0, v29
	v_cmp_ne_u64_e64 s[16:17], 0, v[18:19]
	s_and_b64 s[20:21], s[16:17], vcc
	ds_write2_b32 v62, v16, v16 offset0:2 offset1:3
	ds_write2_b32 v62, v16, v16 offset0:4 offset1:5
	s_waitcnt lgkmcnt(0)
	s_barrier
	s_waitcnt lgkmcnt(0)
	; wave barrier
	s_and_saveexec_b64 s[16:17], s[20:21]
	s_cbranch_execz .LBB107_63
; %bb.62:
	v_bcnt_u32_b32 v17, v18, 0
	v_bcnt_u32_b32 v17, v19, v17
	ds_write_b32 v28, v17 offset:8
.LBB107_63:
	s_or_b64 exec, exec, s[16:17]
	v_and_b32_e32 v18, s18, v21
	v_lshlrev_b32_sdwa v17, v30, v18 dst_sel:DWORD dst_unused:UNUSED_PAD src0_sel:DWORD src1_sel:BYTE_0
	v_add_lshl_u32 v31, v33, v17, 2
	v_and_b32_e32 v17, 1, v18
	v_add_co_u32_e32 v19, vcc, -1, v17
	v_addc_co_u32_e64 v32, s[16:17], 0, -1, vcc
	v_cmp_ne_u32_e32 vcc, 0, v17
	v_xor_b32_e32 v17, vcc_hi, v32
	v_and_b32_e32 v32, exec_hi, v17
	v_lshlrev_b32_e32 v17, 30, v18
	v_xor_b32_e32 v19, vcc_lo, v19
	v_cmp_gt_i64_e32 vcc, 0, v[16:17]
	v_not_b32_e32 v17, v17
	v_ashrrev_i32_e32 v17, 31, v17
	v_and_b32_e32 v19, exec_lo, v19
	v_xor_b32_e32 v38, vcc_hi, v17
	v_xor_b32_e32 v17, vcc_lo, v17
	v_and_b32_e32 v19, v19, v17
	v_lshlrev_b32_e32 v17, 29, v18
	v_cmp_gt_i64_e32 vcc, 0, v[16:17]
	v_not_b32_e32 v17, v17
	v_ashrrev_i32_e32 v17, 31, v17
	v_and_b32_e32 v32, v32, v38
	v_xor_b32_e32 v38, vcc_hi, v17
	v_xor_b32_e32 v17, vcc_lo, v17
	v_and_b32_e32 v19, v19, v17
	v_lshlrev_b32_e32 v17, 28, v18
	v_cmp_gt_i64_e32 vcc, 0, v[16:17]
	v_not_b32_e32 v17, v17
	v_ashrrev_i32_e32 v17, 31, v17
	v_and_b32_e32 v32, v32, v38
	v_xor_b32_e32 v38, vcc_hi, v17
	v_xor_b32_e32 v17, vcc_lo, v17
	v_and_b32_e32 v19, v19, v17
	v_lshlrev_b32_e32 v17, 27, v18
	v_cmp_gt_i64_e32 vcc, 0, v[16:17]
	v_not_b32_e32 v17, v17
	v_ashrrev_i32_e32 v17, 31, v17
	v_and_b32_e32 v32, v32, v38
	v_xor_b32_e32 v38, vcc_hi, v17
	v_xor_b32_e32 v17, vcc_lo, v17
	v_and_b32_e32 v19, v19, v17
	v_lshlrev_b32_e32 v17, 26, v18
	v_cmp_gt_i64_e32 vcc, 0, v[16:17]
	v_not_b32_e32 v17, v17
	v_ashrrev_i32_e32 v17, 31, v17
	v_and_b32_e32 v32, v32, v38
	v_xor_b32_e32 v38, vcc_hi, v17
	v_xor_b32_e32 v17, vcc_lo, v17
	v_and_b32_e32 v19, v19, v17
	v_lshlrev_b32_e32 v17, 25, v18
	v_cmp_gt_i64_e32 vcc, 0, v[16:17]
	v_not_b32_e32 v17, v17
	v_ashrrev_i32_e32 v17, 31, v17
	v_and_b32_e32 v32, v32, v38
	v_xor_b32_e32 v38, vcc_hi, v17
	v_xor_b32_e32 v17, vcc_lo, v17
	v_and_b32_e32 v19, v19, v17
	v_lshlrev_b32_e32 v17, 24, v18
	v_cmp_gt_i64_e32 vcc, 0, v[16:17]
	v_not_b32_e32 v16, v17
	v_ashrrev_i32_e32 v16, 31, v16
	v_xor_b32_e32 v17, vcc_hi, v16
	v_xor_b32_e32 v16, vcc_lo, v16
	; wave barrier
	ds_read_b32 v30, v31 offset:8
	v_and_b32_e32 v32, v32, v38
	v_and_b32_e32 v16, v19, v16
	;; [unrolled: 1-line block ×3, first 2 shown]
	v_mbcnt_lo_u32_b32 v18, v16, 0
	v_mbcnt_hi_u32_b32 v32, v17, v18
	v_cmp_eq_u32_e32 vcc, 0, v32
	v_cmp_ne_u64_e64 s[16:17], 0, v[16:17]
	s_and_b64 s[20:21], s[16:17], vcc
	; wave barrier
	s_and_saveexec_b64 s[16:17], s[20:21]
	s_cbranch_execz .LBB107_65
; %bb.64:
	v_bcnt_u32_b32 v16, v16, 0
	v_bcnt_u32_b32 v16, v17, v16
	s_waitcnt lgkmcnt(0)
	v_add_u32_e32 v16, v30, v16
	ds_write_b32 v31, v16 offset:8
.LBB107_65:
	s_or_b64 exec, exec, s[16:17]
	v_and_b32_e32 v18, s18, v22
	v_and_b32_e32 v17, 1, v18
	v_add_co_u32_e32 v19, vcc, -1, v17
	v_mov_b32_e32 v42, 1
	v_addc_co_u32_e64 v40, s[16:17], 0, -1, vcc
	v_cmp_ne_u32_e32 vcc, 0, v17
	v_lshlrev_b32_sdwa v16, v42, v18 dst_sel:DWORD dst_unused:UNUSED_PAD src0_sel:DWORD src1_sel:BYTE_0
	v_xor_b32_e32 v17, vcc_hi, v40
	v_add_lshl_u32 v39, v33, v16, 2
	v_mov_b32_e32 v16, 0
	v_and_b32_e32 v40, exec_hi, v17
	v_lshlrev_b32_e32 v17, 30, v18
	v_xor_b32_e32 v19, vcc_lo, v19
	v_cmp_gt_i64_e32 vcc, 0, v[16:17]
	v_not_b32_e32 v17, v17
	v_ashrrev_i32_e32 v17, 31, v17
	v_and_b32_e32 v19, exec_lo, v19
	v_xor_b32_e32 v43, vcc_hi, v17
	v_xor_b32_e32 v17, vcc_lo, v17
	v_and_b32_e32 v19, v19, v17
	v_lshlrev_b32_e32 v17, 29, v18
	v_cmp_gt_i64_e32 vcc, 0, v[16:17]
	v_not_b32_e32 v17, v17
	v_ashrrev_i32_e32 v17, 31, v17
	v_and_b32_e32 v40, v40, v43
	v_xor_b32_e32 v43, vcc_hi, v17
	v_xor_b32_e32 v17, vcc_lo, v17
	v_and_b32_e32 v19, v19, v17
	v_lshlrev_b32_e32 v17, 28, v18
	v_cmp_gt_i64_e32 vcc, 0, v[16:17]
	v_not_b32_e32 v17, v17
	v_ashrrev_i32_e32 v17, 31, v17
	v_and_b32_e32 v40, v40, v43
	;; [unrolled: 8-line block ×5, first 2 shown]
	v_xor_b32_e32 v43, vcc_hi, v17
	v_xor_b32_e32 v17, vcc_lo, v17
	v_and_b32_e32 v40, v40, v43
	v_and_b32_e32 v43, v19, v17
	v_lshlrev_b32_e32 v17, 24, v18
	v_cmp_gt_i64_e32 vcc, 0, v[16:17]
	v_not_b32_e32 v17, v17
	v_ashrrev_i32_e32 v17, 31, v17
	v_xor_b32_e32 v18, vcc_hi, v17
	v_xor_b32_e32 v17, vcc_lo, v17
	; wave barrier
	ds_read_b32 v38, v39 offset:8
	v_and_b32_e32 v19, v40, v18
	v_and_b32_e32 v18, v43, v17
	v_mbcnt_lo_u32_b32 v17, v18, 0
	v_mbcnt_hi_u32_b32 v40, v19, v17
	v_cmp_eq_u32_e32 vcc, 0, v40
	v_cmp_ne_u64_e64 s[16:17], 0, v[18:19]
	s_and_b64 s[20:21], s[16:17], vcc
	; wave barrier
	s_and_saveexec_b64 s[16:17], s[20:21]
	s_cbranch_execz .LBB107_67
; %bb.66:
	v_bcnt_u32_b32 v17, v18, 0
	v_bcnt_u32_b32 v17, v19, v17
	s_waitcnt lgkmcnt(0)
	v_add_u32_e32 v17, v38, v17
	ds_write_b32 v39, v17 offset:8
.LBB107_67:
	s_or_b64 exec, exec, s[16:17]
	v_and_b32_e32 v18, s18, v23
	v_lshlrev_b32_sdwa v17, v42, v18 dst_sel:DWORD dst_unused:UNUSED_PAD src0_sel:DWORD src1_sel:BYTE_0
	v_add_lshl_u32 v43, v33, v17, 2
	v_and_b32_e32 v17, 1, v18
	v_add_co_u32_e32 v19, vcc, -1, v17
	v_addc_co_u32_e64 v64, s[16:17], 0, -1, vcc
	v_cmp_ne_u32_e32 vcc, 0, v17
	v_xor_b32_e32 v17, vcc_hi, v64
	v_and_b32_e32 v64, exec_hi, v17
	v_lshlrev_b32_e32 v17, 30, v18
	v_xor_b32_e32 v19, vcc_lo, v19
	v_cmp_gt_i64_e32 vcc, 0, v[16:17]
	v_not_b32_e32 v17, v17
	v_ashrrev_i32_e32 v17, 31, v17
	v_and_b32_e32 v19, exec_lo, v19
	v_xor_b32_e32 v65, vcc_hi, v17
	v_xor_b32_e32 v17, vcc_lo, v17
	v_and_b32_e32 v19, v19, v17
	v_lshlrev_b32_e32 v17, 29, v18
	v_cmp_gt_i64_e32 vcc, 0, v[16:17]
	v_not_b32_e32 v17, v17
	v_ashrrev_i32_e32 v17, 31, v17
	v_and_b32_e32 v64, v64, v65
	v_xor_b32_e32 v65, vcc_hi, v17
	v_xor_b32_e32 v17, vcc_lo, v17
	v_and_b32_e32 v19, v19, v17
	v_lshlrev_b32_e32 v17, 28, v18
	v_cmp_gt_i64_e32 vcc, 0, v[16:17]
	v_not_b32_e32 v17, v17
	v_ashrrev_i32_e32 v17, 31, v17
	v_and_b32_e32 v64, v64, v65
	;; [unrolled: 8-line block ×5, first 2 shown]
	v_xor_b32_e32 v65, vcc_hi, v17
	v_xor_b32_e32 v17, vcc_lo, v17
	v_and_b32_e32 v19, v19, v17
	v_lshlrev_b32_e32 v17, 24, v18
	v_cmp_gt_i64_e32 vcc, 0, v[16:17]
	v_not_b32_e32 v16, v17
	v_ashrrev_i32_e32 v16, 31, v16
	v_xor_b32_e32 v17, vcc_hi, v16
	v_xor_b32_e32 v16, vcc_lo, v16
	; wave barrier
	ds_read_b32 v42, v43 offset:8
	v_and_b32_e32 v64, v64, v65
	v_and_b32_e32 v16, v19, v16
	;; [unrolled: 1-line block ×3, first 2 shown]
	v_mbcnt_lo_u32_b32 v18, v16, 0
	v_mbcnt_hi_u32_b32 v64, v17, v18
	v_cmp_eq_u32_e32 vcc, 0, v64
	v_cmp_ne_u64_e64 s[16:17], 0, v[16:17]
	s_and_b64 s[20:21], s[16:17], vcc
	; wave barrier
	s_and_saveexec_b64 s[16:17], s[20:21]
	s_cbranch_execz .LBB107_69
; %bb.68:
	v_bcnt_u32_b32 v16, v16, 0
	v_bcnt_u32_b32 v16, v17, v16
	s_waitcnt lgkmcnt(0)
	v_add_u32_e32 v16, v42, v16
	ds_write_b32 v43, v16 offset:8
.LBB107_69:
	s_or_b64 exec, exec, s[16:17]
	v_and_b32_e32 v18, s18, v24
	v_and_b32_e32 v17, 1, v18
	v_add_co_u32_e32 v19, vcc, -1, v17
	v_mov_b32_e32 v68, 1
	v_addc_co_u32_e64 v67, s[16:17], 0, -1, vcc
	v_cmp_ne_u32_e32 vcc, 0, v17
	v_lshlrev_b32_sdwa v16, v68, v18 dst_sel:DWORD dst_unused:UNUSED_PAD src0_sel:DWORD src1_sel:BYTE_0
	v_xor_b32_e32 v17, vcc_hi, v67
	v_add_lshl_u32 v66, v33, v16, 2
	v_mov_b32_e32 v16, 0
	v_and_b32_e32 v67, exec_hi, v17
	v_lshlrev_b32_e32 v17, 30, v18
	v_xor_b32_e32 v19, vcc_lo, v19
	v_cmp_gt_i64_e32 vcc, 0, v[16:17]
	v_not_b32_e32 v17, v17
	v_ashrrev_i32_e32 v17, 31, v17
	v_and_b32_e32 v19, exec_lo, v19
	v_xor_b32_e32 v69, vcc_hi, v17
	v_xor_b32_e32 v17, vcc_lo, v17
	v_and_b32_e32 v19, v19, v17
	v_lshlrev_b32_e32 v17, 29, v18
	v_cmp_gt_i64_e32 vcc, 0, v[16:17]
	v_not_b32_e32 v17, v17
	v_ashrrev_i32_e32 v17, 31, v17
	v_and_b32_e32 v67, v67, v69
	v_xor_b32_e32 v69, vcc_hi, v17
	v_xor_b32_e32 v17, vcc_lo, v17
	v_and_b32_e32 v19, v19, v17
	v_lshlrev_b32_e32 v17, 28, v18
	v_cmp_gt_i64_e32 vcc, 0, v[16:17]
	v_not_b32_e32 v17, v17
	v_ashrrev_i32_e32 v17, 31, v17
	v_and_b32_e32 v67, v67, v69
	;; [unrolled: 8-line block ×5, first 2 shown]
	v_xor_b32_e32 v69, vcc_hi, v17
	v_xor_b32_e32 v17, vcc_lo, v17
	v_and_b32_e32 v67, v67, v69
	v_and_b32_e32 v69, v19, v17
	v_lshlrev_b32_e32 v17, 24, v18
	v_cmp_gt_i64_e32 vcc, 0, v[16:17]
	v_not_b32_e32 v17, v17
	v_ashrrev_i32_e32 v17, 31, v17
	v_xor_b32_e32 v18, vcc_hi, v17
	v_xor_b32_e32 v17, vcc_lo, v17
	; wave barrier
	ds_read_b32 v65, v66 offset:8
	v_and_b32_e32 v19, v67, v18
	v_and_b32_e32 v18, v69, v17
	v_mbcnt_lo_u32_b32 v17, v18, 0
	v_mbcnt_hi_u32_b32 v67, v19, v17
	v_cmp_eq_u32_e32 vcc, 0, v67
	v_cmp_ne_u64_e64 s[16:17], 0, v[18:19]
	s_and_b64 s[20:21], s[16:17], vcc
	; wave barrier
	s_and_saveexec_b64 s[16:17], s[20:21]
	s_cbranch_execz .LBB107_71
; %bb.70:
	v_bcnt_u32_b32 v17, v18, 0
	v_bcnt_u32_b32 v17, v19, v17
	s_waitcnt lgkmcnt(0)
	v_add_u32_e32 v17, v65, v17
	ds_write_b32 v66, v17 offset:8
.LBB107_71:
	s_or_b64 exec, exec, s[16:17]
	v_and_b32_e32 v18, s18, v25
	v_lshlrev_b32_sdwa v17, v68, v18 dst_sel:DWORD dst_unused:UNUSED_PAD src0_sel:DWORD src1_sel:BYTE_0
	v_add_lshl_u32 v69, v33, v17, 2
	v_and_b32_e32 v17, 1, v18
	v_add_co_u32_e32 v19, vcc, -1, v17
	v_addc_co_u32_e64 v70, s[16:17], 0, -1, vcc
	v_cmp_ne_u32_e32 vcc, 0, v17
	v_xor_b32_e32 v17, vcc_hi, v70
	v_and_b32_e32 v70, exec_hi, v17
	v_lshlrev_b32_e32 v17, 30, v18
	v_xor_b32_e32 v19, vcc_lo, v19
	v_cmp_gt_i64_e32 vcc, 0, v[16:17]
	v_not_b32_e32 v17, v17
	v_ashrrev_i32_e32 v17, 31, v17
	v_and_b32_e32 v19, exec_lo, v19
	v_xor_b32_e32 v71, vcc_hi, v17
	v_xor_b32_e32 v17, vcc_lo, v17
	v_and_b32_e32 v19, v19, v17
	v_lshlrev_b32_e32 v17, 29, v18
	v_cmp_gt_i64_e32 vcc, 0, v[16:17]
	v_not_b32_e32 v17, v17
	v_ashrrev_i32_e32 v17, 31, v17
	v_and_b32_e32 v70, v70, v71
	v_xor_b32_e32 v71, vcc_hi, v17
	v_xor_b32_e32 v17, vcc_lo, v17
	v_and_b32_e32 v19, v19, v17
	v_lshlrev_b32_e32 v17, 28, v18
	v_cmp_gt_i64_e32 vcc, 0, v[16:17]
	v_not_b32_e32 v17, v17
	v_ashrrev_i32_e32 v17, 31, v17
	v_and_b32_e32 v70, v70, v71
	;; [unrolled: 8-line block ×5, first 2 shown]
	v_xor_b32_e32 v71, vcc_hi, v17
	v_xor_b32_e32 v17, vcc_lo, v17
	v_and_b32_e32 v19, v19, v17
	v_lshlrev_b32_e32 v17, 24, v18
	v_cmp_gt_i64_e32 vcc, 0, v[16:17]
	v_not_b32_e32 v16, v17
	v_ashrrev_i32_e32 v16, 31, v16
	v_xor_b32_e32 v17, vcc_hi, v16
	v_xor_b32_e32 v16, vcc_lo, v16
	; wave barrier
	ds_read_b32 v68, v69 offset:8
	v_and_b32_e32 v70, v70, v71
	v_and_b32_e32 v16, v19, v16
	;; [unrolled: 1-line block ×3, first 2 shown]
	v_mbcnt_lo_u32_b32 v18, v16, 0
	v_mbcnt_hi_u32_b32 v70, v17, v18
	v_cmp_eq_u32_e32 vcc, 0, v70
	v_cmp_ne_u64_e64 s[16:17], 0, v[16:17]
	s_and_b64 s[20:21], s[16:17], vcc
	; wave barrier
	s_and_saveexec_b64 s[16:17], s[20:21]
	s_cbranch_execz .LBB107_73
; %bb.72:
	v_bcnt_u32_b32 v16, v16, 0
	v_bcnt_u32_b32 v16, v17, v16
	s_waitcnt lgkmcnt(0)
	v_add_u32_e32 v16, v68, v16
	ds_write_b32 v69, v16 offset:8
.LBB107_73:
	s_or_b64 exec, exec, s[16:17]
	v_and_b32_e32 v18, s18, v26
	v_and_b32_e32 v17, 1, v18
	v_add_co_u32_e32 v19, vcc, -1, v17
	v_mov_b32_e32 v74, 1
	v_addc_co_u32_e64 v73, s[16:17], 0, -1, vcc
	v_cmp_ne_u32_e32 vcc, 0, v17
	v_lshlrev_b32_sdwa v16, v74, v18 dst_sel:DWORD dst_unused:UNUSED_PAD src0_sel:DWORD src1_sel:BYTE_0
	v_xor_b32_e32 v17, vcc_hi, v73
	v_add_lshl_u32 v72, v33, v16, 2
	v_mov_b32_e32 v16, 0
	v_and_b32_e32 v73, exec_hi, v17
	v_lshlrev_b32_e32 v17, 30, v18
	v_xor_b32_e32 v19, vcc_lo, v19
	v_cmp_gt_i64_e32 vcc, 0, v[16:17]
	v_not_b32_e32 v17, v17
	v_ashrrev_i32_e32 v17, 31, v17
	v_and_b32_e32 v19, exec_lo, v19
	v_xor_b32_e32 v75, vcc_hi, v17
	v_xor_b32_e32 v17, vcc_lo, v17
	v_and_b32_e32 v19, v19, v17
	v_lshlrev_b32_e32 v17, 29, v18
	v_cmp_gt_i64_e32 vcc, 0, v[16:17]
	v_not_b32_e32 v17, v17
	v_ashrrev_i32_e32 v17, 31, v17
	v_and_b32_e32 v73, v73, v75
	v_xor_b32_e32 v75, vcc_hi, v17
	v_xor_b32_e32 v17, vcc_lo, v17
	v_and_b32_e32 v19, v19, v17
	v_lshlrev_b32_e32 v17, 28, v18
	v_cmp_gt_i64_e32 vcc, 0, v[16:17]
	v_not_b32_e32 v17, v17
	v_ashrrev_i32_e32 v17, 31, v17
	v_and_b32_e32 v73, v73, v75
	v_xor_b32_e32 v75, vcc_hi, v17
	v_xor_b32_e32 v17, vcc_lo, v17
	v_and_b32_e32 v19, v19, v17
	v_lshlrev_b32_e32 v17, 27, v18
	v_cmp_gt_i64_e32 vcc, 0, v[16:17]
	v_not_b32_e32 v17, v17
	v_ashrrev_i32_e32 v17, 31, v17
	v_and_b32_e32 v73, v73, v75
	v_xor_b32_e32 v75, vcc_hi, v17
	v_xor_b32_e32 v17, vcc_lo, v17
	v_and_b32_e32 v19, v19, v17
	v_lshlrev_b32_e32 v17, 26, v18
	v_cmp_gt_i64_e32 vcc, 0, v[16:17]
	v_not_b32_e32 v17, v17
	v_ashrrev_i32_e32 v17, 31, v17
	v_and_b32_e32 v73, v73, v75
	v_xor_b32_e32 v75, vcc_hi, v17
	v_xor_b32_e32 v17, vcc_lo, v17
	v_and_b32_e32 v19, v19, v17
	v_lshlrev_b32_e32 v17, 25, v18
	v_cmp_gt_i64_e32 vcc, 0, v[16:17]
	v_not_b32_e32 v17, v17
	v_ashrrev_i32_e32 v17, 31, v17
	v_and_b32_e32 v73, v73, v75
	v_xor_b32_e32 v75, vcc_hi, v17
	v_xor_b32_e32 v17, vcc_lo, v17
	v_and_b32_e32 v73, v73, v75
	v_and_b32_e32 v75, v19, v17
	v_lshlrev_b32_e32 v17, 24, v18
	v_cmp_gt_i64_e32 vcc, 0, v[16:17]
	v_not_b32_e32 v17, v17
	v_ashrrev_i32_e32 v17, 31, v17
	v_xor_b32_e32 v18, vcc_hi, v17
	v_xor_b32_e32 v17, vcc_lo, v17
	; wave barrier
	ds_read_b32 v71, v72 offset:8
	v_and_b32_e32 v19, v73, v18
	v_and_b32_e32 v18, v75, v17
	v_mbcnt_lo_u32_b32 v17, v18, 0
	v_mbcnt_hi_u32_b32 v73, v19, v17
	v_cmp_eq_u32_e32 vcc, 0, v73
	v_cmp_ne_u64_e64 s[16:17], 0, v[18:19]
	s_and_b64 s[20:21], s[16:17], vcc
	; wave barrier
	s_and_saveexec_b64 s[16:17], s[20:21]
	s_cbranch_execz .LBB107_75
; %bb.74:
	v_bcnt_u32_b32 v17, v18, 0
	v_bcnt_u32_b32 v17, v19, v17
	s_waitcnt lgkmcnt(0)
	v_add_u32_e32 v17, v71, v17
	ds_write_b32 v72, v17 offset:8
.LBB107_75:
	s_or_b64 exec, exec, s[16:17]
	v_and_b32_e32 v18, s18, v27
	v_lshlrev_b32_sdwa v17, v74, v18 dst_sel:DWORD dst_unused:UNUSED_PAD src0_sel:DWORD src1_sel:BYTE_0
	v_add_lshl_u32 v74, v33, v17, 2
	v_and_b32_e32 v17, 1, v18
	v_add_co_u32_e32 v19, vcc, -1, v17
	v_addc_co_u32_e64 v76, s[16:17], 0, -1, vcc
	v_cmp_ne_u32_e32 vcc, 0, v17
	v_xor_b32_e32 v17, vcc_hi, v76
	v_and_b32_e32 v76, exec_hi, v17
	v_lshlrev_b32_e32 v17, 30, v18
	v_xor_b32_e32 v19, vcc_lo, v19
	v_cmp_gt_i64_e32 vcc, 0, v[16:17]
	v_not_b32_e32 v17, v17
	v_ashrrev_i32_e32 v17, 31, v17
	v_and_b32_e32 v19, exec_lo, v19
	v_xor_b32_e32 v77, vcc_hi, v17
	v_xor_b32_e32 v17, vcc_lo, v17
	v_and_b32_e32 v19, v19, v17
	v_lshlrev_b32_e32 v17, 29, v18
	v_cmp_gt_i64_e32 vcc, 0, v[16:17]
	v_not_b32_e32 v17, v17
	v_ashrrev_i32_e32 v17, 31, v17
	v_and_b32_e32 v76, v76, v77
	v_xor_b32_e32 v77, vcc_hi, v17
	v_xor_b32_e32 v17, vcc_lo, v17
	v_and_b32_e32 v19, v19, v17
	v_lshlrev_b32_e32 v17, 28, v18
	v_cmp_gt_i64_e32 vcc, 0, v[16:17]
	v_not_b32_e32 v17, v17
	v_ashrrev_i32_e32 v17, 31, v17
	v_and_b32_e32 v76, v76, v77
	;; [unrolled: 8-line block ×5, first 2 shown]
	v_xor_b32_e32 v77, vcc_hi, v17
	v_xor_b32_e32 v17, vcc_lo, v17
	v_and_b32_e32 v19, v19, v17
	v_lshlrev_b32_e32 v17, 24, v18
	v_cmp_gt_i64_e32 vcc, 0, v[16:17]
	v_not_b32_e32 v16, v17
	v_ashrrev_i32_e32 v16, 31, v16
	v_xor_b32_e32 v17, vcc_hi, v16
	v_xor_b32_e32 v16, vcc_lo, v16
	; wave barrier
	ds_read_b32 v33, v74 offset:8
	v_and_b32_e32 v76, v76, v77
	v_and_b32_e32 v16, v19, v16
	;; [unrolled: 1-line block ×3, first 2 shown]
	v_mbcnt_lo_u32_b32 v18, v16, 0
	v_mbcnt_hi_u32_b32 v76, v17, v18
	v_cmp_eq_u32_e32 vcc, 0, v76
	v_cmp_ne_u64_e64 s[16:17], 0, v[16:17]
	v_or_b32_e32 v75, 8, v62
	s_and_b64 s[18:19], s[16:17], vcc
	; wave barrier
	s_and_saveexec_b64 s[16:17], s[18:19]
	s_cbranch_execz .LBB107_77
; %bb.76:
	v_bcnt_u32_b32 v16, v16, 0
	v_bcnt_u32_b32 v16, v17, v16
	s_waitcnt lgkmcnt(0)
	v_add_u32_e32 v16, v33, v16
	ds_write_b32 v74, v16 offset:8
.LBB107_77:
	s_or_b64 exec, exec, s[16:17]
	; wave barrier
	s_waitcnt lgkmcnt(0)
	s_barrier
	ds_read2_b32 v[16:17], v62 offset0:2 offset1:3
	ds_read2_b32 v[18:19], v75 offset0:2 offset1:3
	v_min_u32_e32 v63, 64, v63
	v_or_b32_e32 v63, 63, v63
	s_waitcnt lgkmcnt(1)
	v_add_u32_e32 v77, v17, v16
	s_waitcnt lgkmcnt(0)
	v_add3_u32 v19, v77, v18, v19
	v_and_b32_e32 v77, 15, v61
	v_cmp_ne_u32_e32 vcc, 0, v77
	v_mov_b32_dpp v78, v19 row_shr:1 row_mask:0xf bank_mask:0xf
	v_cndmask_b32_e32 v78, 0, v78, vcc
	v_add_u32_e32 v19, v78, v19
	v_cmp_lt_u32_e32 vcc, 1, v77
	s_nop 0
	v_mov_b32_dpp v78, v19 row_shr:2 row_mask:0xf bank_mask:0xf
	v_cndmask_b32_e32 v78, 0, v78, vcc
	v_add_u32_e32 v19, v19, v78
	v_cmp_lt_u32_e32 vcc, 3, v77
	s_nop 0
	;; [unrolled: 5-line block ×3, first 2 shown]
	v_mov_b32_dpp v78, v19 row_shr:8 row_mask:0xf bank_mask:0xf
	v_cndmask_b32_e32 v77, 0, v78, vcc
	v_add_u32_e32 v19, v19, v77
	v_bfe_i32 v78, v61, 4, 1
	v_cmp_lt_u32_e32 vcc, 31, v61
	v_mov_b32_dpp v77, v19 row_bcast:15 row_mask:0xf bank_mask:0xf
	v_and_b32_e32 v77, v78, v77
	v_add_u32_e32 v19, v19, v77
	s_nop 1
	v_mov_b32_dpp v77, v19 row_bcast:31 row_mask:0xf bank_mask:0xf
	v_cndmask_b32_e32 v77, 0, v77, vcc
	v_add_u32_e32 v19, v19, v77
	v_lshrrev_b32_e32 v77, 6, v36
	v_cmp_eq_u32_e32 vcc, v63, v36
	s_and_saveexec_b64 s[16:17], vcc
	s_cbranch_execz .LBB107_79
; %bb.78:
	v_lshlrev_b32_e32 v63, 2, v77
	ds_write_b32 v63, v19
.LBB107_79:
	s_or_b64 exec, exec, s[16:17]
	v_cmp_gt_u32_e32 vcc, 2, v36
	s_waitcnt lgkmcnt(0)
	s_barrier
	s_and_saveexec_b64 s[16:17], vcc
	s_cbranch_execz .LBB107_81
; %bb.80:
	v_lshlrev_b32_e32 v63, 2, v36
	ds_read_b32 v78, v63
	v_bfe_i32 v79, v61, 0, 1
	s_waitcnt lgkmcnt(0)
	v_mov_b32_dpp v80, v78 row_shr:1 row_mask:0xf bank_mask:0xf
	v_and_b32_e32 v79, v79, v80
	v_add_u32_e32 v78, v79, v78
	ds_write_b32 v63, v78
.LBB107_81:
	s_or_b64 exec, exec, s[16:17]
	v_cmp_lt_u32_e32 vcc, 63, v36
	v_mov_b32_e32 v63, 0
	s_waitcnt lgkmcnt(0)
	s_barrier
	s_and_saveexec_b64 s[16:17], vcc
	s_cbranch_execz .LBB107_83
; %bb.82:
	v_lshl_add_u32 v63, v77, 2, -4
	ds_read_b32 v63, v63
.LBB107_83:
	s_or_b64 exec, exec, s[16:17]
	v_add_u32_e32 v77, -1, v61
	v_and_b32_e32 v78, 64, v61
	v_cmp_lt_i32_e32 vcc, v77, v78
	v_cndmask_b32_e32 v77, v77, v61, vcc
	s_waitcnt lgkmcnt(0)
	v_add_u32_e32 v19, v63, v19
	v_lshlrev_b32_e32 v77, 2, v77
	ds_bpermute_b32 v19, v77, v19
	v_cmp_eq_u32_e32 vcc, 0, v61
	s_movk_i32 s16, 0x7f
	s_waitcnt lgkmcnt(0)
	v_cndmask_b32_e32 v19, v19, v63, vcc
	v_cmp_ne_u32_e32 vcc, 0, v36
	v_cndmask_b32_e32 v19, 0, v19, vcc
	v_add_u32_e32 v16, v19, v16
	v_add_u32_e32 v17, v16, v17
	;; [unrolled: 1-line block ×3, first 2 shown]
	ds_write2_b32 v62, v19, v16 offset0:2 offset1:3
	ds_write2_b32 v75, v17, v18 offset0:2 offset1:3
	s_waitcnt lgkmcnt(0)
	s_barrier
	ds_read_b32 v16, v28 offset:8
	ds_read_b32 v17, v31 offset:8
	;; [unrolled: 1-line block ×8, first 2 shown]
	s_waitcnt lgkmcnt(7)
	v_add_u32_e32 v29, v16, v29
	s_waitcnt lgkmcnt(6)
	v_add3_u32 v30, v32, v30, v17
	s_waitcnt lgkmcnt(5)
	v_add3_u32 v18, v40, v38, v18
	;; [unrolled: 2-line block ×7, first 2 shown]
	s_barrier
	ds_write_b8 v29, v20
	ds_write_b8 v30, v21
	;; [unrolled: 1-line block ×8, first 2 shown]
	v_lshlrev_b32_e32 v20, 3, v29
	s_waitcnt lgkmcnt(0)
	s_barrier
	ds_read_b64 v[16:17], v53
	s_waitcnt lgkmcnt(0)
	s_barrier
	ds_write_b64 v20, v[12:13]
	v_lshlrev_b32_e32 v12, 3, v30
	ds_write_b64 v12, v[14:15]
	v_lshlrev_b32_e32 v12, 3, v18
	ds_write_b64 v12, v[8:9]
	v_lshlrev_b32_e32 v8, 3, v19
	ds_write_b64 v8, v[10:11]
	v_lshlrev_b32_e32 v8, 3, v28
	ds_write_b64 v8, v[4:5]
	v_lshlrev_b32_e32 v4, 3, v31
	ds_write_b64 v4, v[6:7]
	v_lshlrev_b32_e32 v4, 3, v32
	ds_write_b64 v4, v[0:1]
	v_lshlrev_b32_e32 v0, 3, v33
	ds_write_b64 v0, v[2:3]
	v_lshlrev_b32_e32 v0, 3, v53
	s_waitcnt lgkmcnt(0)
	s_barrier
	ds_read2_b64 v[18:21], v0 offset1:1
	ds_read2_b64 v[22:25], v0 offset0:2 offset1:3
	ds_read2_b64 v[26:29], v0 offset0:4 offset1:5
	;; [unrolled: 1-line block ×3, first 2 shown]
	v_lshrrev_b32_e32 v36, 8, v16
	v_lshrrev_b32_e32 v38, 8, v17
	v_xor_b32_e32 v0, 0x7f, v16
	v_xor_b32_sdwa v1, v36, s16 dst_sel:BYTE_1 dst_unused:UNUSED_PAD src0_sel:DWORD src1_sel:DWORD
	v_xor_b32_sdwa v2, v16, s16 dst_sel:DWORD dst_unused:UNUSED_PAD src0_sel:WORD_1 src1_sel:DWORD
	v_xor_b32_sdwa v3, v16, s16 dst_sel:BYTE_1 dst_unused:UNUSED_PAD src0_sel:BYTE_3 src1_sel:DWORD
	v_xor_b32_e32 v4, 0x7f, v17
	v_xor_b32_sdwa v5, v38, s16 dst_sel:BYTE_1 dst_unused:UNUSED_PAD src0_sel:DWORD src1_sel:DWORD
	v_xor_b32_sdwa v6, v17, s16 dst_sel:DWORD dst_unused:UNUSED_PAD src0_sel:WORD_1 src1_sel:DWORD
	v_xor_b32_sdwa v7, v17, s16 dst_sel:BYTE_1 dst_unused:UNUSED_PAD src0_sel:BYTE_3 src1_sel:DWORD
	v_or_b32_sdwa v0, v0, v1 dst_sel:DWORD dst_unused:UNUSED_PAD src0_sel:BYTE_0 src1_sel:DWORD
	v_or_b32_sdwa v1, v2, v3 dst_sel:WORD_1 dst_unused:UNUSED_PAD src0_sel:BYTE_0 src1_sel:DWORD
	v_or_b32_sdwa v0, v0, v1 dst_sel:DWORD dst_unused:UNUSED_PAD src0_sel:WORD_0 src1_sel:DWORD
	v_or_b32_sdwa v1, v4, v5 dst_sel:DWORD dst_unused:UNUSED_PAD src0_sel:BYTE_0 src1_sel:DWORD
	v_or_b32_sdwa v2, v6, v7 dst_sel:WORD_1 dst_unused:UNUSED_PAD src0_sel:BYTE_0 src1_sel:DWORD
	v_or_b32_sdwa v1, v1, v2 dst_sel:DWORD dst_unused:UNUSED_PAD src0_sel:WORD_0 src1_sel:DWORD
.LBB107_84:
	s_waitcnt lgkmcnt(0)
	s_barrier
	ds_write_b64 v52, v[0:1]
	s_waitcnt lgkmcnt(0)
	s_barrier
	ds_read_u8 v8, v45 offset:128
	ds_read_u8 v7, v46 offset:256
	;; [unrolled: 1-line block ×7, first 2 shown]
	v_mov_b32_e32 v1, s41
	v_add_co_u32_e32 v0, vcc, s40, v37
	v_addc_co_u32_e32 v1, vcc, 0, v1, vcc
	s_and_saveexec_b64 s[16:17], s[0:1]
	s_cbranch_execnz .LBB107_103
; %bb.85:
	s_or_b64 exec, exec, s[16:17]
	s_and_saveexec_b64 s[16:17], s[2:3]
	s_cbranch_execnz .LBB107_104
.LBB107_86:
	s_or_b64 exec, exec, s[16:17]
	s_and_saveexec_b64 s[16:17], s[4:5]
	s_cbranch_execnz .LBB107_105
.LBB107_87:
	s_or_b64 exec, exec, s[16:17]
	s_and_saveexec_b64 s[16:17], s[6:7]
	s_cbranch_execnz .LBB107_106
.LBB107_88:
	s_or_b64 exec, exec, s[16:17]
	s_and_saveexec_b64 s[16:17], s[8:9]
	s_cbranch_execnz .LBB107_107
.LBB107_89:
	s_or_b64 exec, exec, s[16:17]
	s_and_saveexec_b64 s[16:17], s[10:11]
	s_cbranch_execnz .LBB107_108
.LBB107_90:
	s_or_b64 exec, exec, s[16:17]
	s_and_saveexec_b64 s[16:17], s[12:13]
	s_cbranch_execnz .LBB107_109
.LBB107_91:
	s_or_b64 exec, exec, s[16:17]
	s_and_saveexec_b64 s[16:17], s[14:15]
	s_cbranch_execz .LBB107_93
.LBB107_92:
	s_mul_i32 s18, s38, 0x380
	v_add_co_u32_e32 v0, vcc, s18, v0
	v_addc_co_u32_e32 v1, vcc, 0, v1, vcc
	s_waitcnt lgkmcnt(0)
	global_store_byte v[0:1], v2, off
.LBB107_93:
	s_or_b64 exec, exec, s[16:17]
	s_waitcnt lgkmcnt(0)
	s_barrier
	ds_write2_b64 v60, v[18:19], v[20:21] offset1:1
	ds_write2_b64 v60, v[22:23], v[24:25] offset0:2 offset1:3
	ds_write2_b64 v60, v[26:27], v[28:29] offset0:4 offset1:5
	;; [unrolled: 1-line block ×3, first 2 shown]
	s_waitcnt lgkmcnt(0)
	s_barrier
	ds_read_b64 v[14:15], v35 offset:1024
	ds_read_b64 v[12:13], v54 offset:2048
	;; [unrolled: 1-line block ×7, first 2 shown]
	v_mov_b32_e32 v35, 0
	v_lshlrev_b64 v[2:3], 3, v[34:35]
	v_mov_b32_e32 v16, s35
	v_add_co_u32_e32 v2, vcc, s33, v2
	v_addc_co_u32_e32 v3, vcc, v16, v3, vcc
	s_and_saveexec_b64 s[16:17], s[0:1]
	s_cbranch_execnz .LBB107_110
; %bb.94:
	s_or_b64 exec, exec, s[16:17]
	s_and_saveexec_b64 s[0:1], s[2:3]
	s_cbranch_execnz .LBB107_111
.LBB107_95:
	s_or_b64 exec, exec, s[0:1]
	s_and_saveexec_b64 s[0:1], s[4:5]
	s_cbranch_execnz .LBB107_112
.LBB107_96:
	s_or_b64 exec, exec, s[0:1]
	s_and_saveexec_b64 s[0:1], s[6:7]
	s_cbranch_execnz .LBB107_113
.LBB107_97:
	s_or_b64 exec, exec, s[0:1]
	s_and_saveexec_b64 s[0:1], s[8:9]
	s_cbranch_execnz .LBB107_114
.LBB107_98:
	s_or_b64 exec, exec, s[0:1]
	s_and_saveexec_b64 s[0:1], s[10:11]
	s_cbranch_execnz .LBB107_115
.LBB107_99:
	s_or_b64 exec, exec, s[0:1]
	s_and_saveexec_b64 s[0:1], s[12:13]
	s_cbranch_execnz .LBB107_116
.LBB107_100:
	s_or_b64 exec, exec, s[0:1]
	s_and_saveexec_b64 s[0:1], s[14:15]
	s_cbranch_execz .LBB107_102
.LBB107_101:
	s_mul_i32 s0, s34, 0x380
	s_mov_b32 s1, 0
	s_lshl_b64 s[0:1], s[0:1], 3
	s_waitcnt lgkmcnt(1)
	v_mov_b32_e32 v4, s1
	v_add_co_u32_e32 v2, vcc, s0, v2
	v_addc_co_u32_e32 v3, vcc, v3, v4, vcc
	s_waitcnt lgkmcnt(0)
	global_store_dwordx2 v[2:3], v[0:1], off
.LBB107_102:
	s_endpgm
.LBB107_103:
	ds_read_u8 v9, v44
	s_waitcnt lgkmcnt(0)
	global_store_byte v[0:1], v9, off
	s_or_b64 exec, exec, s[16:17]
	s_and_saveexec_b64 s[16:17], s[2:3]
	s_cbranch_execz .LBB107_86
.LBB107_104:
	s_lshl_b32 s18, s38, 7
	v_add_co_u32_e32 v10, vcc, s18, v0
	v_addc_co_u32_e32 v11, vcc, 0, v1, vcc
	s_waitcnt lgkmcnt(6)
	global_store_byte v[10:11], v8, off
	s_or_b64 exec, exec, s[16:17]
	s_and_saveexec_b64 s[16:17], s[4:5]
	s_cbranch_execz .LBB107_87
.LBB107_105:
	s_lshl_b32 s18, s38, 8
	s_waitcnt lgkmcnt(6)
	v_add_co_u32_e32 v8, vcc, s18, v0
	v_addc_co_u32_e32 v9, vcc, 0, v1, vcc
	s_waitcnt lgkmcnt(5)
	global_store_byte v[8:9], v7, off
	s_or_b64 exec, exec, s[16:17]
	s_and_saveexec_b64 s[16:17], s[6:7]
	s_cbranch_execz .LBB107_88
.LBB107_106:
	s_mul_i32 s18, s38, 0x180
	s_waitcnt lgkmcnt(6)
	v_add_co_u32_e32 v8, vcc, s18, v0
	v_addc_co_u32_e32 v9, vcc, 0, v1, vcc
	s_waitcnt lgkmcnt(4)
	global_store_byte v[8:9], v6, off
	s_or_b64 exec, exec, s[16:17]
	s_and_saveexec_b64 s[16:17], s[8:9]
	s_cbranch_execz .LBB107_89
.LBB107_107:
	s_lshl_b32 s18, s38, 9
	s_waitcnt lgkmcnt(4)
	v_add_co_u32_e32 v6, vcc, s18, v0
	v_addc_co_u32_e32 v7, vcc, 0, v1, vcc
	s_waitcnt lgkmcnt(3)
	global_store_byte v[6:7], v5, off
	s_or_b64 exec, exec, s[16:17]
	s_and_saveexec_b64 s[16:17], s[10:11]
	s_cbranch_execz .LBB107_90
.LBB107_108:
	s_mul_i32 s18, s38, 0x280
	s_waitcnt lgkmcnt(4)
	v_add_co_u32_e32 v6, vcc, s18, v0
	v_addc_co_u32_e32 v7, vcc, 0, v1, vcc
	s_waitcnt lgkmcnt(2)
	global_store_byte v[6:7], v4, off
	s_or_b64 exec, exec, s[16:17]
	s_and_saveexec_b64 s[16:17], s[12:13]
	s_cbranch_execz .LBB107_91
.LBB107_109:
	s_mul_i32 s18, s38, 0x300
	s_waitcnt lgkmcnt(2)
	v_add_co_u32_e32 v4, vcc, s18, v0
	v_addc_co_u32_e32 v5, vcc, 0, v1, vcc
	s_waitcnt lgkmcnt(1)
	global_store_byte v[4:5], v3, off
	s_or_b64 exec, exec, s[16:17]
	s_and_saveexec_b64 s[16:17], s[14:15]
	s_cbranch_execnz .LBB107_92
	s_branch .LBB107_93
.LBB107_110:
	ds_read_b64 v[16:17], v41
	s_waitcnt lgkmcnt(0)
	global_store_dwordx2 v[2:3], v[16:17], off
	s_or_b64 exec, exec, s[16:17]
	s_and_saveexec_b64 s[0:1], s[2:3]
	s_cbranch_execz .LBB107_95
.LBB107_111:
	s_lshl_b32 s2, s34, 7
	s_mov_b32 s3, 0
	s_lshl_b64 s[2:3], s[2:3], 3
	v_mov_b32_e32 v17, s3
	v_add_co_u32_e32 v16, vcc, s2, v2
	v_addc_co_u32_e32 v17, vcc, v3, v17, vcc
	s_waitcnt lgkmcnt(6)
	global_store_dwordx2 v[16:17], v[14:15], off
	s_or_b64 exec, exec, s[0:1]
	s_and_saveexec_b64 s[0:1], s[4:5]
	s_cbranch_execz .LBB107_96
.LBB107_112:
	s_lshl_b32 s2, s34, 8
	s_mov_b32 s3, 0
	s_lshl_b64 s[2:3], s[2:3], 3
	s_waitcnt lgkmcnt(6)
	v_mov_b32_e32 v15, s3
	v_add_co_u32_e32 v14, vcc, s2, v2
	v_addc_co_u32_e32 v15, vcc, v3, v15, vcc
	s_waitcnt lgkmcnt(5)
	global_store_dwordx2 v[14:15], v[12:13], off
	s_or_b64 exec, exec, s[0:1]
	s_and_saveexec_b64 s[0:1], s[6:7]
	s_cbranch_execz .LBB107_97
.LBB107_113:
	s_mul_i32 s2, s34, 0x180
	s_mov_b32 s3, 0
	s_lshl_b64 s[2:3], s[2:3], 3
	s_waitcnt lgkmcnt(5)
	v_mov_b32_e32 v13, s3
	v_add_co_u32_e32 v12, vcc, s2, v2
	v_addc_co_u32_e32 v13, vcc, v3, v13, vcc
	s_waitcnt lgkmcnt(4)
	global_store_dwordx2 v[12:13], v[10:11], off
	s_or_b64 exec, exec, s[0:1]
	s_and_saveexec_b64 s[0:1], s[8:9]
	s_cbranch_execz .LBB107_98
.LBB107_114:
	s_lshl_b32 s2, s34, 9
	s_mov_b32 s3, 0
	s_lshl_b64 s[2:3], s[2:3], 3
	s_waitcnt lgkmcnt(4)
	v_mov_b32_e32 v11, s3
	v_add_co_u32_e32 v10, vcc, s2, v2
	v_addc_co_u32_e32 v11, vcc, v3, v11, vcc
	s_waitcnt lgkmcnt(3)
	global_store_dwordx2 v[10:11], v[8:9], off
	s_or_b64 exec, exec, s[0:1]
	s_and_saveexec_b64 s[0:1], s[10:11]
	s_cbranch_execz .LBB107_99
.LBB107_115:
	s_mul_i32 s2, s34, 0x280
	s_mov_b32 s3, 0
	s_lshl_b64 s[2:3], s[2:3], 3
	s_waitcnt lgkmcnt(3)
	v_mov_b32_e32 v9, s3
	v_add_co_u32_e32 v8, vcc, s2, v2
	v_addc_co_u32_e32 v9, vcc, v3, v9, vcc
	s_waitcnt lgkmcnt(2)
	global_store_dwordx2 v[8:9], v[6:7], off
	s_or_b64 exec, exec, s[0:1]
	s_and_saveexec_b64 s[0:1], s[12:13]
	s_cbranch_execz .LBB107_100
.LBB107_116:
	s_mul_i32 s2, s34, 0x300
	s_mov_b32 s3, 0
	s_lshl_b64 s[2:3], s[2:3], 3
	s_waitcnt lgkmcnt(2)
	v_mov_b32_e32 v7, s3
	v_add_co_u32_e32 v6, vcc, s2, v2
	v_addc_co_u32_e32 v7, vcc, v3, v7, vcc
	s_waitcnt lgkmcnt(1)
	global_store_dwordx2 v[6:7], v[4:5], off
	s_or_b64 exec, exec, s[0:1]
	s_and_saveexec_b64 s[0:1], s[14:15]
	s_cbranch_execnz .LBB107_101
	s_branch .LBB107_102
	.section	.rodata,"a",@progbits
	.p2align	6, 0x0
	.amdhsa_kernel _ZN2at6native18radixSortKVInPlaceILi2ELin1ELi128ELi8EaljEEvNS_4cuda6detail10TensorInfoIT3_T5_EES6_S6_S6_NS4_IT4_S6_EES6_b
		.amdhsa_group_segment_fixed_size 8448
		.amdhsa_private_segment_fixed_size 0
		.amdhsa_kernarg_size 712
		.amdhsa_user_sgpr_count 6
		.amdhsa_user_sgpr_private_segment_buffer 1
		.amdhsa_user_sgpr_dispatch_ptr 0
		.amdhsa_user_sgpr_queue_ptr 0
		.amdhsa_user_sgpr_kernarg_segment_ptr 1
		.amdhsa_user_sgpr_dispatch_id 0
		.amdhsa_user_sgpr_flat_scratch_init 0
		.amdhsa_user_sgpr_kernarg_preload_length 0
		.amdhsa_user_sgpr_kernarg_preload_offset 0
		.amdhsa_user_sgpr_private_segment_size 0
		.amdhsa_uses_dynamic_stack 0
		.amdhsa_system_sgpr_private_segment_wavefront_offset 0
		.amdhsa_system_sgpr_workgroup_id_x 1
		.amdhsa_system_sgpr_workgroup_id_y 1
		.amdhsa_system_sgpr_workgroup_id_z 1
		.amdhsa_system_sgpr_workgroup_info 0
		.amdhsa_system_vgpr_workitem_id 2
		.amdhsa_next_free_vgpr 109
		.amdhsa_next_free_sgpr 46
		.amdhsa_accum_offset 112
		.amdhsa_reserve_vcc 1
		.amdhsa_reserve_flat_scratch 0
		.amdhsa_float_round_mode_32 0
		.amdhsa_float_round_mode_16_64 0
		.amdhsa_float_denorm_mode_32 3
		.amdhsa_float_denorm_mode_16_64 3
		.amdhsa_dx10_clamp 1
		.amdhsa_ieee_mode 1
		.amdhsa_fp16_overflow 0
		.amdhsa_tg_split 0
		.amdhsa_exception_fp_ieee_invalid_op 0
		.amdhsa_exception_fp_denorm_src 0
		.amdhsa_exception_fp_ieee_div_zero 0
		.amdhsa_exception_fp_ieee_overflow 0
		.amdhsa_exception_fp_ieee_underflow 0
		.amdhsa_exception_fp_ieee_inexact 0
		.amdhsa_exception_int_div_zero 0
	.end_amdhsa_kernel
	.section	.text._ZN2at6native18radixSortKVInPlaceILi2ELin1ELi128ELi8EaljEEvNS_4cuda6detail10TensorInfoIT3_T5_EES6_S6_S6_NS4_IT4_S6_EES6_b,"axG",@progbits,_ZN2at6native18radixSortKVInPlaceILi2ELin1ELi128ELi8EaljEEvNS_4cuda6detail10TensorInfoIT3_T5_EES6_S6_S6_NS4_IT4_S6_EES6_b,comdat
.Lfunc_end107:
	.size	_ZN2at6native18radixSortKVInPlaceILi2ELin1ELi128ELi8EaljEEvNS_4cuda6detail10TensorInfoIT3_T5_EES6_S6_S6_NS4_IT4_S6_EES6_b, .Lfunc_end107-_ZN2at6native18radixSortKVInPlaceILi2ELin1ELi128ELi8EaljEEvNS_4cuda6detail10TensorInfoIT3_T5_EES6_S6_S6_NS4_IT4_S6_EES6_b
                                        ; -- End function
	.section	.AMDGPU.csdata,"",@progbits
; Kernel info:
; codeLenInByte = 11960
; NumSgprs: 50
; NumVgprs: 109
; NumAgprs: 0
; TotalNumVgprs: 109
; ScratchSize: 0
; MemoryBound: 0
; FloatMode: 240
; IeeeMode: 1
; LDSByteSize: 8448 bytes/workgroup (compile time only)
; SGPRBlocks: 6
; VGPRBlocks: 13
; NumSGPRsForWavesPerEU: 50
; NumVGPRsForWavesPerEU: 109
; AccumOffset: 112
; Occupancy: 4
; WaveLimiterHint : 1
; COMPUTE_PGM_RSRC2:SCRATCH_EN: 0
; COMPUTE_PGM_RSRC2:USER_SGPR: 6
; COMPUTE_PGM_RSRC2:TRAP_HANDLER: 0
; COMPUTE_PGM_RSRC2:TGID_X_EN: 1
; COMPUTE_PGM_RSRC2:TGID_Y_EN: 1
; COMPUTE_PGM_RSRC2:TGID_Z_EN: 1
; COMPUTE_PGM_RSRC2:TIDIG_COMP_CNT: 2
; COMPUTE_PGM_RSRC3_GFX90A:ACCUM_OFFSET: 27
; COMPUTE_PGM_RSRC3_GFX90A:TG_SPLIT: 0
	.section	.text._ZN2at6native18radixSortKVInPlaceILi2ELin1ELi32ELi4EaljEEvNS_4cuda6detail10TensorInfoIT3_T5_EES6_S6_S6_NS4_IT4_S6_EES6_b,"axG",@progbits,_ZN2at6native18radixSortKVInPlaceILi2ELin1ELi32ELi4EaljEEvNS_4cuda6detail10TensorInfoIT3_T5_EES6_S6_S6_NS4_IT4_S6_EES6_b,comdat
	.protected	_ZN2at6native18radixSortKVInPlaceILi2ELin1ELi32ELi4EaljEEvNS_4cuda6detail10TensorInfoIT3_T5_EES6_S6_S6_NS4_IT4_S6_EES6_b ; -- Begin function _ZN2at6native18radixSortKVInPlaceILi2ELin1ELi32ELi4EaljEEvNS_4cuda6detail10TensorInfoIT3_T5_EES6_S6_S6_NS4_IT4_S6_EES6_b
	.globl	_ZN2at6native18radixSortKVInPlaceILi2ELin1ELi32ELi4EaljEEvNS_4cuda6detail10TensorInfoIT3_T5_EES6_S6_S6_NS4_IT4_S6_EES6_b
	.p2align	8
	.type	_ZN2at6native18radixSortKVInPlaceILi2ELin1ELi32ELi4EaljEEvNS_4cuda6detail10TensorInfoIT3_T5_EES6_S6_S6_NS4_IT4_S6_EES6_b,@function
_ZN2at6native18radixSortKVInPlaceILi2ELin1ELi32ELi4EaljEEvNS_4cuda6detail10TensorInfoIT3_T5_EES6_S6_S6_NS4_IT4_S6_EES6_b: ; @_ZN2at6native18radixSortKVInPlaceILi2ELin1ELi32ELi4EaljEEvNS_4cuda6detail10TensorInfoIT3_T5_EES6_S6_S6_NS4_IT4_S6_EES6_b
; %bb.0:
	s_load_dwordx2 s[0:1], s[4:5], 0x1c8
	s_load_dwordx4 s[24:27], s[4:5], 0xd8
	s_waitcnt lgkmcnt(0)
	s_mul_i32 s1, s1, s8
	s_add_i32 s1, s1, s7
	s_mul_i32 s12, s1, s0
	s_add_i32 s12, s12, s6
	s_cmp_ge_u32 s12, s24
	s_cbranch_scc1 .LBB108_70
; %bb.1:
	s_load_dword s13, s[4:5], 0xc
	s_load_dwordx2 s[0:1], s[4:5], 0x6c
	s_load_dword s10, s[4:5], 0x1b8
	s_add_u32 s2, s4, 0xe8
	s_load_dwordx2 s[6:7], s[4:5], 0x0
	s_waitcnt lgkmcnt(0)
	v_cvt_f32_u32_e32 v1, s13
	s_addc_u32 s3, s5, 0
	s_sub_i32 s8, 0, s13
	s_mov_b32 s9, 0
	v_rcp_iflag_f32_e32 v1, v1
	v_mul_f32_e32 v1, 0x4f7ffffe, v1
	v_cvt_u32_f32_e32 v1, v1
	v_readfirstlane_b32 s11, v1
	s_mul_i32 s8, s8, s11
	s_mul_hi_u32 s8, s11, s8
	s_add_i32 s11, s11, s8
	s_mul_hi_u32 s14, s12, s11
	s_cmp_lt_i32 s10, 2
	s_mov_b32 s8, s12
	s_cbranch_scc1 .LBB108_4
; %bb.2:
	s_add_i32 s8, s10, -1
	s_add_i32 s15, s10, 1
	s_lshl_b64 s[10:11], s[8:9], 2
	s_add_u32 s8, s10, s2
	s_addc_u32 s11, s11, s3
	s_add_u32 s10, s8, 8
	s_addc_u32 s11, s11, 0
	s_mov_b32 s8, s12
.LBB108_3:                              ; =>This Inner Loop Header: Depth=1
	s_load_dword s16, s[10:11], 0x0
	s_load_dword s18, s[10:11], 0x64
	s_mov_b32 s17, s8
	s_waitcnt lgkmcnt(0)
	v_cvt_f32_u32_e32 v1, s16
	s_sub_i32 s8, 0, s16
	v_rcp_iflag_f32_e32 v1, v1
	v_mul_f32_e32 v1, 0x4f7ffffe, v1
	v_cvt_u32_f32_e32 v1, v1
	v_readfirstlane_b32 s19, v1
	s_mul_i32 s8, s8, s19
	s_mul_hi_u32 s8, s19, s8
	s_add_i32 s19, s19, s8
	s_mul_hi_u32 s8, s17, s19
	s_mul_i32 s19, s8, s16
	s_sub_i32 s19, s17, s19
	s_add_i32 s20, s8, 1
	s_sub_i32 s21, s19, s16
	s_cmp_ge_u32 s19, s16
	s_cselect_b32 s8, s20, s8
	s_cselect_b32 s19, s21, s19
	s_add_i32 s20, s8, 1
	s_cmp_ge_u32 s19, s16
	s_cselect_b32 s8, s20, s8
	s_mul_i32 s16, s8, s16
	s_sub_i32 s16, s17, s16
	s_mul_i32 s16, s18, s16
	s_add_i32 s15, s15, -1
	s_add_i32 s9, s16, s9
	s_add_u32 s10, s10, -4
	s_addc_u32 s11, s11, -1
	s_cmp_gt_u32 s15, 2
	s_cbranch_scc1 .LBB108_3
.LBB108_4:
	s_mul_i32 s10, s14, s13
	s_sub_i32 s10, s12, s10
	s_add_i32 s11, s14, 1
	s_sub_i32 s15, s10, s13
	s_cmp_ge_u32 s10, s13
	s_cselect_b32 s11, s11, s14
	s_cselect_b32 s10, s15, s10
	s_add_i32 s14, s11, 1
	s_cmp_ge_u32 s10, s13
	s_cselect_b32 s10, s14, s11
	s_load_dwordx2 s[28:29], s[4:5], 0x1c0
	s_mul_i32 s11, s10, s13
	s_sub_i32 s4, s12, s11
	s_mul_i32 s4, s4, s1
	s_mul_i32 s0, s10, s0
	s_add_i32 s4, s0, s4
	s_waitcnt lgkmcnt(0)
	s_bitcmp1_b32 s29, 0
	s_cselect_b64 s[10:11], -1, 0
	s_movk_i32 s5, 0x80
	s_and_b64 s[0:1], s[10:11], exec
	s_cselect_b32 s0, s5, 0x7f
	v_lshlrev_b16_e64 v1, 8, s0
	v_or_b32_e32 v1, s0, v1
	s_add_u32 s30, s6, s4
	v_lshlrev_b32_e32 v2, 16, v1
	s_addc_u32 s31, s7, 0
	v_mov_b32_e32 v3, s0
	v_or_b32_sdwa v2, v1, v2 dst_sel:DWORD dst_unused:UNUSED_PAD src0_sel:WORD_0 src1_sel:DWORD
	v_cmp_gt_u32_e64 s[0:1], s25, v0
	v_mul_lo_u32 v28, v0, s26
	s_and_saveexec_b64 s[4:5], s[0:1]
	s_cbranch_execz .LBB108_6
; %bb.5:
	global_load_ubyte v3, v28, s[30:31]
	s_mov_b32 s6, 0x3020104
	s_waitcnt vmcnt(0)
	v_perm_b32 v2, v3, v2, s6
.LBB108_6:
	s_or_b64 exec, exec, s[4:5]
	v_or_b32_e32 v1, 32, v0
	v_cmp_gt_u32_e64 s[6:7], s25, v1
	s_and_saveexec_b64 s[4:5], s[6:7]
	s_cbranch_execz .LBB108_8
; %bb.7:
	v_mul_lo_u32 v4, v1, s26
	global_load_ubyte v4, v4, s[30:31]
	s_mov_b32 s12, 0x7060004
	s_waitcnt vmcnt(0)
	v_perm_b32 v2, v2, v4, s12
.LBB108_8:
	s_or_b64 exec, exec, s[4:5]
	s_load_dwordx2 s[12:13], s[2:3], 0x0
	v_or_b32_e32 v10, 64, v0
	v_cmp_gt_u32_e64 s[4:5], s25, v10
	s_and_saveexec_b64 s[14:15], s[4:5]
	s_cbranch_execz .LBB108_10
; %bb.9:
	v_mul_lo_u32 v4, v10, s26
	global_load_ubyte v4, v4, s[30:31]
	s_mov_b32 s16, 0x7000504
	s_waitcnt vmcnt(0)
	v_perm_b32 v2, v2, v4, s16
.LBB108_10:
	s_or_b64 exec, exec, s[14:15]
	s_load_dword s16, s[2:3], 0x6c
	v_or_b32_e32 v11, 0x60, v0
	v_cmp_gt_u32_e64 s[2:3], s25, v11
	s_and_saveexec_b64 s[14:15], s[2:3]
	s_cbranch_execz .LBB108_12
; %bb.11:
	v_mul_lo_u32 v4, v11, s26
	global_load_ubyte v4, v4, s[30:31]
	s_mov_b32 s17, 0x60504
	s_waitcnt vmcnt(0)
	v_perm_b32 v2, v2, v4, s17
.LBB108_12:
	s_or_b64 exec, exec, s[14:15]
	ds_write_b8 v0, v3
	v_lshrrev_b32_e32 v3, 8, v2
	ds_write_b8 v0, v3 offset:32
	ds_write_b8_d16_hi v0, v2 offset:64
	v_lshrrev_b32_e32 v2, 24, v2
	v_lshlrev_b32_e32 v29, 2, v0
	ds_write_b8 v0, v2 offset:96
	s_waitcnt lgkmcnt(0)
	; wave barrier
	s_waitcnt lgkmcnt(0)
	ds_read_u8 v40, v29
	ds_read_u8 v39, v29 offset:1
	ds_read_u8 v38, v29 offset:2
	;; [unrolled: 1-line block ×3, first 2 shown]
	s_mul_i32 s8, s16, s8
	s_add_i32 s16, s8, s9
	s_mov_b32 s17, 0
	s_lshl_b64 s[8:9], s[16:17], 3
	s_mov_b32 s16, s17
	s_add_u32 s27, s12, s8
	s_mov_b32 s18, s17
	s_mov_b32 s19, s17
	;; [unrolled: 1-line block ×6, first 2 shown]
	v_pk_mov_b32 v[2:3], s[16:17], s[16:17] op_sel:[0,1]
	s_addc_u32 s29, s13, s9
	v_pk_mov_b32 v[4:5], s[18:19], s[18:19] op_sel:[0,1]
	v_pk_mov_b32 v[6:7], s[20:21], s[20:21] op_sel:[0,1]
	v_pk_mov_b32 v[8:9], s[22:23], s[22:23] op_sel:[0,1]
	v_pk_mov_b32 v[2:3], 0, 0
	v_mul_lo_u32 v18, v0, s28
	s_waitcnt lgkmcnt(0)
	; wave barrier
	s_waitcnt lgkmcnt(0)
	s_and_saveexec_b64 s[8:9], s[0:1]
	s_cbranch_execnz .LBB108_26
; %bb.13:
	s_or_b64 exec, exec, s[8:9]
	s_and_saveexec_b64 s[8:9], s[6:7]
	s_cbranch_execnz .LBB108_27
.LBB108_14:
	s_or_b64 exec, exec, s[8:9]
	s_and_saveexec_b64 s[8:9], s[4:5]
	s_cbranch_execz .LBB108_16
.LBB108_15:
	v_mul_lo_u32 v6, v10, s28
	v_mov_b32_e32 v7, 0
	v_lshlrev_b64 v[6:7], 3, v[6:7]
	v_mov_b32_e32 v12, s29
	v_add_co_u32_e32 v6, vcc, s27, v6
	v_addc_co_u32_e32 v7, vcc, v12, v7, vcc
	global_load_dwordx2 v[6:7], v[6:7], off
.LBB108_16:
	s_or_b64 exec, exec, s[8:9]
	s_xor_b64 s[24:25], s[10:11], -1
	v_lshrrev_b32_e32 v14, 5, v1
	v_lshrrev_b32_e32 v13, 5, v10
	;; [unrolled: 1-line block ×4, first 2 shown]
	s_and_saveexec_b64 s[8:9], s[2:3]
	s_cbranch_execz .LBB108_18
; %bb.17:
	v_mul_lo_u32 v8, v11, s28
	v_mov_b32_e32 v9, 0
	v_lshlrev_b64 v[8:9], 3, v[8:9]
	v_mov_b32_e32 v11, s29
	v_add_co_u32_e32 v8, vcc, s27, v8
	v_addc_co_u32_e32 v9, vcc, v11, v9, vcc
	global_load_dwordx2 v[8:9], v[8:9], off
.LBB108_18:
	s_or_b64 exec, exec, s[8:9]
	v_add_lshl_u32 v33, v10, v29, 3
	v_mbcnt_lo_u32_b32 v10, -1, 0
	s_getpc_b64 s[8:9]
	s_add_u32 s8, s8, _ZN7rocprim17ROCPRIM_400000_NS16block_radix_sortIaLj32ELj4ElLj1ELj1ELj0ELNS0_26block_radix_rank_algorithmE1ELNS0_18block_padding_hintE2ELNS0_4arch9wavefront6targetE1EE19radix_bits_per_passE@rel32@lo+4
	s_addc_u32 s9, s9, _ZN7rocprim17ROCPRIM_400000_NS16block_radix_sortIaLj32ELj4ElLj1ELj1ELj0ELNS0_26block_radix_rank_algorithmE1ELNS0_18block_padding_hintE2ELNS0_4arch9wavefront6targetE1EE19radix_bits_per_passE@rel32@hi+12
	v_mbcnt_hi_u32_b32 v10, -1, v10
	v_lshlrev_b32_e32 v30, 3, v0
	v_add_lshl_u32 v19, v14, v0, 3
	v_add_lshl_u32 v31, v13, v0, 3
	;; [unrolled: 1-line block ×3, first 2 shown]
	s_load_dword s33, s[8:9], 0x0
	v_and_b32_e32 v11, 15, v10
	s_waitcnt vmcnt(0)
	ds_write_b64 v30, v[2:3]
	ds_write_b64 v19, v[4:5] offset:256
	ds_write_b64 v31, v[6:7] offset:512
	;; [unrolled: 1-line block ×3, first 2 shown]
	s_waitcnt lgkmcnt(0)
	; wave barrier
	s_waitcnt lgkmcnt(0)
	ds_read2_b64 v[2:5], v33 offset1:1
	ds_read2_b64 v[6:9], v33 offset0:2 offset1:3
	v_cmp_eq_u32_e64 s[20:21], 0, v11
	v_cmp_lt_u32_e64 s[18:19], 1, v11
	v_cmp_lt_u32_e64 s[16:17], 3, v11
	v_cmp_lt_u32_e64 s[14:15], 7, v11
	v_and_b32_e32 v11, 16, v10
	v_cmp_eq_u32_e64 s[12:13], 0, v11
	v_add_u32_e32 v11, -1, v10
	v_and_b32_e32 v12, 0x60, v10
	v_cmp_lt_i32_e32 vcc, v11, v12
	s_movk_i32 s8, 0x100
	v_cndmask_b32_e32 v11, v11, v10, vcc
	v_cmp_gt_u32_e64 s[22:23], s8, v0
	v_lshlrev_b32_e32 v35, 5, v0
	v_cmp_eq_u32_e64 s[10:11], 31, v0
	v_lshlrev_b32_e32 v36, 2, v11
	v_cmp_eq_u32_e64 s[8:9], 0, v10
	v_lshlrev_b32_e32 v34, 3, v29
	s_min_u32 s40, s33, 8
	s_and_b64 vcc, exec, s[24:25]
	s_waitcnt lgkmcnt(0)
	; wave barrier
	s_waitcnt lgkmcnt(0)
	s_cbranch_vccz .LBB108_28
; %bb.19:
	s_and_saveexec_b64 s[24:25], s[22:23]
	s_cbranch_execz .LBB108_29
; %bb.20:
	s_mov_b32 s41, 0
	s_mov_b64 s[34:35], 0
	v_mov_b32_e32 v12, 0
	v_pk_mov_b32 v[10:11], v[0:1], v[0:1] op_sel:[0,1]
	s_branch .LBB108_22
.LBB108_21:                             ;   in Loop: Header=BB108_22 Depth=1
	s_or_b64 exec, exec, s[38:39]
	s_add_i32 s41, s41, 2
	v_cmp_eq_u32_e64 s[36:37], 8, s41
	v_add_u32_e32 v11, 64, v11
	s_or_b64 s[34:35], s[36:37], s[34:35]
	v_add_u32_e32 v10, 64, v10
	s_andn2_b64 exec, exec, s[34:35]
	s_cbranch_execz .LBB108_29
.LBB108_22:                             ; =>This Inner Loop Header: Depth=1
	s_or_b32 s36, s41, 1
	v_cmp_le_u32_e64 s[36:37], s36, 7
	v_cmp_le_u32_e64 s[42:43], s41, 7
	s_and_saveexec_b64 s[38:39], s[42:43]
	s_cbranch_execz .LBB108_24
; %bb.23:                               ;   in Loop: Header=BB108_22 Depth=1
	v_lshlrev_b32_e32 v13, 2, v10
	ds_write_b32 v13, v12
.LBB108_24:                             ;   in Loop: Header=BB108_22 Depth=1
	s_or_b64 exec, exec, s[38:39]
	s_and_saveexec_b64 s[38:39], s[36:37]
	s_cbranch_execz .LBB108_21
; %bb.25:                               ;   in Loop: Header=BB108_22 Depth=1
	v_lshlrev_b32_e32 v13, 2, v11
	ds_write_b32 v13, v12
	s_branch .LBB108_21
.LBB108_26:
	v_mov_b32_e32 v19, 0
	v_lshlrev_b64 v[2:3], 3, v[18:19]
	v_mov_b32_e32 v4, s29
	v_add_co_u32_e32 v2, vcc, s27, v2
	v_addc_co_u32_e32 v3, vcc, v4, v3, vcc
	global_load_dwordx2 v[2:3], v[2:3], off
	v_mov_b32_e32 v4, v19
	v_mov_b32_e32 v5, v19
	;; [unrolled: 1-line block ×6, first 2 shown]
	s_or_b64 exec, exec, s[8:9]
	s_and_saveexec_b64 s[8:9], s[6:7]
	s_cbranch_execz .LBB108_14
.LBB108_27:
	v_mul_lo_u32 v4, v1, s28
	v_mov_b32_e32 v5, 0
	v_lshlrev_b64 v[4:5], 3, v[4:5]
	v_mov_b32_e32 v12, s29
	v_add_co_u32_e32 v4, vcc, s27, v4
	v_addc_co_u32_e32 v5, vcc, v12, v5, vcc
	global_load_dwordx2 v[4:5], v[4:5], off
	s_or_b64 exec, exec, s[8:9]
	s_and_saveexec_b64 s[8:9], s[4:5]
	s_cbranch_execnz .LBB108_15
	s_branch .LBB108_16
.LBB108_28:
                                        ; implicit-def: $vgpr16_vgpr17
                                        ; implicit-def: $vgpr12_vgpr13
                                        ; implicit-def: $vgpr20
	s_cbranch_execnz .LBB108_41
	s_branch .LBB108_60
.LBB108_29:
	s_or_b64 exec, exec, s[24:25]
	s_lshl_b32 s24, -1, s40
	v_xor_b32_e32 v20, 0xffffff80, v40
	s_not_b32 s24, s24
	v_and_b32_e32 v10, s24, v20
	v_bfe_u32 v11, v10, 3, 5
	v_lshlrev_b32_e32 v10, 5, v10
	s_movk_i32 s25, 0xe0
	v_and_or_b32 v10, v10, s25, v0
	v_lshlrev_b32_e32 v10, 1, v10
	v_add_lshl_u32 v25, v10, v11, 1
	ds_read_u16 v23, v25
	v_xor_b32_e32 v21, 0xffffff80, v39
	v_xor_b32_e32 v24, 0xffffff80, v38
	;; [unrolled: 1-line block ×3, first 2 shown]
	s_waitcnt lgkmcnt(0)
	v_add_u16_e32 v10, 1, v23
	ds_write_b16 v25, v10
	v_and_b32_e32 v10, s24, v21
	v_bfe_u32 v11, v10, 3, 5
	v_lshlrev_b32_e32 v10, 5, v10
	v_and_or_b32 v10, v10, s25, v0
	v_lshlrev_b32_e32 v10, 1, v10
	v_add_lshl_u32 v41, v10, v11, 1
	ds_read_u16 v26, v41
	s_waitcnt lgkmcnt(0)
	v_add_u16_e32 v10, 1, v26
	ds_write_b16 v41, v10
	v_and_b32_e32 v10, s24, v24
	v_bfe_u32 v11, v10, 3, 5
	v_lshlrev_b32_e32 v10, 5, v10
	v_and_or_b32 v10, v10, s25, v0
	v_lshlrev_b32_e32 v10, 1, v10
	v_add_lshl_u32 v43, v10, v11, 1
	ds_read_u16 v42, v43
	;; [unrolled: 10-line block ×3, first 2 shown]
	s_waitcnt lgkmcnt(0)
	v_add_u16_e32 v10, 1, v44
	ds_write_b16 v45, v10
	s_waitcnt lgkmcnt(0)
	; wave barrier
	s_waitcnt lgkmcnt(0)
	ds_read2_b32 v[16:17], v35 offset1:1
	ds_read2_b32 v[14:15], v35 offset0:2 offset1:3
	ds_read2_b32 v[10:11], v35 offset0:4 offset1:5
	;; [unrolled: 1-line block ×3, first 2 shown]
	s_waitcnt lgkmcnt(3)
	v_add_u32_e32 v22, v17, v16
	s_waitcnt lgkmcnt(2)
	v_add3_u32 v22, v22, v14, v15
	s_waitcnt lgkmcnt(1)
	v_add3_u32 v22, v22, v10, v11
	;; [unrolled: 2-line block ×3, first 2 shown]
	s_nop 1
	v_mov_b32_dpp v22, v13 row_shr:1 row_mask:0xf bank_mask:0xf
	v_cndmask_b32_e64 v22, v22, 0, s[20:21]
	v_add_u32_e32 v13, v22, v13
	s_nop 1
	v_mov_b32_dpp v22, v13 row_shr:2 row_mask:0xf bank_mask:0xf
	v_cndmask_b32_e64 v22, 0, v22, s[18:19]
	v_add_u32_e32 v13, v13, v22
	;; [unrolled: 4-line block ×4, first 2 shown]
	s_nop 1
	v_mov_b32_dpp v22, v13 row_bcast:15 row_mask:0xf bank_mask:0xf
	v_cndmask_b32_e64 v22, v22, 0, s[12:13]
	v_add_u32_e32 v13, v13, v22
	s_and_saveexec_b64 s[24:25], s[10:11]
	s_cbranch_execz .LBB108_31
; %bb.30:
	v_mov_b32_e32 v22, 0
	ds_write_b32 v22, v13 offset:1024
.LBB108_31:
	s_or_b64 exec, exec, s[24:25]
	ds_bpermute_b32 v13, v36, v13
	v_mov_b32_e32 v22, 0
	s_waitcnt lgkmcnt(0)
	; wave barrier
	s_waitcnt lgkmcnt(0)
	ds_read_b32 v46, v22 offset:1024
	v_cndmask_b32_e64 v13, v13, 0, s[8:9]
	s_mov_b32 s41, 0
	s_waitcnt lgkmcnt(0)
	v_lshl_add_u32 v13, v46, 16, v13
	v_add_u32_e32 v16, v13, v16
	v_add_u32_e32 v17, v16, v17
	;; [unrolled: 1-line block ×7, first 2 shown]
	ds_write2_b32 v35, v13, v16 offset1:1
	ds_write2_b32 v35, v17, v14 offset0:2 offset1:3
	ds_write2_b32 v35, v15, v10 offset0:4 offset1:5
	;; [unrolled: 1-line block ×3, first 2 shown]
	s_waitcnt lgkmcnt(0)
	; wave barrier
	s_waitcnt lgkmcnt(0)
	ds_read_u16 v10, v25
	ds_read_u16 v11, v41
	ds_read_u16 v12, v43
	ds_read_u16 v13, v45
	s_waitcnt lgkmcnt(0)
	v_add_u32_sdwa v10, v10, v23 dst_sel:DWORD dst_unused:UNUSED_PAD src0_sel:DWORD src1_sel:WORD_0
	v_add_u32_sdwa v11, v11, v26 dst_sel:DWORD dst_unused:UNUSED_PAD src0_sel:DWORD src1_sel:WORD_0
	;; [unrolled: 1-line block ×4, first 2 shown]
	; wave barrier
	ds_write_b8 v10, v20
	ds_write_b8 v11, v21
	;; [unrolled: 1-line block ×4, first 2 shown]
	v_lshlrev_b32_e32 v10, 3, v10
	s_waitcnt lgkmcnt(0)
	; wave barrier
	s_waitcnt lgkmcnt(0)
	ds_read_u8 v41, v29
	ds_read_u8 v42, v29 offset:1
	ds_read_u8 v43, v29 offset:2
	;; [unrolled: 1-line block ×3, first 2 shown]
	s_waitcnt lgkmcnt(0)
	; wave barrier
	s_waitcnt lgkmcnt(0)
	ds_write_b64 v10, v[2:3]
	v_lshlrev_b32_e32 v10, 3, v11
	ds_write_b64 v10, v[4:5]
	v_lshlrev_b32_e32 v10, 3, v12
	;; [unrolled: 2-line block ×3, first 2 shown]
	ds_write_b64 v10, v[8:9]
	s_waitcnt lgkmcnt(0)
	; wave barrier
	s_waitcnt lgkmcnt(0)
	ds_read2_b64 v[14:17], v34 offset1:1
	ds_read2_b64 v[10:13], v34 offset0:2 offset1:3
	s_waitcnt lgkmcnt(0)
	; wave barrier
	s_waitcnt lgkmcnt(0)
	s_and_saveexec_b64 s[24:25], s[22:23]
	s_cbranch_execz .LBB108_38
; %bb.32:
	s_mov_b64 s[34:35], 0
	v_pk_mov_b32 v[20:21], v[0:1], v[0:1] op_sel:[0,1]
	s_branch .LBB108_34
.LBB108_33:                             ;   in Loop: Header=BB108_34 Depth=1
	s_or_b64 exec, exec, s[38:39]
	s_add_i32 s41, s41, 2
	v_cmp_eq_u32_e64 s[36:37], 8, s41
	v_add_u32_e32 v21, 64, v21
	s_or_b64 s[34:35], s[36:37], s[34:35]
	v_add_u32_e32 v20, 64, v20
	s_andn2_b64 exec, exec, s[34:35]
	s_cbranch_execz .LBB108_38
.LBB108_34:                             ; =>This Inner Loop Header: Depth=1
	s_or_b32 s36, s41, 1
	v_cmp_le_u32_e64 s[36:37], s36, 7
	v_cmp_le_u32_e64 s[42:43], s41, 7
	s_and_saveexec_b64 s[38:39], s[42:43]
	s_cbranch_execz .LBB108_36
; %bb.35:                               ;   in Loop: Header=BB108_34 Depth=1
	v_lshlrev_b32_e32 v23, 2, v20
	ds_write_b32 v23, v22
.LBB108_36:                             ;   in Loop: Header=BB108_34 Depth=1
	s_or_b64 exec, exec, s[38:39]
	s_and_saveexec_b64 s[38:39], s[36:37]
	s_cbranch_execz .LBB108_33
; %bb.37:                               ;   in Loop: Header=BB108_34 Depth=1
	v_lshlrev_b32_e32 v23, 2, v21
	ds_write_b32 v23, v22
	s_branch .LBB108_33
.LBB108_38:
	s_or_b64 exec, exec, s[24:25]
	s_min_u32 s24, s33, 4
	s_lshl_b32 s24, -1, s24
	v_lshrrev_b16_e32 v20, 4, v41
	s_not_b32 s24, s24
	v_and_b32_e32 v20, 15, v20
	v_and_b32_sdwa v20, v20, s24 dst_sel:DWORD dst_unused:UNUSED_PAD src0_sel:WORD_0 src1_sel:DWORD
	v_lshlrev_b32_e32 v21, 5, v20
	s_movk_i32 s25, 0xe0
	v_lshrrev_b32_e32 v20, 2, v20
	v_and_or_b32 v21, v21, s25, v0
	v_and_b32_e32 v20, 2, v20
	v_lshl_or_b32 v46, v21, 2, v20
	ds_read_u16 v45, v46
	s_waitcnt lgkmcnt(0)
	v_add_u16_e32 v20, 1, v45
	ds_write_b16 v46, v20
	v_lshrrev_b16_e32 v20, 4, v42
	v_and_b32_e32 v20, 15, v20
	v_and_b32_sdwa v20, v20, s24 dst_sel:DWORD dst_unused:UNUSED_PAD src0_sel:WORD_0 src1_sel:DWORD
	v_lshlrev_b32_e32 v21, 5, v20
	v_lshrrev_b32_e32 v20, 2, v20
	v_and_or_b32 v21, v21, s25, v0
	v_and_b32_e32 v20, 2, v20
	v_lshl_or_b32 v48, v21, 2, v20
	ds_read_u16 v47, v48
	s_waitcnt lgkmcnt(0)
	v_add_u16_e32 v20, 1, v47
	ds_write_b16 v48, v20
	v_lshrrev_b16_e32 v20, 4, v43
	v_and_b32_e32 v20, 15, v20
	v_and_b32_sdwa v20, v20, s24 dst_sel:DWORD dst_unused:UNUSED_PAD src0_sel:WORD_0 src1_sel:DWORD
	v_lshlrev_b32_e32 v21, 5, v20
	;; [unrolled: 12-line block ×3, first 2 shown]
	v_lshrrev_b32_e32 v20, 2, v20
	v_and_or_b32 v21, v21, s25, v0
	v_and_b32_e32 v20, 2, v20
	v_lshl_or_b32 v52, v21, 2, v20
	ds_read_u16 v51, v52
	s_waitcnt lgkmcnt(0)
	v_add_u16_e32 v20, 1, v51
	ds_write_b16 v52, v20
	s_waitcnt lgkmcnt(0)
	; wave barrier
	s_waitcnt lgkmcnt(0)
	ds_read2_b32 v[26:27], v35 offset1:1
	ds_read2_b32 v[24:25], v35 offset0:2 offset1:3
	ds_read2_b32 v[20:21], v35 offset0:4 offset1:5
	;; [unrolled: 1-line block ×3, first 2 shown]
	s_waitcnt lgkmcnt(3)
	v_add_u32_e32 v53, v27, v26
	s_waitcnt lgkmcnt(2)
	v_add3_u32 v53, v53, v24, v25
	s_waitcnt lgkmcnt(1)
	v_add3_u32 v53, v53, v20, v21
	;; [unrolled: 2-line block ×3, first 2 shown]
	s_nop 1
	v_mov_b32_dpp v53, v23 row_shr:1 row_mask:0xf bank_mask:0xf
	v_cndmask_b32_e64 v53, v53, 0, s[20:21]
	v_add_u32_e32 v23, v53, v23
	s_nop 1
	v_mov_b32_dpp v53, v23 row_shr:2 row_mask:0xf bank_mask:0xf
	v_cndmask_b32_e64 v53, 0, v53, s[18:19]
	v_add_u32_e32 v23, v23, v53
	;; [unrolled: 4-line block ×4, first 2 shown]
	s_nop 1
	v_mov_b32_dpp v53, v23 row_bcast:15 row_mask:0xf bank_mask:0xf
	v_cndmask_b32_e64 v53, v53, 0, s[12:13]
	v_add_u32_e32 v23, v23, v53
	s_and_saveexec_b64 s[24:25], s[10:11]
	s_cbranch_execz .LBB108_40
; %bb.39:
	v_mov_b32_e32 v53, 0
	ds_write_b32 v53, v23 offset:1024
.LBB108_40:
	s_or_b64 exec, exec, s[24:25]
	ds_bpermute_b32 v23, v36, v23
	v_mov_b32_e32 v53, 0
	s_waitcnt lgkmcnt(0)
	; wave barrier
	s_waitcnt lgkmcnt(0)
	ds_read_b32 v53, v53 offset:1024
	v_cndmask_b32_e64 v23, v23, 0, s[8:9]
	s_movk_i32 s24, 0x80
	s_waitcnt lgkmcnt(0)
	v_lshl_add_u32 v23, v53, 16, v23
	v_add_u32_e32 v26, v23, v26
	v_add_u32_e32 v27, v26, v27
	;; [unrolled: 1-line block ×7, first 2 shown]
	ds_write2_b32 v35, v23, v26 offset1:1
	ds_write2_b32 v35, v27, v24 offset0:2 offset1:3
	ds_write2_b32 v35, v25, v20 offset0:4 offset1:5
	;; [unrolled: 1-line block ×3, first 2 shown]
	s_waitcnt lgkmcnt(0)
	; wave barrier
	s_waitcnt lgkmcnt(0)
	ds_read_u16 v20, v52
	ds_read_u16 v21, v50
	;; [unrolled: 1-line block ×4, first 2 shown]
	s_waitcnt lgkmcnt(0)
	v_add_u32_sdwa v20, v20, v51 dst_sel:DWORD dst_unused:UNUSED_PAD src0_sel:DWORD src1_sel:WORD_0
	v_add_u32_sdwa v21, v21, v49 dst_sel:DWORD dst_unused:UNUSED_PAD src0_sel:DWORD src1_sel:WORD_0
	;; [unrolled: 1-line block ×4, first 2 shown]
	; wave barrier
	ds_write_b8 v23, v41
	ds_write_b8 v22, v42
	;; [unrolled: 1-line block ×4, first 2 shown]
	v_lshlrev_b32_e32 v23, 3, v23
	s_waitcnt lgkmcnt(0)
	; wave barrier
	s_waitcnt lgkmcnt(0)
	ds_read_u8 v24, v29
	ds_read_u8 v25, v29 offset:1
	ds_read_u8 v26, v29 offset:2
	;; [unrolled: 1-line block ×3, first 2 shown]
	s_waitcnt lgkmcnt(0)
	; wave barrier
	s_waitcnt lgkmcnt(0)
	ds_write_b64 v23, v[14:15]
	v_lshlrev_b32_e32 v14, 3, v22
	ds_write_b64 v14, v[16:17]
	v_lshlrev_b32_e32 v14, 3, v21
	;; [unrolled: 2-line block ×3, first 2 shown]
	ds_write_b64 v10, v[12:13]
	s_waitcnt lgkmcnt(0)
	; wave barrier
	s_waitcnt lgkmcnt(0)
	ds_read2_b64 v[10:13], v34 offset1:1
	ds_read2_b64 v[14:17], v34 offset0:2 offset1:3
	v_xor_b32_e32 v20, 0x80, v24
	v_xor_b32_sdwa v21, v25, s24 dst_sel:BYTE_1 dst_unused:UNUSED_PAD src0_sel:DWORD src1_sel:DWORD
	v_xor_b32_e32 v22, 0x80, v26
	v_xor_b32_sdwa v23, v27, s24 dst_sel:BYTE_1 dst_unused:UNUSED_PAD src0_sel:DWORD src1_sel:DWORD
	v_or_b32_e32 v20, v20, v21
	v_or_b32_sdwa v21, v22, v23 dst_sel:WORD_1 dst_unused:UNUSED_PAD src0_sel:DWORD src1_sel:DWORD
	v_or_b32_sdwa v20, v20, v21 dst_sel:DWORD dst_unused:UNUSED_PAD src0_sel:WORD_0 src1_sel:DWORD
	s_branch .LBB108_60
.LBB108_41:
	s_and_saveexec_b64 s[24:25], s[22:23]
	s_cbranch_execz .LBB108_48
; %bb.42:
	s_mov_b32 s41, 0
	s_mov_b64 s[34:35], 0
	s_waitcnt lgkmcnt(1)
	v_mov_b32_e32 v12, 0
	v_pk_mov_b32 v[10:11], v[0:1], v[0:1] op_sel:[0,1]
	s_branch .LBB108_44
.LBB108_43:                             ;   in Loop: Header=BB108_44 Depth=1
	s_or_b64 exec, exec, s[38:39]
	s_add_i32 s41, s41, 2
	v_cmp_eq_u32_e64 s[36:37], 8, s41
	v_add_u32_e32 v11, 64, v11
	s_or_b64 s[34:35], s[36:37], s[34:35]
	v_add_u32_e32 v10, 64, v10
	s_andn2_b64 exec, exec, s[34:35]
	s_cbranch_execz .LBB108_48
.LBB108_44:                             ; =>This Inner Loop Header: Depth=1
	s_or_b32 s36, s41, 1
	v_cmp_le_u32_e64 s[36:37], s36, 7
	v_cmp_le_u32_e64 s[42:43], s41, 7
	s_and_saveexec_b64 s[38:39], s[42:43]
	s_cbranch_execz .LBB108_46
; %bb.45:                               ;   in Loop: Header=BB108_44 Depth=1
	v_lshlrev_b32_e32 v13, 2, v10
	ds_write_b32 v13, v12
.LBB108_46:                             ;   in Loop: Header=BB108_44 Depth=1
	s_or_b64 exec, exec, s[38:39]
	s_and_saveexec_b64 s[38:39], s[36:37]
	s_cbranch_execz .LBB108_43
; %bb.47:                               ;   in Loop: Header=BB108_44 Depth=1
	v_lshlrev_b32_e32 v13, 2, v11
	ds_write_b32 v13, v12
	s_branch .LBB108_43
.LBB108_48:
	s_or_b64 exec, exec, s[24:25]
	s_lshl_b32 s24, -1, s40
	v_xor_b32_e32 v20, 0x7f, v40
	s_not_b32 s24, s24
	s_waitcnt lgkmcnt(1)
	v_and_b32_e32 v10, s24, v20
	v_bfe_u32 v11, v10, 3, 5
	v_lshlrev_b32_e32 v10, 5, v10
	s_movk_i32 s25, 0xe0
	v_and_or_b32 v10, v10, s25, v0
	v_lshlrev_b32_e32 v10, 1, v10
	v_add_lshl_u32 v24, v10, v11, 1
	ds_read_u16 v22, v24
	v_xor_b32_e32 v21, 0x7f, v39
	v_xor_b32_e32 v23, 0x7f, v38
	;; [unrolled: 1-line block ×3, first 2 shown]
	s_waitcnt lgkmcnt(0)
	v_add_u16_e32 v10, 1, v22
	ds_write_b16 v24, v10
	v_and_b32_e32 v10, s24, v21
	v_bfe_u32 v11, v10, 3, 5
	v_lshlrev_b32_e32 v10, 5, v10
	v_and_or_b32 v10, v10, s25, v0
	v_lshlrev_b32_e32 v10, 1, v10
	v_add_lshl_u32 v27, v10, v11, 1
	ds_read_u16 v25, v27
	s_waitcnt lgkmcnt(0)
	v_add_u16_e32 v10, 1, v25
	ds_write_b16 v27, v10
	v_and_b32_e32 v10, s24, v23
	v_bfe_u32 v11, v10, 3, 5
	v_lshlrev_b32_e32 v10, 5, v10
	v_and_or_b32 v10, v10, s25, v0
	v_lshlrev_b32_e32 v10, 1, v10
	v_add_lshl_u32 v39, v10, v11, 1
	ds_read_u16 v38, v39
	;; [unrolled: 10-line block ×3, first 2 shown]
	s_waitcnt lgkmcnt(0)
	v_add_u16_e32 v10, 1, v37
	ds_write_b16 v40, v10
	s_waitcnt lgkmcnt(0)
	; wave barrier
	s_waitcnt lgkmcnt(0)
	ds_read2_b32 v[16:17], v35 offset1:1
	ds_read2_b32 v[14:15], v35 offset0:2 offset1:3
	ds_read2_b32 v[10:11], v35 offset0:4 offset1:5
	;; [unrolled: 1-line block ×3, first 2 shown]
	s_waitcnt lgkmcnt(3)
	v_add_u32_e32 v41, v17, v16
	s_waitcnt lgkmcnt(2)
	v_add3_u32 v41, v41, v14, v15
	s_waitcnt lgkmcnt(1)
	v_add3_u32 v41, v41, v10, v11
	;; [unrolled: 2-line block ×3, first 2 shown]
	s_nop 1
	v_mov_b32_dpp v41, v13 row_shr:1 row_mask:0xf bank_mask:0xf
	v_cndmask_b32_e64 v41, v41, 0, s[20:21]
	v_add_u32_e32 v13, v41, v13
	s_nop 1
	v_mov_b32_dpp v41, v13 row_shr:2 row_mask:0xf bank_mask:0xf
	v_cndmask_b32_e64 v41, 0, v41, s[18:19]
	v_add_u32_e32 v13, v13, v41
	;; [unrolled: 4-line block ×4, first 2 shown]
	s_nop 1
	v_mov_b32_dpp v41, v13 row_bcast:15 row_mask:0xf bank_mask:0xf
	v_cndmask_b32_e64 v41, v41, 0, s[12:13]
	v_add_u32_e32 v13, v13, v41
	s_and_saveexec_b64 s[24:25], s[10:11]
	s_cbranch_execz .LBB108_50
; %bb.49:
	v_mov_b32_e32 v41, 0
	ds_write_b32 v41, v13 offset:1024
.LBB108_50:
	s_or_b64 exec, exec, s[24:25]
	ds_bpermute_b32 v41, v36, v13
	v_mov_b32_e32 v13, 0
	s_waitcnt lgkmcnt(0)
	; wave barrier
	s_waitcnt lgkmcnt(0)
	ds_read_b32 v42, v13 offset:1024
	v_cndmask_b32_e64 v41, v41, 0, s[8:9]
	s_mov_b32 s38, 0
	s_waitcnt lgkmcnt(0)
	v_lshl_add_u32 v41, v42, 16, v41
	v_add_u32_e32 v16, v41, v16
	v_add_u32_e32 v17, v16, v17
	;; [unrolled: 1-line block ×7, first 2 shown]
	ds_write2_b32 v35, v41, v16 offset1:1
	ds_write2_b32 v35, v17, v14 offset0:2 offset1:3
	ds_write2_b32 v35, v15, v10 offset0:4 offset1:5
	;; [unrolled: 1-line block ×3, first 2 shown]
	s_waitcnt lgkmcnt(0)
	; wave barrier
	s_waitcnt lgkmcnt(0)
	ds_read_u16 v10, v24
	ds_read_u16 v11, v27
	ds_read_u16 v12, v39
	ds_read_u16 v14, v40
	s_waitcnt lgkmcnt(0)
	v_add_u32_sdwa v10, v10, v22 dst_sel:DWORD dst_unused:UNUSED_PAD src0_sel:DWORD src1_sel:WORD_0
	v_add_u32_sdwa v11, v11, v25 dst_sel:DWORD dst_unused:UNUSED_PAD src0_sel:DWORD src1_sel:WORD_0
	;; [unrolled: 1-line block ×4, first 2 shown]
	; wave barrier
	ds_write_b8 v10, v20
	ds_write_b8 v11, v21
	;; [unrolled: 1-line block ×4, first 2 shown]
	v_lshlrev_b32_e32 v10, 3, v10
	s_waitcnt lgkmcnt(0)
	; wave barrier
	s_waitcnt lgkmcnt(0)
	ds_read_u8 v20, v29
	ds_read_u8 v21, v29 offset:1
	ds_read_u8 v22, v29 offset:2
	ds_read_u8 v23, v29 offset:3
	s_waitcnt lgkmcnt(0)
	; wave barrier
	s_waitcnt lgkmcnt(0)
	ds_write_b64 v10, v[2:3]
	v_lshlrev_b32_e32 v2, 3, v11
	ds_write_b64 v2, v[4:5]
	v_lshlrev_b32_e32 v2, 3, v12
	;; [unrolled: 2-line block ×3, first 2 shown]
	ds_write_b64 v2, v[8:9]
	s_waitcnt lgkmcnt(0)
	; wave barrier
	s_waitcnt lgkmcnt(0)
	ds_read2_b64 v[6:9], v34 offset1:1
	ds_read2_b64 v[2:5], v34 offset0:2 offset1:3
	s_waitcnt lgkmcnt(0)
	; wave barrier
	s_waitcnt lgkmcnt(0)
	s_and_saveexec_b64 s[24:25], s[22:23]
	s_cbranch_execz .LBB108_57
; %bb.51:
	s_mov_b64 s[22:23], 0
	v_pk_mov_b32 v[10:11], v[0:1], v[0:1] op_sel:[0,1]
	s_branch .LBB108_53
.LBB108_52:                             ;   in Loop: Header=BB108_53 Depth=1
	s_or_b64 exec, exec, s[36:37]
	s_add_i32 s38, s38, 2
	v_cmp_eq_u32_e64 s[34:35], 8, s38
	v_add_u32_e32 v11, 64, v11
	s_or_b64 s[22:23], s[34:35], s[22:23]
	v_add_u32_e32 v10, 64, v10
	s_andn2_b64 exec, exec, s[22:23]
	s_cbranch_execz .LBB108_57
.LBB108_53:                             ; =>This Inner Loop Header: Depth=1
	s_or_b32 s34, s38, 1
	v_cmp_le_u32_e64 s[34:35], s34, 7
	v_cmp_le_u32_e64 s[40:41], s38, 7
	s_and_saveexec_b64 s[36:37], s[40:41]
	s_cbranch_execz .LBB108_55
; %bb.54:                               ;   in Loop: Header=BB108_53 Depth=1
	v_lshlrev_b32_e32 v1, 2, v10
	ds_write_b32 v1, v13
.LBB108_55:                             ;   in Loop: Header=BB108_53 Depth=1
	s_or_b64 exec, exec, s[36:37]
	s_and_saveexec_b64 s[36:37], s[34:35]
	s_cbranch_execz .LBB108_52
; %bb.56:                               ;   in Loop: Header=BB108_53 Depth=1
	v_lshlrev_b32_e32 v1, 2, v11
	ds_write_b32 v1, v13
	s_branch .LBB108_52
.LBB108_57:
	s_or_b64 exec, exec, s[24:25]
	s_min_u32 s22, s33, 4
	s_lshl_b32 s22, -1, s22
	v_lshrrev_b16_e32 v1, 4, v20
	s_not_b32 s22, s22
	v_and_b32_e32 v1, 15, v1
	v_and_b32_sdwa v1, v1, s22 dst_sel:DWORD dst_unused:UNUSED_PAD src0_sel:WORD_0 src1_sel:DWORD
	v_lshlrev_b32_e32 v10, 5, v1
	s_movk_i32 s23, 0xe0
	v_lshrrev_b32_e32 v1, 2, v1
	v_and_or_b32 v10, v10, s23, v0
	v_and_b32_e32 v1, 2, v1
	v_lshl_or_b32 v24, v10, 2, v1
	ds_read_u16 v1, v24
	s_waitcnt lgkmcnt(0)
	v_add_u16_e32 v10, 1, v1
	ds_write_b16 v24, v10
	v_lshrrev_b16_e32 v10, 4, v21
	v_and_b32_e32 v10, 15, v10
	v_and_b32_sdwa v10, v10, s22 dst_sel:DWORD dst_unused:UNUSED_PAD src0_sel:WORD_0 src1_sel:DWORD
	v_lshlrev_b32_e32 v11, 5, v10
	v_lshrrev_b32_e32 v10, 2, v10
	v_and_or_b32 v11, v11, s23, v0
	v_and_b32_e32 v10, 2, v10
	v_lshl_or_b32 v26, v11, 2, v10
	ds_read_u16 v25, v26
	s_waitcnt lgkmcnt(0)
	v_add_u16_e32 v10, 1, v25
	ds_write_b16 v26, v10
	v_lshrrev_b16_e32 v10, 4, v22
	v_and_b32_e32 v10, 15, v10
	v_and_b32_sdwa v10, v10, s22 dst_sel:DWORD dst_unused:UNUSED_PAD src0_sel:WORD_0 src1_sel:DWORD
	v_lshlrev_b32_e32 v11, 5, v10
	;; [unrolled: 12-line block ×3, first 2 shown]
	v_lshrrev_b32_e32 v10, 2, v10
	v_and_or_b32 v11, v11, s23, v0
	v_and_b32_e32 v10, 2, v10
	v_lshl_or_b32 v39, v11, 2, v10
	ds_read_u16 v38, v39
	s_waitcnt lgkmcnt(0)
	v_add_u16_e32 v10, 1, v38
	ds_write_b16 v39, v10
	s_waitcnt lgkmcnt(0)
	; wave barrier
	s_waitcnt lgkmcnt(0)
	ds_read2_b32 v[16:17], v35 offset1:1
	ds_read2_b32 v[14:15], v35 offset0:2 offset1:3
	ds_read2_b32 v[10:11], v35 offset0:4 offset1:5
	ds_read2_b32 v[12:13], v35 offset0:6 offset1:7
	s_waitcnt lgkmcnt(3)
	v_add_u32_e32 v40, v17, v16
	s_waitcnt lgkmcnt(2)
	v_add3_u32 v40, v40, v14, v15
	s_waitcnt lgkmcnt(1)
	v_add3_u32 v40, v40, v10, v11
	;; [unrolled: 2-line block ×3, first 2 shown]
	s_nop 1
	v_mov_b32_dpp v40, v13 row_shr:1 row_mask:0xf bank_mask:0xf
	v_cndmask_b32_e64 v40, v40, 0, s[20:21]
	v_add_u32_e32 v13, v40, v13
	s_nop 1
	v_mov_b32_dpp v40, v13 row_shr:2 row_mask:0xf bank_mask:0xf
	v_cndmask_b32_e64 v40, 0, v40, s[18:19]
	v_add_u32_e32 v13, v13, v40
	;; [unrolled: 4-line block ×4, first 2 shown]
	s_nop 1
	v_mov_b32_dpp v40, v13 row_bcast:15 row_mask:0xf bank_mask:0xf
	v_cndmask_b32_e64 v40, v40, 0, s[12:13]
	v_add_u32_e32 v13, v13, v40
	s_and_saveexec_b64 s[12:13], s[10:11]
	s_cbranch_execz .LBB108_59
; %bb.58:
	v_mov_b32_e32 v40, 0
	ds_write_b32 v40, v13 offset:1024
.LBB108_59:
	s_or_b64 exec, exec, s[12:13]
	ds_bpermute_b32 v13, v36, v13
	v_mov_b32_e32 v36, 0
	s_waitcnt lgkmcnt(0)
	; wave barrier
	s_waitcnt lgkmcnt(0)
	ds_read_b32 v36, v36 offset:1024
	v_cndmask_b32_e64 v13, v13, 0, s[8:9]
	s_movk_i32 s8, 0x7f
	s_waitcnt lgkmcnt(0)
	v_lshl_add_u32 v13, v36, 16, v13
	v_add_u32_e32 v16, v13, v16
	v_add_u32_e32 v17, v16, v17
	;; [unrolled: 1-line block ×7, first 2 shown]
	ds_write2_b32 v35, v13, v16 offset1:1
	ds_write2_b32 v35, v17, v14 offset0:2 offset1:3
	ds_write2_b32 v35, v15, v10 offset0:4 offset1:5
	;; [unrolled: 1-line block ×3, first 2 shown]
	s_waitcnt lgkmcnt(0)
	; wave barrier
	s_waitcnt lgkmcnt(0)
	ds_read_u16 v10, v39
	ds_read_u16 v11, v37
	ds_read_u16 v12, v26
	ds_read_u16 v13, v24
	s_waitcnt lgkmcnt(0)
	v_add_u32_sdwa v10, v10, v38 dst_sel:DWORD dst_unused:UNUSED_PAD src0_sel:DWORD src1_sel:WORD_0
	v_add_u32_sdwa v11, v11, v27 dst_sel:DWORD dst_unused:UNUSED_PAD src0_sel:DWORD src1_sel:WORD_0
	;; [unrolled: 1-line block ×4, first 2 shown]
	; wave barrier
	ds_write_b8 v1, v20
	ds_write_b8 v12, v21
	;; [unrolled: 1-line block ×4, first 2 shown]
	v_lshlrev_b32_e32 v1, 3, v1
	s_waitcnt lgkmcnt(0)
	; wave barrier
	s_waitcnt lgkmcnt(0)
	ds_read_u8 v20, v29
	ds_read_u8 v21, v29 offset:1
	ds_read_u8 v22, v29 offset:2
	;; [unrolled: 1-line block ×3, first 2 shown]
	s_waitcnt lgkmcnt(0)
	; wave barrier
	s_waitcnt lgkmcnt(0)
	ds_write_b64 v1, v[6:7]
	v_lshlrev_b32_e32 v1, 3, v12
	ds_write_b64 v1, v[8:9]
	v_lshlrev_b32_e32 v1, 3, v11
	;; [unrolled: 2-line block ×3, first 2 shown]
	ds_write_b64 v1, v[4:5]
	s_waitcnt lgkmcnt(0)
	; wave barrier
	s_waitcnt lgkmcnt(0)
	ds_read2_b64 v[10:13], v34 offset1:1
	ds_read2_b64 v[14:17], v34 offset0:2 offset1:3
	v_xor_b32_e32 v1, 0x7f, v20
	v_xor_b32_sdwa v2, v21, s8 dst_sel:BYTE_1 dst_unused:UNUSED_PAD src0_sel:DWORD src1_sel:DWORD
	v_xor_b32_e32 v3, 0x7f, v22
	v_xor_b32_sdwa v4, v23, s8 dst_sel:BYTE_1 dst_unused:UNUSED_PAD src0_sel:DWORD src1_sel:DWORD
	v_or_b32_e32 v1, v1, v2
	v_or_b32_sdwa v2, v3, v4 dst_sel:WORD_1 dst_unused:UNUSED_PAD src0_sel:DWORD src1_sel:DWORD
	v_or_b32_sdwa v20, v1, v2 dst_sel:DWORD dst_unused:UNUSED_PAD src0_sel:WORD_0 src1_sel:DWORD
.LBB108_60:
	s_waitcnt lgkmcnt(0)
	; wave barrier
	s_waitcnt lgkmcnt(0)
	ds_write_b32 v29, v20
	s_waitcnt lgkmcnt(0)
	; wave barrier
	s_waitcnt lgkmcnt(0)
	ds_read_u8 v5, v0 offset:32
	ds_read_u8 v4, v0 offset:64
	;; [unrolled: 1-line block ×3, first 2 shown]
	v_mov_b32_e32 v3, s31
	v_add_co_u32_e32 v2, vcc, s30, v28
	v_addc_co_u32_e32 v3, vcc, 0, v3, vcc
	s_and_saveexec_b64 s[8:9], s[0:1]
	s_cbranch_execnz .LBB108_71
; %bb.61:
	s_or_b64 exec, exec, s[8:9]
	s_and_saveexec_b64 s[8:9], s[6:7]
	s_cbranch_execnz .LBB108_72
.LBB108_62:
	s_or_b64 exec, exec, s[8:9]
	s_and_saveexec_b64 s[8:9], s[4:5]
	s_cbranch_execnz .LBB108_73
.LBB108_63:
	s_or_b64 exec, exec, s[8:9]
	s_and_saveexec_b64 s[8:9], s[2:3]
	s_cbranch_execz .LBB108_65
.LBB108_64:
	s_mul_i32 s10, s26, 0x60
	v_add_co_u32_e32 v2, vcc, s10, v2
	v_addc_co_u32_e32 v3, vcc, 0, v3, vcc
	s_waitcnt lgkmcnt(0)
	global_store_byte v[2:3], v1, off
.LBB108_65:
	s_or_b64 exec, exec, s[8:9]
	s_waitcnt lgkmcnt(0)
	; wave barrier
	s_waitcnt lgkmcnt(0)
	ds_write2_b64 v33, v[10:11], v[12:13] offset1:1
	ds_write2_b64 v33, v[14:15], v[16:17] offset0:2 offset1:3
	s_waitcnt lgkmcnt(0)
	; wave barrier
	s_waitcnt lgkmcnt(0)
	ds_read_b64 v[6:7], v19 offset:256
	ds_read_b64 v[4:5], v31 offset:512
	;; [unrolled: 1-line block ×3, first 2 shown]
	v_mov_b32_e32 v19, 0
	v_lshlrev_b64 v[2:3], 3, v[18:19]
	v_mov_b32_e32 v8, s29
	v_add_co_u32_e32 v2, vcc, s27, v2
	v_addc_co_u32_e32 v3, vcc, v8, v3, vcc
	s_and_saveexec_b64 s[8:9], s[0:1]
	s_cbranch_execnz .LBB108_74
; %bb.66:
	s_or_b64 exec, exec, s[8:9]
	s_and_saveexec_b64 s[0:1], s[6:7]
	s_cbranch_execnz .LBB108_75
.LBB108_67:
	s_or_b64 exec, exec, s[0:1]
	s_and_saveexec_b64 s[0:1], s[4:5]
	s_cbranch_execnz .LBB108_76
.LBB108_68:
	s_or_b64 exec, exec, s[0:1]
	s_and_saveexec_b64 s[0:1], s[2:3]
	s_cbranch_execz .LBB108_70
.LBB108_69:
	s_mul_i32 s0, s28, 0x60
	s_mov_b32 s1, 0
	s_lshl_b64 s[0:1], s[0:1], 3
	s_waitcnt lgkmcnt(1)
	v_mov_b32_e32 v4, s1
	v_add_co_u32_e32 v2, vcc, s0, v2
	v_addc_co_u32_e32 v3, vcc, v3, v4, vcc
	s_waitcnt lgkmcnt(0)
	global_store_dwordx2 v[2:3], v[0:1], off
.LBB108_70:
	s_endpgm
.LBB108_71:
	ds_read_u8 v0, v0
	s_waitcnt lgkmcnt(0)
	global_store_byte v[2:3], v0, off
	s_or_b64 exec, exec, s[8:9]
	s_and_saveexec_b64 s[8:9], s[6:7]
	s_cbranch_execz .LBB108_62
.LBB108_72:
	s_lshl_b32 s10, s26, 5
	v_add_co_u32_e32 v6, vcc, s10, v2
	v_addc_co_u32_e32 v7, vcc, 0, v3, vcc
	s_waitcnt lgkmcnt(2)
	global_store_byte v[6:7], v5, off
	s_or_b64 exec, exec, s[8:9]
	s_and_saveexec_b64 s[8:9], s[4:5]
	s_cbranch_execz .LBB108_63
.LBB108_73:
	s_lshl_b32 s10, s26, 6
	v_add_co_u32_e32 v6, vcc, s10, v2
	v_addc_co_u32_e32 v7, vcc, 0, v3, vcc
	s_waitcnt lgkmcnt(1)
	global_store_byte v[6:7], v4, off
	s_or_b64 exec, exec, s[8:9]
	s_and_saveexec_b64 s[8:9], s[2:3]
	s_cbranch_execnz .LBB108_64
	s_branch .LBB108_65
.LBB108_74:
	ds_read_b64 v[8:9], v30
	s_waitcnt lgkmcnt(0)
	global_store_dwordx2 v[2:3], v[8:9], off
	s_or_b64 exec, exec, s[8:9]
	s_and_saveexec_b64 s[0:1], s[6:7]
	s_cbranch_execz .LBB108_67
.LBB108_75:
	s_lshl_b32 s6, s28, 5
	s_mov_b32 s7, 0
	s_lshl_b64 s[6:7], s[6:7], 3
	v_mov_b32_e32 v9, s7
	v_add_co_u32_e32 v8, vcc, s6, v2
	v_addc_co_u32_e32 v9, vcc, v3, v9, vcc
	s_waitcnt lgkmcnt(2)
	global_store_dwordx2 v[8:9], v[6:7], off
	s_or_b64 exec, exec, s[0:1]
	s_and_saveexec_b64 s[0:1], s[4:5]
	s_cbranch_execz .LBB108_68
.LBB108_76:
	s_lshl_b32 s4, s28, 6
	s_mov_b32 s5, 0
	s_lshl_b64 s[4:5], s[4:5], 3
	s_waitcnt lgkmcnt(2)
	v_mov_b32_e32 v7, s5
	v_add_co_u32_e32 v6, vcc, s4, v2
	v_addc_co_u32_e32 v7, vcc, v3, v7, vcc
	s_waitcnt lgkmcnt(1)
	global_store_dwordx2 v[6:7], v[4:5], off
	s_or_b64 exec, exec, s[0:1]
	s_and_saveexec_b64 s[0:1], s[2:3]
	s_cbranch_execnz .LBB108_69
	s_branch .LBB108_70
	.section	.rodata,"a",@progbits
	.p2align	6, 0x0
	.amdhsa_kernel _ZN2at6native18radixSortKVInPlaceILi2ELin1ELi32ELi4EaljEEvNS_4cuda6detail10TensorInfoIT3_T5_EES6_S6_S6_NS4_IT4_S6_EES6_b
		.amdhsa_group_segment_fixed_size 1056
		.amdhsa_private_segment_fixed_size 0
		.amdhsa_kernarg_size 712
		.amdhsa_user_sgpr_count 6
		.amdhsa_user_sgpr_private_segment_buffer 1
		.amdhsa_user_sgpr_dispatch_ptr 0
		.amdhsa_user_sgpr_queue_ptr 0
		.amdhsa_user_sgpr_kernarg_segment_ptr 1
		.amdhsa_user_sgpr_dispatch_id 0
		.amdhsa_user_sgpr_flat_scratch_init 0
		.amdhsa_user_sgpr_kernarg_preload_length 0
		.amdhsa_user_sgpr_kernarg_preload_offset 0
		.amdhsa_user_sgpr_private_segment_size 0
		.amdhsa_uses_dynamic_stack 0
		.amdhsa_system_sgpr_private_segment_wavefront_offset 0
		.amdhsa_system_sgpr_workgroup_id_x 1
		.amdhsa_system_sgpr_workgroup_id_y 1
		.amdhsa_system_sgpr_workgroup_id_z 1
		.amdhsa_system_sgpr_workgroup_info 0
		.amdhsa_system_vgpr_workitem_id 0
		.amdhsa_next_free_vgpr 54
		.amdhsa_next_free_sgpr 44
		.amdhsa_accum_offset 56
		.amdhsa_reserve_vcc 1
		.amdhsa_reserve_flat_scratch 0
		.amdhsa_float_round_mode_32 0
		.amdhsa_float_round_mode_16_64 0
		.amdhsa_float_denorm_mode_32 3
		.amdhsa_float_denorm_mode_16_64 3
		.amdhsa_dx10_clamp 1
		.amdhsa_ieee_mode 1
		.amdhsa_fp16_overflow 0
		.amdhsa_tg_split 0
		.amdhsa_exception_fp_ieee_invalid_op 0
		.amdhsa_exception_fp_denorm_src 0
		.amdhsa_exception_fp_ieee_div_zero 0
		.amdhsa_exception_fp_ieee_overflow 0
		.amdhsa_exception_fp_ieee_underflow 0
		.amdhsa_exception_fp_ieee_inexact 0
		.amdhsa_exception_int_div_zero 0
	.end_amdhsa_kernel
	.section	.text._ZN2at6native18radixSortKVInPlaceILi2ELin1ELi32ELi4EaljEEvNS_4cuda6detail10TensorInfoIT3_T5_EES6_S6_S6_NS4_IT4_S6_EES6_b,"axG",@progbits,_ZN2at6native18radixSortKVInPlaceILi2ELin1ELi32ELi4EaljEEvNS_4cuda6detail10TensorInfoIT3_T5_EES6_S6_S6_NS4_IT4_S6_EES6_b,comdat
.Lfunc_end108:
	.size	_ZN2at6native18radixSortKVInPlaceILi2ELin1ELi32ELi4EaljEEvNS_4cuda6detail10TensorInfoIT3_T5_EES6_S6_S6_NS4_IT4_S6_EES6_b, .Lfunc_end108-_ZN2at6native18radixSortKVInPlaceILi2ELin1ELi32ELi4EaljEEvNS_4cuda6detail10TensorInfoIT3_T5_EES6_S6_S6_NS4_IT4_S6_EES6_b
                                        ; -- End function
	.section	.AMDGPU.csdata,"",@progbits
; Kernel info:
; codeLenInByte = 6100
; NumSgprs: 48
; NumVgprs: 54
; NumAgprs: 0
; TotalNumVgprs: 54
; ScratchSize: 0
; MemoryBound: 0
; FloatMode: 240
; IeeeMode: 1
; LDSByteSize: 1056 bytes/workgroup (compile time only)
; SGPRBlocks: 5
; VGPRBlocks: 6
; NumSGPRsForWavesPerEU: 48
; NumVGPRsForWavesPerEU: 54
; AccumOffset: 56
; Occupancy: 8
; WaveLimiterHint : 1
; COMPUTE_PGM_RSRC2:SCRATCH_EN: 0
; COMPUTE_PGM_RSRC2:USER_SGPR: 6
; COMPUTE_PGM_RSRC2:TRAP_HANDLER: 0
; COMPUTE_PGM_RSRC2:TGID_X_EN: 1
; COMPUTE_PGM_RSRC2:TGID_Y_EN: 1
; COMPUTE_PGM_RSRC2:TGID_Z_EN: 1
; COMPUTE_PGM_RSRC2:TIDIG_COMP_CNT: 0
; COMPUTE_PGM_RSRC3_GFX90A:ACCUM_OFFSET: 13
; COMPUTE_PGM_RSRC3_GFX90A:TG_SPLIT: 0
	.section	.text._ZN2at6native18radixSortKVInPlaceILi2ELin1ELi16ELi2EaljEEvNS_4cuda6detail10TensorInfoIT3_T5_EES6_S6_S6_NS4_IT4_S6_EES6_b,"axG",@progbits,_ZN2at6native18radixSortKVInPlaceILi2ELin1ELi16ELi2EaljEEvNS_4cuda6detail10TensorInfoIT3_T5_EES6_S6_S6_NS4_IT4_S6_EES6_b,comdat
	.protected	_ZN2at6native18radixSortKVInPlaceILi2ELin1ELi16ELi2EaljEEvNS_4cuda6detail10TensorInfoIT3_T5_EES6_S6_S6_NS4_IT4_S6_EES6_b ; -- Begin function _ZN2at6native18radixSortKVInPlaceILi2ELin1ELi16ELi2EaljEEvNS_4cuda6detail10TensorInfoIT3_T5_EES6_S6_S6_NS4_IT4_S6_EES6_b
	.globl	_ZN2at6native18radixSortKVInPlaceILi2ELin1ELi16ELi2EaljEEvNS_4cuda6detail10TensorInfoIT3_T5_EES6_S6_S6_NS4_IT4_S6_EES6_b
	.p2align	8
	.type	_ZN2at6native18radixSortKVInPlaceILi2ELin1ELi16ELi2EaljEEvNS_4cuda6detail10TensorInfoIT3_T5_EES6_S6_S6_NS4_IT4_S6_EES6_b,@function
_ZN2at6native18radixSortKVInPlaceILi2ELin1ELi16ELi2EaljEEvNS_4cuda6detail10TensorInfoIT3_T5_EES6_S6_S6_NS4_IT4_S6_EES6_b: ; @_ZN2at6native18radixSortKVInPlaceILi2ELin1ELi16ELi2EaljEEvNS_4cuda6detail10TensorInfoIT3_T5_EES6_S6_S6_NS4_IT4_S6_EES6_b
; %bb.0:
	s_load_dwordx2 s[0:1], s[4:5], 0x1c8
	s_load_dwordx4 s[16:19], s[4:5], 0xd8
	s_waitcnt lgkmcnt(0)
	s_mul_i32 s1, s1, s8
	s_add_i32 s1, s1, s7
	s_mul_i32 s12, s1, s0
	s_add_i32 s12, s12, s6
	s_cmp_ge_u32 s12, s16
	s_cbranch_scc1 .LBB109_60
; %bb.1:
	s_load_dword s13, s[4:5], 0xc
	s_load_dwordx2 s[8:9], s[4:5], 0x6c
	s_load_dword s10, s[4:5], 0x1b8
	s_add_u32 s2, s4, 0xe8
	s_load_dwordx2 s[0:1], s[4:5], 0x0
	s_waitcnt lgkmcnt(0)
	v_cvt_f32_u32_e32 v1, s13
	s_addc_u32 s3, s5, 0
	s_sub_i32 s6, 0, s13
	s_mov_b32 s7, 0
	v_rcp_iflag_f32_e32 v1, v1
	v_mul_f32_e32 v1, 0x4f7ffffe, v1
	v_cvt_u32_f32_e32 v1, v1
	v_readfirstlane_b32 s11, v1
	s_mul_i32 s6, s6, s11
	s_mul_hi_u32 s6, s11, s6
	s_add_i32 s11, s11, s6
	s_mul_hi_u32 s14, s12, s11
	s_cmp_lt_i32 s10, 2
	s_mov_b32 s6, s12
	s_cbranch_scc1 .LBB109_4
; %bb.2:
	s_add_i32 s6, s10, -1
	s_add_i32 s15, s10, 1
	s_lshl_b64 s[10:11], s[6:7], 2
	s_add_u32 s6, s10, s2
	s_addc_u32 s11, s11, s3
	s_add_u32 s10, s6, 8
	s_addc_u32 s11, s11, 0
	s_mov_b32 s6, s12
.LBB109_3:                              ; =>This Inner Loop Header: Depth=1
	s_load_dword s16, s[10:11], 0x0
	s_load_dword s20, s[10:11], 0x64
	s_mov_b32 s19, s6
	s_waitcnt lgkmcnt(0)
	v_cvt_f32_u32_e32 v1, s16
	s_sub_i32 s6, 0, s16
	v_rcp_iflag_f32_e32 v1, v1
	v_mul_f32_e32 v1, 0x4f7ffffe, v1
	v_cvt_u32_f32_e32 v1, v1
	v_readfirstlane_b32 s21, v1
	s_mul_i32 s6, s6, s21
	s_mul_hi_u32 s6, s21, s6
	s_add_i32 s21, s21, s6
	s_mul_hi_u32 s6, s19, s21
	s_mul_i32 s21, s6, s16
	s_sub_i32 s21, s19, s21
	s_add_i32 s22, s6, 1
	s_sub_i32 s23, s21, s16
	s_cmp_ge_u32 s21, s16
	s_cselect_b32 s6, s22, s6
	s_cselect_b32 s21, s23, s21
	s_add_i32 s22, s6, 1
	s_cmp_ge_u32 s21, s16
	s_cselect_b32 s6, s22, s6
	s_mul_i32 s16, s6, s16
	s_sub_i32 s16, s19, s16
	s_mul_i32 s16, s20, s16
	s_add_i32 s15, s15, -1
	s_add_i32 s7, s16, s7
	s_add_u32 s10, s10, -4
	s_addc_u32 s11, s11, -1
	s_cmp_gt_u32 s15, 2
	s_cbranch_scc1 .LBB109_3
.LBB109_4:
	s_mul_i32 s10, s14, s13
	s_sub_i32 s10, s12, s10
	s_add_i32 s11, s14, 1
	s_sub_i32 s15, s10, s13
	s_cmp_ge_u32 s10, s13
	s_cselect_b32 s11, s11, s14
	s_cselect_b32 s10, s15, s10
	s_add_i32 s14, s11, 1
	s_cmp_ge_u32 s10, s13
	s_cselect_b32 s10, s14, s11
	s_load_dwordx2 s[20:21], s[4:5], 0x1c0
	s_mul_i32 s11, s10, s13
	s_sub_i32 s11, s12, s11
	s_mul_i32 s11, s11, s9
	s_mul_i32 s4, s10, s8
	s_add_i32 s12, s4, s11
	s_waitcnt lgkmcnt(0)
	s_bitcmp1_b32 s21, 0
	s_cselect_b64 s[4:5], -1, 0
	s_load_dwordx2 s[8:9], s[2:3], 0x0
	s_movk_i32 s13, 0x80
	s_and_b64 s[10:11], s[4:5], exec
	s_cselect_b32 s10, s13, 0x7f
	v_lshlrev_b16_e64 v1, 8, s10
	s_add_u32 s22, s0, s12
	v_or_b32_e32 v1, s10, v1
	s_addc_u32 s23, s1, 0
	v_mov_b32_e32 v2, s10
	v_and_b32_e32 v3, 0xffff, v1
	v_cmp_gt_u32_e64 s[0:1], s17, v0
	v_mul_lo_u32 v20, v0, s18
	s_and_saveexec_b64 s[10:11], s[0:1]
	s_cbranch_execz .LBB109_6
; %bb.5:
	global_load_ubyte v2, v20, s[22:23]
	v_and_b32_e32 v1, 0xffffff00, v3
	s_waitcnt vmcnt(0)
	v_or_b32_e32 v1, v2, v1
	v_and_b32_e32 v3, 0xffff, v1
.LBB109_6:
	s_or_b64 exec, exec, s[10:11]
	s_load_dword s12, s[2:3], 0x6c
	v_or_b32_e32 v1, 16, v0
	v_cmp_gt_u32_e64 s[2:3], s17, v1
	s_and_saveexec_b64 s[10:11], s[2:3]
	s_cbranch_execz .LBB109_8
; %bb.7:
	v_mul_lo_u32 v4, v1, s18
	global_load_ubyte v4, v4, s[22:23]
	s_waitcnt vmcnt(0)
	v_lshlrev_b16_e32 v4, 8, v4
	v_or_b32_sdwa v3, v3, v4 dst_sel:DWORD dst_unused:UNUSED_PAD src0_sel:BYTE_0 src1_sel:DWORD
	v_and_b32_e32 v3, 0xffff, v3
.LBB109_8:
	s_or_b64 exec, exec, s[10:11]
	ds_write_b8 v0, v2
	v_lshrrev_b16_e32 v2, 8, v3
	v_lshlrev_b32_e32 v21, 1, v0
	s_waitcnt lgkmcnt(0)
	s_mul_i32 s6, s12, s6
	ds_write_b8 v0, v2 offset:16
	s_waitcnt lgkmcnt(0)
	; wave barrier
	s_waitcnt lgkmcnt(0)
	ds_read_u8 v26, v21
	ds_read_u8 v25, v21 offset:1
	s_add_i32 s12, s6, s7
	s_mov_b32 s13, 0
	s_lshl_b64 s[6:7], s[12:13], 3
	s_mov_b32 s12, s13
	s_add_u32 s19, s8, s6
	s_mov_b32 s14, s13
	s_mov_b32 s15, s13
	v_pk_mov_b32 v[2:3], s[12:13], s[12:13] op_sel:[0,1]
	s_addc_u32 s21, s9, s7
	v_pk_mov_b32 v[4:5], s[14:15], s[14:15] op_sel:[0,1]
	v_pk_mov_b32 v[2:3], 0, 0
	v_mul_lo_u32 v10, v0, s20
	s_waitcnt lgkmcnt(0)
	; wave barrier
	s_waitcnt lgkmcnt(0)
	s_and_saveexec_b64 s[6:7], s[0:1]
	s_cbranch_execz .LBB109_10
; %bb.9:
	v_mov_b32_e32 v11, 0
	v_lshlrev_b64 v[2:3], 3, v[10:11]
	v_mov_b32_e32 v4, s21
	v_add_co_u32_e32 v2, vcc, s19, v2
	v_addc_co_u32_e32 v3, vcc, v4, v3, vcc
	global_load_dwordx2 v[2:3], v[2:3], off
	v_mov_b32_e32 v4, v11
	v_mov_b32_e32 v5, v11
.LBB109_10:
	s_or_b64 exec, exec, s[6:7]
	s_xor_b64 s[24:25], s[4:5], -1
	s_and_saveexec_b64 s[4:5], s[2:3]
	s_cbranch_execz .LBB109_12
; %bb.11:
	v_mul_lo_u32 v4, v1, s20
	v_mov_b32_e32 v5, 0
	v_lshlrev_b64 v[4:5], 3, v[4:5]
	v_mov_b32_e32 v6, s21
	v_add_co_u32_e32 v4, vcc, s19, v4
	v_addc_co_u32_e32 v5, vcc, v6, v5, vcc
	global_load_dwordx2 v[4:5], v[4:5], off
.LBB109_12:
	s_or_b64 exec, exec, s[4:5]
	s_getpc_b64 s[4:5]
	s_add_u32 s4, s4, _ZN7rocprim17ROCPRIM_400000_NS16block_radix_sortIaLj16ELj2ElLj1ELj1ELj0ELNS0_26block_radix_rank_algorithmE1ELNS0_18block_padding_hintE2ELNS0_4arch9wavefront6targetE1EE19radix_bits_per_passE@rel32@lo+4
	s_addc_u32 s5, s5, _ZN7rocprim17ROCPRIM_400000_NS16block_radix_sortIaLj16ELj2ElLj1ELj1ELj0ELNS0_26block_radix_rank_algorithmE1ELNS0_18block_padding_hintE2ELNS0_4arch9wavefront6targetE1EE19radix_bits_per_passE@rel32@hi+12
	v_mbcnt_lo_u32_b32 v6, -1, 0
	v_lshlrev_b32_e32 v22, 3, v0
	v_lshlrev_b32_e32 v11, 3, v21
	s_load_dword s33, s[4:5], 0x0
	v_mbcnt_hi_u32_b32 v6, -1, v6
	s_waitcnt vmcnt(0)
	ds_write2_b64 v22, v[2:3], v[4:5] offset1:16
	s_waitcnt lgkmcnt(0)
	; wave barrier
	s_waitcnt lgkmcnt(0)
	ds_read2_b64 v[2:5], v11 offset1:1
	v_and_b32_e32 v7, 15, v6
	v_cmp_eq_u32_e64 s[14:15], 0, v7
	v_cmp_lt_u32_e64 s[12:13], 1, v7
	v_cmp_lt_u32_e64 s[10:11], 3, v7
	;; [unrolled: 1-line block ×3, first 2 shown]
	v_add_u32_e32 v7, -1, v6
	v_and_b32_e32 v8, 0x70, v6
	v_cmp_lt_i32_e32 vcc, v7, v8
	s_movk_i32 s4, 0x80
	v_cndmask_b32_e32 v7, v7, v6, vcc
	v_cmp_gt_u32_e64 s[16:17], s4, v0
	v_lshlrev_b32_e32 v23, 5, v0
	v_cmp_eq_u32_e64 s[6:7], 15, v0
	v_lshlrev_b32_e32 v24, 2, v7
	v_cmp_eq_u32_e64 s[4:5], 0, v6
	s_min_u32 s34, s33, 8
	s_and_b64 vcc, exec, s[24:25]
	s_waitcnt lgkmcnt(0)
	; wave barrier
	s_waitcnt lgkmcnt(0)
	s_cbranch_vccz .LBB109_20
; %bb.13:
	s_and_saveexec_b64 s[24:25], s[16:17]
	s_cbranch_execz .LBB109_21
; %bb.14:
	s_mov_b32 s35, 0
	s_mov_b64 s[26:27], 0
	v_mov_b32_e32 v8, 0
	v_pk_mov_b32 v[6:7], v[0:1], v[0:1] op_sel:[0,1]
	s_branch .LBB109_16
.LBB109_15:                             ;   in Loop: Header=BB109_16 Depth=1
	s_or_b64 exec, exec, s[30:31]
	s_add_i32 s35, s35, 2
	v_cmp_eq_u32_e64 s[28:29], 8, s35
	v_add_u32_e32 v7, 32, v7
	s_or_b64 s[26:27], s[28:29], s[26:27]
	v_add_u32_e32 v6, 32, v6
	s_andn2_b64 exec, exec, s[26:27]
	s_cbranch_execz .LBB109_21
.LBB109_16:                             ; =>This Inner Loop Header: Depth=1
	s_or_b32 s28, s35, 1
	v_cmp_le_u32_e64 s[28:29], s28, 7
	v_cmp_le_u32_e64 s[36:37], s35, 7
	s_and_saveexec_b64 s[30:31], s[36:37]
	s_cbranch_execz .LBB109_18
; %bb.17:                               ;   in Loop: Header=BB109_16 Depth=1
	v_lshlrev_b32_e32 v9, 2, v6
	ds_write_b32 v9, v8
.LBB109_18:                             ;   in Loop: Header=BB109_16 Depth=1
	s_or_b64 exec, exec, s[30:31]
	s_and_saveexec_b64 s[30:31], s[28:29]
	s_cbranch_execz .LBB109_15
; %bb.19:                               ;   in Loop: Header=BB109_16 Depth=1
	v_lshlrev_b32_e32 v9, 2, v7
	ds_write_b32 v9, v8
	s_branch .LBB109_15
.LBB109_20:
                                        ; implicit-def: $vgpr8_vgpr9
                                        ; implicit-def: $vgpr12
	s_cbranch_execnz .LBB109_33
	s_branch .LBB109_52
.LBB109_21:
	s_or_b64 exec, exec, s[24:25]
	s_lshl_b32 s24, -1, s34
	v_xor_b32_e32 v17, 0xffffff80, v26
	s_not_b32 s24, s24
	v_and_b32_e32 v6, s24, v17
	v_bfe_u32 v7, v6, 3, 5
	v_lshlrev_b32_e32 v6, 4, v6
	s_movk_i32 s25, 0x70
	v_and_or_b32 v6, v6, s25, v0
	v_lshlrev_b32_e32 v6, 1, v6
	v_add_lshl_u32 v27, v6, v7, 1
	ds_read_u16 v19, v27
	v_xor_b32_e32 v18, 0xffffff80, v25
	s_waitcnt lgkmcnt(0)
	v_add_u16_e32 v6, 1, v19
	ds_write_b16 v27, v6
	v_and_b32_e32 v6, s24, v18
	v_bfe_u32 v7, v6, 3, 5
	v_lshlrev_b32_e32 v6, 4, v6
	v_and_or_b32 v6, v6, s25, v0
	v_lshlrev_b32_e32 v6, 1, v6
	v_add_lshl_u32 v29, v6, v7, 1
	ds_read_u16 v28, v29
	s_waitcnt lgkmcnt(0)
	v_add_u16_e32 v6, 1, v28
	ds_write_b16 v29, v6
	s_waitcnt lgkmcnt(0)
	; wave barrier
	s_waitcnt lgkmcnt(0)
	ds_read2_b32 v[14:15], v23 offset1:1
	ds_read2_b32 v[12:13], v23 offset0:2 offset1:3
	ds_read2_b32 v[6:7], v23 offset0:4 offset1:5
	;; [unrolled: 1-line block ×3, first 2 shown]
	s_waitcnt lgkmcnt(3)
	v_add_u32_e32 v16, v15, v14
	s_waitcnt lgkmcnt(2)
	v_add3_u32 v16, v16, v12, v13
	s_waitcnt lgkmcnt(1)
	v_add3_u32 v16, v16, v6, v7
	;; [unrolled: 2-line block ×3, first 2 shown]
	s_nop 1
	v_mov_b32_dpp v16, v9 row_shr:1 row_mask:0xf bank_mask:0xf
	v_cndmask_b32_e64 v16, v16, 0, s[14:15]
	v_add_u32_e32 v9, v16, v9
	s_nop 1
	v_mov_b32_dpp v16, v9 row_shr:2 row_mask:0xf bank_mask:0xf
	v_cndmask_b32_e64 v16, 0, v16, s[12:13]
	v_add_u32_e32 v9, v9, v16
	;; [unrolled: 4-line block ×4, first 2 shown]
	s_and_saveexec_b64 s[24:25], s[6:7]
	s_cbranch_execz .LBB109_23
; %bb.22:
	v_mov_b32_e32 v16, 0
	ds_write_b32 v16, v9 offset:512
.LBB109_23:
	s_or_b64 exec, exec, s[24:25]
	ds_bpermute_b32 v9, v24, v9
	v_mov_b32_e32 v16, 0
	s_waitcnt lgkmcnt(0)
	; wave barrier
	s_waitcnt lgkmcnt(0)
	ds_read_b32 v30, v16 offset:512
	v_cndmask_b32_e64 v9, v9, 0, s[4:5]
	s_mov_b32 s35, 0
	s_waitcnt lgkmcnt(0)
	v_lshl_add_u32 v9, v30, 16, v9
	v_add_u32_e32 v14, v9, v14
	v_add_u32_e32 v15, v14, v15
	v_add_u32_e32 v12, v15, v12
	v_add_u32_e32 v13, v12, v13
	v_add_u32_e32 v6, v13, v6
	v_add_u32_e32 v7, v6, v7
	v_add_u32_e32 v8, v7, v8
	ds_write2_b32 v23, v9, v14 offset1:1
	ds_write2_b32 v23, v15, v12 offset0:2 offset1:3
	ds_write2_b32 v23, v13, v6 offset0:4 offset1:5
	;; [unrolled: 1-line block ×3, first 2 shown]
	s_waitcnt lgkmcnt(0)
	; wave barrier
	s_waitcnt lgkmcnt(0)
	ds_read_u16 v6, v27
	ds_read_u16 v7, v29
	s_waitcnt lgkmcnt(0)
	; wave barrier
	s_waitcnt lgkmcnt(0)
	v_add_u32_sdwa v6, v6, v19 dst_sel:DWORD dst_unused:UNUSED_PAD src0_sel:DWORD src1_sel:WORD_0
	v_add_u32_sdwa v7, v7, v28 dst_sel:DWORD dst_unused:UNUSED_PAD src0_sel:DWORD src1_sel:WORD_0
	ds_write_b8 v6, v17
	ds_write_b8 v7, v18
	v_lshlrev_b32_e32 v6, 3, v6
	s_waitcnt lgkmcnt(0)
	; wave barrier
	s_waitcnt lgkmcnt(0)
	ds_read_u8 v27, v21
	ds_read_u8 v28, v21 offset:1
	s_waitcnt lgkmcnt(0)
	; wave barrier
	s_waitcnt lgkmcnt(0)
	ds_write_b64 v6, v[2:3]
	v_lshlrev_b32_e32 v6, 3, v7
	ds_write_b64 v6, v[4:5]
	s_waitcnt lgkmcnt(0)
	; wave barrier
	s_waitcnt lgkmcnt(0)
	ds_read2_b64 v[6:9], v11 offset1:1
	s_waitcnt lgkmcnt(0)
	; wave barrier
	s_waitcnt lgkmcnt(0)
	s_and_saveexec_b64 s[24:25], s[16:17]
	s_cbranch_execz .LBB109_30
; %bb.24:
	s_mov_b64 s[26:27], 0
	v_pk_mov_b32 v[12:13], v[0:1], v[0:1] op_sel:[0,1]
	s_branch .LBB109_26
.LBB109_25:                             ;   in Loop: Header=BB109_26 Depth=1
	s_or_b64 exec, exec, s[30:31]
	s_add_i32 s35, s35, 2
	v_cmp_eq_u32_e64 s[28:29], 8, s35
	v_add_u32_e32 v13, 32, v13
	s_or_b64 s[26:27], s[28:29], s[26:27]
	v_add_u32_e32 v12, 32, v12
	s_andn2_b64 exec, exec, s[26:27]
	s_cbranch_execz .LBB109_30
.LBB109_26:                             ; =>This Inner Loop Header: Depth=1
	s_or_b32 s28, s35, 1
	v_cmp_le_u32_e64 s[28:29], s28, 7
	v_cmp_le_u32_e64 s[36:37], s35, 7
	s_and_saveexec_b64 s[30:31], s[36:37]
	s_cbranch_execz .LBB109_28
; %bb.27:                               ;   in Loop: Header=BB109_26 Depth=1
	v_lshlrev_b32_e32 v14, 2, v12
	ds_write_b32 v14, v16
.LBB109_28:                             ;   in Loop: Header=BB109_26 Depth=1
	s_or_b64 exec, exec, s[30:31]
	s_and_saveexec_b64 s[30:31], s[28:29]
	s_cbranch_execz .LBB109_25
; %bb.29:                               ;   in Loop: Header=BB109_26 Depth=1
	v_lshlrev_b32_e32 v14, 2, v13
	ds_write_b32 v14, v16
	s_branch .LBB109_25
.LBB109_30:
	s_or_b64 exec, exec, s[24:25]
	s_min_u32 s24, s33, 4
	s_lshl_b32 s24, -1, s24
	v_lshrrev_b16_e32 v12, 4, v27
	s_not_b32 s24, s24
	v_and_b32_e32 v12, 15, v12
	v_and_b32_sdwa v12, v12, s24 dst_sel:DWORD dst_unused:UNUSED_PAD src0_sel:WORD_0 src1_sel:DWORD
	v_lshlrev_b32_e32 v13, 4, v12
	s_movk_i32 s25, 0x70
	v_lshrrev_b32_e32 v12, 2, v12
	v_and_or_b32 v13, v13, s25, v0
	v_and_b32_e32 v12, 2, v12
	v_lshl_or_b32 v30, v13, 2, v12
	ds_read_u16 v29, v30
	s_waitcnt lgkmcnt(0)
	v_add_u16_e32 v12, 1, v29
	ds_write_b16 v30, v12
	v_lshrrev_b16_e32 v12, 4, v28
	v_and_b32_e32 v12, 15, v12
	v_and_b32_sdwa v12, v12, s24 dst_sel:DWORD dst_unused:UNUSED_PAD src0_sel:WORD_0 src1_sel:DWORD
	v_lshlrev_b32_e32 v13, 4, v12
	v_lshrrev_b32_e32 v12, 2, v12
	v_and_or_b32 v13, v13, s25, v0
	v_and_b32_e32 v12, 2, v12
	v_lshl_or_b32 v32, v13, 2, v12
	ds_read_u16 v31, v32
	s_waitcnt lgkmcnt(0)
	v_add_u16_e32 v12, 1, v31
	ds_write_b16 v32, v12
	s_waitcnt lgkmcnt(0)
	; wave barrier
	s_waitcnt lgkmcnt(0)
	ds_read2_b32 v[18:19], v23 offset1:1
	ds_read2_b32 v[16:17], v23 offset0:2 offset1:3
	ds_read2_b32 v[12:13], v23 offset0:4 offset1:5
	;; [unrolled: 1-line block ×3, first 2 shown]
	s_waitcnt lgkmcnt(3)
	v_add_u32_e32 v33, v19, v18
	s_waitcnt lgkmcnt(2)
	v_add3_u32 v33, v33, v16, v17
	s_waitcnt lgkmcnt(1)
	v_add3_u32 v33, v33, v12, v13
	;; [unrolled: 2-line block ×3, first 2 shown]
	s_nop 1
	v_mov_b32_dpp v33, v15 row_shr:1 row_mask:0xf bank_mask:0xf
	v_cndmask_b32_e64 v33, v33, 0, s[14:15]
	v_add_u32_e32 v15, v33, v15
	s_nop 1
	v_mov_b32_dpp v33, v15 row_shr:2 row_mask:0xf bank_mask:0xf
	v_cndmask_b32_e64 v33, 0, v33, s[12:13]
	v_add_u32_e32 v15, v15, v33
	;; [unrolled: 4-line block ×4, first 2 shown]
	s_and_saveexec_b64 s[24:25], s[6:7]
	s_cbranch_execz .LBB109_32
; %bb.31:
	v_mov_b32_e32 v33, 0
	ds_write_b32 v33, v15 offset:512
.LBB109_32:
	s_or_b64 exec, exec, s[24:25]
	ds_bpermute_b32 v15, v24, v15
	v_mov_b32_e32 v33, 0
	s_waitcnt lgkmcnt(0)
	; wave barrier
	s_waitcnt lgkmcnt(0)
	ds_read_b32 v33, v33 offset:512
	v_cndmask_b32_e64 v15, v15, 0, s[4:5]
	s_movk_i32 s24, 0x80
	s_waitcnt lgkmcnt(0)
	v_lshl_add_u32 v15, v33, 16, v15
	v_add_u32_e32 v18, v15, v18
	v_add_u32_e32 v19, v18, v19
	;; [unrolled: 1-line block ×7, first 2 shown]
	ds_write2_b32 v23, v15, v18 offset1:1
	ds_write2_b32 v23, v19, v16 offset0:2 offset1:3
	ds_write2_b32 v23, v17, v12 offset0:4 offset1:5
	;; [unrolled: 1-line block ×3, first 2 shown]
	s_waitcnt lgkmcnt(0)
	; wave barrier
	s_waitcnt lgkmcnt(0)
	ds_read_u16 v12, v32
	ds_read_u16 v13, v30
	s_waitcnt lgkmcnt(0)
	; wave barrier
	s_waitcnt lgkmcnt(0)
	v_add_u32_sdwa v12, v12, v31 dst_sel:DWORD dst_unused:UNUSED_PAD src0_sel:DWORD src1_sel:WORD_0
	v_add_u32_sdwa v13, v13, v29 dst_sel:DWORD dst_unused:UNUSED_PAD src0_sel:DWORD src1_sel:WORD_0
	ds_write_b8 v13, v27
	ds_write_b8 v12, v28
	s_waitcnt lgkmcnt(0)
	; wave barrier
	s_waitcnt lgkmcnt(0)
	ds_read_u8 v14, v21
	ds_read_u8 v15, v21 offset:1
	v_lshlrev_b32_e32 v13, 3, v13
	s_waitcnt lgkmcnt(0)
	; wave barrier
	s_waitcnt lgkmcnt(0)
	ds_write_b64 v13, v[6:7]
	v_lshlrev_b32_e32 v6, 3, v12
	ds_write_b64 v6, v[8:9]
	s_waitcnt lgkmcnt(0)
	; wave barrier
	s_waitcnt lgkmcnt(0)
	ds_read2_b64 v[6:9], v11 offset1:1
	v_xor_b32_e32 v12, 0x80, v14
	v_xor_b32_sdwa v13, v15, s24 dst_sel:BYTE_1 dst_unused:UNUSED_PAD src0_sel:DWORD src1_sel:DWORD
	v_or_b32_e32 v12, v12, v13
	v_and_b32_e32 v12, 0xffff, v12
	s_branch .LBB109_52
.LBB109_33:
	s_and_saveexec_b64 s[24:25], s[16:17]
	s_cbranch_execz .LBB109_40
; %bb.34:
	s_mov_b32 s35, 0
	s_mov_b64 s[26:27], 0
	s_waitcnt lgkmcnt(0)
	v_mov_b32_e32 v8, 0
	v_pk_mov_b32 v[6:7], v[0:1], v[0:1] op_sel:[0,1]
	s_branch .LBB109_36
.LBB109_35:                             ;   in Loop: Header=BB109_36 Depth=1
	s_or_b64 exec, exec, s[30:31]
	s_add_i32 s35, s35, 2
	v_cmp_eq_u32_e64 s[28:29], 8, s35
	v_add_u32_e32 v7, 32, v7
	s_or_b64 s[26:27], s[28:29], s[26:27]
	v_add_u32_e32 v6, 32, v6
	s_andn2_b64 exec, exec, s[26:27]
	s_cbranch_execz .LBB109_40
.LBB109_36:                             ; =>This Inner Loop Header: Depth=1
	s_or_b32 s28, s35, 1
	v_cmp_le_u32_e64 s[28:29], s28, 7
	v_cmp_le_u32_e64 s[36:37], s35, 7
	s_and_saveexec_b64 s[30:31], s[36:37]
	s_cbranch_execz .LBB109_38
; %bb.37:                               ;   in Loop: Header=BB109_36 Depth=1
	v_lshlrev_b32_e32 v9, 2, v6
	ds_write_b32 v9, v8
.LBB109_38:                             ;   in Loop: Header=BB109_36 Depth=1
	s_or_b64 exec, exec, s[30:31]
	s_and_saveexec_b64 s[30:31], s[28:29]
	s_cbranch_execz .LBB109_35
; %bb.39:                               ;   in Loop: Header=BB109_36 Depth=1
	v_lshlrev_b32_e32 v9, 2, v7
	ds_write_b32 v9, v8
	s_branch .LBB109_35
.LBB109_40:
	s_or_b64 exec, exec, s[24:25]
	s_lshl_b32 s24, -1, s34
	v_xor_b32_e32 v16, 0x7f, v26
	s_not_b32 s24, s24
	s_waitcnt lgkmcnt(0)
	v_and_b32_e32 v6, s24, v16
	v_bfe_u32 v7, v6, 3, 5
	v_lshlrev_b32_e32 v6, 4, v6
	s_movk_i32 s25, 0x70
	v_and_or_b32 v6, v6, s25, v0
	v_lshlrev_b32_e32 v6, 1, v6
	v_add_lshl_u32 v19, v6, v7, 1
	ds_read_u16 v18, v19
	v_xor_b32_e32 v17, 0x7f, v25
	s_waitcnt lgkmcnt(0)
	v_add_u16_e32 v6, 1, v18
	ds_write_b16 v19, v6
	v_and_b32_e32 v6, s24, v17
	v_bfe_u32 v7, v6, 3, 5
	v_lshlrev_b32_e32 v6, 4, v6
	v_and_or_b32 v6, v6, s25, v0
	v_lshlrev_b32_e32 v6, 1, v6
	v_add_lshl_u32 v26, v6, v7, 1
	ds_read_u16 v25, v26
	s_waitcnt lgkmcnt(0)
	v_add_u16_e32 v6, 1, v25
	ds_write_b16 v26, v6
	s_waitcnt lgkmcnt(0)
	; wave barrier
	s_waitcnt lgkmcnt(0)
	ds_read2_b32 v[14:15], v23 offset1:1
	ds_read2_b32 v[12:13], v23 offset0:2 offset1:3
	ds_read2_b32 v[6:7], v23 offset0:4 offset1:5
	;; [unrolled: 1-line block ×3, first 2 shown]
	s_waitcnt lgkmcnt(3)
	v_add_u32_e32 v27, v15, v14
	s_waitcnt lgkmcnt(2)
	v_add3_u32 v27, v27, v12, v13
	s_waitcnt lgkmcnt(1)
	v_add3_u32 v27, v27, v6, v7
	;; [unrolled: 2-line block ×3, first 2 shown]
	s_nop 1
	v_mov_b32_dpp v27, v9 row_shr:1 row_mask:0xf bank_mask:0xf
	v_cndmask_b32_e64 v27, v27, 0, s[14:15]
	v_add_u32_e32 v9, v27, v9
	s_nop 1
	v_mov_b32_dpp v27, v9 row_shr:2 row_mask:0xf bank_mask:0xf
	v_cndmask_b32_e64 v27, 0, v27, s[12:13]
	v_add_u32_e32 v9, v9, v27
	;; [unrolled: 4-line block ×4, first 2 shown]
	s_and_saveexec_b64 s[24:25], s[6:7]
	s_cbranch_execz .LBB109_42
; %bb.41:
	v_mov_b32_e32 v27, 0
	ds_write_b32 v27, v9 offset:512
.LBB109_42:
	s_or_b64 exec, exec, s[24:25]
	ds_bpermute_b32 v27, v24, v9
	v_mov_b32_e32 v9, 0
	s_waitcnt lgkmcnt(0)
	; wave barrier
	s_waitcnt lgkmcnt(0)
	ds_read_b32 v28, v9 offset:512
	v_cndmask_b32_e64 v27, v27, 0, s[4:5]
	s_mov_b32 s30, 0
	s_waitcnt lgkmcnt(0)
	v_lshl_add_u32 v27, v28, 16, v27
	v_add_u32_e32 v14, v27, v14
	v_add_u32_e32 v15, v14, v15
	;; [unrolled: 1-line block ×7, first 2 shown]
	ds_write2_b32 v23, v27, v14 offset1:1
	ds_write2_b32 v23, v15, v12 offset0:2 offset1:3
	ds_write2_b32 v23, v13, v6 offset0:4 offset1:5
	;; [unrolled: 1-line block ×3, first 2 shown]
	s_waitcnt lgkmcnt(0)
	; wave barrier
	s_waitcnt lgkmcnt(0)
	ds_read_u16 v6, v19
	ds_read_u16 v7, v26
	s_waitcnt lgkmcnt(0)
	; wave barrier
	s_waitcnt lgkmcnt(0)
	v_add_u32_sdwa v6, v6, v18 dst_sel:DWORD dst_unused:UNUSED_PAD src0_sel:DWORD src1_sel:WORD_0
	v_add_u32_sdwa v7, v7, v25 dst_sel:DWORD dst_unused:UNUSED_PAD src0_sel:DWORD src1_sel:WORD_0
	ds_write_b8 v6, v16
	ds_write_b8 v7, v17
	v_lshlrev_b32_e32 v6, 3, v6
	s_waitcnt lgkmcnt(0)
	; wave barrier
	s_waitcnt lgkmcnt(0)
	ds_read_u8 v16, v21
	ds_read_u8 v17, v21 offset:1
	s_waitcnt lgkmcnt(0)
	; wave barrier
	s_waitcnt lgkmcnt(0)
	ds_write_b64 v6, v[2:3]
	v_lshlrev_b32_e32 v2, 3, v7
	ds_write_b64 v2, v[4:5]
	s_waitcnt lgkmcnt(0)
	; wave barrier
	s_waitcnt lgkmcnt(0)
	ds_read2_b64 v[2:5], v11 offset1:1
	s_waitcnt lgkmcnt(0)
	; wave barrier
	s_waitcnt lgkmcnt(0)
	s_and_saveexec_b64 s[24:25], s[16:17]
	s_cbranch_execz .LBB109_49
; %bb.43:
	s_mov_b64 s[16:17], 0
	v_pk_mov_b32 v[6:7], v[0:1], v[0:1] op_sel:[0,1]
	s_branch .LBB109_45
.LBB109_44:                             ;   in Loop: Header=BB109_45 Depth=1
	s_or_b64 exec, exec, s[28:29]
	s_add_i32 s30, s30, 2
	v_cmp_eq_u32_e64 s[26:27], 8, s30
	v_add_u32_e32 v7, 32, v7
	s_or_b64 s[16:17], s[26:27], s[16:17]
	v_add_u32_e32 v6, 32, v6
	s_andn2_b64 exec, exec, s[16:17]
	s_cbranch_execz .LBB109_49
.LBB109_45:                             ; =>This Inner Loop Header: Depth=1
	s_or_b32 s26, s30, 1
	v_cmp_le_u32_e64 s[26:27], s26, 7
	v_cmp_le_u32_e64 s[34:35], s30, 7
	s_and_saveexec_b64 s[28:29], s[34:35]
	s_cbranch_execz .LBB109_47
; %bb.46:                               ;   in Loop: Header=BB109_45 Depth=1
	v_lshlrev_b32_e32 v1, 2, v6
	ds_write_b32 v1, v9
.LBB109_47:                             ;   in Loop: Header=BB109_45 Depth=1
	s_or_b64 exec, exec, s[28:29]
	s_and_saveexec_b64 s[28:29], s[26:27]
	s_cbranch_execz .LBB109_44
; %bb.48:                               ;   in Loop: Header=BB109_45 Depth=1
	v_lshlrev_b32_e32 v1, 2, v7
	ds_write_b32 v1, v9
	s_branch .LBB109_44
.LBB109_49:
	s_or_b64 exec, exec, s[24:25]
	s_min_u32 s16, s33, 4
	s_lshl_b32 s16, -1, s16
	v_lshrrev_b16_e32 v1, 4, v16
	s_not_b32 s16, s16
	v_and_b32_e32 v1, 15, v1
	v_and_b32_sdwa v1, v1, s16 dst_sel:DWORD dst_unused:UNUSED_PAD src0_sel:WORD_0 src1_sel:DWORD
	v_lshlrev_b32_e32 v6, 4, v1
	s_movk_i32 s17, 0x70
	v_lshrrev_b32_e32 v1, 2, v1
	v_and_or_b32 v6, v6, s17, v0
	v_and_b32_e32 v1, 2, v1
	v_lshl_or_b32 v18, v6, 2, v1
	ds_read_u16 v1, v18
	s_waitcnt lgkmcnt(0)
	v_add_u16_e32 v6, 1, v1
	ds_write_b16 v18, v6
	v_lshrrev_b16_e32 v6, 4, v17
	v_and_b32_e32 v6, 15, v6
	v_and_b32_sdwa v6, v6, s16 dst_sel:DWORD dst_unused:UNUSED_PAD src0_sel:WORD_0 src1_sel:DWORD
	v_lshlrev_b32_e32 v7, 4, v6
	v_lshrrev_b32_e32 v6, 2, v6
	v_and_or_b32 v7, v7, s17, v0
	v_and_b32_e32 v6, 2, v6
	v_lshl_or_b32 v25, v7, 2, v6
	ds_read_u16 v19, v25
	s_waitcnt lgkmcnt(0)
	v_add_u16_e32 v6, 1, v19
	ds_write_b16 v25, v6
	s_waitcnt lgkmcnt(0)
	; wave barrier
	s_waitcnt lgkmcnt(0)
	ds_read2_b32 v[14:15], v23 offset1:1
	ds_read2_b32 v[12:13], v23 offset0:2 offset1:3
	ds_read2_b32 v[6:7], v23 offset0:4 offset1:5
	;; [unrolled: 1-line block ×3, first 2 shown]
	s_waitcnt lgkmcnt(3)
	v_add_u32_e32 v26, v15, v14
	s_waitcnt lgkmcnt(2)
	v_add3_u32 v26, v26, v12, v13
	s_waitcnt lgkmcnt(1)
	v_add3_u32 v26, v26, v6, v7
	;; [unrolled: 2-line block ×3, first 2 shown]
	s_nop 1
	v_mov_b32_dpp v26, v9 row_shr:1 row_mask:0xf bank_mask:0xf
	v_cndmask_b32_e64 v26, v26, 0, s[14:15]
	v_add_u32_e32 v9, v26, v9
	s_nop 1
	v_mov_b32_dpp v26, v9 row_shr:2 row_mask:0xf bank_mask:0xf
	v_cndmask_b32_e64 v26, 0, v26, s[12:13]
	v_add_u32_e32 v9, v9, v26
	;; [unrolled: 4-line block ×4, first 2 shown]
	s_and_saveexec_b64 s[8:9], s[6:7]
	s_cbranch_execz .LBB109_51
; %bb.50:
	v_mov_b32_e32 v26, 0
	ds_write_b32 v26, v9 offset:512
.LBB109_51:
	s_or_b64 exec, exec, s[8:9]
	ds_bpermute_b32 v9, v24, v9
	v_mov_b32_e32 v24, 0
	s_waitcnt lgkmcnt(0)
	; wave barrier
	s_waitcnt lgkmcnt(0)
	ds_read_b32 v24, v24 offset:512
	v_cndmask_b32_e64 v9, v9, 0, s[4:5]
	s_movk_i32 s4, 0x7f
	s_waitcnt lgkmcnt(0)
	v_lshl_add_u32 v9, v24, 16, v9
	v_add_u32_e32 v14, v9, v14
	v_add_u32_e32 v15, v14, v15
	;; [unrolled: 1-line block ×7, first 2 shown]
	ds_write2_b32 v23, v9, v14 offset1:1
	ds_write2_b32 v23, v15, v12 offset0:2 offset1:3
	ds_write2_b32 v23, v13, v6 offset0:4 offset1:5
	;; [unrolled: 1-line block ×3, first 2 shown]
	s_waitcnt lgkmcnt(0)
	; wave barrier
	s_waitcnt lgkmcnt(0)
	ds_read_u16 v6, v25
	ds_read_u16 v7, v18
	s_waitcnt lgkmcnt(0)
	; wave barrier
	s_waitcnt lgkmcnt(0)
	v_add_u32_sdwa v6, v6, v19 dst_sel:DWORD dst_unused:UNUSED_PAD src0_sel:DWORD src1_sel:WORD_0
	v_add_u32_sdwa v1, v7, v1 dst_sel:DWORD dst_unused:UNUSED_PAD src0_sel:DWORD src1_sel:WORD_0
	ds_write_b8 v1, v16
	ds_write_b8 v6, v17
	s_waitcnt lgkmcnt(0)
	; wave barrier
	s_waitcnt lgkmcnt(0)
	ds_read_u8 v12, v21
	ds_read_u8 v13, v21 offset:1
	v_lshlrev_b32_e32 v1, 3, v1
	s_waitcnt lgkmcnt(0)
	; wave barrier
	s_waitcnt lgkmcnt(0)
	ds_write_b64 v1, v[2:3]
	v_lshlrev_b32_e32 v1, 3, v6
	ds_write_b64 v1, v[4:5]
	s_waitcnt lgkmcnt(0)
	; wave barrier
	s_waitcnt lgkmcnt(0)
	ds_read2_b64 v[6:9], v11 offset1:1
	v_xor_b32_e32 v1, 0x7f, v12
	v_xor_b32_sdwa v2, v13, s4 dst_sel:BYTE_1 dst_unused:UNUSED_PAD src0_sel:DWORD src1_sel:DWORD
	v_or_b32_e32 v1, v1, v2
	v_and_b32_e32 v12, 0xffff, v1
.LBB109_52:
	v_lshrrev_b16_e32 v1, 8, v12
	s_waitcnt lgkmcnt(0)
	; wave barrier
	s_waitcnt lgkmcnt(0)
	ds_write_b8 v21, v12
	ds_write_b8 v21, v1 offset:1
	s_waitcnt lgkmcnt(0)
	; wave barrier
	s_waitcnt lgkmcnt(0)
	ds_read_u8 v1, v0 offset:16
	v_mov_b32_e32 v3, s23
	v_add_co_u32_e32 v2, vcc, s22, v20
	v_addc_co_u32_e32 v3, vcc, 0, v3, vcc
	s_and_saveexec_b64 s[4:5], s[0:1]
	s_cbranch_execz .LBB109_54
; %bb.53:
	ds_read_u8 v0, v0
	s_waitcnt lgkmcnt(0)
	global_store_byte v[2:3], v0, off
.LBB109_54:
	s_or_b64 exec, exec, s[4:5]
	s_and_saveexec_b64 s[4:5], s[2:3]
	s_cbranch_execz .LBB109_56
; %bb.55:
	s_lshl_b32 s6, s18, 4
	v_add_co_u32_e32 v2, vcc, s6, v2
	v_addc_co_u32_e32 v3, vcc, 0, v3, vcc
	s_waitcnt lgkmcnt(0)
	global_store_byte v[2:3], v1, off
.LBB109_56:
	s_or_b64 exec, exec, s[4:5]
	s_waitcnt lgkmcnt(0)
	; wave barrier
	s_waitcnt lgkmcnt(0)
	ds_write2_b64 v11, v[6:7], v[8:9] offset1:1
	s_waitcnt lgkmcnt(0)
	; wave barrier
	s_waitcnt lgkmcnt(0)
	ds_read_b64 v[0:1], v22 offset:128
	v_mov_b32_e32 v11, 0
	v_lshlrev_b64 v[2:3], 3, v[10:11]
	v_mov_b32_e32 v4, s21
	v_add_co_u32_e32 v2, vcc, s19, v2
	v_addc_co_u32_e32 v3, vcc, v4, v3, vcc
	s_and_saveexec_b64 s[4:5], s[0:1]
	s_cbranch_execz .LBB109_58
; %bb.57:
	ds_read_b64 v[4:5], v22
	s_waitcnt lgkmcnt(0)
	global_store_dwordx2 v[2:3], v[4:5], off
.LBB109_58:
	s_or_b64 exec, exec, s[4:5]
	s_and_saveexec_b64 s[0:1], s[2:3]
	s_cbranch_execz .LBB109_60
; %bb.59:
	s_lshl_b32 s0, s20, 4
	s_mov_b32 s1, 0
	s_lshl_b64 s[0:1], s[0:1], 3
	v_mov_b32_e32 v4, s1
	v_add_co_u32_e32 v2, vcc, s0, v2
	v_addc_co_u32_e32 v3, vcc, v3, v4, vcc
	s_waitcnt lgkmcnt(0)
	global_store_dwordx2 v[2:3], v[0:1], off
.LBB109_60:
	s_endpgm
	.section	.rodata,"a",@progbits
	.p2align	6, 0x0
	.amdhsa_kernel _ZN2at6native18radixSortKVInPlaceILi2ELin1ELi16ELi2EaljEEvNS_4cuda6detail10TensorInfoIT3_T5_EES6_S6_S6_NS4_IT4_S6_EES6_b
		.amdhsa_group_segment_fixed_size 528
		.amdhsa_private_segment_fixed_size 0
		.amdhsa_kernarg_size 712
		.amdhsa_user_sgpr_count 6
		.amdhsa_user_sgpr_private_segment_buffer 1
		.amdhsa_user_sgpr_dispatch_ptr 0
		.amdhsa_user_sgpr_queue_ptr 0
		.amdhsa_user_sgpr_kernarg_segment_ptr 1
		.amdhsa_user_sgpr_dispatch_id 0
		.amdhsa_user_sgpr_flat_scratch_init 0
		.amdhsa_user_sgpr_kernarg_preload_length 0
		.amdhsa_user_sgpr_kernarg_preload_offset 0
		.amdhsa_user_sgpr_private_segment_size 0
		.amdhsa_uses_dynamic_stack 0
		.amdhsa_system_sgpr_private_segment_wavefront_offset 0
		.amdhsa_system_sgpr_workgroup_id_x 1
		.amdhsa_system_sgpr_workgroup_id_y 1
		.amdhsa_system_sgpr_workgroup_id_z 1
		.amdhsa_system_sgpr_workgroup_info 0
		.amdhsa_system_vgpr_workitem_id 0
		.amdhsa_next_free_vgpr 34
		.amdhsa_next_free_sgpr 38
		.amdhsa_accum_offset 36
		.amdhsa_reserve_vcc 1
		.amdhsa_reserve_flat_scratch 0
		.amdhsa_float_round_mode_32 0
		.amdhsa_float_round_mode_16_64 0
		.amdhsa_float_denorm_mode_32 3
		.amdhsa_float_denorm_mode_16_64 3
		.amdhsa_dx10_clamp 1
		.amdhsa_ieee_mode 1
		.amdhsa_fp16_overflow 0
		.amdhsa_tg_split 0
		.amdhsa_exception_fp_ieee_invalid_op 0
		.amdhsa_exception_fp_denorm_src 0
		.amdhsa_exception_fp_ieee_div_zero 0
		.amdhsa_exception_fp_ieee_overflow 0
		.amdhsa_exception_fp_ieee_underflow 0
		.amdhsa_exception_fp_ieee_inexact 0
		.amdhsa_exception_int_div_zero 0
	.end_amdhsa_kernel
	.section	.text._ZN2at6native18radixSortKVInPlaceILi2ELin1ELi16ELi2EaljEEvNS_4cuda6detail10TensorInfoIT3_T5_EES6_S6_S6_NS4_IT4_S6_EES6_b,"axG",@progbits,_ZN2at6native18radixSortKVInPlaceILi2ELin1ELi16ELi2EaljEEvNS_4cuda6detail10TensorInfoIT3_T5_EES6_S6_S6_NS4_IT4_S6_EES6_b,comdat
.Lfunc_end109:
	.size	_ZN2at6native18radixSortKVInPlaceILi2ELin1ELi16ELi2EaljEEvNS_4cuda6detail10TensorInfoIT3_T5_EES6_S6_S6_NS4_IT4_S6_EES6_b, .Lfunc_end109-_ZN2at6native18radixSortKVInPlaceILi2ELin1ELi16ELi2EaljEEvNS_4cuda6detail10TensorInfoIT3_T5_EES6_S6_S6_NS4_IT4_S6_EES6_b
                                        ; -- End function
	.section	.AMDGPU.csdata,"",@progbits
; Kernel info:
; codeLenInByte = 4328
; NumSgprs: 42
; NumVgprs: 34
; NumAgprs: 0
; TotalNumVgprs: 34
; ScratchSize: 0
; MemoryBound: 0
; FloatMode: 240
; IeeeMode: 1
; LDSByteSize: 528 bytes/workgroup (compile time only)
; SGPRBlocks: 5
; VGPRBlocks: 4
; NumSGPRsForWavesPerEU: 42
; NumVGPRsForWavesPerEU: 34
; AccumOffset: 36
; Occupancy: 8
; WaveLimiterHint : 1
; COMPUTE_PGM_RSRC2:SCRATCH_EN: 0
; COMPUTE_PGM_RSRC2:USER_SGPR: 6
; COMPUTE_PGM_RSRC2:TRAP_HANDLER: 0
; COMPUTE_PGM_RSRC2:TGID_X_EN: 1
; COMPUTE_PGM_RSRC2:TGID_Y_EN: 1
; COMPUTE_PGM_RSRC2:TGID_Z_EN: 1
; COMPUTE_PGM_RSRC2:TIDIG_COMP_CNT: 0
; COMPUTE_PGM_RSRC3_GFX90A:ACCUM_OFFSET: 8
; COMPUTE_PGM_RSRC3_GFX90A:TG_SPLIT: 0
	.section	.text._ZN2at6native18radixSortKVInPlaceILin1ELin1ELi512ELi8EaljEEvNS_4cuda6detail10TensorInfoIT3_T5_EES6_S6_S6_NS4_IT4_S6_EES6_b,"axG",@progbits,_ZN2at6native18radixSortKVInPlaceILin1ELin1ELi512ELi8EaljEEvNS_4cuda6detail10TensorInfoIT3_T5_EES6_S6_S6_NS4_IT4_S6_EES6_b,comdat
	.protected	_ZN2at6native18radixSortKVInPlaceILin1ELin1ELi512ELi8EaljEEvNS_4cuda6detail10TensorInfoIT3_T5_EES6_S6_S6_NS4_IT4_S6_EES6_b ; -- Begin function _ZN2at6native18radixSortKVInPlaceILin1ELin1ELi512ELi8EaljEEvNS_4cuda6detail10TensorInfoIT3_T5_EES6_S6_S6_NS4_IT4_S6_EES6_b
	.globl	_ZN2at6native18radixSortKVInPlaceILin1ELin1ELi512ELi8EaljEEvNS_4cuda6detail10TensorInfoIT3_T5_EES6_S6_S6_NS4_IT4_S6_EES6_b
	.p2align	8
	.type	_ZN2at6native18radixSortKVInPlaceILin1ELin1ELi512ELi8EaljEEvNS_4cuda6detail10TensorInfoIT3_T5_EES6_S6_S6_NS4_IT4_S6_EES6_b,@function
_ZN2at6native18radixSortKVInPlaceILin1ELin1ELi512ELi8EaljEEvNS_4cuda6detail10TensorInfoIT3_T5_EES6_S6_S6_NS4_IT4_S6_EES6_b: ; @_ZN2at6native18radixSortKVInPlaceILin1ELin1ELi512ELi8EaljEEvNS_4cuda6detail10TensorInfoIT3_T5_EES6_S6_S6_NS4_IT4_S6_EES6_b
; %bb.0:
	s_load_dwordx2 s[0:1], s[4:5], 0x1c8
	s_load_dwordx4 s[20:23], s[4:5], 0xd8
	s_add_u32 s26, s4, 0x1c8
	s_addc_u32 s27, s5, 0
	s_waitcnt lgkmcnt(0)
	s_mul_i32 s1, s1, s8
	s_add_i32 s1, s1, s7
	s_mul_i32 s0, s1, s0
	s_add_i32 s23, s0, s6
	s_cmp_ge_u32 s23, s20
	s_cbranch_scc1 .LBB110_105
; %bb.1:
	s_load_dword s2, s[4:5], 0xd0
	s_mov_b32 s1, 0
	s_mov_b32 s0, s23
	s_waitcnt lgkmcnt(0)
	s_cmp_lt_i32 s2, 2
	s_cbranch_scc1 .LBB110_4
; %bb.2:
	s_add_i32 s0, s2, -1
	s_add_i32 s6, s2, 1
	s_lshl_b64 s[2:3], s[0:1], 2
	s_add_u32 s0, s2, s4
	s_addc_u32 s3, s3, s5
	s_add_u32 s2, s0, 8
	s_addc_u32 s3, s3, 0
	s_mov_b32 s0, s23
.LBB110_3:                              ; =>This Inner Loop Header: Depth=1
	s_load_dword s7, s[2:3], 0x0
	s_load_dword s9, s[2:3], 0x64
	s_mov_b32 s8, s0
	s_waitcnt lgkmcnt(0)
	v_cvt_f32_u32_e32 v1, s7
	s_sub_i32 s0, 0, s7
	v_rcp_iflag_f32_e32 v1, v1
	v_mul_f32_e32 v1, 0x4f7ffffe, v1
	v_cvt_u32_f32_e32 v1, v1
	v_readfirstlane_b32 s10, v1
	s_mul_i32 s0, s0, s10
	s_mul_hi_u32 s0, s10, s0
	s_add_i32 s10, s10, s0
	s_mul_hi_u32 s0, s8, s10
	s_mul_i32 s10, s0, s7
	s_sub_i32 s10, s8, s10
	s_add_i32 s11, s0, 1
	s_sub_i32 s12, s10, s7
	s_cmp_ge_u32 s10, s7
	s_cselect_b32 s0, s11, s0
	s_cselect_b32 s10, s12, s10
	s_add_i32 s11, s0, 1
	s_cmp_ge_u32 s10, s7
	s_cselect_b32 s0, s11, s0
	s_mul_i32 s7, s0, s7
	s_sub_i32 s7, s8, s7
	s_mul_i32 s7, s9, s7
	s_add_i32 s6, s6, -1
	s_add_i32 s1, s7, s1
	s_add_u32 s2, s2, -4
	s_addc_u32 s3, s3, -1
	s_cmp_gt_u32 s6, 2
	s_cbranch_scc1 .LBB110_3
.LBB110_4:
	s_load_dword s2, s[4:5], 0x1b8
	s_mov_b32 s31, 0
	s_waitcnt lgkmcnt(0)
	s_cmp_lt_i32 s2, 2
	s_cbranch_scc1 .LBB110_7
; %bb.5:
	s_add_i32 s30, s2, -1
	s_add_i32 s6, s2, 1
	s_lshl_b64 s[2:3], s[30:31], 2
	s_add_u32 s2, s2, s4
	s_addc_u32 s3, s3, s5
	s_add_u32 s2, s2, 0xf0
	s_addc_u32 s3, s3, 0
.LBB110_6:                              ; =>This Inner Loop Header: Depth=1
	s_load_dword s7, s[2:3], 0x0
	s_load_dword s9, s[2:3], 0x64
	s_mov_b32 s8, s23
	s_waitcnt lgkmcnt(0)
	v_cvt_f32_u32_e32 v1, s7
	s_sub_i32 s10, 0, s7
	v_rcp_iflag_f32_e32 v1, v1
	v_mul_f32_e32 v1, 0x4f7ffffe, v1
	v_cvt_u32_f32_e32 v1, v1
	v_readfirstlane_b32 s11, v1
	s_mul_i32 s10, s10, s11
	s_mul_hi_u32 s10, s11, s10
	s_add_i32 s11, s11, s10
	s_mul_hi_u32 s10, s23, s11
	s_mul_i32 s11, s10, s7
	s_sub_i32 s11, s23, s11
	s_add_i32 s12, s10, 1
	s_sub_i32 s13, s11, s7
	s_cmp_ge_u32 s11, s7
	s_cselect_b32 s10, s12, s10
	s_cselect_b32 s11, s13, s11
	s_add_i32 s12, s10, 1
	s_cmp_ge_u32 s11, s7
	s_cselect_b32 s23, s12, s10
	s_mul_i32 s7, s23, s7
	s_sub_i32 s7, s8, s7
	s_mul_i32 s7, s9, s7
	s_add_i32 s6, s6, -1
	s_add_i32 s31, s7, s31
	s_add_u32 s2, s2, -4
	s_addc_u32 s3, s3, -1
	s_cmp_gt_u32 s6, 2
	s_cbranch_scc1 .LBB110_6
.LBB110_7:
	s_load_dword s2, s[4:5], 0x6c
	s_load_dwordx2 s[18:19], s[4:5], 0x1c0
	s_movk_i32 s6, 0x80
	v_and_b32_e32 v36, 0x3ff, v0
	v_mul_lo_u32 v37, v36, s22
	s_waitcnt lgkmcnt(0)
	s_mul_i32 s0, s2, s0
	s_add_i32 s7, s0, s1
	s_bitcmp1_b32 s19, 0
	s_cselect_b64 s[28:29], -1, 0
	s_load_dwordx2 s[2:3], s[4:5], 0x0
	s_and_b64 s[0:1], s[28:29], exec
	s_cselect_b32 s0, s6, 0x7f
	v_lshlrev_b16_e64 v2, 8, s0
	v_or_b32_e32 v2, s0, v2
	v_lshlrev_b32_e32 v3, 16, v2
	s_waitcnt lgkmcnt(0)
	s_add_u32 s24, s2, s7
	v_or_b32_sdwa v2, v2, v3 dst_sel:DWORD dst_unused:UNUSED_PAD src0_sel:WORD_0 src1_sel:DWORD
	s_addc_u32 s25, s3, 0
	v_mov_b32_e32 v1, s0
	v_mov_b32_e32 v3, v2
	v_cmp_gt_u32_e64 s[0:1], s21, v36
	s_and_saveexec_b64 s[2:3], s[0:1]
	s_cbranch_execz .LBB110_9
; %bb.8:
	global_load_ubyte v1, v37, s[24:25]
	s_mov_b32 s6, 0x3020104
	v_mov_b32_e32 v5, v2
	s_waitcnt vmcnt(0)
	v_perm_b32 v4, v1, v2, s6
	v_pk_mov_b32 v[2:3], v[4:5], v[4:5] op_sel:[0,1]
.LBB110_9:
	s_or_b64 exec, exec, s[2:3]
	v_add_u32_e32 v32, 0x200, v36
	v_cmp_gt_u32_e64 s[2:3], s21, v32
	s_and_saveexec_b64 s[6:7], s[2:3]
	s_cbranch_execz .LBB110_11
; %bb.10:
	v_mul_lo_u32 v4, v32, s22
	global_load_ubyte v4, v4, s[24:25]
	s_mov_b32 s8, 0x7060004
	s_waitcnt vmcnt(0)
	v_perm_b32 v2, v2, v4, s8
.LBB110_11:
	s_or_b64 exec, exec, s[6:7]
	v_or_b32_e32 v31, 0x400, v36
	v_cmp_gt_u32_e64 s[16:17], s21, v31
	s_and_saveexec_b64 s[6:7], s[16:17]
	s_cbranch_execz .LBB110_13
; %bb.12:
	v_mul_lo_u32 v4, v31, s22
	global_load_ubyte v4, v4, s[24:25]
	s_movk_i32 s8, 0xff00
	v_and_b32_sdwa v5, v2, s8 dst_sel:DWORD dst_unused:UNUSED_PAD src0_sel:WORD_1 src1_sel:DWORD
	s_mov_b32 s8, 0xffff
	s_waitcnt vmcnt(0)
	v_or_b32_sdwa v4, v4, v5 dst_sel:WORD_1 dst_unused:UNUSED_PAD src0_sel:DWORD src1_sel:DWORD
	v_and_or_b32 v2, v2, s8, v4
.LBB110_13:
	s_or_b64 exec, exec, s[6:7]
	v_add_u32_e32 v30, 0x600, v36
	v_cmp_gt_u32_e64 s[6:7], s21, v30
	s_and_saveexec_b64 s[8:9], s[6:7]
	s_cbranch_execz .LBB110_15
; %bb.14:
	v_mul_lo_u32 v4, v30, s22
	global_load_ubyte v4, v4, s[24:25]
	s_movk_i32 s10, 0xff
	v_and_b32_sdwa v5, v2, s10 dst_sel:DWORD dst_unused:UNUSED_PAD src0_sel:WORD_1 src1_sel:DWORD
	s_mov_b32 s10, 0xffff
	s_waitcnt vmcnt(0)
	v_lshlrev_b16_e32 v4, 8, v4
	v_or_b32_sdwa v4, v5, v4 dst_sel:WORD_1 dst_unused:UNUSED_PAD src0_sel:DWORD src1_sel:DWORD
	v_and_or_b32 v2, v2, s10, v4
.LBB110_15:
	s_or_b64 exec, exec, s[8:9]
	v_or_b32_e32 v29, 0x800, v36
	v_cmp_gt_u32_e64 s[8:9], s21, v29
	s_and_saveexec_b64 s[10:11], s[8:9]
	s_cbranch_execz .LBB110_17
; %bb.16:
	v_mul_lo_u32 v4, v29, s22
	global_load_ubyte v4, v4, s[24:25]
	s_mov_b32 s12, 0x3020104
	s_waitcnt vmcnt(0)
	v_perm_b32 v3, v4, v3, s12
.LBB110_17:
	s_or_b64 exec, exec, s[10:11]
	v_add_u32_e32 v28, 0xa00, v36
	v_cmp_gt_u32_e64 s[10:11], s21, v28
	s_and_saveexec_b64 s[12:13], s[10:11]
	s_cbranch_execz .LBB110_19
; %bb.18:
	v_mul_lo_u32 v4, v28, s22
	global_load_ubyte v4, v4, s[24:25]
	s_mov_b32 s14, 0x7060004
	s_waitcnt vmcnt(0)
	v_perm_b32 v3, v3, v4, s14
.LBB110_19:
	s_or_b64 exec, exec, s[12:13]
	s_load_dwordx2 s[34:35], s[4:5], 0xe8
	v_or_b32_e32 v27, 0xc00, v36
	v_cmp_gt_u32_e64 s[12:13], s21, v27
	s_and_saveexec_b64 s[14:15], s[12:13]
	s_cbranch_execz .LBB110_21
; %bb.20:
	v_mul_lo_u32 v4, v27, s22
	global_load_ubyte v4, v4, s[24:25]
	s_mov_b32 s19, 0x7000504
	s_waitcnt vmcnt(0)
	v_perm_b32 v3, v3, v4, s19
.LBB110_21:
	s_or_b64 exec, exec, s[14:15]
	s_load_dword s19, s[4:5], 0x154
	v_add_u32_e32 v22, 0xe00, v36
	v_cmp_gt_u32_e64 s[14:15], s21, v22
	s_and_saveexec_b64 s[4:5], s[14:15]
	s_cbranch_execz .LBB110_23
; %bb.22:
	v_mul_lo_u32 v4, v22, s22
	global_load_ubyte v4, v4, s[24:25]
	s_mov_b32 s20, 0x60504
	s_waitcnt vmcnt(0)
	v_perm_b32 v3, v3, v4, s20
.LBB110_23:
	s_or_b64 exec, exec, s[4:5]
	v_lshrrev_b32_e32 v26, 5, v36
	v_and_b32_e32 v4, 28, v26
	v_add_u32_e32 v44, v4, v36
	v_lshrrev_b32_e32 v25, 5, v32
	ds_write_b8 v44, v1
	v_and_b32_e32 v1, 60, v25
	v_lshrrev_b32_e32 v24, 5, v31
	v_add_u32_e32 v45, v1, v36
	v_and_b32_e32 v1, 60, v24
	v_lshrrev_b32_e32 v23, 5, v30
	v_add_u32_e32 v46, v1, v36
	;; [unrolled: 3-line block ×3, first 2 shown]
	v_and_b32_e32 v1, 0x5c, v21
	v_lshrrev_b32_e32 v19, 5, v28
	v_lshrrev_b32_e32 v4, 8, v2
	v_add_u32_e32 v48, v1, v36
	v_and_b32_e32 v1, 0x7c, v19
	v_lshrrev_b32_e32 v18, 5, v27
	ds_write_b8 v45, v4 offset:512
	ds_write_b8_d16_hi v46, v2 offset:1024
	v_lshrrev_b32_e32 v2, 24, v2
	v_add_u32_e32 v49, v1, v36
	v_and_b32_e32 v1, 0x7c, v18
	ds_write_b8 v47, v2 offset:1536
	v_lshrrev_b32_e32 v2, 8, v3
	v_add_u32_e32 v50, v1, v36
	v_lshrrev_b32_e32 v1, 5, v22
	ds_write_b8 v48, v3 offset:2048
	ds_write_b8 v49, v2 offset:2560
	v_and_b32_e32 v2, 0xfc, v1
	v_lshrrev_b32_e32 v20, 2, v36
	v_add_u32_e32 v51, v2, v36
	v_lshlrev_b32_e32 v53, 3, v36
	v_and_b32_e32 v2, 0xfc, v20
	ds_write_b8_d16_hi v50, v3 offset:3072
	v_lshrrev_b32_e32 v3, 24, v3
	v_add_u32_e32 v52, v2, v53
	s_waitcnt lgkmcnt(0)
	s_mul_i32 s4, s19, s23
	ds_write_b8 v51, v3 offset:3584
	s_waitcnt lgkmcnt(0)
	s_barrier
	ds_read_b64 v[38:39], v52
	s_add_i32 s36, s4, s31
	s_mov_b32 s37, 0
	s_lshl_b64 s[4:5], s[36:37], 3
	s_mov_b32 s36, s37
	s_add_u32 s19, s34, s4
	s_mov_b32 s38, s37
	s_mov_b32 s39, s37
	;; [unrolled: 1-line block ×14, first 2 shown]
	v_pk_mov_b32 v[2:3], s[36:37], s[36:37] op_sel:[0,1]
	s_addc_u32 s23, s35, s5
	v_pk_mov_b32 v[4:5], s[38:39], s[38:39] op_sel:[0,1]
	v_pk_mov_b32 v[6:7], s[40:41], s[40:41] op_sel:[0,1]
	;; [unrolled: 1-line block ×7, first 2 shown]
	v_pk_mov_b32 v[2:3], 0, 0
	v_mul_lo_u32 v34, v36, s18
	s_waitcnt lgkmcnt(0)
	s_barrier
	s_and_saveexec_b64 s[4:5], s[0:1]
	s_cbranch_execnz .LBB110_56
; %bb.24:
	s_or_b64 exec, exec, s[4:5]
	s_and_saveexec_b64 s[4:5], s[2:3]
	s_cbranch_execnz .LBB110_57
.LBB110_25:
	s_or_b64 exec, exec, s[4:5]
	s_and_saveexec_b64 s[4:5], s[16:17]
	s_cbranch_execnz .LBB110_58
.LBB110_26:
	s_or_b64 exec, exec, s[4:5]
	s_and_saveexec_b64 s[4:5], s[6:7]
	s_cbranch_execnz .LBB110_59
.LBB110_27:
	s_or_b64 exec, exec, s[4:5]
	s_and_saveexec_b64 s[4:5], s[8:9]
	s_cbranch_execnz .LBB110_60
.LBB110_28:
	s_or_b64 exec, exec, s[4:5]
	s_and_saveexec_b64 s[4:5], s[10:11]
	s_cbranch_execnz .LBB110_61
.LBB110_29:
	s_or_b64 exec, exec, s[4:5]
	s_and_saveexec_b64 s[4:5], s[12:13]
	s_cbranch_execnz .LBB110_62
.LBB110_30:
	s_or_b64 exec, exec, s[4:5]
	s_xor_b64 s[4:5], s[28:29], -1
	s_and_saveexec_b64 s[20:21], s[14:15]
	s_cbranch_execz .LBB110_32
.LBB110_31:
	v_mul_lo_u32 v16, v22, s18
	v_mov_b32_e32 v17, 0
	v_lshlrev_b64 v[16:17], 3, v[16:17]
	v_mov_b32_e32 v22, s23
	v_add_co_u32_e32 v16, vcc, s19, v16
	v_addc_co_u32_e32 v17, vcc, v22, v17, vcc
	global_load_dwordx2 v[16:17], v[16:17], off
.LBB110_32:
	s_or_b64 exec, exec, s[20:21]
	v_lshrrev_b64 v[40:41], 24, v[38:39]
	v_add_lshl_u32 v41, v26, v36, 3
	v_add_lshl_u32 v35, v25, v36, 3
	;; [unrolled: 1-line block ×9, first 2 shown]
	s_waitcnt vmcnt(0)
	ds_write_b64 v41, v[2:3]
	ds_write_b64 v35, v[4:5] offset:4096
	ds_write_b64 v54, v[6:7] offset:8192
	;; [unrolled: 1-line block ×7, first 2 shown]
	s_waitcnt lgkmcnt(0)
	s_barrier
	ds_read2_b64 v[14:17], v60 offset1:1
	ds_read2_b64 v[10:13], v60 offset0:2 offset1:3
	ds_read2_b64 v[6:9], v60 offset0:4 offset1:5
	;; [unrolled: 1-line block ×3, first 2 shown]
	v_mbcnt_lo_u32_b32 v1, -1, 0
	v_mbcnt_hi_u32_b32 v61, -1, v1
	v_and_b32_e32 v63, 0x3c0, v36
	s_movk_i32 s20, 0x1e00
	v_add_lshl_u32 v71, v61, v63, 3
	v_and_or_b32 v70, v53, s20, v61
	v_lshrrev_b32_e32 v64, 8, v38
	v_lshrrev_b32_e32 v67, 8, v39
	s_and_b64 vcc, exec, s[4:5]
	v_bfe_u32 v65, v0, 10, 10
	v_bfe_u32 v66, v0, 20, 10
	v_lshlrev_b32_e32 v69, 3, v71
	v_lshlrev_b32_e32 v68, 3, v70
	;; [unrolled: 1-line block ×3, first 2 shown]
	s_waitcnt lgkmcnt(0)
	s_barrier
	s_cbranch_vccz .LBB110_63
; %bb.33:
	s_movk_i32 s4, 0x80
	v_xor_b32_sdwa v0, v67, s4 dst_sel:BYTE_1 dst_unused:UNUSED_PAD src0_sel:DWORD src1_sel:DWORD
	v_xor_b32_e32 v1, 0x80, v39
	v_or_b32_sdwa v0, v1, v0 dst_sel:DWORD dst_unused:UNUSED_PAD src0_sel:BYTE_0 src1_sel:DWORD
	v_xor_b32_sdwa v1, v39, s4 dst_sel:DWORD dst_unused:UNUSED_PAD src0_sel:BYTE_3 src1_sel:DWORD
	v_lshlrev_b16_e32 v1, 8, v1
	v_xor_b32_sdwa v18, v39, s4 dst_sel:DWORD dst_unused:UNUSED_PAD src0_sel:WORD_1 src1_sel:DWORD
	v_or_b32_sdwa v1, v18, v1 dst_sel:WORD_1 dst_unused:UNUSED_PAD src0_sel:BYTE_0 src1_sel:DWORD
	v_or_b32_sdwa v1, v0, v1 dst_sel:DWORD dst_unused:UNUSED_PAD src0_sel:WORD_0 src1_sel:DWORD
	v_xor_b32_sdwa v0, v64, s4 dst_sel:BYTE_1 dst_unused:UNUSED_PAD src0_sel:DWORD src1_sel:DWORD
	v_xor_b32_e32 v18, 0x80, v38
	v_or_b32_sdwa v0, v18, v0 dst_sel:DWORD dst_unused:UNUSED_PAD src0_sel:BYTE_0 src1_sel:DWORD
	v_xor_b32_sdwa v18, v40, s4 dst_sel:BYTE_1 dst_unused:UNUSED_PAD src0_sel:DWORD src1_sel:DWORD
	v_xor_b32_sdwa v19, v38, s4 dst_sel:DWORD dst_unused:UNUSED_PAD src0_sel:WORD_1 src1_sel:DWORD
	v_or_b32_sdwa v18, v19, v18 dst_sel:WORD_1 dst_unused:UNUSED_PAD src0_sel:BYTE_0 src1_sel:DWORD
	v_or_b32_sdwa v0, v0, v18 dst_sel:DWORD dst_unused:UNUSED_PAD src0_sel:WORD_0 src1_sel:DWORD
	s_getpc_b64 s[4:5]
	s_add_u32 s4, s4, _ZN7rocprim17ROCPRIM_400000_NS16block_radix_sortIaLj512ELj8ElLj1ELj1ELj0ELNS0_26block_radix_rank_algorithmE1ELNS0_18block_padding_hintE2ELNS0_4arch9wavefront6targetE1EE19radix_bits_per_passE@rel32@lo+4
	s_addc_u32 s5, s5, _ZN7rocprim17ROCPRIM_400000_NS16block_radix_sortIaLj512ELj8ElLj1ELj1ELj0ELNS0_26block_radix_rank_algorithmE1ELNS0_18block_padding_hintE2ELNS0_4arch9wavefront6targetE1EE19radix_bits_per_passE@rel32@hi+12
	ds_write_b64 v71, v[0:1]
	; wave barrier
	ds_read_u8 v72, v70
	ds_read_u8 v73, v70 offset:64
	ds_read_u8 v74, v70 offset:128
	;; [unrolled: 1-line block ×7, first 2 shown]
	s_waitcnt lgkmcnt(0)
	s_barrier
	ds_write2_b64 v69, v[14:15], v[16:17] offset1:1
	ds_write2_b64 v69, v[10:11], v[12:13] offset0:2 offset1:3
	ds_write2_b64 v69, v[6:7], v[8:9] offset0:4 offset1:5
	;; [unrolled: 1-line block ×3, first 2 shown]
	; wave barrier
	ds_read2st64_b64 v[30:33], v68 offset1:1
	ds_read2st64_b64 v[26:29], v68 offset0:2 offset1:3
	ds_read2st64_b64 v[22:25], v68 offset0:4 offset1:5
	;; [unrolled: 1-line block ×3, first 2 shown]
	s_waitcnt lgkmcnt(0)
	s_barrier
	s_load_dword s20, s[4:5], 0x0
	s_load_dword s21, s[26:27], 0xc
	v_mov_b32_e32 v82, 3
	s_waitcnt lgkmcnt(0)
	s_min_u32 s20, s20, 8
	s_lshr_b32 s4, s21, 16
	s_and_b32 s5, s21, 0xffff
	v_mad_u32_u24 v0, v66, s4, v65
	v_mad_u64_u32 v[42:43], s[4:5], v0, s5, v[36:37]
	s_lshl_b32 s4, -1, s20
	s_not_b32 s20, s4
	v_lshrrev_b32_e32 v86, 6, v42
	v_and_b32_e32 v42, s20, v72
	v_lshlrev_b32_sdwa v1, v82, v42 dst_sel:DWORD dst_unused:UNUSED_PAD src0_sel:DWORD src1_sel:BYTE_0
	v_add_lshl_u32 v80, v86, v1, 2
	v_and_b32_e32 v1, 1, v42
	v_add_co_u32_e32 v43, vcc, -1, v1
	v_addc_co_u32_e64 v81, s[4:5], 0, -1, vcc
	v_cmp_ne_u32_e32 vcc, 0, v1
	v_xor_b32_e32 v1, vcc_hi, v81
	v_mov_b32_e32 v0, 0
	v_and_b32_e32 v81, exec_hi, v1
	v_lshlrev_b32_e32 v1, 30, v42
	v_xor_b32_e32 v43, vcc_lo, v43
	v_cmp_gt_i64_e32 vcc, 0, v[0:1]
	v_not_b32_e32 v1, v1
	v_ashrrev_i32_e32 v1, 31, v1
	v_and_b32_e32 v43, exec_lo, v43
	v_xor_b32_e32 v83, vcc_hi, v1
	v_xor_b32_e32 v1, vcc_lo, v1
	v_and_b32_e32 v43, v43, v1
	v_lshlrev_b32_e32 v1, 29, v42
	v_cmp_gt_i64_e32 vcc, 0, v[0:1]
	v_not_b32_e32 v1, v1
	v_ashrrev_i32_e32 v1, 31, v1
	v_and_b32_e32 v81, v81, v83
	v_xor_b32_e32 v83, vcc_hi, v1
	v_xor_b32_e32 v1, vcc_lo, v1
	v_and_b32_e32 v43, v43, v1
	v_lshlrev_b32_e32 v1, 28, v42
	v_cmp_gt_i64_e32 vcc, 0, v[0:1]
	v_not_b32_e32 v1, v1
	v_ashrrev_i32_e32 v1, 31, v1
	v_and_b32_e32 v81, v81, v83
	;; [unrolled: 8-line block ×5, first 2 shown]
	v_xor_b32_e32 v83, vcc_hi, v1
	v_xor_b32_e32 v1, vcc_lo, v1
	v_and_b32_e32 v81, v81, v83
	v_and_b32_e32 v83, v43, v1
	v_lshlrev_b32_e32 v1, 24, v42
	v_cmp_gt_i64_e32 vcc, 0, v[0:1]
	v_not_b32_e32 v1, v1
	v_ashrrev_i32_e32 v1, 31, v1
	v_xor_b32_e32 v42, vcc_hi, v1
	v_xor_b32_e32 v1, vcc_lo, v1
	v_and_b32_e32 v43, v81, v42
	v_and_b32_e32 v42, v83, v1
	v_mbcnt_lo_u32_b32 v1, v42, 0
	v_mbcnt_hi_u32_b32 v81, v43, v1
	v_cmp_eq_u32_e32 vcc, 0, v81
	v_cmp_ne_u64_e64 s[4:5], 0, v[42:43]
	s_and_b64 s[28:29], s[4:5], vcc
	ds_write2_b32 v62, v0, v0 offset0:8 offset1:9
	ds_write2_b32 v62, v0, v0 offset0:10 offset1:11
	s_waitcnt lgkmcnt(0)
	s_barrier
	s_waitcnt lgkmcnt(0)
	; wave barrier
	s_and_saveexec_b64 s[4:5], s[28:29]
	s_cbranch_execz .LBB110_35
; %bb.34:
	v_bcnt_u32_b32 v1, v42, 0
	v_bcnt_u32_b32 v1, v43, v1
	ds_write_b32 v80, v1 offset:32
.LBB110_35:
	s_or_b64 exec, exec, s[4:5]
	v_and_b32_e32 v42, s20, v73
	v_lshlrev_b32_sdwa v1, v82, v42 dst_sel:DWORD dst_unused:UNUSED_PAD src0_sel:DWORD src1_sel:BYTE_0
	v_add_lshl_u32 v83, v86, v1, 2
	v_and_b32_e32 v1, 1, v42
	v_add_co_u32_e32 v43, vcc, -1, v1
	v_addc_co_u32_e64 v84, s[4:5], 0, -1, vcc
	v_cmp_ne_u32_e32 vcc, 0, v1
	v_xor_b32_e32 v1, vcc_hi, v84
	v_and_b32_e32 v84, exec_hi, v1
	v_lshlrev_b32_e32 v1, 30, v42
	v_xor_b32_e32 v43, vcc_lo, v43
	v_cmp_gt_i64_e32 vcc, 0, v[0:1]
	v_not_b32_e32 v1, v1
	v_ashrrev_i32_e32 v1, 31, v1
	v_and_b32_e32 v43, exec_lo, v43
	v_xor_b32_e32 v85, vcc_hi, v1
	v_xor_b32_e32 v1, vcc_lo, v1
	v_and_b32_e32 v43, v43, v1
	v_lshlrev_b32_e32 v1, 29, v42
	v_cmp_gt_i64_e32 vcc, 0, v[0:1]
	v_not_b32_e32 v1, v1
	v_ashrrev_i32_e32 v1, 31, v1
	v_and_b32_e32 v84, v84, v85
	v_xor_b32_e32 v85, vcc_hi, v1
	v_xor_b32_e32 v1, vcc_lo, v1
	v_and_b32_e32 v43, v43, v1
	v_lshlrev_b32_e32 v1, 28, v42
	v_cmp_gt_i64_e32 vcc, 0, v[0:1]
	v_not_b32_e32 v1, v1
	v_ashrrev_i32_e32 v1, 31, v1
	v_and_b32_e32 v84, v84, v85
	;; [unrolled: 8-line block ×5, first 2 shown]
	v_xor_b32_e32 v85, vcc_hi, v1
	v_xor_b32_e32 v1, vcc_lo, v1
	v_and_b32_e32 v43, v43, v1
	v_lshlrev_b32_e32 v1, 24, v42
	v_cmp_gt_i64_e32 vcc, 0, v[0:1]
	v_not_b32_e32 v0, v1
	v_ashrrev_i32_e32 v0, 31, v0
	v_xor_b32_e32 v1, vcc_hi, v0
	v_xor_b32_e32 v0, vcc_lo, v0
	; wave barrier
	ds_read_b32 v82, v83 offset:32
	v_and_b32_e32 v84, v84, v85
	v_and_b32_e32 v0, v43, v0
	;; [unrolled: 1-line block ×3, first 2 shown]
	v_mbcnt_lo_u32_b32 v42, v0, 0
	v_mbcnt_hi_u32_b32 v84, v1, v42
	v_cmp_eq_u32_e32 vcc, 0, v84
	v_cmp_ne_u64_e64 s[4:5], 0, v[0:1]
	s_and_b64 s[28:29], s[4:5], vcc
	; wave barrier
	s_and_saveexec_b64 s[4:5], s[28:29]
	s_cbranch_execz .LBB110_37
; %bb.36:
	v_bcnt_u32_b32 v0, v0, 0
	v_bcnt_u32_b32 v0, v1, v0
	s_waitcnt lgkmcnt(0)
	v_add_u32_e32 v0, v82, v0
	ds_write_b32 v83, v0 offset:32
.LBB110_37:
	s_or_b64 exec, exec, s[4:5]
	v_and_b32_e32 v42, s20, v74
	v_and_b32_e32 v1, 1, v42
	v_add_co_u32_e32 v43, vcc, -1, v1
	v_mov_b32_e32 v89, 3
	v_addc_co_u32_e64 v88, s[4:5], 0, -1, vcc
	v_cmp_ne_u32_e32 vcc, 0, v1
	v_lshlrev_b32_sdwa v0, v89, v42 dst_sel:DWORD dst_unused:UNUSED_PAD src0_sel:DWORD src1_sel:BYTE_0
	v_xor_b32_e32 v1, vcc_hi, v88
	v_add_lshl_u32 v87, v86, v0, 2
	v_mov_b32_e32 v0, 0
	v_and_b32_e32 v88, exec_hi, v1
	v_lshlrev_b32_e32 v1, 30, v42
	v_xor_b32_e32 v43, vcc_lo, v43
	v_cmp_gt_i64_e32 vcc, 0, v[0:1]
	v_not_b32_e32 v1, v1
	v_ashrrev_i32_e32 v1, 31, v1
	v_and_b32_e32 v43, exec_lo, v43
	v_xor_b32_e32 v90, vcc_hi, v1
	v_xor_b32_e32 v1, vcc_lo, v1
	v_and_b32_e32 v43, v43, v1
	v_lshlrev_b32_e32 v1, 29, v42
	v_cmp_gt_i64_e32 vcc, 0, v[0:1]
	v_not_b32_e32 v1, v1
	v_ashrrev_i32_e32 v1, 31, v1
	v_and_b32_e32 v88, v88, v90
	v_xor_b32_e32 v90, vcc_hi, v1
	v_xor_b32_e32 v1, vcc_lo, v1
	v_and_b32_e32 v43, v43, v1
	v_lshlrev_b32_e32 v1, 28, v42
	v_cmp_gt_i64_e32 vcc, 0, v[0:1]
	v_not_b32_e32 v1, v1
	v_ashrrev_i32_e32 v1, 31, v1
	v_and_b32_e32 v88, v88, v90
	;; [unrolled: 8-line block ×5, first 2 shown]
	v_xor_b32_e32 v90, vcc_hi, v1
	v_xor_b32_e32 v1, vcc_lo, v1
	v_and_b32_e32 v88, v88, v90
	v_and_b32_e32 v90, v43, v1
	v_lshlrev_b32_e32 v1, 24, v42
	v_cmp_gt_i64_e32 vcc, 0, v[0:1]
	v_not_b32_e32 v1, v1
	v_ashrrev_i32_e32 v1, 31, v1
	v_xor_b32_e32 v42, vcc_hi, v1
	v_xor_b32_e32 v1, vcc_lo, v1
	; wave barrier
	ds_read_b32 v85, v87 offset:32
	v_and_b32_e32 v43, v88, v42
	v_and_b32_e32 v42, v90, v1
	v_mbcnt_lo_u32_b32 v1, v42, 0
	v_mbcnt_hi_u32_b32 v88, v43, v1
	v_cmp_eq_u32_e32 vcc, 0, v88
	v_cmp_ne_u64_e64 s[4:5], 0, v[42:43]
	s_and_b64 s[28:29], s[4:5], vcc
	; wave barrier
	s_and_saveexec_b64 s[4:5], s[28:29]
	s_cbranch_execz .LBB110_39
; %bb.38:
	v_bcnt_u32_b32 v1, v42, 0
	v_bcnt_u32_b32 v1, v43, v1
	s_waitcnt lgkmcnt(0)
	v_add_u32_e32 v1, v85, v1
	ds_write_b32 v87, v1 offset:32
.LBB110_39:
	s_or_b64 exec, exec, s[4:5]
	v_and_b32_e32 v42, s20, v75
	v_lshlrev_b32_sdwa v1, v89, v42 dst_sel:DWORD dst_unused:UNUSED_PAD src0_sel:DWORD src1_sel:BYTE_0
	v_add_lshl_u32 v90, v86, v1, 2
	v_and_b32_e32 v1, 1, v42
	v_add_co_u32_e32 v43, vcc, -1, v1
	v_addc_co_u32_e64 v91, s[4:5], 0, -1, vcc
	v_cmp_ne_u32_e32 vcc, 0, v1
	v_xor_b32_e32 v1, vcc_hi, v91
	v_and_b32_e32 v91, exec_hi, v1
	v_lshlrev_b32_e32 v1, 30, v42
	v_xor_b32_e32 v43, vcc_lo, v43
	v_cmp_gt_i64_e32 vcc, 0, v[0:1]
	v_not_b32_e32 v1, v1
	v_ashrrev_i32_e32 v1, 31, v1
	v_and_b32_e32 v43, exec_lo, v43
	v_xor_b32_e32 v92, vcc_hi, v1
	v_xor_b32_e32 v1, vcc_lo, v1
	v_and_b32_e32 v43, v43, v1
	v_lshlrev_b32_e32 v1, 29, v42
	v_cmp_gt_i64_e32 vcc, 0, v[0:1]
	v_not_b32_e32 v1, v1
	v_ashrrev_i32_e32 v1, 31, v1
	v_and_b32_e32 v91, v91, v92
	v_xor_b32_e32 v92, vcc_hi, v1
	v_xor_b32_e32 v1, vcc_lo, v1
	v_and_b32_e32 v43, v43, v1
	v_lshlrev_b32_e32 v1, 28, v42
	v_cmp_gt_i64_e32 vcc, 0, v[0:1]
	v_not_b32_e32 v1, v1
	v_ashrrev_i32_e32 v1, 31, v1
	v_and_b32_e32 v91, v91, v92
	;; [unrolled: 8-line block ×5, first 2 shown]
	v_xor_b32_e32 v92, vcc_hi, v1
	v_xor_b32_e32 v1, vcc_lo, v1
	v_and_b32_e32 v43, v43, v1
	v_lshlrev_b32_e32 v1, 24, v42
	v_cmp_gt_i64_e32 vcc, 0, v[0:1]
	v_not_b32_e32 v0, v1
	v_ashrrev_i32_e32 v0, 31, v0
	v_xor_b32_e32 v1, vcc_hi, v0
	v_xor_b32_e32 v0, vcc_lo, v0
	; wave barrier
	ds_read_b32 v89, v90 offset:32
	v_and_b32_e32 v91, v91, v92
	v_and_b32_e32 v0, v43, v0
	;; [unrolled: 1-line block ×3, first 2 shown]
	v_mbcnt_lo_u32_b32 v42, v0, 0
	v_mbcnt_hi_u32_b32 v91, v1, v42
	v_cmp_eq_u32_e32 vcc, 0, v91
	v_cmp_ne_u64_e64 s[4:5], 0, v[0:1]
	s_and_b64 s[28:29], s[4:5], vcc
	; wave barrier
	s_and_saveexec_b64 s[4:5], s[28:29]
	s_cbranch_execz .LBB110_41
; %bb.40:
	v_bcnt_u32_b32 v0, v0, 0
	v_bcnt_u32_b32 v0, v1, v0
	s_waitcnt lgkmcnt(0)
	v_add_u32_e32 v0, v89, v0
	ds_write_b32 v90, v0 offset:32
.LBB110_41:
	s_or_b64 exec, exec, s[4:5]
	v_and_b32_e32 v42, s20, v76
	v_and_b32_e32 v1, 1, v42
	v_add_co_u32_e32 v43, vcc, -1, v1
	v_mov_b32_e32 v95, 3
	v_addc_co_u32_e64 v94, s[4:5], 0, -1, vcc
	v_cmp_ne_u32_e32 vcc, 0, v1
	v_lshlrev_b32_sdwa v0, v95, v42 dst_sel:DWORD dst_unused:UNUSED_PAD src0_sel:DWORD src1_sel:BYTE_0
	v_xor_b32_e32 v1, vcc_hi, v94
	v_add_lshl_u32 v93, v86, v0, 2
	v_mov_b32_e32 v0, 0
	v_and_b32_e32 v94, exec_hi, v1
	v_lshlrev_b32_e32 v1, 30, v42
	v_xor_b32_e32 v43, vcc_lo, v43
	v_cmp_gt_i64_e32 vcc, 0, v[0:1]
	v_not_b32_e32 v1, v1
	v_ashrrev_i32_e32 v1, 31, v1
	v_and_b32_e32 v43, exec_lo, v43
	v_xor_b32_e32 v96, vcc_hi, v1
	v_xor_b32_e32 v1, vcc_lo, v1
	v_and_b32_e32 v43, v43, v1
	v_lshlrev_b32_e32 v1, 29, v42
	v_cmp_gt_i64_e32 vcc, 0, v[0:1]
	v_not_b32_e32 v1, v1
	v_ashrrev_i32_e32 v1, 31, v1
	v_and_b32_e32 v94, v94, v96
	v_xor_b32_e32 v96, vcc_hi, v1
	v_xor_b32_e32 v1, vcc_lo, v1
	v_and_b32_e32 v43, v43, v1
	v_lshlrev_b32_e32 v1, 28, v42
	v_cmp_gt_i64_e32 vcc, 0, v[0:1]
	v_not_b32_e32 v1, v1
	v_ashrrev_i32_e32 v1, 31, v1
	v_and_b32_e32 v94, v94, v96
	;; [unrolled: 8-line block ×5, first 2 shown]
	v_xor_b32_e32 v96, vcc_hi, v1
	v_xor_b32_e32 v1, vcc_lo, v1
	v_and_b32_e32 v94, v94, v96
	v_and_b32_e32 v96, v43, v1
	v_lshlrev_b32_e32 v1, 24, v42
	v_cmp_gt_i64_e32 vcc, 0, v[0:1]
	v_not_b32_e32 v1, v1
	v_ashrrev_i32_e32 v1, 31, v1
	v_xor_b32_e32 v42, vcc_hi, v1
	v_xor_b32_e32 v1, vcc_lo, v1
	; wave barrier
	ds_read_b32 v92, v93 offset:32
	v_and_b32_e32 v43, v94, v42
	v_and_b32_e32 v42, v96, v1
	v_mbcnt_lo_u32_b32 v1, v42, 0
	v_mbcnt_hi_u32_b32 v94, v43, v1
	v_cmp_eq_u32_e32 vcc, 0, v94
	v_cmp_ne_u64_e64 s[4:5], 0, v[42:43]
	s_and_b64 s[28:29], s[4:5], vcc
	; wave barrier
	s_and_saveexec_b64 s[4:5], s[28:29]
	s_cbranch_execz .LBB110_43
; %bb.42:
	v_bcnt_u32_b32 v1, v42, 0
	v_bcnt_u32_b32 v1, v43, v1
	s_waitcnt lgkmcnt(0)
	v_add_u32_e32 v1, v92, v1
	ds_write_b32 v93, v1 offset:32
.LBB110_43:
	s_or_b64 exec, exec, s[4:5]
	v_and_b32_e32 v42, s20, v77
	v_lshlrev_b32_sdwa v1, v95, v42 dst_sel:DWORD dst_unused:UNUSED_PAD src0_sel:DWORD src1_sel:BYTE_0
	v_add_lshl_u32 v96, v86, v1, 2
	v_and_b32_e32 v1, 1, v42
	v_add_co_u32_e32 v43, vcc, -1, v1
	v_addc_co_u32_e64 v97, s[4:5], 0, -1, vcc
	v_cmp_ne_u32_e32 vcc, 0, v1
	v_xor_b32_e32 v1, vcc_hi, v97
	v_and_b32_e32 v97, exec_hi, v1
	v_lshlrev_b32_e32 v1, 30, v42
	v_xor_b32_e32 v43, vcc_lo, v43
	v_cmp_gt_i64_e32 vcc, 0, v[0:1]
	v_not_b32_e32 v1, v1
	v_ashrrev_i32_e32 v1, 31, v1
	v_and_b32_e32 v43, exec_lo, v43
	v_xor_b32_e32 v98, vcc_hi, v1
	v_xor_b32_e32 v1, vcc_lo, v1
	v_and_b32_e32 v43, v43, v1
	v_lshlrev_b32_e32 v1, 29, v42
	v_cmp_gt_i64_e32 vcc, 0, v[0:1]
	v_not_b32_e32 v1, v1
	v_ashrrev_i32_e32 v1, 31, v1
	v_and_b32_e32 v97, v97, v98
	v_xor_b32_e32 v98, vcc_hi, v1
	v_xor_b32_e32 v1, vcc_lo, v1
	v_and_b32_e32 v43, v43, v1
	v_lshlrev_b32_e32 v1, 28, v42
	v_cmp_gt_i64_e32 vcc, 0, v[0:1]
	v_not_b32_e32 v1, v1
	v_ashrrev_i32_e32 v1, 31, v1
	v_and_b32_e32 v97, v97, v98
	;; [unrolled: 8-line block ×5, first 2 shown]
	v_xor_b32_e32 v98, vcc_hi, v1
	v_xor_b32_e32 v1, vcc_lo, v1
	v_and_b32_e32 v43, v43, v1
	v_lshlrev_b32_e32 v1, 24, v42
	v_cmp_gt_i64_e32 vcc, 0, v[0:1]
	v_not_b32_e32 v0, v1
	v_ashrrev_i32_e32 v0, 31, v0
	v_xor_b32_e32 v1, vcc_hi, v0
	v_xor_b32_e32 v0, vcc_lo, v0
	; wave barrier
	ds_read_b32 v95, v96 offset:32
	v_and_b32_e32 v97, v97, v98
	v_and_b32_e32 v0, v43, v0
	;; [unrolled: 1-line block ×3, first 2 shown]
	v_mbcnt_lo_u32_b32 v42, v0, 0
	v_mbcnt_hi_u32_b32 v97, v1, v42
	v_cmp_eq_u32_e32 vcc, 0, v97
	v_cmp_ne_u64_e64 s[4:5], 0, v[0:1]
	s_and_b64 s[28:29], s[4:5], vcc
	; wave barrier
	s_and_saveexec_b64 s[4:5], s[28:29]
	s_cbranch_execz .LBB110_45
; %bb.44:
	v_bcnt_u32_b32 v0, v0, 0
	v_bcnt_u32_b32 v0, v1, v0
	s_waitcnt lgkmcnt(0)
	v_add_u32_e32 v0, v95, v0
	ds_write_b32 v96, v0 offset:32
.LBB110_45:
	s_or_b64 exec, exec, s[4:5]
	v_and_b32_e32 v42, s20, v78
	v_and_b32_e32 v1, 1, v42
	v_add_co_u32_e32 v43, vcc, -1, v1
	v_mov_b32_e32 v101, 3
	v_addc_co_u32_e64 v100, s[4:5], 0, -1, vcc
	v_cmp_ne_u32_e32 vcc, 0, v1
	v_lshlrev_b32_sdwa v0, v101, v42 dst_sel:DWORD dst_unused:UNUSED_PAD src0_sel:DWORD src1_sel:BYTE_0
	v_xor_b32_e32 v1, vcc_hi, v100
	v_add_lshl_u32 v99, v86, v0, 2
	v_mov_b32_e32 v0, 0
	v_and_b32_e32 v100, exec_hi, v1
	v_lshlrev_b32_e32 v1, 30, v42
	v_xor_b32_e32 v43, vcc_lo, v43
	v_cmp_gt_i64_e32 vcc, 0, v[0:1]
	v_not_b32_e32 v1, v1
	v_ashrrev_i32_e32 v1, 31, v1
	v_and_b32_e32 v43, exec_lo, v43
	v_xor_b32_e32 v102, vcc_hi, v1
	v_xor_b32_e32 v1, vcc_lo, v1
	v_and_b32_e32 v43, v43, v1
	v_lshlrev_b32_e32 v1, 29, v42
	v_cmp_gt_i64_e32 vcc, 0, v[0:1]
	v_not_b32_e32 v1, v1
	v_ashrrev_i32_e32 v1, 31, v1
	v_and_b32_e32 v100, v100, v102
	v_xor_b32_e32 v102, vcc_hi, v1
	v_xor_b32_e32 v1, vcc_lo, v1
	v_and_b32_e32 v43, v43, v1
	v_lshlrev_b32_e32 v1, 28, v42
	v_cmp_gt_i64_e32 vcc, 0, v[0:1]
	v_not_b32_e32 v1, v1
	v_ashrrev_i32_e32 v1, 31, v1
	v_and_b32_e32 v100, v100, v102
	;; [unrolled: 8-line block ×5, first 2 shown]
	v_xor_b32_e32 v102, vcc_hi, v1
	v_xor_b32_e32 v1, vcc_lo, v1
	v_and_b32_e32 v100, v100, v102
	v_and_b32_e32 v102, v43, v1
	v_lshlrev_b32_e32 v1, 24, v42
	v_cmp_gt_i64_e32 vcc, 0, v[0:1]
	v_not_b32_e32 v1, v1
	v_ashrrev_i32_e32 v1, 31, v1
	v_xor_b32_e32 v42, vcc_hi, v1
	v_xor_b32_e32 v1, vcc_lo, v1
	; wave barrier
	ds_read_b32 v98, v99 offset:32
	v_and_b32_e32 v43, v100, v42
	v_and_b32_e32 v42, v102, v1
	v_mbcnt_lo_u32_b32 v1, v42, 0
	v_mbcnt_hi_u32_b32 v100, v43, v1
	v_cmp_eq_u32_e32 vcc, 0, v100
	v_cmp_ne_u64_e64 s[4:5], 0, v[42:43]
	s_and_b64 s[28:29], s[4:5], vcc
	; wave barrier
	s_and_saveexec_b64 s[4:5], s[28:29]
	s_cbranch_execz .LBB110_47
; %bb.46:
	v_bcnt_u32_b32 v1, v42, 0
	v_bcnt_u32_b32 v1, v43, v1
	s_waitcnt lgkmcnt(0)
	v_add_u32_e32 v1, v98, v1
	ds_write_b32 v99, v1 offset:32
.LBB110_47:
	s_or_b64 exec, exec, s[4:5]
	v_and_b32_e32 v42, s20, v79
	v_lshlrev_b32_sdwa v1, v101, v42 dst_sel:DWORD dst_unused:UNUSED_PAD src0_sel:DWORD src1_sel:BYTE_0
	v_add_lshl_u32 v101, v86, v1, 2
	v_and_b32_e32 v1, 1, v42
	v_add_co_u32_e32 v43, vcc, -1, v1
	v_addc_co_u32_e64 v103, s[4:5], 0, -1, vcc
	v_cmp_ne_u32_e32 vcc, 0, v1
	v_xor_b32_e32 v1, vcc_hi, v103
	v_and_b32_e32 v103, exec_hi, v1
	v_lshlrev_b32_e32 v1, 30, v42
	v_xor_b32_e32 v43, vcc_lo, v43
	v_cmp_gt_i64_e32 vcc, 0, v[0:1]
	v_not_b32_e32 v1, v1
	v_ashrrev_i32_e32 v1, 31, v1
	v_and_b32_e32 v43, exec_lo, v43
	v_xor_b32_e32 v104, vcc_hi, v1
	v_xor_b32_e32 v1, vcc_lo, v1
	v_and_b32_e32 v43, v43, v1
	v_lshlrev_b32_e32 v1, 29, v42
	v_cmp_gt_i64_e32 vcc, 0, v[0:1]
	v_not_b32_e32 v1, v1
	v_ashrrev_i32_e32 v1, 31, v1
	v_and_b32_e32 v103, v103, v104
	v_xor_b32_e32 v104, vcc_hi, v1
	v_xor_b32_e32 v1, vcc_lo, v1
	v_and_b32_e32 v43, v43, v1
	v_lshlrev_b32_e32 v1, 28, v42
	v_cmp_gt_i64_e32 vcc, 0, v[0:1]
	v_not_b32_e32 v1, v1
	v_ashrrev_i32_e32 v1, 31, v1
	v_and_b32_e32 v103, v103, v104
	;; [unrolled: 8-line block ×5, first 2 shown]
	v_xor_b32_e32 v104, vcc_hi, v1
	v_xor_b32_e32 v1, vcc_lo, v1
	v_and_b32_e32 v43, v43, v1
	v_lshlrev_b32_e32 v1, 24, v42
	v_cmp_gt_i64_e32 vcc, 0, v[0:1]
	v_not_b32_e32 v0, v1
	v_ashrrev_i32_e32 v0, 31, v0
	v_xor_b32_e32 v1, vcc_hi, v0
	v_xor_b32_e32 v0, vcc_lo, v0
	; wave barrier
	ds_read_b32 v86, v101 offset:32
	v_and_b32_e32 v103, v103, v104
	v_and_b32_e32 v0, v43, v0
	;; [unrolled: 1-line block ×3, first 2 shown]
	v_mbcnt_lo_u32_b32 v42, v0, 0
	v_mbcnt_hi_u32_b32 v103, v1, v42
	v_cmp_eq_u32_e32 vcc, 0, v103
	v_cmp_ne_u64_e64 s[4:5], 0, v[0:1]
	v_add_u32_e32 v102, 32, v62
	s_and_b64 s[20:21], s[4:5], vcc
	; wave barrier
	s_and_saveexec_b64 s[4:5], s[20:21]
	s_cbranch_execz .LBB110_49
; %bb.48:
	v_bcnt_u32_b32 v0, v0, 0
	v_bcnt_u32_b32 v0, v1, v0
	s_waitcnt lgkmcnt(0)
	v_add_u32_e32 v0, v86, v0
	ds_write_b32 v101, v0 offset:32
.LBB110_49:
	s_or_b64 exec, exec, s[4:5]
	; wave barrier
	s_waitcnt lgkmcnt(0)
	s_barrier
	ds_read2_b32 v[0:1], v62 offset0:8 offset1:9
	ds_read2_b32 v[42:43], v102 offset0:2 offset1:3
	s_waitcnt lgkmcnt(1)
	v_add_u32_e32 v104, v1, v0
	s_waitcnt lgkmcnt(0)
	v_add3_u32 v43, v104, v42, v43
	v_and_b32_e32 v104, 15, v61
	v_cmp_ne_u32_e32 vcc, 0, v104
	v_mov_b32_dpp v105, v43 row_shr:1 row_mask:0xf bank_mask:0xf
	v_cndmask_b32_e32 v105, 0, v105, vcc
	v_add_u32_e32 v43, v105, v43
	v_cmp_lt_u32_e32 vcc, 1, v104
	s_nop 0
	v_mov_b32_dpp v105, v43 row_shr:2 row_mask:0xf bank_mask:0xf
	v_cndmask_b32_e32 v105, 0, v105, vcc
	v_add_u32_e32 v43, v43, v105
	v_cmp_lt_u32_e32 vcc, 3, v104
	s_nop 0
	;; [unrolled: 5-line block ×3, first 2 shown]
	v_mov_b32_dpp v105, v43 row_shr:8 row_mask:0xf bank_mask:0xf
	v_cndmask_b32_e32 v104, 0, v105, vcc
	v_add_u32_e32 v43, v43, v104
	v_bfe_i32 v105, v61, 4, 1
	v_cmp_lt_u32_e32 vcc, 31, v61
	v_mov_b32_dpp v104, v43 row_bcast:15 row_mask:0xf bank_mask:0xf
	v_and_b32_e32 v104, v105, v104
	v_add_u32_e32 v43, v43, v104
	v_min_u32_e32 v105, 0x1c0, v63
	v_or_b32_e32 v105, 63, v105
	v_mov_b32_dpp v104, v43 row_bcast:31 row_mask:0xf bank_mask:0xf
	v_cndmask_b32_e32 v104, 0, v104, vcc
	v_add_u32_e32 v43, v43, v104
	v_lshrrev_b32_e32 v104, 6, v36
	v_cmp_eq_u32_e32 vcc, v105, v36
	s_and_saveexec_b64 s[4:5], vcc
	s_cbranch_execz .LBB110_51
; %bb.50:
	v_lshlrev_b32_e32 v105, 2, v104
	ds_write_b32 v105, v43
.LBB110_51:
	s_or_b64 exec, exec, s[4:5]
	v_cmp_gt_u32_e32 vcc, 8, v36
	s_waitcnt lgkmcnt(0)
	s_barrier
	s_and_saveexec_b64 s[4:5], vcc
	s_cbranch_execz .LBB110_53
; %bb.52:
	v_lshlrev_b32_e32 v105, 2, v36
	ds_read_b32 v106, v105
	v_and_b32_e32 v107, 7, v61
	v_cmp_ne_u32_e32 vcc, 0, v107
	s_waitcnt lgkmcnt(0)
	v_mov_b32_dpp v108, v106 row_shr:1 row_mask:0xf bank_mask:0xf
	v_cndmask_b32_e32 v108, 0, v108, vcc
	v_add_u32_e32 v106, v108, v106
	v_cmp_lt_u32_e32 vcc, 1, v107
	s_nop 0
	v_mov_b32_dpp v108, v106 row_shr:2 row_mask:0xf bank_mask:0xf
	v_cndmask_b32_e32 v108, 0, v108, vcc
	v_add_u32_e32 v106, v106, v108
	v_cmp_lt_u32_e32 vcc, 3, v107
	s_nop 0
	v_mov_b32_dpp v108, v106 row_shr:4 row_mask:0xf bank_mask:0xf
	v_cndmask_b32_e32 v107, 0, v108, vcc
	v_add_u32_e32 v106, v106, v107
	ds_write_b32 v105, v106
.LBB110_53:
	s_or_b64 exec, exec, s[4:5]
	v_cmp_lt_u32_e32 vcc, 63, v36
	v_mov_b32_e32 v105, 0
	s_waitcnt lgkmcnt(0)
	s_barrier
	s_and_saveexec_b64 s[4:5], vcc
	s_cbranch_execz .LBB110_55
; %bb.54:
	v_lshl_add_u32 v104, v104, 2, -4
	ds_read_b32 v105, v104
.LBB110_55:
	s_or_b64 exec, exec, s[4:5]
	v_add_u32_e32 v104, -1, v61
	v_and_b32_e32 v106, 64, v61
	v_cmp_lt_i32_e32 vcc, v104, v106
	v_cndmask_b32_e32 v104, v104, v61, vcc
	s_waitcnt lgkmcnt(0)
	v_add_u32_e32 v43, v105, v43
	v_lshlrev_b32_e32 v104, 2, v104
	ds_bpermute_b32 v43, v104, v43
	v_cmp_eq_u32_e32 vcc, 0, v61
	s_movk_i32 s4, 0x80
	s_waitcnt lgkmcnt(0)
	v_cndmask_b32_e32 v43, v43, v105, vcc
	v_cmp_ne_u32_e32 vcc, 0, v36
	v_cndmask_b32_e32 v43, 0, v43, vcc
	v_add_u32_e32 v0, v43, v0
	v_add_u32_e32 v1, v0, v1
	;; [unrolled: 1-line block ×3, first 2 shown]
	ds_write2_b32 v62, v43, v0 offset0:8 offset1:9
	ds_write2_b32 v102, v1, v42 offset0:2 offset1:3
	s_waitcnt lgkmcnt(0)
	s_barrier
	ds_read_b32 v0, v80 offset:32
	ds_read_b32 v1, v83 offset:32
	;; [unrolled: 1-line block ×8, first 2 shown]
	s_waitcnt lgkmcnt(7)
	v_add_u32_e32 v81, v0, v81
	s_waitcnt lgkmcnt(6)
	v_add3_u32 v82, v84, v82, v1
	s_waitcnt lgkmcnt(5)
	v_add3_u32 v42, v88, v85, v42
	;; [unrolled: 2-line block ×7, first 2 shown]
	s_barrier
	ds_write_b8 v81, v72
	ds_write_b8 v82, v73
	;; [unrolled: 1-line block ×8, first 2 shown]
	v_lshlrev_b32_e32 v74, 3, v81
	s_waitcnt lgkmcnt(0)
	s_barrier
	ds_read_b64 v[0:1], v53
	s_waitcnt lgkmcnt(0)
	s_barrier
	ds_write_b64 v74, v[30:31]
	v_lshlrev_b32_e32 v30, 3, v82
	ds_write_b64 v30, v[32:33]
	v_lshlrev_b32_e32 v30, 3, v42
	;; [unrolled: 2-line block ×7, first 2 shown]
	v_lshlrev_b32_e32 v30, 3, v53
	ds_write_b64 v18, v[20:21]
	s_waitcnt lgkmcnt(0)
	s_barrier
	ds_read2_b64 v[18:21], v30 offset1:1
	ds_read2_b64 v[22:25], v30 offset0:2 offset1:3
	ds_read2_b64 v[26:29], v30 offset0:4 offset1:5
	;; [unrolled: 1-line block ×3, first 2 shown]
	v_lshrrev_b32_e32 v72, 8, v0
	v_lshrrev_b32_e32 v73, 8, v1
	v_xor_b32_e32 v42, 0x80, v0
	v_xor_b32_sdwa v43, v72, s4 dst_sel:BYTE_1 dst_unused:UNUSED_PAD src0_sel:DWORD src1_sel:DWORD
	v_xor_b32_sdwa v72, v0, s4 dst_sel:DWORD dst_unused:UNUSED_PAD src0_sel:WORD_1 src1_sel:DWORD
	v_xor_b32_sdwa v0, v0, s4 dst_sel:BYTE_1 dst_unused:UNUSED_PAD src0_sel:BYTE_3 src1_sel:DWORD
	v_xor_b32_e32 v74, 0x80, v1
	v_xor_b32_sdwa v73, v73, s4 dst_sel:BYTE_1 dst_unused:UNUSED_PAD src0_sel:DWORD src1_sel:DWORD
	v_xor_b32_sdwa v75, v1, s4 dst_sel:DWORD dst_unused:UNUSED_PAD src0_sel:WORD_1 src1_sel:DWORD
	v_xor_b32_sdwa v1, v1, s4 dst_sel:BYTE_1 dst_unused:UNUSED_PAD src0_sel:BYTE_3 src1_sel:DWORD
	v_or_b32_sdwa v42, v42, v43 dst_sel:DWORD dst_unused:UNUSED_PAD src0_sel:BYTE_0 src1_sel:DWORD
	v_or_b32_sdwa v0, v72, v0 dst_sel:WORD_1 dst_unused:UNUSED_PAD src0_sel:BYTE_0 src1_sel:DWORD
	v_or_b32_sdwa v0, v42, v0 dst_sel:DWORD dst_unused:UNUSED_PAD src0_sel:WORD_0 src1_sel:DWORD
	v_or_b32_sdwa v42, v74, v73 dst_sel:DWORD dst_unused:UNUSED_PAD src0_sel:BYTE_0 src1_sel:DWORD
	v_or_b32_sdwa v1, v75, v1 dst_sel:WORD_1 dst_unused:UNUSED_PAD src0_sel:BYTE_0 src1_sel:DWORD
	v_or_b32_sdwa v1, v42, v1 dst_sel:DWORD dst_unused:UNUSED_PAD src0_sel:WORD_0 src1_sel:DWORD
	s_branch .LBB110_87
.LBB110_56:
	v_mov_b32_e32 v35, 0
	v_lshlrev_b64 v[2:3], 3, v[34:35]
	v_mov_b32_e32 v4, s23
	v_add_co_u32_e32 v2, vcc, s19, v2
	v_addc_co_u32_e32 v3, vcc, v4, v3, vcc
	global_load_dwordx2 v[2:3], v[2:3], off
	v_mov_b32_e32 v4, v35
	v_mov_b32_e32 v5, v35
	;; [unrolled: 1-line block ×14, first 2 shown]
	s_or_b64 exec, exec, s[4:5]
	s_and_saveexec_b64 s[4:5], s[2:3]
	s_cbranch_execz .LBB110_25
.LBB110_57:
	v_mul_lo_u32 v4, v32, s18
	v_mov_b32_e32 v5, 0
	v_lshlrev_b64 v[4:5], 3, v[4:5]
	v_mov_b32_e32 v32, s23
	v_add_co_u32_e32 v4, vcc, s19, v4
	v_addc_co_u32_e32 v5, vcc, v32, v5, vcc
	global_load_dwordx2 v[4:5], v[4:5], off
	s_or_b64 exec, exec, s[4:5]
	s_and_saveexec_b64 s[4:5], s[16:17]
	s_cbranch_execz .LBB110_26
.LBB110_58:
	v_mul_lo_u32 v6, v31, s18
	v_mov_b32_e32 v7, 0
	v_lshlrev_b64 v[6:7], 3, v[6:7]
	v_mov_b32_e32 v31, s23
	v_add_co_u32_e32 v6, vcc, s19, v6
	v_addc_co_u32_e32 v7, vcc, v31, v7, vcc
	global_load_dwordx2 v[6:7], v[6:7], off
	s_or_b64 exec, exec, s[4:5]
	s_and_saveexec_b64 s[4:5], s[6:7]
	s_cbranch_execz .LBB110_27
.LBB110_59:
	v_mul_lo_u32 v8, v30, s18
	v_mov_b32_e32 v9, 0
	v_lshlrev_b64 v[8:9], 3, v[8:9]
	v_mov_b32_e32 v30, s23
	v_add_co_u32_e32 v8, vcc, s19, v8
	v_addc_co_u32_e32 v9, vcc, v30, v9, vcc
	global_load_dwordx2 v[8:9], v[8:9], off
	s_or_b64 exec, exec, s[4:5]
	s_and_saveexec_b64 s[4:5], s[8:9]
	s_cbranch_execz .LBB110_28
.LBB110_60:
	v_mul_lo_u32 v10, v29, s18
	v_mov_b32_e32 v11, 0
	v_lshlrev_b64 v[10:11], 3, v[10:11]
	v_mov_b32_e32 v29, s23
	v_add_co_u32_e32 v10, vcc, s19, v10
	v_addc_co_u32_e32 v11, vcc, v29, v11, vcc
	global_load_dwordx2 v[10:11], v[10:11], off
	s_or_b64 exec, exec, s[4:5]
	s_and_saveexec_b64 s[4:5], s[10:11]
	s_cbranch_execz .LBB110_29
.LBB110_61:
	v_mul_lo_u32 v12, v28, s18
	v_mov_b32_e32 v13, 0
	v_lshlrev_b64 v[12:13], 3, v[12:13]
	v_mov_b32_e32 v28, s23
	v_add_co_u32_e32 v12, vcc, s19, v12
	v_addc_co_u32_e32 v13, vcc, v28, v13, vcc
	global_load_dwordx2 v[12:13], v[12:13], off
	s_or_b64 exec, exec, s[4:5]
	s_and_saveexec_b64 s[4:5], s[12:13]
	s_cbranch_execz .LBB110_30
.LBB110_62:
	v_mul_lo_u32 v14, v27, s18
	v_mov_b32_e32 v15, 0
	v_lshlrev_b64 v[14:15], 3, v[14:15]
	v_mov_b32_e32 v27, s23
	v_add_co_u32_e32 v14, vcc, s19, v14
	v_addc_co_u32_e32 v15, vcc, v27, v15, vcc
	global_load_dwordx2 v[14:15], v[14:15], off
	s_or_b64 exec, exec, s[4:5]
	s_xor_b64 s[4:5], s[28:29], -1
	s_and_saveexec_b64 s[20:21], s[14:15]
	s_cbranch_execnz .LBB110_31
	s_branch .LBB110_32
.LBB110_63:
                                        ; implicit-def: $vgpr1
                                        ; implicit-def: $vgpr32_vgpr33
                                        ; implicit-def: $vgpr28_vgpr29
                                        ; implicit-def: $vgpr24_vgpr25
                                        ; implicit-def: $vgpr20_vgpr21
	s_cbranch_execz .LBB110_87
; %bb.64:
	s_movk_i32 s4, 0x7f
	v_xor_b32_sdwa v0, v67, s4 dst_sel:BYTE_1 dst_unused:UNUSED_PAD src0_sel:DWORD src1_sel:DWORD
	v_xor_b32_e32 v1, 0x7f, v39
	v_or_b32_sdwa v0, v1, v0 dst_sel:DWORD dst_unused:UNUSED_PAD src0_sel:BYTE_0 src1_sel:DWORD
	v_xor_b32_sdwa v1, v39, s4 dst_sel:DWORD dst_unused:UNUSED_PAD src0_sel:BYTE_3 src1_sel:DWORD
	v_lshlrev_b16_e32 v1, 8, v1
	s_waitcnt lgkmcnt(3)
	v_xor_b32_sdwa v18, v39, s4 dst_sel:DWORD dst_unused:UNUSED_PAD src0_sel:WORD_1 src1_sel:DWORD
	v_or_b32_sdwa v1, v18, v1 dst_sel:WORD_1 dst_unused:UNUSED_PAD src0_sel:BYTE_0 src1_sel:DWORD
	v_or_b32_sdwa v1, v0, v1 dst_sel:DWORD dst_unused:UNUSED_PAD src0_sel:WORD_0 src1_sel:DWORD
	v_xor_b32_sdwa v0, v64, s4 dst_sel:BYTE_1 dst_unused:UNUSED_PAD src0_sel:DWORD src1_sel:DWORD
	v_xor_b32_e32 v18, 0x7f, v38
	v_or_b32_sdwa v0, v18, v0 dst_sel:DWORD dst_unused:UNUSED_PAD src0_sel:BYTE_0 src1_sel:DWORD
	v_xor_b32_sdwa v18, v40, s4 dst_sel:BYTE_1 dst_unused:UNUSED_PAD src0_sel:DWORD src1_sel:DWORD
	v_xor_b32_sdwa v19, v38, s4 dst_sel:DWORD dst_unused:UNUSED_PAD src0_sel:WORD_1 src1_sel:DWORD
	v_or_b32_sdwa v18, v19, v18 dst_sel:WORD_1 dst_unused:UNUSED_PAD src0_sel:BYTE_0 src1_sel:DWORD
	v_or_b32_sdwa v0, v0, v18 dst_sel:DWORD dst_unused:UNUSED_PAD src0_sel:WORD_0 src1_sel:DWORD
	s_getpc_b64 s[4:5]
	s_add_u32 s4, s4, _ZN7rocprim17ROCPRIM_400000_NS16block_radix_sortIaLj512ELj8ElLj1ELj1ELj0ELNS0_26block_radix_rank_algorithmE1ELNS0_18block_padding_hintE2ELNS0_4arch9wavefront6targetE1EE19radix_bits_per_passE@rel32@lo+4
	s_addc_u32 s5, s5, _ZN7rocprim17ROCPRIM_400000_NS16block_radix_sortIaLj512ELj8ElLj1ELj1ELj0ELNS0_26block_radix_rank_algorithmE1ELNS0_18block_padding_hintE2ELNS0_4arch9wavefront6targetE1EE19radix_bits_per_passE@rel32@hi+12
	ds_write_b64 v71, v[0:1]
	; wave barrier
	ds_read_u8 v20, v70
	ds_read_u8 v21, v70 offset:64
	s_waitcnt lgkmcnt(5)
	ds_read_u8 v22, v70 offset:128
	ds_read_u8 v23, v70 offset:192
	;; [unrolled: 1-line block ×4, first 2 shown]
	s_waitcnt lgkmcnt(8)
	ds_read_u8 v26, v70 offset:384
	ds_read_u8 v27, v70 offset:448
	s_waitcnt lgkmcnt(0)
	s_barrier
	ds_write2_b64 v69, v[14:15], v[16:17] offset1:1
	ds_write2_b64 v69, v[10:11], v[12:13] offset0:2 offset1:3
	ds_write2_b64 v69, v[6:7], v[8:9] offset0:4 offset1:5
	;; [unrolled: 1-line block ×3, first 2 shown]
	; wave barrier
	ds_read2st64_b64 v[12:15], v68 offset1:1
	ds_read2st64_b64 v[8:11], v68 offset0:2 offset1:3
	ds_read2st64_b64 v[4:7], v68 offset0:4 offset1:5
	;; [unrolled: 1-line block ×3, first 2 shown]
	s_waitcnt lgkmcnt(0)
	s_barrier
	s_load_dword s20, s[4:5], 0x0
	s_load_dword s21, s[26:27], 0xc
	v_mov_b32_e32 v30, 3
	s_waitcnt lgkmcnt(0)
	s_min_u32 s20, s20, 8
	s_lshr_b32 s4, s21, 16
	s_and_b32 s5, s21, 0xffff
	v_mad_u32_u24 v16, v66, s4, v65
	v_mad_u64_u32 v[18:19], s[4:5], v16, s5, v[36:37]
	s_lshl_b32 s4, -1, s20
	s_not_b32 s20, s4
	v_lshrrev_b32_e32 v38, 6, v18
	v_and_b32_e32 v18, s20, v20
	v_lshlrev_b32_sdwa v17, v30, v18 dst_sel:DWORD dst_unused:UNUSED_PAD src0_sel:DWORD src1_sel:BYTE_0
	v_add_lshl_u32 v28, v38, v17, 2
	v_and_b32_e32 v17, 1, v18
	v_add_co_u32_e32 v19, vcc, -1, v17
	v_addc_co_u32_e64 v29, s[4:5], 0, -1, vcc
	v_cmp_ne_u32_e32 vcc, 0, v17
	v_xor_b32_e32 v17, vcc_hi, v29
	v_mov_b32_e32 v16, 0
	v_and_b32_e32 v29, exec_hi, v17
	v_lshlrev_b32_e32 v17, 30, v18
	v_xor_b32_e32 v19, vcc_lo, v19
	v_cmp_gt_i64_e32 vcc, 0, v[16:17]
	v_not_b32_e32 v17, v17
	v_ashrrev_i32_e32 v17, 31, v17
	v_and_b32_e32 v19, exec_lo, v19
	v_xor_b32_e32 v31, vcc_hi, v17
	v_xor_b32_e32 v17, vcc_lo, v17
	v_and_b32_e32 v19, v19, v17
	v_lshlrev_b32_e32 v17, 29, v18
	v_cmp_gt_i64_e32 vcc, 0, v[16:17]
	v_not_b32_e32 v17, v17
	v_ashrrev_i32_e32 v17, 31, v17
	v_and_b32_e32 v29, v29, v31
	v_xor_b32_e32 v31, vcc_hi, v17
	v_xor_b32_e32 v17, vcc_lo, v17
	v_and_b32_e32 v19, v19, v17
	v_lshlrev_b32_e32 v17, 28, v18
	v_cmp_gt_i64_e32 vcc, 0, v[16:17]
	v_not_b32_e32 v17, v17
	v_ashrrev_i32_e32 v17, 31, v17
	v_and_b32_e32 v29, v29, v31
	;; [unrolled: 8-line block ×5, first 2 shown]
	v_xor_b32_e32 v31, vcc_hi, v17
	v_xor_b32_e32 v17, vcc_lo, v17
	v_and_b32_e32 v29, v29, v31
	v_and_b32_e32 v31, v19, v17
	v_lshlrev_b32_e32 v17, 24, v18
	v_cmp_gt_i64_e32 vcc, 0, v[16:17]
	v_not_b32_e32 v17, v17
	v_ashrrev_i32_e32 v17, 31, v17
	v_xor_b32_e32 v18, vcc_hi, v17
	v_xor_b32_e32 v17, vcc_lo, v17
	v_and_b32_e32 v19, v29, v18
	v_and_b32_e32 v18, v31, v17
	v_mbcnt_lo_u32_b32 v17, v18, 0
	v_mbcnt_hi_u32_b32 v29, v19, v17
	v_cmp_eq_u32_e32 vcc, 0, v29
	v_cmp_ne_u64_e64 s[4:5], 0, v[18:19]
	s_and_b64 s[26:27], s[4:5], vcc
	ds_write2_b32 v62, v16, v16 offset0:8 offset1:9
	ds_write2_b32 v62, v16, v16 offset0:10 offset1:11
	s_waitcnt lgkmcnt(0)
	s_barrier
	s_waitcnt lgkmcnt(0)
	; wave barrier
	s_and_saveexec_b64 s[4:5], s[26:27]
	s_cbranch_execz .LBB110_66
; %bb.65:
	v_bcnt_u32_b32 v17, v18, 0
	v_bcnt_u32_b32 v17, v19, v17
	ds_write_b32 v28, v17 offset:32
.LBB110_66:
	s_or_b64 exec, exec, s[4:5]
	v_and_b32_e32 v18, s20, v21
	v_lshlrev_b32_sdwa v17, v30, v18 dst_sel:DWORD dst_unused:UNUSED_PAD src0_sel:DWORD src1_sel:BYTE_0
	v_add_lshl_u32 v31, v38, v17, 2
	v_and_b32_e32 v17, 1, v18
	v_add_co_u32_e32 v19, vcc, -1, v17
	v_addc_co_u32_e64 v32, s[4:5], 0, -1, vcc
	v_cmp_ne_u32_e32 vcc, 0, v17
	v_xor_b32_e32 v17, vcc_hi, v32
	v_and_b32_e32 v32, exec_hi, v17
	v_lshlrev_b32_e32 v17, 30, v18
	v_xor_b32_e32 v19, vcc_lo, v19
	v_cmp_gt_i64_e32 vcc, 0, v[16:17]
	v_not_b32_e32 v17, v17
	v_ashrrev_i32_e32 v17, 31, v17
	v_and_b32_e32 v19, exec_lo, v19
	v_xor_b32_e32 v33, vcc_hi, v17
	v_xor_b32_e32 v17, vcc_lo, v17
	v_and_b32_e32 v19, v19, v17
	v_lshlrev_b32_e32 v17, 29, v18
	v_cmp_gt_i64_e32 vcc, 0, v[16:17]
	v_not_b32_e32 v17, v17
	v_ashrrev_i32_e32 v17, 31, v17
	v_and_b32_e32 v32, v32, v33
	v_xor_b32_e32 v33, vcc_hi, v17
	v_xor_b32_e32 v17, vcc_lo, v17
	v_and_b32_e32 v19, v19, v17
	v_lshlrev_b32_e32 v17, 28, v18
	v_cmp_gt_i64_e32 vcc, 0, v[16:17]
	v_not_b32_e32 v17, v17
	v_ashrrev_i32_e32 v17, 31, v17
	v_and_b32_e32 v32, v32, v33
	;; [unrolled: 8-line block ×5, first 2 shown]
	v_xor_b32_e32 v33, vcc_hi, v17
	v_xor_b32_e32 v17, vcc_lo, v17
	v_and_b32_e32 v19, v19, v17
	v_lshlrev_b32_e32 v17, 24, v18
	v_cmp_gt_i64_e32 vcc, 0, v[16:17]
	v_not_b32_e32 v16, v17
	v_ashrrev_i32_e32 v16, 31, v16
	v_xor_b32_e32 v17, vcc_hi, v16
	v_xor_b32_e32 v16, vcc_lo, v16
	; wave barrier
	ds_read_b32 v30, v31 offset:32
	v_and_b32_e32 v32, v32, v33
	v_and_b32_e32 v16, v19, v16
	;; [unrolled: 1-line block ×3, first 2 shown]
	v_mbcnt_lo_u32_b32 v18, v16, 0
	v_mbcnt_hi_u32_b32 v32, v17, v18
	v_cmp_eq_u32_e32 vcc, 0, v32
	v_cmp_ne_u64_e64 s[4:5], 0, v[16:17]
	s_and_b64 s[26:27], s[4:5], vcc
	; wave barrier
	s_and_saveexec_b64 s[4:5], s[26:27]
	s_cbranch_execz .LBB110_68
; %bb.67:
	v_bcnt_u32_b32 v16, v16, 0
	v_bcnt_u32_b32 v16, v17, v16
	s_waitcnt lgkmcnt(0)
	v_add_u32_e32 v16, v30, v16
	ds_write_b32 v31, v16 offset:32
.LBB110_68:
	s_or_b64 exec, exec, s[4:5]
	v_and_b32_e32 v18, s20, v22
	v_and_b32_e32 v17, 1, v18
	v_add_co_u32_e32 v19, vcc, -1, v17
	v_mov_b32_e32 v42, 3
	v_addc_co_u32_e64 v40, s[4:5], 0, -1, vcc
	v_cmp_ne_u32_e32 vcc, 0, v17
	v_lshlrev_b32_sdwa v16, v42, v18 dst_sel:DWORD dst_unused:UNUSED_PAD src0_sel:DWORD src1_sel:BYTE_0
	v_xor_b32_e32 v17, vcc_hi, v40
	v_add_lshl_u32 v39, v38, v16, 2
	v_mov_b32_e32 v16, 0
	v_and_b32_e32 v40, exec_hi, v17
	v_lshlrev_b32_e32 v17, 30, v18
	v_xor_b32_e32 v19, vcc_lo, v19
	v_cmp_gt_i64_e32 vcc, 0, v[16:17]
	v_not_b32_e32 v17, v17
	v_ashrrev_i32_e32 v17, 31, v17
	v_and_b32_e32 v19, exec_lo, v19
	v_xor_b32_e32 v43, vcc_hi, v17
	v_xor_b32_e32 v17, vcc_lo, v17
	v_and_b32_e32 v19, v19, v17
	v_lshlrev_b32_e32 v17, 29, v18
	v_cmp_gt_i64_e32 vcc, 0, v[16:17]
	v_not_b32_e32 v17, v17
	v_ashrrev_i32_e32 v17, 31, v17
	v_and_b32_e32 v40, v40, v43
	v_xor_b32_e32 v43, vcc_hi, v17
	v_xor_b32_e32 v17, vcc_lo, v17
	v_and_b32_e32 v19, v19, v17
	v_lshlrev_b32_e32 v17, 28, v18
	v_cmp_gt_i64_e32 vcc, 0, v[16:17]
	v_not_b32_e32 v17, v17
	v_ashrrev_i32_e32 v17, 31, v17
	v_and_b32_e32 v40, v40, v43
	;; [unrolled: 8-line block ×5, first 2 shown]
	v_xor_b32_e32 v43, vcc_hi, v17
	v_xor_b32_e32 v17, vcc_lo, v17
	v_and_b32_e32 v40, v40, v43
	v_and_b32_e32 v43, v19, v17
	v_lshlrev_b32_e32 v17, 24, v18
	v_cmp_gt_i64_e32 vcc, 0, v[16:17]
	v_not_b32_e32 v17, v17
	v_ashrrev_i32_e32 v17, 31, v17
	v_xor_b32_e32 v18, vcc_hi, v17
	v_xor_b32_e32 v17, vcc_lo, v17
	; wave barrier
	ds_read_b32 v33, v39 offset:32
	v_and_b32_e32 v19, v40, v18
	v_and_b32_e32 v18, v43, v17
	v_mbcnt_lo_u32_b32 v17, v18, 0
	v_mbcnt_hi_u32_b32 v40, v19, v17
	v_cmp_eq_u32_e32 vcc, 0, v40
	v_cmp_ne_u64_e64 s[4:5], 0, v[18:19]
	s_and_b64 s[26:27], s[4:5], vcc
	; wave barrier
	s_and_saveexec_b64 s[4:5], s[26:27]
	s_cbranch_execz .LBB110_70
; %bb.69:
	v_bcnt_u32_b32 v17, v18, 0
	v_bcnt_u32_b32 v17, v19, v17
	s_waitcnt lgkmcnt(0)
	v_add_u32_e32 v17, v33, v17
	ds_write_b32 v39, v17 offset:32
.LBB110_70:
	s_or_b64 exec, exec, s[4:5]
	v_and_b32_e32 v18, s20, v23
	v_lshlrev_b32_sdwa v17, v42, v18 dst_sel:DWORD dst_unused:UNUSED_PAD src0_sel:DWORD src1_sel:BYTE_0
	v_add_lshl_u32 v43, v38, v17, 2
	v_and_b32_e32 v17, 1, v18
	v_add_co_u32_e32 v19, vcc, -1, v17
	v_addc_co_u32_e64 v64, s[4:5], 0, -1, vcc
	v_cmp_ne_u32_e32 vcc, 0, v17
	v_xor_b32_e32 v17, vcc_hi, v64
	v_and_b32_e32 v64, exec_hi, v17
	v_lshlrev_b32_e32 v17, 30, v18
	v_xor_b32_e32 v19, vcc_lo, v19
	v_cmp_gt_i64_e32 vcc, 0, v[16:17]
	v_not_b32_e32 v17, v17
	v_ashrrev_i32_e32 v17, 31, v17
	v_and_b32_e32 v19, exec_lo, v19
	v_xor_b32_e32 v65, vcc_hi, v17
	v_xor_b32_e32 v17, vcc_lo, v17
	v_and_b32_e32 v19, v19, v17
	v_lshlrev_b32_e32 v17, 29, v18
	v_cmp_gt_i64_e32 vcc, 0, v[16:17]
	v_not_b32_e32 v17, v17
	v_ashrrev_i32_e32 v17, 31, v17
	v_and_b32_e32 v64, v64, v65
	v_xor_b32_e32 v65, vcc_hi, v17
	v_xor_b32_e32 v17, vcc_lo, v17
	v_and_b32_e32 v19, v19, v17
	v_lshlrev_b32_e32 v17, 28, v18
	v_cmp_gt_i64_e32 vcc, 0, v[16:17]
	v_not_b32_e32 v17, v17
	v_ashrrev_i32_e32 v17, 31, v17
	v_and_b32_e32 v64, v64, v65
	;; [unrolled: 8-line block ×5, first 2 shown]
	v_xor_b32_e32 v65, vcc_hi, v17
	v_xor_b32_e32 v17, vcc_lo, v17
	v_and_b32_e32 v19, v19, v17
	v_lshlrev_b32_e32 v17, 24, v18
	v_cmp_gt_i64_e32 vcc, 0, v[16:17]
	v_not_b32_e32 v16, v17
	v_ashrrev_i32_e32 v16, 31, v16
	v_xor_b32_e32 v17, vcc_hi, v16
	v_xor_b32_e32 v16, vcc_lo, v16
	; wave barrier
	ds_read_b32 v42, v43 offset:32
	v_and_b32_e32 v64, v64, v65
	v_and_b32_e32 v16, v19, v16
	;; [unrolled: 1-line block ×3, first 2 shown]
	v_mbcnt_lo_u32_b32 v18, v16, 0
	v_mbcnt_hi_u32_b32 v64, v17, v18
	v_cmp_eq_u32_e32 vcc, 0, v64
	v_cmp_ne_u64_e64 s[4:5], 0, v[16:17]
	s_and_b64 s[26:27], s[4:5], vcc
	; wave barrier
	s_and_saveexec_b64 s[4:5], s[26:27]
	s_cbranch_execz .LBB110_72
; %bb.71:
	v_bcnt_u32_b32 v16, v16, 0
	v_bcnt_u32_b32 v16, v17, v16
	s_waitcnt lgkmcnt(0)
	v_add_u32_e32 v16, v42, v16
	ds_write_b32 v43, v16 offset:32
.LBB110_72:
	s_or_b64 exec, exec, s[4:5]
	v_and_b32_e32 v18, s20, v24
	v_and_b32_e32 v17, 1, v18
	v_add_co_u32_e32 v19, vcc, -1, v17
	v_mov_b32_e32 v68, 3
	v_addc_co_u32_e64 v67, s[4:5], 0, -1, vcc
	v_cmp_ne_u32_e32 vcc, 0, v17
	v_lshlrev_b32_sdwa v16, v68, v18 dst_sel:DWORD dst_unused:UNUSED_PAD src0_sel:DWORD src1_sel:BYTE_0
	v_xor_b32_e32 v17, vcc_hi, v67
	v_add_lshl_u32 v66, v38, v16, 2
	v_mov_b32_e32 v16, 0
	v_and_b32_e32 v67, exec_hi, v17
	v_lshlrev_b32_e32 v17, 30, v18
	v_xor_b32_e32 v19, vcc_lo, v19
	v_cmp_gt_i64_e32 vcc, 0, v[16:17]
	v_not_b32_e32 v17, v17
	v_ashrrev_i32_e32 v17, 31, v17
	v_and_b32_e32 v19, exec_lo, v19
	v_xor_b32_e32 v69, vcc_hi, v17
	v_xor_b32_e32 v17, vcc_lo, v17
	v_and_b32_e32 v19, v19, v17
	v_lshlrev_b32_e32 v17, 29, v18
	v_cmp_gt_i64_e32 vcc, 0, v[16:17]
	v_not_b32_e32 v17, v17
	v_ashrrev_i32_e32 v17, 31, v17
	v_and_b32_e32 v67, v67, v69
	v_xor_b32_e32 v69, vcc_hi, v17
	v_xor_b32_e32 v17, vcc_lo, v17
	v_and_b32_e32 v19, v19, v17
	v_lshlrev_b32_e32 v17, 28, v18
	v_cmp_gt_i64_e32 vcc, 0, v[16:17]
	v_not_b32_e32 v17, v17
	v_ashrrev_i32_e32 v17, 31, v17
	v_and_b32_e32 v67, v67, v69
	;; [unrolled: 8-line block ×5, first 2 shown]
	v_xor_b32_e32 v69, vcc_hi, v17
	v_xor_b32_e32 v17, vcc_lo, v17
	v_and_b32_e32 v67, v67, v69
	v_and_b32_e32 v69, v19, v17
	v_lshlrev_b32_e32 v17, 24, v18
	v_cmp_gt_i64_e32 vcc, 0, v[16:17]
	v_not_b32_e32 v17, v17
	v_ashrrev_i32_e32 v17, 31, v17
	v_xor_b32_e32 v18, vcc_hi, v17
	v_xor_b32_e32 v17, vcc_lo, v17
	; wave barrier
	ds_read_b32 v65, v66 offset:32
	v_and_b32_e32 v19, v67, v18
	v_and_b32_e32 v18, v69, v17
	v_mbcnt_lo_u32_b32 v17, v18, 0
	v_mbcnt_hi_u32_b32 v67, v19, v17
	v_cmp_eq_u32_e32 vcc, 0, v67
	v_cmp_ne_u64_e64 s[4:5], 0, v[18:19]
	s_and_b64 s[26:27], s[4:5], vcc
	; wave barrier
	s_and_saveexec_b64 s[4:5], s[26:27]
	s_cbranch_execz .LBB110_74
; %bb.73:
	v_bcnt_u32_b32 v17, v18, 0
	v_bcnt_u32_b32 v17, v19, v17
	s_waitcnt lgkmcnt(0)
	v_add_u32_e32 v17, v65, v17
	ds_write_b32 v66, v17 offset:32
.LBB110_74:
	s_or_b64 exec, exec, s[4:5]
	v_and_b32_e32 v18, s20, v25
	v_lshlrev_b32_sdwa v17, v68, v18 dst_sel:DWORD dst_unused:UNUSED_PAD src0_sel:DWORD src1_sel:BYTE_0
	v_add_lshl_u32 v69, v38, v17, 2
	v_and_b32_e32 v17, 1, v18
	v_add_co_u32_e32 v19, vcc, -1, v17
	v_addc_co_u32_e64 v70, s[4:5], 0, -1, vcc
	v_cmp_ne_u32_e32 vcc, 0, v17
	v_xor_b32_e32 v17, vcc_hi, v70
	v_and_b32_e32 v70, exec_hi, v17
	v_lshlrev_b32_e32 v17, 30, v18
	v_xor_b32_e32 v19, vcc_lo, v19
	v_cmp_gt_i64_e32 vcc, 0, v[16:17]
	v_not_b32_e32 v17, v17
	v_ashrrev_i32_e32 v17, 31, v17
	v_and_b32_e32 v19, exec_lo, v19
	v_xor_b32_e32 v71, vcc_hi, v17
	v_xor_b32_e32 v17, vcc_lo, v17
	v_and_b32_e32 v19, v19, v17
	v_lshlrev_b32_e32 v17, 29, v18
	v_cmp_gt_i64_e32 vcc, 0, v[16:17]
	v_not_b32_e32 v17, v17
	v_ashrrev_i32_e32 v17, 31, v17
	v_and_b32_e32 v70, v70, v71
	v_xor_b32_e32 v71, vcc_hi, v17
	v_xor_b32_e32 v17, vcc_lo, v17
	v_and_b32_e32 v19, v19, v17
	v_lshlrev_b32_e32 v17, 28, v18
	v_cmp_gt_i64_e32 vcc, 0, v[16:17]
	v_not_b32_e32 v17, v17
	v_ashrrev_i32_e32 v17, 31, v17
	v_and_b32_e32 v70, v70, v71
	;; [unrolled: 8-line block ×5, first 2 shown]
	v_xor_b32_e32 v71, vcc_hi, v17
	v_xor_b32_e32 v17, vcc_lo, v17
	v_and_b32_e32 v19, v19, v17
	v_lshlrev_b32_e32 v17, 24, v18
	v_cmp_gt_i64_e32 vcc, 0, v[16:17]
	v_not_b32_e32 v16, v17
	v_ashrrev_i32_e32 v16, 31, v16
	v_xor_b32_e32 v17, vcc_hi, v16
	v_xor_b32_e32 v16, vcc_lo, v16
	; wave barrier
	ds_read_b32 v68, v69 offset:32
	v_and_b32_e32 v70, v70, v71
	v_and_b32_e32 v16, v19, v16
	;; [unrolled: 1-line block ×3, first 2 shown]
	v_mbcnt_lo_u32_b32 v18, v16, 0
	v_mbcnt_hi_u32_b32 v70, v17, v18
	v_cmp_eq_u32_e32 vcc, 0, v70
	v_cmp_ne_u64_e64 s[4:5], 0, v[16:17]
	s_and_b64 s[26:27], s[4:5], vcc
	; wave barrier
	s_and_saveexec_b64 s[4:5], s[26:27]
	s_cbranch_execz .LBB110_76
; %bb.75:
	v_bcnt_u32_b32 v16, v16, 0
	v_bcnt_u32_b32 v16, v17, v16
	s_waitcnt lgkmcnt(0)
	v_add_u32_e32 v16, v68, v16
	ds_write_b32 v69, v16 offset:32
.LBB110_76:
	s_or_b64 exec, exec, s[4:5]
	v_and_b32_e32 v18, s20, v26
	v_and_b32_e32 v17, 1, v18
	v_add_co_u32_e32 v19, vcc, -1, v17
	v_mov_b32_e32 v74, 3
	v_addc_co_u32_e64 v73, s[4:5], 0, -1, vcc
	v_cmp_ne_u32_e32 vcc, 0, v17
	v_lshlrev_b32_sdwa v16, v74, v18 dst_sel:DWORD dst_unused:UNUSED_PAD src0_sel:DWORD src1_sel:BYTE_0
	v_xor_b32_e32 v17, vcc_hi, v73
	v_add_lshl_u32 v72, v38, v16, 2
	v_mov_b32_e32 v16, 0
	v_and_b32_e32 v73, exec_hi, v17
	v_lshlrev_b32_e32 v17, 30, v18
	v_xor_b32_e32 v19, vcc_lo, v19
	v_cmp_gt_i64_e32 vcc, 0, v[16:17]
	v_not_b32_e32 v17, v17
	v_ashrrev_i32_e32 v17, 31, v17
	v_and_b32_e32 v19, exec_lo, v19
	v_xor_b32_e32 v75, vcc_hi, v17
	v_xor_b32_e32 v17, vcc_lo, v17
	v_and_b32_e32 v19, v19, v17
	v_lshlrev_b32_e32 v17, 29, v18
	v_cmp_gt_i64_e32 vcc, 0, v[16:17]
	v_not_b32_e32 v17, v17
	v_ashrrev_i32_e32 v17, 31, v17
	v_and_b32_e32 v73, v73, v75
	v_xor_b32_e32 v75, vcc_hi, v17
	v_xor_b32_e32 v17, vcc_lo, v17
	v_and_b32_e32 v19, v19, v17
	v_lshlrev_b32_e32 v17, 28, v18
	v_cmp_gt_i64_e32 vcc, 0, v[16:17]
	v_not_b32_e32 v17, v17
	v_ashrrev_i32_e32 v17, 31, v17
	v_and_b32_e32 v73, v73, v75
	v_xor_b32_e32 v75, vcc_hi, v17
	v_xor_b32_e32 v17, vcc_lo, v17
	v_and_b32_e32 v19, v19, v17
	v_lshlrev_b32_e32 v17, 27, v18
	v_cmp_gt_i64_e32 vcc, 0, v[16:17]
	v_not_b32_e32 v17, v17
	v_ashrrev_i32_e32 v17, 31, v17
	v_and_b32_e32 v73, v73, v75
	v_xor_b32_e32 v75, vcc_hi, v17
	v_xor_b32_e32 v17, vcc_lo, v17
	v_and_b32_e32 v19, v19, v17
	v_lshlrev_b32_e32 v17, 26, v18
	v_cmp_gt_i64_e32 vcc, 0, v[16:17]
	v_not_b32_e32 v17, v17
	v_ashrrev_i32_e32 v17, 31, v17
	v_and_b32_e32 v73, v73, v75
	v_xor_b32_e32 v75, vcc_hi, v17
	v_xor_b32_e32 v17, vcc_lo, v17
	v_and_b32_e32 v19, v19, v17
	v_lshlrev_b32_e32 v17, 25, v18
	v_cmp_gt_i64_e32 vcc, 0, v[16:17]
	v_not_b32_e32 v17, v17
	v_ashrrev_i32_e32 v17, 31, v17
	v_and_b32_e32 v73, v73, v75
	v_xor_b32_e32 v75, vcc_hi, v17
	v_xor_b32_e32 v17, vcc_lo, v17
	v_and_b32_e32 v73, v73, v75
	v_and_b32_e32 v75, v19, v17
	v_lshlrev_b32_e32 v17, 24, v18
	v_cmp_gt_i64_e32 vcc, 0, v[16:17]
	v_not_b32_e32 v17, v17
	v_ashrrev_i32_e32 v17, 31, v17
	v_xor_b32_e32 v18, vcc_hi, v17
	v_xor_b32_e32 v17, vcc_lo, v17
	; wave barrier
	ds_read_b32 v71, v72 offset:32
	v_and_b32_e32 v19, v73, v18
	v_and_b32_e32 v18, v75, v17
	v_mbcnt_lo_u32_b32 v17, v18, 0
	v_mbcnt_hi_u32_b32 v73, v19, v17
	v_cmp_eq_u32_e32 vcc, 0, v73
	v_cmp_ne_u64_e64 s[4:5], 0, v[18:19]
	s_and_b64 s[26:27], s[4:5], vcc
	; wave barrier
	s_and_saveexec_b64 s[4:5], s[26:27]
	s_cbranch_execz .LBB110_78
; %bb.77:
	v_bcnt_u32_b32 v17, v18, 0
	v_bcnt_u32_b32 v17, v19, v17
	s_waitcnt lgkmcnt(0)
	v_add_u32_e32 v17, v71, v17
	ds_write_b32 v72, v17 offset:32
.LBB110_78:
	s_or_b64 exec, exec, s[4:5]
	v_and_b32_e32 v18, s20, v27
	v_lshlrev_b32_sdwa v17, v74, v18 dst_sel:DWORD dst_unused:UNUSED_PAD src0_sel:DWORD src1_sel:BYTE_0
	v_add_lshl_u32 v74, v38, v17, 2
	v_and_b32_e32 v17, 1, v18
	v_add_co_u32_e32 v19, vcc, -1, v17
	v_addc_co_u32_e64 v76, s[4:5], 0, -1, vcc
	v_cmp_ne_u32_e32 vcc, 0, v17
	v_xor_b32_e32 v17, vcc_hi, v76
	v_and_b32_e32 v76, exec_hi, v17
	v_lshlrev_b32_e32 v17, 30, v18
	v_xor_b32_e32 v19, vcc_lo, v19
	v_cmp_gt_i64_e32 vcc, 0, v[16:17]
	v_not_b32_e32 v17, v17
	v_ashrrev_i32_e32 v17, 31, v17
	v_and_b32_e32 v19, exec_lo, v19
	v_xor_b32_e32 v77, vcc_hi, v17
	v_xor_b32_e32 v17, vcc_lo, v17
	v_and_b32_e32 v19, v19, v17
	v_lshlrev_b32_e32 v17, 29, v18
	v_cmp_gt_i64_e32 vcc, 0, v[16:17]
	v_not_b32_e32 v17, v17
	v_ashrrev_i32_e32 v17, 31, v17
	v_and_b32_e32 v76, v76, v77
	v_xor_b32_e32 v77, vcc_hi, v17
	v_xor_b32_e32 v17, vcc_lo, v17
	v_and_b32_e32 v19, v19, v17
	v_lshlrev_b32_e32 v17, 28, v18
	v_cmp_gt_i64_e32 vcc, 0, v[16:17]
	v_not_b32_e32 v17, v17
	v_ashrrev_i32_e32 v17, 31, v17
	v_and_b32_e32 v76, v76, v77
	;; [unrolled: 8-line block ×5, first 2 shown]
	v_xor_b32_e32 v77, vcc_hi, v17
	v_xor_b32_e32 v17, vcc_lo, v17
	v_and_b32_e32 v19, v19, v17
	v_lshlrev_b32_e32 v17, 24, v18
	v_cmp_gt_i64_e32 vcc, 0, v[16:17]
	v_not_b32_e32 v16, v17
	v_ashrrev_i32_e32 v16, 31, v16
	v_xor_b32_e32 v17, vcc_hi, v16
	v_xor_b32_e32 v16, vcc_lo, v16
	; wave barrier
	ds_read_b32 v38, v74 offset:32
	v_and_b32_e32 v76, v76, v77
	v_and_b32_e32 v16, v19, v16
	;; [unrolled: 1-line block ×3, first 2 shown]
	v_mbcnt_lo_u32_b32 v18, v16, 0
	v_mbcnt_hi_u32_b32 v76, v17, v18
	v_cmp_eq_u32_e32 vcc, 0, v76
	v_cmp_ne_u64_e64 s[4:5], 0, v[16:17]
	v_add_u32_e32 v75, 32, v62
	s_and_b64 s[20:21], s[4:5], vcc
	; wave barrier
	s_and_saveexec_b64 s[4:5], s[20:21]
	s_cbranch_execz .LBB110_80
; %bb.79:
	v_bcnt_u32_b32 v16, v16, 0
	v_bcnt_u32_b32 v16, v17, v16
	s_waitcnt lgkmcnt(0)
	v_add_u32_e32 v16, v38, v16
	ds_write_b32 v74, v16 offset:32
.LBB110_80:
	s_or_b64 exec, exec, s[4:5]
	; wave barrier
	s_waitcnt lgkmcnt(0)
	s_barrier
	ds_read2_b32 v[16:17], v62 offset0:8 offset1:9
	ds_read2_b32 v[18:19], v75 offset0:2 offset1:3
	v_min_u32_e32 v63, 0x1c0, v63
	v_or_b32_e32 v63, 63, v63
	s_waitcnt lgkmcnt(1)
	v_add_u32_e32 v77, v17, v16
	s_waitcnt lgkmcnt(0)
	v_add3_u32 v19, v77, v18, v19
	v_and_b32_e32 v77, 15, v61
	v_cmp_ne_u32_e32 vcc, 0, v77
	v_mov_b32_dpp v78, v19 row_shr:1 row_mask:0xf bank_mask:0xf
	v_cndmask_b32_e32 v78, 0, v78, vcc
	v_add_u32_e32 v19, v78, v19
	v_cmp_lt_u32_e32 vcc, 1, v77
	s_nop 0
	v_mov_b32_dpp v78, v19 row_shr:2 row_mask:0xf bank_mask:0xf
	v_cndmask_b32_e32 v78, 0, v78, vcc
	v_add_u32_e32 v19, v19, v78
	v_cmp_lt_u32_e32 vcc, 3, v77
	s_nop 0
	;; [unrolled: 5-line block ×3, first 2 shown]
	v_mov_b32_dpp v78, v19 row_shr:8 row_mask:0xf bank_mask:0xf
	v_cndmask_b32_e32 v77, 0, v78, vcc
	v_add_u32_e32 v19, v19, v77
	v_bfe_i32 v78, v61, 4, 1
	v_cmp_lt_u32_e32 vcc, 31, v61
	v_mov_b32_dpp v77, v19 row_bcast:15 row_mask:0xf bank_mask:0xf
	v_and_b32_e32 v77, v78, v77
	v_add_u32_e32 v19, v19, v77
	s_nop 1
	v_mov_b32_dpp v77, v19 row_bcast:31 row_mask:0xf bank_mask:0xf
	v_cndmask_b32_e32 v77, 0, v77, vcc
	v_add_u32_e32 v19, v19, v77
	v_lshrrev_b32_e32 v77, 6, v36
	v_cmp_eq_u32_e32 vcc, v63, v36
	s_and_saveexec_b64 s[4:5], vcc
	s_cbranch_execz .LBB110_82
; %bb.81:
	v_lshlrev_b32_e32 v63, 2, v77
	ds_write_b32 v63, v19
.LBB110_82:
	s_or_b64 exec, exec, s[4:5]
	v_cmp_gt_u32_e32 vcc, 8, v36
	s_waitcnt lgkmcnt(0)
	s_barrier
	s_and_saveexec_b64 s[4:5], vcc
	s_cbranch_execz .LBB110_84
; %bb.83:
	v_lshlrev_b32_e32 v63, 2, v36
	ds_read_b32 v78, v63
	v_and_b32_e32 v79, 7, v61
	v_cmp_ne_u32_e32 vcc, 0, v79
	s_waitcnt lgkmcnt(0)
	v_mov_b32_dpp v80, v78 row_shr:1 row_mask:0xf bank_mask:0xf
	v_cndmask_b32_e32 v80, 0, v80, vcc
	v_add_u32_e32 v78, v80, v78
	v_cmp_lt_u32_e32 vcc, 1, v79
	s_nop 0
	v_mov_b32_dpp v80, v78 row_shr:2 row_mask:0xf bank_mask:0xf
	v_cndmask_b32_e32 v80, 0, v80, vcc
	v_add_u32_e32 v78, v78, v80
	v_cmp_lt_u32_e32 vcc, 3, v79
	s_nop 0
	v_mov_b32_dpp v80, v78 row_shr:4 row_mask:0xf bank_mask:0xf
	v_cndmask_b32_e32 v79, 0, v80, vcc
	v_add_u32_e32 v78, v78, v79
	ds_write_b32 v63, v78
.LBB110_84:
	s_or_b64 exec, exec, s[4:5]
	v_cmp_lt_u32_e32 vcc, 63, v36
	v_mov_b32_e32 v63, 0
	s_waitcnt lgkmcnt(0)
	s_barrier
	s_and_saveexec_b64 s[4:5], vcc
	s_cbranch_execz .LBB110_86
; %bb.85:
	v_lshl_add_u32 v63, v77, 2, -4
	ds_read_b32 v63, v63
.LBB110_86:
	s_or_b64 exec, exec, s[4:5]
	v_add_u32_e32 v77, -1, v61
	v_and_b32_e32 v78, 64, v61
	v_cmp_lt_i32_e32 vcc, v77, v78
	v_cndmask_b32_e32 v77, v77, v61, vcc
	s_waitcnt lgkmcnt(0)
	v_add_u32_e32 v19, v63, v19
	v_lshlrev_b32_e32 v77, 2, v77
	ds_bpermute_b32 v19, v77, v19
	v_cmp_eq_u32_e32 vcc, 0, v61
	s_movk_i32 s4, 0x7f
	s_waitcnt lgkmcnt(0)
	v_cndmask_b32_e32 v19, v19, v63, vcc
	v_cmp_ne_u32_e32 vcc, 0, v36
	v_cndmask_b32_e32 v19, 0, v19, vcc
	v_add_u32_e32 v16, v19, v16
	v_add_u32_e32 v17, v16, v17
	;; [unrolled: 1-line block ×3, first 2 shown]
	ds_write2_b32 v62, v19, v16 offset0:8 offset1:9
	ds_write2_b32 v75, v17, v18 offset0:2 offset1:3
	s_waitcnt lgkmcnt(0)
	s_barrier
	ds_read_b32 v16, v28 offset:32
	ds_read_b32 v17, v31 offset:32
	;; [unrolled: 1-line block ×8, first 2 shown]
	s_waitcnt lgkmcnt(7)
	v_add_u32_e32 v29, v16, v29
	s_waitcnt lgkmcnt(6)
	v_add3_u32 v30, v32, v30, v17
	s_waitcnt lgkmcnt(5)
	v_add3_u32 v18, v40, v33, v18
	;; [unrolled: 2-line block ×7, first 2 shown]
	s_barrier
	ds_write_b8 v29, v20
	ds_write_b8 v30, v21
	;; [unrolled: 1-line block ×8, first 2 shown]
	v_lshlrev_b32_e32 v20, 3, v29
	s_waitcnt lgkmcnt(0)
	s_barrier
	ds_read_b64 v[16:17], v53
	s_waitcnt lgkmcnt(0)
	s_barrier
	ds_write_b64 v20, v[12:13]
	v_lshlrev_b32_e32 v12, 3, v30
	ds_write_b64 v12, v[14:15]
	v_lshlrev_b32_e32 v12, 3, v18
	;; [unrolled: 2-line block ×8, first 2 shown]
	s_waitcnt lgkmcnt(0)
	s_barrier
	ds_read2_b64 v[18:21], v0 offset1:1
	ds_read2_b64 v[22:25], v0 offset0:2 offset1:3
	ds_read2_b64 v[26:29], v0 offset0:4 offset1:5
	;; [unrolled: 1-line block ×3, first 2 shown]
	v_lshrrev_b32_e32 v36, 8, v16
	v_lshrrev_b32_e32 v38, 8, v17
	v_xor_b32_e32 v0, 0x7f, v16
	v_xor_b32_sdwa v1, v36, s4 dst_sel:BYTE_1 dst_unused:UNUSED_PAD src0_sel:DWORD src1_sel:DWORD
	v_xor_b32_sdwa v2, v16, s4 dst_sel:DWORD dst_unused:UNUSED_PAD src0_sel:WORD_1 src1_sel:DWORD
	v_xor_b32_sdwa v3, v16, s4 dst_sel:BYTE_1 dst_unused:UNUSED_PAD src0_sel:BYTE_3 src1_sel:DWORD
	v_xor_b32_e32 v4, 0x7f, v17
	v_xor_b32_sdwa v5, v38, s4 dst_sel:BYTE_1 dst_unused:UNUSED_PAD src0_sel:DWORD src1_sel:DWORD
	v_xor_b32_sdwa v6, v17, s4 dst_sel:DWORD dst_unused:UNUSED_PAD src0_sel:WORD_1 src1_sel:DWORD
	v_xor_b32_sdwa v7, v17, s4 dst_sel:BYTE_1 dst_unused:UNUSED_PAD src0_sel:BYTE_3 src1_sel:DWORD
	v_or_b32_sdwa v0, v0, v1 dst_sel:DWORD dst_unused:UNUSED_PAD src0_sel:BYTE_0 src1_sel:DWORD
	v_or_b32_sdwa v1, v2, v3 dst_sel:WORD_1 dst_unused:UNUSED_PAD src0_sel:BYTE_0 src1_sel:DWORD
	v_or_b32_sdwa v0, v0, v1 dst_sel:DWORD dst_unused:UNUSED_PAD src0_sel:WORD_0 src1_sel:DWORD
	v_or_b32_sdwa v1, v4, v5 dst_sel:DWORD dst_unused:UNUSED_PAD src0_sel:BYTE_0 src1_sel:DWORD
	v_or_b32_sdwa v2, v6, v7 dst_sel:WORD_1 dst_unused:UNUSED_PAD src0_sel:BYTE_0 src1_sel:DWORD
	v_or_b32_sdwa v1, v1, v2 dst_sel:DWORD dst_unused:UNUSED_PAD src0_sel:WORD_0 src1_sel:DWORD
.LBB110_87:
	s_waitcnt lgkmcnt(0)
	s_barrier
	ds_write_b64 v52, v[0:1]
	s_waitcnt lgkmcnt(0)
	s_barrier
	ds_read_u8 v8, v45 offset:512
	ds_read_u8 v7, v46 offset:1024
	;; [unrolled: 1-line block ×7, first 2 shown]
	v_mov_b32_e32 v1, s25
	v_add_co_u32_e32 v0, vcc, s24, v37
	v_addc_co_u32_e32 v1, vcc, 0, v1, vcc
	s_and_saveexec_b64 s[4:5], s[0:1]
	s_cbranch_execnz .LBB110_106
; %bb.88:
	s_or_b64 exec, exec, s[4:5]
	s_and_saveexec_b64 s[4:5], s[2:3]
	s_cbranch_execnz .LBB110_107
.LBB110_89:
	s_or_b64 exec, exec, s[4:5]
	s_and_saveexec_b64 s[4:5], s[16:17]
	s_cbranch_execnz .LBB110_108
.LBB110_90:
	s_or_b64 exec, exec, s[4:5]
	s_and_saveexec_b64 s[4:5], s[6:7]
	s_cbranch_execnz .LBB110_109
.LBB110_91:
	s_or_b64 exec, exec, s[4:5]
	s_and_saveexec_b64 s[4:5], s[8:9]
	s_cbranch_execnz .LBB110_110
.LBB110_92:
	s_or_b64 exec, exec, s[4:5]
	s_and_saveexec_b64 s[4:5], s[10:11]
	s_cbranch_execnz .LBB110_111
.LBB110_93:
	s_or_b64 exec, exec, s[4:5]
	s_and_saveexec_b64 s[4:5], s[12:13]
	s_cbranch_execnz .LBB110_112
.LBB110_94:
	s_or_b64 exec, exec, s[4:5]
	s_and_saveexec_b64 s[4:5], s[14:15]
	s_cbranch_execz .LBB110_96
.LBB110_95:
	s_mul_i32 s20, s22, 0xe00
	v_add_co_u32_e32 v0, vcc, s20, v0
	v_addc_co_u32_e32 v1, vcc, 0, v1, vcc
	s_waitcnt lgkmcnt(0)
	global_store_byte v[0:1], v2, off
.LBB110_96:
	s_or_b64 exec, exec, s[4:5]
	s_waitcnt lgkmcnt(0)
	s_barrier
	ds_write2_b64 v60, v[18:19], v[20:21] offset1:1
	ds_write2_b64 v60, v[22:23], v[24:25] offset0:2 offset1:3
	ds_write2_b64 v60, v[26:27], v[28:29] offset0:4 offset1:5
	;; [unrolled: 1-line block ×3, first 2 shown]
	s_waitcnt lgkmcnt(0)
	s_barrier
	ds_read_b64 v[14:15], v35 offset:4096
	ds_read_b64 v[12:13], v54 offset:8192
	;; [unrolled: 1-line block ×7, first 2 shown]
	v_mov_b32_e32 v35, 0
	v_lshlrev_b64 v[2:3], 3, v[34:35]
	v_mov_b32_e32 v16, s23
	v_add_co_u32_e32 v2, vcc, s19, v2
	v_addc_co_u32_e32 v3, vcc, v16, v3, vcc
	s_and_saveexec_b64 s[4:5], s[0:1]
	s_cbranch_execnz .LBB110_113
; %bb.97:
	s_or_b64 exec, exec, s[4:5]
	s_and_saveexec_b64 s[0:1], s[2:3]
	s_cbranch_execnz .LBB110_114
.LBB110_98:
	s_or_b64 exec, exec, s[0:1]
	s_and_saveexec_b64 s[0:1], s[16:17]
	s_cbranch_execnz .LBB110_115
.LBB110_99:
	s_or_b64 exec, exec, s[0:1]
	s_and_saveexec_b64 s[0:1], s[6:7]
	s_cbranch_execnz .LBB110_116
.LBB110_100:
	s_or_b64 exec, exec, s[0:1]
	s_and_saveexec_b64 s[0:1], s[8:9]
	s_cbranch_execnz .LBB110_117
.LBB110_101:
	s_or_b64 exec, exec, s[0:1]
	s_and_saveexec_b64 s[0:1], s[10:11]
	s_cbranch_execnz .LBB110_118
.LBB110_102:
	s_or_b64 exec, exec, s[0:1]
	s_and_saveexec_b64 s[0:1], s[12:13]
	s_cbranch_execnz .LBB110_119
.LBB110_103:
	s_or_b64 exec, exec, s[0:1]
	s_and_saveexec_b64 s[0:1], s[14:15]
	s_cbranch_execz .LBB110_105
.LBB110_104:
	s_mul_i32 s0, s18, 0xe00
	s_mov_b32 s1, 0
	s_lshl_b64 s[0:1], s[0:1], 3
	s_waitcnt lgkmcnt(1)
	v_mov_b32_e32 v4, s1
	v_add_co_u32_e32 v2, vcc, s0, v2
	v_addc_co_u32_e32 v3, vcc, v3, v4, vcc
	s_waitcnt lgkmcnt(0)
	global_store_dwordx2 v[2:3], v[0:1], off
.LBB110_105:
	s_endpgm
.LBB110_106:
	ds_read_u8 v9, v44
	s_waitcnt lgkmcnt(0)
	global_store_byte v[0:1], v9, off
	s_or_b64 exec, exec, s[4:5]
	s_and_saveexec_b64 s[4:5], s[2:3]
	s_cbranch_execz .LBB110_89
.LBB110_107:
	s_lshl_b32 s20, s22, 9
	v_add_co_u32_e32 v10, vcc, s20, v0
	v_addc_co_u32_e32 v11, vcc, 0, v1, vcc
	s_waitcnt lgkmcnt(6)
	global_store_byte v[10:11], v8, off
	s_or_b64 exec, exec, s[4:5]
	s_and_saveexec_b64 s[4:5], s[16:17]
	s_cbranch_execz .LBB110_90
.LBB110_108:
	s_lshl_b32 s20, s22, 10
	s_waitcnt lgkmcnt(6)
	v_add_co_u32_e32 v8, vcc, s20, v0
	v_addc_co_u32_e32 v9, vcc, 0, v1, vcc
	s_waitcnt lgkmcnt(5)
	global_store_byte v[8:9], v7, off
	s_or_b64 exec, exec, s[4:5]
	s_and_saveexec_b64 s[4:5], s[6:7]
	s_cbranch_execz .LBB110_91
.LBB110_109:
	s_mul_i32 s20, s22, 0x600
	s_waitcnt lgkmcnt(6)
	v_add_co_u32_e32 v8, vcc, s20, v0
	v_addc_co_u32_e32 v9, vcc, 0, v1, vcc
	s_waitcnt lgkmcnt(4)
	global_store_byte v[8:9], v6, off
	s_or_b64 exec, exec, s[4:5]
	s_and_saveexec_b64 s[4:5], s[8:9]
	s_cbranch_execz .LBB110_92
.LBB110_110:
	s_lshl_b32 s20, s22, 11
	s_waitcnt lgkmcnt(4)
	v_add_co_u32_e32 v6, vcc, s20, v0
	v_addc_co_u32_e32 v7, vcc, 0, v1, vcc
	s_waitcnt lgkmcnt(3)
	global_store_byte v[6:7], v5, off
	s_or_b64 exec, exec, s[4:5]
	s_and_saveexec_b64 s[4:5], s[10:11]
	s_cbranch_execz .LBB110_93
.LBB110_111:
	s_mul_i32 s20, s22, 0xa00
	s_waitcnt lgkmcnt(4)
	v_add_co_u32_e32 v6, vcc, s20, v0
	v_addc_co_u32_e32 v7, vcc, 0, v1, vcc
	s_waitcnt lgkmcnt(2)
	global_store_byte v[6:7], v4, off
	s_or_b64 exec, exec, s[4:5]
	s_and_saveexec_b64 s[4:5], s[12:13]
	s_cbranch_execz .LBB110_94
.LBB110_112:
	s_mul_i32 s20, s22, 0xc00
	s_waitcnt lgkmcnt(2)
	v_add_co_u32_e32 v4, vcc, s20, v0
	v_addc_co_u32_e32 v5, vcc, 0, v1, vcc
	s_waitcnt lgkmcnt(1)
	global_store_byte v[4:5], v3, off
	s_or_b64 exec, exec, s[4:5]
	s_and_saveexec_b64 s[4:5], s[14:15]
	s_cbranch_execnz .LBB110_95
	s_branch .LBB110_96
.LBB110_113:
	ds_read_b64 v[16:17], v41
	s_waitcnt lgkmcnt(0)
	global_store_dwordx2 v[2:3], v[16:17], off
	s_or_b64 exec, exec, s[4:5]
	s_and_saveexec_b64 s[0:1], s[2:3]
	s_cbranch_execz .LBB110_98
.LBB110_114:
	s_lshl_b32 s2, s18, 9
	s_mov_b32 s3, 0
	s_lshl_b64 s[2:3], s[2:3], 3
	v_mov_b32_e32 v17, s3
	v_add_co_u32_e32 v16, vcc, s2, v2
	v_addc_co_u32_e32 v17, vcc, v3, v17, vcc
	s_waitcnt lgkmcnt(6)
	global_store_dwordx2 v[16:17], v[14:15], off
	s_or_b64 exec, exec, s[0:1]
	s_and_saveexec_b64 s[0:1], s[16:17]
	s_cbranch_execz .LBB110_99
.LBB110_115:
	s_lshl_b32 s2, s18, 10
	s_mov_b32 s3, 0
	s_lshl_b64 s[2:3], s[2:3], 3
	s_waitcnt lgkmcnt(6)
	v_mov_b32_e32 v15, s3
	v_add_co_u32_e32 v14, vcc, s2, v2
	v_addc_co_u32_e32 v15, vcc, v3, v15, vcc
	s_waitcnt lgkmcnt(5)
	global_store_dwordx2 v[14:15], v[12:13], off
	s_or_b64 exec, exec, s[0:1]
	s_and_saveexec_b64 s[0:1], s[6:7]
	s_cbranch_execz .LBB110_100
.LBB110_116:
	s_mul_i32 s2, s18, 0x600
	s_mov_b32 s3, 0
	s_lshl_b64 s[2:3], s[2:3], 3
	s_waitcnt lgkmcnt(5)
	v_mov_b32_e32 v13, s3
	v_add_co_u32_e32 v12, vcc, s2, v2
	v_addc_co_u32_e32 v13, vcc, v3, v13, vcc
	s_waitcnt lgkmcnt(4)
	global_store_dwordx2 v[12:13], v[10:11], off
	s_or_b64 exec, exec, s[0:1]
	s_and_saveexec_b64 s[0:1], s[8:9]
	s_cbranch_execz .LBB110_101
.LBB110_117:
	s_lshl_b32 s2, s18, 11
	s_mov_b32 s3, 0
	s_lshl_b64 s[2:3], s[2:3], 3
	s_waitcnt lgkmcnt(4)
	v_mov_b32_e32 v11, s3
	v_add_co_u32_e32 v10, vcc, s2, v2
	v_addc_co_u32_e32 v11, vcc, v3, v11, vcc
	s_waitcnt lgkmcnt(3)
	global_store_dwordx2 v[10:11], v[8:9], off
	s_or_b64 exec, exec, s[0:1]
	s_and_saveexec_b64 s[0:1], s[10:11]
	s_cbranch_execz .LBB110_102
.LBB110_118:
	s_mul_i32 s2, s18, 0xa00
	s_mov_b32 s3, 0
	s_lshl_b64 s[2:3], s[2:3], 3
	s_waitcnt lgkmcnt(3)
	v_mov_b32_e32 v9, s3
	v_add_co_u32_e32 v8, vcc, s2, v2
	v_addc_co_u32_e32 v9, vcc, v3, v9, vcc
	s_waitcnt lgkmcnt(2)
	global_store_dwordx2 v[8:9], v[6:7], off
	s_or_b64 exec, exec, s[0:1]
	s_and_saveexec_b64 s[0:1], s[12:13]
	s_cbranch_execz .LBB110_103
.LBB110_119:
	s_mul_i32 s2, s18, 0xc00
	s_mov_b32 s3, 0
	s_lshl_b64 s[2:3], s[2:3], 3
	s_waitcnt lgkmcnt(2)
	v_mov_b32_e32 v7, s3
	v_add_co_u32_e32 v6, vcc, s2, v2
	v_addc_co_u32_e32 v7, vcc, v3, v7, vcc
	s_waitcnt lgkmcnt(1)
	global_store_dwordx2 v[6:7], v[4:5], off
	s_or_b64 exec, exec, s[0:1]
	s_and_saveexec_b64 s[0:1], s[14:15]
	s_cbranch_execnz .LBB110_104
	s_branch .LBB110_105
	.section	.rodata,"a",@progbits
	.p2align	6, 0x0
	.amdhsa_kernel _ZN2at6native18radixSortKVInPlaceILin1ELin1ELi512ELi8EaljEEvNS_4cuda6detail10TensorInfoIT3_T5_EES6_S6_S6_NS4_IT4_S6_EES6_b
		.amdhsa_group_segment_fixed_size 33792
		.amdhsa_private_segment_fixed_size 0
		.amdhsa_kernarg_size 712
		.amdhsa_user_sgpr_count 6
		.amdhsa_user_sgpr_private_segment_buffer 1
		.amdhsa_user_sgpr_dispatch_ptr 0
		.amdhsa_user_sgpr_queue_ptr 0
		.amdhsa_user_sgpr_kernarg_segment_ptr 1
		.amdhsa_user_sgpr_dispatch_id 0
		.amdhsa_user_sgpr_flat_scratch_init 0
		.amdhsa_user_sgpr_kernarg_preload_length 0
		.amdhsa_user_sgpr_kernarg_preload_offset 0
		.amdhsa_user_sgpr_private_segment_size 0
		.amdhsa_uses_dynamic_stack 0
		.amdhsa_system_sgpr_private_segment_wavefront_offset 0
		.amdhsa_system_sgpr_workgroup_id_x 1
		.amdhsa_system_sgpr_workgroup_id_y 1
		.amdhsa_system_sgpr_workgroup_id_z 1
		.amdhsa_system_sgpr_workgroup_info 0
		.amdhsa_system_vgpr_workitem_id 2
		.amdhsa_next_free_vgpr 109
		.amdhsa_next_free_sgpr 52
		.amdhsa_accum_offset 112
		.amdhsa_reserve_vcc 1
		.amdhsa_reserve_flat_scratch 0
		.amdhsa_float_round_mode_32 0
		.amdhsa_float_round_mode_16_64 0
		.amdhsa_float_denorm_mode_32 3
		.amdhsa_float_denorm_mode_16_64 3
		.amdhsa_dx10_clamp 1
		.amdhsa_ieee_mode 1
		.amdhsa_fp16_overflow 0
		.amdhsa_tg_split 0
		.amdhsa_exception_fp_ieee_invalid_op 0
		.amdhsa_exception_fp_denorm_src 0
		.amdhsa_exception_fp_ieee_div_zero 0
		.amdhsa_exception_fp_ieee_overflow 0
		.amdhsa_exception_fp_ieee_underflow 0
		.amdhsa_exception_fp_ieee_inexact 0
		.amdhsa_exception_int_div_zero 0
	.end_amdhsa_kernel
	.section	.text._ZN2at6native18radixSortKVInPlaceILin1ELin1ELi512ELi8EaljEEvNS_4cuda6detail10TensorInfoIT3_T5_EES6_S6_S6_NS4_IT4_S6_EES6_b,"axG",@progbits,_ZN2at6native18radixSortKVInPlaceILin1ELin1ELi512ELi8EaljEEvNS_4cuda6detail10TensorInfoIT3_T5_EES6_S6_S6_NS4_IT4_S6_EES6_b,comdat
.Lfunc_end110:
	.size	_ZN2at6native18radixSortKVInPlaceILin1ELin1ELi512ELi8EaljEEvNS_4cuda6detail10TensorInfoIT3_T5_EES6_S6_S6_NS4_IT4_S6_EES6_b, .Lfunc_end110-_ZN2at6native18radixSortKVInPlaceILin1ELin1ELi512ELi8EaljEEvNS_4cuda6detail10TensorInfoIT3_T5_EES6_S6_S6_NS4_IT4_S6_EES6_b
                                        ; -- End function
	.section	.AMDGPU.csdata,"",@progbits
; Kernel info:
; codeLenInByte = 12172
; NumSgprs: 56
; NumVgprs: 109
; NumAgprs: 0
; TotalNumVgprs: 109
; ScratchSize: 0
; MemoryBound: 0
; FloatMode: 240
; IeeeMode: 1
; LDSByteSize: 33792 bytes/workgroup (compile time only)
; SGPRBlocks: 6
; VGPRBlocks: 13
; NumSGPRsForWavesPerEU: 56
; NumVGPRsForWavesPerEU: 109
; AccumOffset: 112
; Occupancy: 2
; WaveLimiterHint : 1
; COMPUTE_PGM_RSRC2:SCRATCH_EN: 0
; COMPUTE_PGM_RSRC2:USER_SGPR: 6
; COMPUTE_PGM_RSRC2:TRAP_HANDLER: 0
; COMPUTE_PGM_RSRC2:TGID_X_EN: 1
; COMPUTE_PGM_RSRC2:TGID_Y_EN: 1
; COMPUTE_PGM_RSRC2:TGID_Z_EN: 1
; COMPUTE_PGM_RSRC2:TIDIG_COMP_CNT: 2
; COMPUTE_PGM_RSRC3_GFX90A:ACCUM_OFFSET: 27
; COMPUTE_PGM_RSRC3_GFX90A:TG_SPLIT: 0
	.section	.text._ZN2at6native18radixSortKVInPlaceILin1ELin1ELi256ELi8EaljEEvNS_4cuda6detail10TensorInfoIT3_T5_EES6_S6_S6_NS4_IT4_S6_EES6_b,"axG",@progbits,_ZN2at6native18radixSortKVInPlaceILin1ELin1ELi256ELi8EaljEEvNS_4cuda6detail10TensorInfoIT3_T5_EES6_S6_S6_NS4_IT4_S6_EES6_b,comdat
	.protected	_ZN2at6native18radixSortKVInPlaceILin1ELin1ELi256ELi8EaljEEvNS_4cuda6detail10TensorInfoIT3_T5_EES6_S6_S6_NS4_IT4_S6_EES6_b ; -- Begin function _ZN2at6native18radixSortKVInPlaceILin1ELin1ELi256ELi8EaljEEvNS_4cuda6detail10TensorInfoIT3_T5_EES6_S6_S6_NS4_IT4_S6_EES6_b
	.globl	_ZN2at6native18radixSortKVInPlaceILin1ELin1ELi256ELi8EaljEEvNS_4cuda6detail10TensorInfoIT3_T5_EES6_S6_S6_NS4_IT4_S6_EES6_b
	.p2align	8
	.type	_ZN2at6native18radixSortKVInPlaceILin1ELin1ELi256ELi8EaljEEvNS_4cuda6detail10TensorInfoIT3_T5_EES6_S6_S6_NS4_IT4_S6_EES6_b,@function
_ZN2at6native18radixSortKVInPlaceILin1ELin1ELi256ELi8EaljEEvNS_4cuda6detail10TensorInfoIT3_T5_EES6_S6_S6_NS4_IT4_S6_EES6_b: ; @_ZN2at6native18radixSortKVInPlaceILin1ELin1ELi256ELi8EaljEEvNS_4cuda6detail10TensorInfoIT3_T5_EES6_S6_S6_NS4_IT4_S6_EES6_b
; %bb.0:
	s_load_dwordx2 s[0:1], s[4:5], 0x1c8
	s_load_dwordx4 s[20:23], s[4:5], 0xd8
	s_add_u32 s26, s4, 0x1c8
	s_addc_u32 s27, s5, 0
	s_waitcnt lgkmcnt(0)
	s_mul_i32 s1, s1, s8
	s_add_i32 s1, s1, s7
	s_mul_i32 s0, s1, s0
	s_add_i32 s23, s0, s6
	s_cmp_ge_u32 s23, s20
	s_cbranch_scc1 .LBB111_105
; %bb.1:
	s_load_dword s2, s[4:5], 0xd0
	s_mov_b32 s1, 0
	s_mov_b32 s0, s23
	s_waitcnt lgkmcnt(0)
	s_cmp_lt_i32 s2, 2
	s_cbranch_scc1 .LBB111_4
; %bb.2:
	s_add_i32 s0, s2, -1
	s_add_i32 s6, s2, 1
	s_lshl_b64 s[2:3], s[0:1], 2
	s_add_u32 s0, s2, s4
	s_addc_u32 s3, s3, s5
	s_add_u32 s2, s0, 8
	s_addc_u32 s3, s3, 0
	s_mov_b32 s0, s23
.LBB111_3:                              ; =>This Inner Loop Header: Depth=1
	s_load_dword s7, s[2:3], 0x0
	s_load_dword s9, s[2:3], 0x64
	s_mov_b32 s8, s0
	s_waitcnt lgkmcnt(0)
	v_cvt_f32_u32_e32 v1, s7
	s_sub_i32 s0, 0, s7
	v_rcp_iflag_f32_e32 v1, v1
	v_mul_f32_e32 v1, 0x4f7ffffe, v1
	v_cvt_u32_f32_e32 v1, v1
	v_readfirstlane_b32 s10, v1
	s_mul_i32 s0, s0, s10
	s_mul_hi_u32 s0, s10, s0
	s_add_i32 s10, s10, s0
	s_mul_hi_u32 s0, s8, s10
	s_mul_i32 s10, s0, s7
	s_sub_i32 s10, s8, s10
	s_add_i32 s11, s0, 1
	s_sub_i32 s12, s10, s7
	s_cmp_ge_u32 s10, s7
	s_cselect_b32 s0, s11, s0
	s_cselect_b32 s10, s12, s10
	s_add_i32 s11, s0, 1
	s_cmp_ge_u32 s10, s7
	s_cselect_b32 s0, s11, s0
	s_mul_i32 s7, s0, s7
	s_sub_i32 s7, s8, s7
	s_mul_i32 s7, s9, s7
	s_add_i32 s6, s6, -1
	s_add_i32 s1, s7, s1
	s_add_u32 s2, s2, -4
	s_addc_u32 s3, s3, -1
	s_cmp_gt_u32 s6, 2
	s_cbranch_scc1 .LBB111_3
.LBB111_4:
	s_load_dword s2, s[4:5], 0x1b8
	s_mov_b32 s31, 0
	s_waitcnt lgkmcnt(0)
	s_cmp_lt_i32 s2, 2
	s_cbranch_scc1 .LBB111_7
; %bb.5:
	s_add_i32 s30, s2, -1
	s_add_i32 s6, s2, 1
	s_lshl_b64 s[2:3], s[30:31], 2
	s_add_u32 s2, s2, s4
	s_addc_u32 s3, s3, s5
	s_add_u32 s2, s2, 0xf0
	s_addc_u32 s3, s3, 0
.LBB111_6:                              ; =>This Inner Loop Header: Depth=1
	s_load_dword s7, s[2:3], 0x0
	s_load_dword s9, s[2:3], 0x64
	s_mov_b32 s8, s23
	s_waitcnt lgkmcnt(0)
	v_cvt_f32_u32_e32 v1, s7
	s_sub_i32 s10, 0, s7
	v_rcp_iflag_f32_e32 v1, v1
	v_mul_f32_e32 v1, 0x4f7ffffe, v1
	v_cvt_u32_f32_e32 v1, v1
	v_readfirstlane_b32 s11, v1
	s_mul_i32 s10, s10, s11
	s_mul_hi_u32 s10, s11, s10
	s_add_i32 s11, s11, s10
	s_mul_hi_u32 s10, s23, s11
	s_mul_i32 s11, s10, s7
	s_sub_i32 s11, s23, s11
	s_add_i32 s12, s10, 1
	s_sub_i32 s13, s11, s7
	s_cmp_ge_u32 s11, s7
	s_cselect_b32 s10, s12, s10
	s_cselect_b32 s11, s13, s11
	s_add_i32 s12, s10, 1
	s_cmp_ge_u32 s11, s7
	s_cselect_b32 s23, s12, s10
	s_mul_i32 s7, s23, s7
	s_sub_i32 s7, s8, s7
	s_mul_i32 s7, s9, s7
	s_add_i32 s6, s6, -1
	s_add_i32 s31, s7, s31
	s_add_u32 s2, s2, -4
	s_addc_u32 s3, s3, -1
	s_cmp_gt_u32 s6, 2
	s_cbranch_scc1 .LBB111_6
.LBB111_7:
	s_load_dword s2, s[4:5], 0x6c
	s_load_dwordx2 s[18:19], s[4:5], 0x1c0
	s_movk_i32 s6, 0x80
	v_and_b32_e32 v36, 0x3ff, v0
	v_mul_lo_u32 v37, v36, s22
	s_waitcnt lgkmcnt(0)
	s_mul_i32 s0, s2, s0
	s_add_i32 s7, s0, s1
	s_bitcmp1_b32 s19, 0
	s_cselect_b64 s[28:29], -1, 0
	s_load_dwordx2 s[2:3], s[4:5], 0x0
	s_and_b64 s[0:1], s[28:29], exec
	s_cselect_b32 s0, s6, 0x7f
	v_lshlrev_b16_e64 v2, 8, s0
	v_or_b32_e32 v2, s0, v2
	v_lshlrev_b32_e32 v3, 16, v2
	s_waitcnt lgkmcnt(0)
	s_add_u32 s24, s2, s7
	v_or_b32_sdwa v2, v2, v3 dst_sel:DWORD dst_unused:UNUSED_PAD src0_sel:WORD_0 src1_sel:DWORD
	s_addc_u32 s25, s3, 0
	v_mov_b32_e32 v1, s0
	v_mov_b32_e32 v3, v2
	v_cmp_gt_u32_e64 s[0:1], s21, v36
	s_and_saveexec_b64 s[2:3], s[0:1]
	s_cbranch_execz .LBB111_9
; %bb.8:
	global_load_ubyte v1, v37, s[24:25]
	s_mov_b32 s6, 0x3020104
	v_mov_b32_e32 v5, v2
	s_waitcnt vmcnt(0)
	v_perm_b32 v4, v1, v2, s6
	v_pk_mov_b32 v[2:3], v[4:5], v[4:5] op_sel:[0,1]
.LBB111_9:
	s_or_b64 exec, exec, s[2:3]
	v_add_u32_e32 v32, 0x100, v36
	v_cmp_gt_u32_e64 s[2:3], s21, v32
	s_and_saveexec_b64 s[6:7], s[2:3]
	s_cbranch_execz .LBB111_11
; %bb.10:
	v_mul_lo_u32 v4, v32, s22
	global_load_ubyte v4, v4, s[24:25]
	s_mov_b32 s8, 0x7060004
	s_waitcnt vmcnt(0)
	v_perm_b32 v2, v2, v4, s8
.LBB111_11:
	s_or_b64 exec, exec, s[6:7]
	v_add_u32_e32 v31, 0x200, v36
	v_cmp_gt_u32_e64 s[16:17], s21, v31
	s_and_saveexec_b64 s[6:7], s[16:17]
	s_cbranch_execz .LBB111_13
; %bb.12:
	v_mul_lo_u32 v4, v31, s22
	global_load_ubyte v4, v4, s[24:25]
	s_movk_i32 s8, 0xff00
	v_and_b32_sdwa v5, v2, s8 dst_sel:DWORD dst_unused:UNUSED_PAD src0_sel:WORD_1 src1_sel:DWORD
	s_mov_b32 s8, 0xffff
	s_waitcnt vmcnt(0)
	v_or_b32_sdwa v4, v4, v5 dst_sel:WORD_1 dst_unused:UNUSED_PAD src0_sel:DWORD src1_sel:DWORD
	v_and_or_b32 v2, v2, s8, v4
.LBB111_13:
	s_or_b64 exec, exec, s[6:7]
	v_add_u32_e32 v30, 0x300, v36
	v_cmp_gt_u32_e64 s[6:7], s21, v30
	s_and_saveexec_b64 s[8:9], s[6:7]
	s_cbranch_execz .LBB111_15
; %bb.14:
	v_mul_lo_u32 v4, v30, s22
	global_load_ubyte v4, v4, s[24:25]
	s_movk_i32 s10, 0xff
	v_and_b32_sdwa v5, v2, s10 dst_sel:DWORD dst_unused:UNUSED_PAD src0_sel:WORD_1 src1_sel:DWORD
	s_mov_b32 s10, 0xffff
	s_waitcnt vmcnt(0)
	v_lshlrev_b16_e32 v4, 8, v4
	v_or_b32_sdwa v4, v5, v4 dst_sel:WORD_1 dst_unused:UNUSED_PAD src0_sel:DWORD src1_sel:DWORD
	v_and_or_b32 v2, v2, s10, v4
.LBB111_15:
	s_or_b64 exec, exec, s[8:9]
	v_or_b32_e32 v29, 0x400, v36
	v_cmp_gt_u32_e64 s[8:9], s21, v29
	s_and_saveexec_b64 s[10:11], s[8:9]
	s_cbranch_execz .LBB111_17
; %bb.16:
	v_mul_lo_u32 v4, v29, s22
	global_load_ubyte v4, v4, s[24:25]
	s_mov_b32 s12, 0x3020104
	s_waitcnt vmcnt(0)
	v_perm_b32 v3, v4, v3, s12
.LBB111_17:
	s_or_b64 exec, exec, s[10:11]
	v_add_u32_e32 v28, 0x500, v36
	v_cmp_gt_u32_e64 s[10:11], s21, v28
	s_and_saveexec_b64 s[12:13], s[10:11]
	s_cbranch_execz .LBB111_19
; %bb.18:
	v_mul_lo_u32 v4, v28, s22
	global_load_ubyte v4, v4, s[24:25]
	s_mov_b32 s14, 0x7060004
	s_waitcnt vmcnt(0)
	v_perm_b32 v3, v3, v4, s14
.LBB111_19:
	s_or_b64 exec, exec, s[12:13]
	s_load_dwordx2 s[34:35], s[4:5], 0xe8
	v_add_u32_e32 v27, 0x600, v36
	v_cmp_gt_u32_e64 s[12:13], s21, v27
	s_and_saveexec_b64 s[14:15], s[12:13]
	s_cbranch_execz .LBB111_21
; %bb.20:
	v_mul_lo_u32 v4, v27, s22
	global_load_ubyte v4, v4, s[24:25]
	s_mov_b32 s19, 0x7000504
	s_waitcnt vmcnt(0)
	v_perm_b32 v3, v3, v4, s19
.LBB111_21:
	s_or_b64 exec, exec, s[14:15]
	s_load_dword s19, s[4:5], 0x154
	v_add_u32_e32 v22, 0x700, v36
	v_cmp_gt_u32_e64 s[14:15], s21, v22
	s_and_saveexec_b64 s[4:5], s[14:15]
	s_cbranch_execz .LBB111_23
; %bb.22:
	v_mul_lo_u32 v4, v22, s22
	global_load_ubyte v4, v4, s[24:25]
	s_mov_b32 s20, 0x60504
	s_waitcnt vmcnt(0)
	v_perm_b32 v3, v3, v4, s20
.LBB111_23:
	s_or_b64 exec, exec, s[4:5]
	v_lshrrev_b32_e32 v26, 5, v36
	v_and_b32_e32 v4, 28, v26
	v_add_u32_e32 v44, v4, v36
	v_lshrrev_b32_e32 v25, 5, v32
	ds_write_b8 v44, v1
	v_and_b32_e32 v1, 60, v25
	v_lshrrev_b32_e32 v24, 5, v31
	v_add_u32_e32 v45, v1, v36
	v_and_b32_e32 v1, 60, v24
	v_lshrrev_b32_e32 v23, 5, v30
	v_add_u32_e32 v46, v1, v36
	;; [unrolled: 3-line block ×3, first 2 shown]
	v_and_b32_e32 v1, 60, v21
	v_lshrrev_b32_e32 v19, 5, v28
	v_lshrrev_b32_e32 v4, 8, v2
	v_add_u32_e32 v48, v1, v36
	v_and_b32_e32 v1, 0x7c, v19
	v_lshrrev_b32_e32 v18, 5, v27
	ds_write_b8 v45, v4 offset:256
	ds_write_b8_d16_hi v46, v2 offset:512
	v_lshrrev_b32_e32 v2, 24, v2
	v_add_u32_e32 v49, v1, v36
	v_and_b32_e32 v1, 0x7c, v18
	ds_write_b8 v47, v2 offset:768
	v_lshrrev_b32_e32 v2, 8, v3
	v_add_u32_e32 v50, v1, v36
	v_lshrrev_b32_e32 v1, 5, v22
	ds_write_b8 v48, v3 offset:1024
	ds_write_b8 v49, v2 offset:1280
	v_and_b32_e32 v2, 0x7c, v1
	v_lshrrev_b32_e32 v20, 2, v36
	v_add_u32_e32 v51, v2, v36
	v_lshlrev_b32_e32 v53, 3, v36
	v_and_b32_e32 v2, 0xfc, v20
	ds_write_b8_d16_hi v50, v3 offset:1536
	v_lshrrev_b32_e32 v3, 24, v3
	v_add_u32_e32 v52, v2, v53
	s_waitcnt lgkmcnt(0)
	s_mul_i32 s4, s19, s23
	ds_write_b8 v51, v3 offset:1792
	s_waitcnt lgkmcnt(0)
	s_barrier
	ds_read_b64 v[38:39], v52
	s_add_i32 s36, s4, s31
	s_mov_b32 s37, 0
	s_lshl_b64 s[4:5], s[36:37], 3
	s_mov_b32 s36, s37
	s_add_u32 s19, s34, s4
	s_mov_b32 s38, s37
	s_mov_b32 s39, s37
	;; [unrolled: 1-line block ×14, first 2 shown]
	v_pk_mov_b32 v[2:3], s[36:37], s[36:37] op_sel:[0,1]
	s_addc_u32 s23, s35, s5
	v_pk_mov_b32 v[4:5], s[38:39], s[38:39] op_sel:[0,1]
	v_pk_mov_b32 v[6:7], s[40:41], s[40:41] op_sel:[0,1]
	;; [unrolled: 1-line block ×7, first 2 shown]
	v_pk_mov_b32 v[2:3], 0, 0
	v_mul_lo_u32 v34, v36, s18
	s_waitcnt lgkmcnt(0)
	s_barrier
	s_and_saveexec_b64 s[4:5], s[0:1]
	s_cbranch_execnz .LBB111_56
; %bb.24:
	s_or_b64 exec, exec, s[4:5]
	s_and_saveexec_b64 s[4:5], s[2:3]
	s_cbranch_execnz .LBB111_57
.LBB111_25:
	s_or_b64 exec, exec, s[4:5]
	s_and_saveexec_b64 s[4:5], s[16:17]
	s_cbranch_execnz .LBB111_58
.LBB111_26:
	s_or_b64 exec, exec, s[4:5]
	s_and_saveexec_b64 s[4:5], s[6:7]
	s_cbranch_execnz .LBB111_59
.LBB111_27:
	s_or_b64 exec, exec, s[4:5]
	s_and_saveexec_b64 s[4:5], s[8:9]
	s_cbranch_execnz .LBB111_60
.LBB111_28:
	s_or_b64 exec, exec, s[4:5]
	s_and_saveexec_b64 s[4:5], s[10:11]
	s_cbranch_execnz .LBB111_61
.LBB111_29:
	s_or_b64 exec, exec, s[4:5]
	s_and_saveexec_b64 s[4:5], s[12:13]
	s_cbranch_execnz .LBB111_62
.LBB111_30:
	s_or_b64 exec, exec, s[4:5]
	s_xor_b64 s[4:5], s[28:29], -1
	s_and_saveexec_b64 s[20:21], s[14:15]
	s_cbranch_execz .LBB111_32
.LBB111_31:
	v_mul_lo_u32 v16, v22, s18
	v_mov_b32_e32 v17, 0
	v_lshlrev_b64 v[16:17], 3, v[16:17]
	v_mov_b32_e32 v22, s23
	v_add_co_u32_e32 v16, vcc, s19, v16
	v_addc_co_u32_e32 v17, vcc, v22, v17, vcc
	global_load_dwordx2 v[16:17], v[16:17], off
.LBB111_32:
	s_or_b64 exec, exec, s[20:21]
	v_lshrrev_b64 v[40:41], 24, v[38:39]
	v_add_lshl_u32 v41, v26, v36, 3
	v_add_lshl_u32 v35, v25, v36, 3
	;; [unrolled: 1-line block ×9, first 2 shown]
	s_waitcnt vmcnt(0)
	ds_write_b64 v41, v[2:3]
	ds_write_b64 v35, v[4:5] offset:2048
	ds_write_b64 v54, v[6:7] offset:4096
	;; [unrolled: 1-line block ×7, first 2 shown]
	s_waitcnt lgkmcnt(0)
	s_barrier
	ds_read2_b64 v[14:17], v60 offset1:1
	ds_read2_b64 v[10:13], v60 offset0:2 offset1:3
	ds_read2_b64 v[6:9], v60 offset0:4 offset1:5
	;; [unrolled: 1-line block ×3, first 2 shown]
	v_mbcnt_lo_u32_b32 v1, -1, 0
	v_mbcnt_hi_u32_b32 v61, -1, v1
	v_and_b32_e32 v63, 0x3c0, v36
	s_movk_i32 s20, 0x1e00
	v_add_lshl_u32 v71, v61, v63, 3
	v_and_or_b32 v70, v53, s20, v61
	v_lshrrev_b32_e32 v64, 8, v38
	v_lshrrev_b32_e32 v67, 8, v39
	s_and_b64 vcc, exec, s[4:5]
	v_bfe_u32 v65, v0, 10, 10
	v_bfe_u32 v66, v0, 20, 10
	v_lshlrev_b32_e32 v69, 3, v71
	v_lshlrev_b32_e32 v68, 3, v70
	;; [unrolled: 1-line block ×3, first 2 shown]
	s_waitcnt lgkmcnt(0)
	s_barrier
	s_cbranch_vccz .LBB111_63
; %bb.33:
	s_movk_i32 s4, 0x80
	v_xor_b32_sdwa v0, v67, s4 dst_sel:BYTE_1 dst_unused:UNUSED_PAD src0_sel:DWORD src1_sel:DWORD
	v_xor_b32_e32 v1, 0x80, v39
	v_or_b32_sdwa v0, v1, v0 dst_sel:DWORD dst_unused:UNUSED_PAD src0_sel:BYTE_0 src1_sel:DWORD
	v_xor_b32_sdwa v1, v39, s4 dst_sel:DWORD dst_unused:UNUSED_PAD src0_sel:BYTE_3 src1_sel:DWORD
	v_lshlrev_b16_e32 v1, 8, v1
	v_xor_b32_sdwa v18, v39, s4 dst_sel:DWORD dst_unused:UNUSED_PAD src0_sel:WORD_1 src1_sel:DWORD
	v_or_b32_sdwa v1, v18, v1 dst_sel:WORD_1 dst_unused:UNUSED_PAD src0_sel:BYTE_0 src1_sel:DWORD
	v_or_b32_sdwa v1, v0, v1 dst_sel:DWORD dst_unused:UNUSED_PAD src0_sel:WORD_0 src1_sel:DWORD
	v_xor_b32_sdwa v0, v64, s4 dst_sel:BYTE_1 dst_unused:UNUSED_PAD src0_sel:DWORD src1_sel:DWORD
	v_xor_b32_e32 v18, 0x80, v38
	v_or_b32_sdwa v0, v18, v0 dst_sel:DWORD dst_unused:UNUSED_PAD src0_sel:BYTE_0 src1_sel:DWORD
	v_xor_b32_sdwa v18, v40, s4 dst_sel:BYTE_1 dst_unused:UNUSED_PAD src0_sel:DWORD src1_sel:DWORD
	v_xor_b32_sdwa v19, v38, s4 dst_sel:DWORD dst_unused:UNUSED_PAD src0_sel:WORD_1 src1_sel:DWORD
	v_or_b32_sdwa v18, v19, v18 dst_sel:WORD_1 dst_unused:UNUSED_PAD src0_sel:BYTE_0 src1_sel:DWORD
	v_or_b32_sdwa v0, v0, v18 dst_sel:DWORD dst_unused:UNUSED_PAD src0_sel:WORD_0 src1_sel:DWORD
	s_getpc_b64 s[4:5]
	s_add_u32 s4, s4, _ZN7rocprim17ROCPRIM_400000_NS16block_radix_sortIaLj256ELj8ElLj1ELj1ELj0ELNS0_26block_radix_rank_algorithmE1ELNS0_18block_padding_hintE2ELNS0_4arch9wavefront6targetE1EE19radix_bits_per_passE@rel32@lo+4
	s_addc_u32 s5, s5, _ZN7rocprim17ROCPRIM_400000_NS16block_radix_sortIaLj256ELj8ElLj1ELj1ELj0ELNS0_26block_radix_rank_algorithmE1ELNS0_18block_padding_hintE2ELNS0_4arch9wavefront6targetE1EE19radix_bits_per_passE@rel32@hi+12
	ds_write_b64 v71, v[0:1]
	; wave barrier
	ds_read_u8 v72, v70
	ds_read_u8 v73, v70 offset:64
	ds_read_u8 v74, v70 offset:128
	;; [unrolled: 1-line block ×7, first 2 shown]
	s_waitcnt lgkmcnt(0)
	s_barrier
	ds_write2_b64 v69, v[14:15], v[16:17] offset1:1
	ds_write2_b64 v69, v[10:11], v[12:13] offset0:2 offset1:3
	ds_write2_b64 v69, v[6:7], v[8:9] offset0:4 offset1:5
	;; [unrolled: 1-line block ×3, first 2 shown]
	; wave barrier
	ds_read2st64_b64 v[30:33], v68 offset1:1
	ds_read2st64_b64 v[26:29], v68 offset0:2 offset1:3
	ds_read2st64_b64 v[22:25], v68 offset0:4 offset1:5
	;; [unrolled: 1-line block ×3, first 2 shown]
	s_waitcnt lgkmcnt(0)
	s_barrier
	s_load_dword s20, s[4:5], 0x0
	s_load_dword s21, s[26:27], 0xc
	v_mov_b32_e32 v82, 2
	s_waitcnt lgkmcnt(0)
	s_min_u32 s20, s20, 8
	s_lshr_b32 s4, s21, 16
	s_and_b32 s5, s21, 0xffff
	v_mad_u32_u24 v0, v66, s4, v65
	v_mad_u64_u32 v[42:43], s[4:5], v0, s5, v[36:37]
	s_lshl_b32 s4, -1, s20
	s_not_b32 s20, s4
	v_lshrrev_b32_e32 v86, 6, v42
	v_and_b32_e32 v42, s20, v72
	v_lshlrev_b32_sdwa v1, v82, v42 dst_sel:DWORD dst_unused:UNUSED_PAD src0_sel:DWORD src1_sel:BYTE_0
	v_add_lshl_u32 v80, v86, v1, 2
	v_and_b32_e32 v1, 1, v42
	v_add_co_u32_e32 v43, vcc, -1, v1
	v_addc_co_u32_e64 v81, s[4:5], 0, -1, vcc
	v_cmp_ne_u32_e32 vcc, 0, v1
	v_xor_b32_e32 v1, vcc_hi, v81
	v_mov_b32_e32 v0, 0
	v_and_b32_e32 v81, exec_hi, v1
	v_lshlrev_b32_e32 v1, 30, v42
	v_xor_b32_e32 v43, vcc_lo, v43
	v_cmp_gt_i64_e32 vcc, 0, v[0:1]
	v_not_b32_e32 v1, v1
	v_ashrrev_i32_e32 v1, 31, v1
	v_and_b32_e32 v43, exec_lo, v43
	v_xor_b32_e32 v83, vcc_hi, v1
	v_xor_b32_e32 v1, vcc_lo, v1
	v_and_b32_e32 v43, v43, v1
	v_lshlrev_b32_e32 v1, 29, v42
	v_cmp_gt_i64_e32 vcc, 0, v[0:1]
	v_not_b32_e32 v1, v1
	v_ashrrev_i32_e32 v1, 31, v1
	v_and_b32_e32 v81, v81, v83
	v_xor_b32_e32 v83, vcc_hi, v1
	v_xor_b32_e32 v1, vcc_lo, v1
	v_and_b32_e32 v43, v43, v1
	v_lshlrev_b32_e32 v1, 28, v42
	v_cmp_gt_i64_e32 vcc, 0, v[0:1]
	v_not_b32_e32 v1, v1
	v_ashrrev_i32_e32 v1, 31, v1
	v_and_b32_e32 v81, v81, v83
	;; [unrolled: 8-line block ×5, first 2 shown]
	v_xor_b32_e32 v83, vcc_hi, v1
	v_xor_b32_e32 v1, vcc_lo, v1
	v_and_b32_e32 v81, v81, v83
	v_and_b32_e32 v83, v43, v1
	v_lshlrev_b32_e32 v1, 24, v42
	v_cmp_gt_i64_e32 vcc, 0, v[0:1]
	v_not_b32_e32 v1, v1
	v_ashrrev_i32_e32 v1, 31, v1
	v_xor_b32_e32 v42, vcc_hi, v1
	v_xor_b32_e32 v1, vcc_lo, v1
	v_and_b32_e32 v43, v81, v42
	v_and_b32_e32 v42, v83, v1
	v_mbcnt_lo_u32_b32 v1, v42, 0
	v_mbcnt_hi_u32_b32 v81, v43, v1
	v_cmp_eq_u32_e32 vcc, 0, v81
	v_cmp_ne_u64_e64 s[4:5], 0, v[42:43]
	s_and_b64 s[28:29], s[4:5], vcc
	ds_write2_b32 v62, v0, v0 offset0:4 offset1:5
	ds_write2_b32 v62, v0, v0 offset0:6 offset1:7
	s_waitcnt lgkmcnt(0)
	s_barrier
	s_waitcnt lgkmcnt(0)
	; wave barrier
	s_and_saveexec_b64 s[4:5], s[28:29]
	s_cbranch_execz .LBB111_35
; %bb.34:
	v_bcnt_u32_b32 v1, v42, 0
	v_bcnt_u32_b32 v1, v43, v1
	ds_write_b32 v80, v1 offset:16
.LBB111_35:
	s_or_b64 exec, exec, s[4:5]
	v_and_b32_e32 v42, s20, v73
	v_lshlrev_b32_sdwa v1, v82, v42 dst_sel:DWORD dst_unused:UNUSED_PAD src0_sel:DWORD src1_sel:BYTE_0
	v_add_lshl_u32 v83, v86, v1, 2
	v_and_b32_e32 v1, 1, v42
	v_add_co_u32_e32 v43, vcc, -1, v1
	v_addc_co_u32_e64 v84, s[4:5], 0, -1, vcc
	v_cmp_ne_u32_e32 vcc, 0, v1
	v_xor_b32_e32 v1, vcc_hi, v84
	v_and_b32_e32 v84, exec_hi, v1
	v_lshlrev_b32_e32 v1, 30, v42
	v_xor_b32_e32 v43, vcc_lo, v43
	v_cmp_gt_i64_e32 vcc, 0, v[0:1]
	v_not_b32_e32 v1, v1
	v_ashrrev_i32_e32 v1, 31, v1
	v_and_b32_e32 v43, exec_lo, v43
	v_xor_b32_e32 v85, vcc_hi, v1
	v_xor_b32_e32 v1, vcc_lo, v1
	v_and_b32_e32 v43, v43, v1
	v_lshlrev_b32_e32 v1, 29, v42
	v_cmp_gt_i64_e32 vcc, 0, v[0:1]
	v_not_b32_e32 v1, v1
	v_ashrrev_i32_e32 v1, 31, v1
	v_and_b32_e32 v84, v84, v85
	v_xor_b32_e32 v85, vcc_hi, v1
	v_xor_b32_e32 v1, vcc_lo, v1
	v_and_b32_e32 v43, v43, v1
	v_lshlrev_b32_e32 v1, 28, v42
	v_cmp_gt_i64_e32 vcc, 0, v[0:1]
	v_not_b32_e32 v1, v1
	v_ashrrev_i32_e32 v1, 31, v1
	v_and_b32_e32 v84, v84, v85
	;; [unrolled: 8-line block ×5, first 2 shown]
	v_xor_b32_e32 v85, vcc_hi, v1
	v_xor_b32_e32 v1, vcc_lo, v1
	v_and_b32_e32 v43, v43, v1
	v_lshlrev_b32_e32 v1, 24, v42
	v_cmp_gt_i64_e32 vcc, 0, v[0:1]
	v_not_b32_e32 v0, v1
	v_ashrrev_i32_e32 v0, 31, v0
	v_xor_b32_e32 v1, vcc_hi, v0
	v_xor_b32_e32 v0, vcc_lo, v0
	; wave barrier
	ds_read_b32 v82, v83 offset:16
	v_and_b32_e32 v84, v84, v85
	v_and_b32_e32 v0, v43, v0
	;; [unrolled: 1-line block ×3, first 2 shown]
	v_mbcnt_lo_u32_b32 v42, v0, 0
	v_mbcnt_hi_u32_b32 v84, v1, v42
	v_cmp_eq_u32_e32 vcc, 0, v84
	v_cmp_ne_u64_e64 s[4:5], 0, v[0:1]
	s_and_b64 s[28:29], s[4:5], vcc
	; wave barrier
	s_and_saveexec_b64 s[4:5], s[28:29]
	s_cbranch_execz .LBB111_37
; %bb.36:
	v_bcnt_u32_b32 v0, v0, 0
	v_bcnt_u32_b32 v0, v1, v0
	s_waitcnt lgkmcnt(0)
	v_add_u32_e32 v0, v82, v0
	ds_write_b32 v83, v0 offset:16
.LBB111_37:
	s_or_b64 exec, exec, s[4:5]
	v_and_b32_e32 v42, s20, v74
	v_and_b32_e32 v1, 1, v42
	v_add_co_u32_e32 v43, vcc, -1, v1
	v_mov_b32_e32 v89, 2
	v_addc_co_u32_e64 v88, s[4:5], 0, -1, vcc
	v_cmp_ne_u32_e32 vcc, 0, v1
	v_lshlrev_b32_sdwa v0, v89, v42 dst_sel:DWORD dst_unused:UNUSED_PAD src0_sel:DWORD src1_sel:BYTE_0
	v_xor_b32_e32 v1, vcc_hi, v88
	v_add_lshl_u32 v87, v86, v0, 2
	v_mov_b32_e32 v0, 0
	v_and_b32_e32 v88, exec_hi, v1
	v_lshlrev_b32_e32 v1, 30, v42
	v_xor_b32_e32 v43, vcc_lo, v43
	v_cmp_gt_i64_e32 vcc, 0, v[0:1]
	v_not_b32_e32 v1, v1
	v_ashrrev_i32_e32 v1, 31, v1
	v_and_b32_e32 v43, exec_lo, v43
	v_xor_b32_e32 v90, vcc_hi, v1
	v_xor_b32_e32 v1, vcc_lo, v1
	v_and_b32_e32 v43, v43, v1
	v_lshlrev_b32_e32 v1, 29, v42
	v_cmp_gt_i64_e32 vcc, 0, v[0:1]
	v_not_b32_e32 v1, v1
	v_ashrrev_i32_e32 v1, 31, v1
	v_and_b32_e32 v88, v88, v90
	v_xor_b32_e32 v90, vcc_hi, v1
	v_xor_b32_e32 v1, vcc_lo, v1
	v_and_b32_e32 v43, v43, v1
	v_lshlrev_b32_e32 v1, 28, v42
	v_cmp_gt_i64_e32 vcc, 0, v[0:1]
	v_not_b32_e32 v1, v1
	v_ashrrev_i32_e32 v1, 31, v1
	v_and_b32_e32 v88, v88, v90
	;; [unrolled: 8-line block ×5, first 2 shown]
	v_xor_b32_e32 v90, vcc_hi, v1
	v_xor_b32_e32 v1, vcc_lo, v1
	v_and_b32_e32 v88, v88, v90
	v_and_b32_e32 v90, v43, v1
	v_lshlrev_b32_e32 v1, 24, v42
	v_cmp_gt_i64_e32 vcc, 0, v[0:1]
	v_not_b32_e32 v1, v1
	v_ashrrev_i32_e32 v1, 31, v1
	v_xor_b32_e32 v42, vcc_hi, v1
	v_xor_b32_e32 v1, vcc_lo, v1
	; wave barrier
	ds_read_b32 v85, v87 offset:16
	v_and_b32_e32 v43, v88, v42
	v_and_b32_e32 v42, v90, v1
	v_mbcnt_lo_u32_b32 v1, v42, 0
	v_mbcnt_hi_u32_b32 v88, v43, v1
	v_cmp_eq_u32_e32 vcc, 0, v88
	v_cmp_ne_u64_e64 s[4:5], 0, v[42:43]
	s_and_b64 s[28:29], s[4:5], vcc
	; wave barrier
	s_and_saveexec_b64 s[4:5], s[28:29]
	s_cbranch_execz .LBB111_39
; %bb.38:
	v_bcnt_u32_b32 v1, v42, 0
	v_bcnt_u32_b32 v1, v43, v1
	s_waitcnt lgkmcnt(0)
	v_add_u32_e32 v1, v85, v1
	ds_write_b32 v87, v1 offset:16
.LBB111_39:
	s_or_b64 exec, exec, s[4:5]
	v_and_b32_e32 v42, s20, v75
	v_lshlrev_b32_sdwa v1, v89, v42 dst_sel:DWORD dst_unused:UNUSED_PAD src0_sel:DWORD src1_sel:BYTE_0
	v_add_lshl_u32 v90, v86, v1, 2
	v_and_b32_e32 v1, 1, v42
	v_add_co_u32_e32 v43, vcc, -1, v1
	v_addc_co_u32_e64 v91, s[4:5], 0, -1, vcc
	v_cmp_ne_u32_e32 vcc, 0, v1
	v_xor_b32_e32 v1, vcc_hi, v91
	v_and_b32_e32 v91, exec_hi, v1
	v_lshlrev_b32_e32 v1, 30, v42
	v_xor_b32_e32 v43, vcc_lo, v43
	v_cmp_gt_i64_e32 vcc, 0, v[0:1]
	v_not_b32_e32 v1, v1
	v_ashrrev_i32_e32 v1, 31, v1
	v_and_b32_e32 v43, exec_lo, v43
	v_xor_b32_e32 v92, vcc_hi, v1
	v_xor_b32_e32 v1, vcc_lo, v1
	v_and_b32_e32 v43, v43, v1
	v_lshlrev_b32_e32 v1, 29, v42
	v_cmp_gt_i64_e32 vcc, 0, v[0:1]
	v_not_b32_e32 v1, v1
	v_ashrrev_i32_e32 v1, 31, v1
	v_and_b32_e32 v91, v91, v92
	v_xor_b32_e32 v92, vcc_hi, v1
	v_xor_b32_e32 v1, vcc_lo, v1
	v_and_b32_e32 v43, v43, v1
	v_lshlrev_b32_e32 v1, 28, v42
	v_cmp_gt_i64_e32 vcc, 0, v[0:1]
	v_not_b32_e32 v1, v1
	v_ashrrev_i32_e32 v1, 31, v1
	v_and_b32_e32 v91, v91, v92
	;; [unrolled: 8-line block ×5, first 2 shown]
	v_xor_b32_e32 v92, vcc_hi, v1
	v_xor_b32_e32 v1, vcc_lo, v1
	v_and_b32_e32 v43, v43, v1
	v_lshlrev_b32_e32 v1, 24, v42
	v_cmp_gt_i64_e32 vcc, 0, v[0:1]
	v_not_b32_e32 v0, v1
	v_ashrrev_i32_e32 v0, 31, v0
	v_xor_b32_e32 v1, vcc_hi, v0
	v_xor_b32_e32 v0, vcc_lo, v0
	; wave barrier
	ds_read_b32 v89, v90 offset:16
	v_and_b32_e32 v91, v91, v92
	v_and_b32_e32 v0, v43, v0
	;; [unrolled: 1-line block ×3, first 2 shown]
	v_mbcnt_lo_u32_b32 v42, v0, 0
	v_mbcnt_hi_u32_b32 v91, v1, v42
	v_cmp_eq_u32_e32 vcc, 0, v91
	v_cmp_ne_u64_e64 s[4:5], 0, v[0:1]
	s_and_b64 s[28:29], s[4:5], vcc
	; wave barrier
	s_and_saveexec_b64 s[4:5], s[28:29]
	s_cbranch_execz .LBB111_41
; %bb.40:
	v_bcnt_u32_b32 v0, v0, 0
	v_bcnt_u32_b32 v0, v1, v0
	s_waitcnt lgkmcnt(0)
	v_add_u32_e32 v0, v89, v0
	ds_write_b32 v90, v0 offset:16
.LBB111_41:
	s_or_b64 exec, exec, s[4:5]
	v_and_b32_e32 v42, s20, v76
	v_and_b32_e32 v1, 1, v42
	v_add_co_u32_e32 v43, vcc, -1, v1
	v_mov_b32_e32 v95, 2
	v_addc_co_u32_e64 v94, s[4:5], 0, -1, vcc
	v_cmp_ne_u32_e32 vcc, 0, v1
	v_lshlrev_b32_sdwa v0, v95, v42 dst_sel:DWORD dst_unused:UNUSED_PAD src0_sel:DWORD src1_sel:BYTE_0
	v_xor_b32_e32 v1, vcc_hi, v94
	v_add_lshl_u32 v93, v86, v0, 2
	v_mov_b32_e32 v0, 0
	v_and_b32_e32 v94, exec_hi, v1
	v_lshlrev_b32_e32 v1, 30, v42
	v_xor_b32_e32 v43, vcc_lo, v43
	v_cmp_gt_i64_e32 vcc, 0, v[0:1]
	v_not_b32_e32 v1, v1
	v_ashrrev_i32_e32 v1, 31, v1
	v_and_b32_e32 v43, exec_lo, v43
	v_xor_b32_e32 v96, vcc_hi, v1
	v_xor_b32_e32 v1, vcc_lo, v1
	v_and_b32_e32 v43, v43, v1
	v_lshlrev_b32_e32 v1, 29, v42
	v_cmp_gt_i64_e32 vcc, 0, v[0:1]
	v_not_b32_e32 v1, v1
	v_ashrrev_i32_e32 v1, 31, v1
	v_and_b32_e32 v94, v94, v96
	v_xor_b32_e32 v96, vcc_hi, v1
	v_xor_b32_e32 v1, vcc_lo, v1
	v_and_b32_e32 v43, v43, v1
	v_lshlrev_b32_e32 v1, 28, v42
	v_cmp_gt_i64_e32 vcc, 0, v[0:1]
	v_not_b32_e32 v1, v1
	v_ashrrev_i32_e32 v1, 31, v1
	v_and_b32_e32 v94, v94, v96
	;; [unrolled: 8-line block ×5, first 2 shown]
	v_xor_b32_e32 v96, vcc_hi, v1
	v_xor_b32_e32 v1, vcc_lo, v1
	v_and_b32_e32 v94, v94, v96
	v_and_b32_e32 v96, v43, v1
	v_lshlrev_b32_e32 v1, 24, v42
	v_cmp_gt_i64_e32 vcc, 0, v[0:1]
	v_not_b32_e32 v1, v1
	v_ashrrev_i32_e32 v1, 31, v1
	v_xor_b32_e32 v42, vcc_hi, v1
	v_xor_b32_e32 v1, vcc_lo, v1
	; wave barrier
	ds_read_b32 v92, v93 offset:16
	v_and_b32_e32 v43, v94, v42
	v_and_b32_e32 v42, v96, v1
	v_mbcnt_lo_u32_b32 v1, v42, 0
	v_mbcnt_hi_u32_b32 v94, v43, v1
	v_cmp_eq_u32_e32 vcc, 0, v94
	v_cmp_ne_u64_e64 s[4:5], 0, v[42:43]
	s_and_b64 s[28:29], s[4:5], vcc
	; wave barrier
	s_and_saveexec_b64 s[4:5], s[28:29]
	s_cbranch_execz .LBB111_43
; %bb.42:
	v_bcnt_u32_b32 v1, v42, 0
	v_bcnt_u32_b32 v1, v43, v1
	s_waitcnt lgkmcnt(0)
	v_add_u32_e32 v1, v92, v1
	ds_write_b32 v93, v1 offset:16
.LBB111_43:
	s_or_b64 exec, exec, s[4:5]
	v_and_b32_e32 v42, s20, v77
	v_lshlrev_b32_sdwa v1, v95, v42 dst_sel:DWORD dst_unused:UNUSED_PAD src0_sel:DWORD src1_sel:BYTE_0
	v_add_lshl_u32 v96, v86, v1, 2
	v_and_b32_e32 v1, 1, v42
	v_add_co_u32_e32 v43, vcc, -1, v1
	v_addc_co_u32_e64 v97, s[4:5], 0, -1, vcc
	v_cmp_ne_u32_e32 vcc, 0, v1
	v_xor_b32_e32 v1, vcc_hi, v97
	v_and_b32_e32 v97, exec_hi, v1
	v_lshlrev_b32_e32 v1, 30, v42
	v_xor_b32_e32 v43, vcc_lo, v43
	v_cmp_gt_i64_e32 vcc, 0, v[0:1]
	v_not_b32_e32 v1, v1
	v_ashrrev_i32_e32 v1, 31, v1
	v_and_b32_e32 v43, exec_lo, v43
	v_xor_b32_e32 v98, vcc_hi, v1
	v_xor_b32_e32 v1, vcc_lo, v1
	v_and_b32_e32 v43, v43, v1
	v_lshlrev_b32_e32 v1, 29, v42
	v_cmp_gt_i64_e32 vcc, 0, v[0:1]
	v_not_b32_e32 v1, v1
	v_ashrrev_i32_e32 v1, 31, v1
	v_and_b32_e32 v97, v97, v98
	v_xor_b32_e32 v98, vcc_hi, v1
	v_xor_b32_e32 v1, vcc_lo, v1
	v_and_b32_e32 v43, v43, v1
	v_lshlrev_b32_e32 v1, 28, v42
	v_cmp_gt_i64_e32 vcc, 0, v[0:1]
	v_not_b32_e32 v1, v1
	v_ashrrev_i32_e32 v1, 31, v1
	v_and_b32_e32 v97, v97, v98
	;; [unrolled: 8-line block ×5, first 2 shown]
	v_xor_b32_e32 v98, vcc_hi, v1
	v_xor_b32_e32 v1, vcc_lo, v1
	v_and_b32_e32 v43, v43, v1
	v_lshlrev_b32_e32 v1, 24, v42
	v_cmp_gt_i64_e32 vcc, 0, v[0:1]
	v_not_b32_e32 v0, v1
	v_ashrrev_i32_e32 v0, 31, v0
	v_xor_b32_e32 v1, vcc_hi, v0
	v_xor_b32_e32 v0, vcc_lo, v0
	; wave barrier
	ds_read_b32 v95, v96 offset:16
	v_and_b32_e32 v97, v97, v98
	v_and_b32_e32 v0, v43, v0
	v_and_b32_e32 v1, v97, v1
	v_mbcnt_lo_u32_b32 v42, v0, 0
	v_mbcnt_hi_u32_b32 v97, v1, v42
	v_cmp_eq_u32_e32 vcc, 0, v97
	v_cmp_ne_u64_e64 s[4:5], 0, v[0:1]
	s_and_b64 s[28:29], s[4:5], vcc
	; wave barrier
	s_and_saveexec_b64 s[4:5], s[28:29]
	s_cbranch_execz .LBB111_45
; %bb.44:
	v_bcnt_u32_b32 v0, v0, 0
	v_bcnt_u32_b32 v0, v1, v0
	s_waitcnt lgkmcnt(0)
	v_add_u32_e32 v0, v95, v0
	ds_write_b32 v96, v0 offset:16
.LBB111_45:
	s_or_b64 exec, exec, s[4:5]
	v_and_b32_e32 v42, s20, v78
	v_and_b32_e32 v1, 1, v42
	v_add_co_u32_e32 v43, vcc, -1, v1
	v_mov_b32_e32 v101, 2
	v_addc_co_u32_e64 v100, s[4:5], 0, -1, vcc
	v_cmp_ne_u32_e32 vcc, 0, v1
	v_lshlrev_b32_sdwa v0, v101, v42 dst_sel:DWORD dst_unused:UNUSED_PAD src0_sel:DWORD src1_sel:BYTE_0
	v_xor_b32_e32 v1, vcc_hi, v100
	v_add_lshl_u32 v99, v86, v0, 2
	v_mov_b32_e32 v0, 0
	v_and_b32_e32 v100, exec_hi, v1
	v_lshlrev_b32_e32 v1, 30, v42
	v_xor_b32_e32 v43, vcc_lo, v43
	v_cmp_gt_i64_e32 vcc, 0, v[0:1]
	v_not_b32_e32 v1, v1
	v_ashrrev_i32_e32 v1, 31, v1
	v_and_b32_e32 v43, exec_lo, v43
	v_xor_b32_e32 v102, vcc_hi, v1
	v_xor_b32_e32 v1, vcc_lo, v1
	v_and_b32_e32 v43, v43, v1
	v_lshlrev_b32_e32 v1, 29, v42
	v_cmp_gt_i64_e32 vcc, 0, v[0:1]
	v_not_b32_e32 v1, v1
	v_ashrrev_i32_e32 v1, 31, v1
	v_and_b32_e32 v100, v100, v102
	v_xor_b32_e32 v102, vcc_hi, v1
	v_xor_b32_e32 v1, vcc_lo, v1
	v_and_b32_e32 v43, v43, v1
	v_lshlrev_b32_e32 v1, 28, v42
	v_cmp_gt_i64_e32 vcc, 0, v[0:1]
	v_not_b32_e32 v1, v1
	v_ashrrev_i32_e32 v1, 31, v1
	v_and_b32_e32 v100, v100, v102
	;; [unrolled: 8-line block ×5, first 2 shown]
	v_xor_b32_e32 v102, vcc_hi, v1
	v_xor_b32_e32 v1, vcc_lo, v1
	v_and_b32_e32 v100, v100, v102
	v_and_b32_e32 v102, v43, v1
	v_lshlrev_b32_e32 v1, 24, v42
	v_cmp_gt_i64_e32 vcc, 0, v[0:1]
	v_not_b32_e32 v1, v1
	v_ashrrev_i32_e32 v1, 31, v1
	v_xor_b32_e32 v42, vcc_hi, v1
	v_xor_b32_e32 v1, vcc_lo, v1
	; wave barrier
	ds_read_b32 v98, v99 offset:16
	v_and_b32_e32 v43, v100, v42
	v_and_b32_e32 v42, v102, v1
	v_mbcnt_lo_u32_b32 v1, v42, 0
	v_mbcnt_hi_u32_b32 v100, v43, v1
	v_cmp_eq_u32_e32 vcc, 0, v100
	v_cmp_ne_u64_e64 s[4:5], 0, v[42:43]
	s_and_b64 s[28:29], s[4:5], vcc
	; wave barrier
	s_and_saveexec_b64 s[4:5], s[28:29]
	s_cbranch_execz .LBB111_47
; %bb.46:
	v_bcnt_u32_b32 v1, v42, 0
	v_bcnt_u32_b32 v1, v43, v1
	s_waitcnt lgkmcnt(0)
	v_add_u32_e32 v1, v98, v1
	ds_write_b32 v99, v1 offset:16
.LBB111_47:
	s_or_b64 exec, exec, s[4:5]
	v_and_b32_e32 v42, s20, v79
	v_lshlrev_b32_sdwa v1, v101, v42 dst_sel:DWORD dst_unused:UNUSED_PAD src0_sel:DWORD src1_sel:BYTE_0
	v_add_lshl_u32 v101, v86, v1, 2
	v_and_b32_e32 v1, 1, v42
	v_add_co_u32_e32 v43, vcc, -1, v1
	v_addc_co_u32_e64 v103, s[4:5], 0, -1, vcc
	v_cmp_ne_u32_e32 vcc, 0, v1
	v_xor_b32_e32 v1, vcc_hi, v103
	v_and_b32_e32 v103, exec_hi, v1
	v_lshlrev_b32_e32 v1, 30, v42
	v_xor_b32_e32 v43, vcc_lo, v43
	v_cmp_gt_i64_e32 vcc, 0, v[0:1]
	v_not_b32_e32 v1, v1
	v_ashrrev_i32_e32 v1, 31, v1
	v_and_b32_e32 v43, exec_lo, v43
	v_xor_b32_e32 v104, vcc_hi, v1
	v_xor_b32_e32 v1, vcc_lo, v1
	v_and_b32_e32 v43, v43, v1
	v_lshlrev_b32_e32 v1, 29, v42
	v_cmp_gt_i64_e32 vcc, 0, v[0:1]
	v_not_b32_e32 v1, v1
	v_ashrrev_i32_e32 v1, 31, v1
	v_and_b32_e32 v103, v103, v104
	v_xor_b32_e32 v104, vcc_hi, v1
	v_xor_b32_e32 v1, vcc_lo, v1
	v_and_b32_e32 v43, v43, v1
	v_lshlrev_b32_e32 v1, 28, v42
	v_cmp_gt_i64_e32 vcc, 0, v[0:1]
	v_not_b32_e32 v1, v1
	v_ashrrev_i32_e32 v1, 31, v1
	v_and_b32_e32 v103, v103, v104
	v_xor_b32_e32 v104, vcc_hi, v1
	v_xor_b32_e32 v1, vcc_lo, v1
	v_and_b32_e32 v43, v43, v1
	v_lshlrev_b32_e32 v1, 27, v42
	v_cmp_gt_i64_e32 vcc, 0, v[0:1]
	v_not_b32_e32 v1, v1
	v_ashrrev_i32_e32 v1, 31, v1
	v_and_b32_e32 v103, v103, v104
	v_xor_b32_e32 v104, vcc_hi, v1
	v_xor_b32_e32 v1, vcc_lo, v1
	v_and_b32_e32 v43, v43, v1
	v_lshlrev_b32_e32 v1, 26, v42
	v_cmp_gt_i64_e32 vcc, 0, v[0:1]
	v_not_b32_e32 v1, v1
	v_ashrrev_i32_e32 v1, 31, v1
	v_and_b32_e32 v103, v103, v104
	v_xor_b32_e32 v104, vcc_hi, v1
	v_xor_b32_e32 v1, vcc_lo, v1
	v_and_b32_e32 v43, v43, v1
	v_lshlrev_b32_e32 v1, 25, v42
	v_cmp_gt_i64_e32 vcc, 0, v[0:1]
	v_not_b32_e32 v1, v1
	v_ashrrev_i32_e32 v1, 31, v1
	v_and_b32_e32 v103, v103, v104
	v_xor_b32_e32 v104, vcc_hi, v1
	v_xor_b32_e32 v1, vcc_lo, v1
	v_and_b32_e32 v43, v43, v1
	v_lshlrev_b32_e32 v1, 24, v42
	v_cmp_gt_i64_e32 vcc, 0, v[0:1]
	v_not_b32_e32 v0, v1
	v_ashrrev_i32_e32 v0, 31, v0
	v_xor_b32_e32 v1, vcc_hi, v0
	v_xor_b32_e32 v0, vcc_lo, v0
	; wave barrier
	ds_read_b32 v86, v101 offset:16
	v_and_b32_e32 v103, v103, v104
	v_and_b32_e32 v0, v43, v0
	;; [unrolled: 1-line block ×3, first 2 shown]
	v_mbcnt_lo_u32_b32 v42, v0, 0
	v_mbcnt_hi_u32_b32 v103, v1, v42
	v_cmp_eq_u32_e32 vcc, 0, v103
	v_cmp_ne_u64_e64 s[4:5], 0, v[0:1]
	v_add_u32_e32 v102, 16, v62
	s_and_b64 s[20:21], s[4:5], vcc
	; wave barrier
	s_and_saveexec_b64 s[4:5], s[20:21]
	s_cbranch_execz .LBB111_49
; %bb.48:
	v_bcnt_u32_b32 v0, v0, 0
	v_bcnt_u32_b32 v0, v1, v0
	s_waitcnt lgkmcnt(0)
	v_add_u32_e32 v0, v86, v0
	ds_write_b32 v101, v0 offset:16
.LBB111_49:
	s_or_b64 exec, exec, s[4:5]
	; wave barrier
	s_waitcnt lgkmcnt(0)
	s_barrier
	ds_read2_b32 v[0:1], v62 offset0:4 offset1:5
	ds_read2_b32 v[42:43], v102 offset0:2 offset1:3
	s_waitcnt lgkmcnt(1)
	v_add_u32_e32 v104, v1, v0
	s_waitcnt lgkmcnt(0)
	v_add3_u32 v43, v104, v42, v43
	v_and_b32_e32 v104, 15, v61
	v_cmp_ne_u32_e32 vcc, 0, v104
	v_mov_b32_dpp v105, v43 row_shr:1 row_mask:0xf bank_mask:0xf
	v_cndmask_b32_e32 v105, 0, v105, vcc
	v_add_u32_e32 v43, v105, v43
	v_cmp_lt_u32_e32 vcc, 1, v104
	s_nop 0
	v_mov_b32_dpp v105, v43 row_shr:2 row_mask:0xf bank_mask:0xf
	v_cndmask_b32_e32 v105, 0, v105, vcc
	v_add_u32_e32 v43, v43, v105
	v_cmp_lt_u32_e32 vcc, 3, v104
	s_nop 0
	;; [unrolled: 5-line block ×3, first 2 shown]
	v_mov_b32_dpp v105, v43 row_shr:8 row_mask:0xf bank_mask:0xf
	v_cndmask_b32_e32 v104, 0, v105, vcc
	v_add_u32_e32 v43, v43, v104
	v_bfe_i32 v105, v61, 4, 1
	v_cmp_lt_u32_e32 vcc, 31, v61
	v_mov_b32_dpp v104, v43 row_bcast:15 row_mask:0xf bank_mask:0xf
	v_and_b32_e32 v104, v105, v104
	v_add_u32_e32 v43, v43, v104
	v_min_u32_e32 v105, 0xc0, v63
	v_or_b32_e32 v105, 63, v105
	v_mov_b32_dpp v104, v43 row_bcast:31 row_mask:0xf bank_mask:0xf
	v_cndmask_b32_e32 v104, 0, v104, vcc
	v_add_u32_e32 v43, v43, v104
	v_lshrrev_b32_e32 v104, 6, v36
	v_cmp_eq_u32_e32 vcc, v105, v36
	s_and_saveexec_b64 s[4:5], vcc
	s_cbranch_execz .LBB111_51
; %bb.50:
	v_lshlrev_b32_e32 v105, 2, v104
	ds_write_b32 v105, v43
.LBB111_51:
	s_or_b64 exec, exec, s[4:5]
	v_cmp_gt_u32_e32 vcc, 4, v36
	s_waitcnt lgkmcnt(0)
	s_barrier
	s_and_saveexec_b64 s[4:5], vcc
	s_cbranch_execz .LBB111_53
; %bb.52:
	v_lshlrev_b32_e32 v105, 2, v36
	ds_read_b32 v106, v105
	v_and_b32_e32 v107, 3, v61
	v_cmp_ne_u32_e32 vcc, 0, v107
	s_waitcnt lgkmcnt(0)
	v_mov_b32_dpp v108, v106 row_shr:1 row_mask:0xf bank_mask:0xf
	v_cndmask_b32_e32 v108, 0, v108, vcc
	v_add_u32_e32 v106, v108, v106
	v_cmp_lt_u32_e32 vcc, 1, v107
	s_nop 0
	v_mov_b32_dpp v108, v106 row_shr:2 row_mask:0xf bank_mask:0xf
	v_cndmask_b32_e32 v107, 0, v108, vcc
	v_add_u32_e32 v106, v106, v107
	ds_write_b32 v105, v106
.LBB111_53:
	s_or_b64 exec, exec, s[4:5]
	v_cmp_lt_u32_e32 vcc, 63, v36
	v_mov_b32_e32 v105, 0
	s_waitcnt lgkmcnt(0)
	s_barrier
	s_and_saveexec_b64 s[4:5], vcc
	s_cbranch_execz .LBB111_55
; %bb.54:
	v_lshl_add_u32 v104, v104, 2, -4
	ds_read_b32 v105, v104
.LBB111_55:
	s_or_b64 exec, exec, s[4:5]
	v_add_u32_e32 v104, -1, v61
	v_and_b32_e32 v106, 64, v61
	v_cmp_lt_i32_e32 vcc, v104, v106
	v_cndmask_b32_e32 v104, v104, v61, vcc
	s_waitcnt lgkmcnt(0)
	v_add_u32_e32 v43, v105, v43
	v_lshlrev_b32_e32 v104, 2, v104
	ds_bpermute_b32 v43, v104, v43
	v_cmp_eq_u32_e32 vcc, 0, v61
	s_movk_i32 s4, 0x80
	s_waitcnt lgkmcnt(0)
	v_cndmask_b32_e32 v43, v43, v105, vcc
	v_cmp_ne_u32_e32 vcc, 0, v36
	v_cndmask_b32_e32 v43, 0, v43, vcc
	v_add_u32_e32 v0, v43, v0
	v_add_u32_e32 v1, v0, v1
	;; [unrolled: 1-line block ×3, first 2 shown]
	ds_write2_b32 v62, v43, v0 offset0:4 offset1:5
	ds_write2_b32 v102, v1, v42 offset0:2 offset1:3
	s_waitcnt lgkmcnt(0)
	s_barrier
	ds_read_b32 v0, v80 offset:16
	ds_read_b32 v1, v83 offset:16
	;; [unrolled: 1-line block ×8, first 2 shown]
	s_waitcnt lgkmcnt(7)
	v_add_u32_e32 v81, v0, v81
	s_waitcnt lgkmcnt(6)
	v_add3_u32 v82, v84, v82, v1
	s_waitcnt lgkmcnt(5)
	v_add3_u32 v42, v88, v85, v42
	;; [unrolled: 2-line block ×7, first 2 shown]
	s_barrier
	ds_write_b8 v81, v72
	ds_write_b8 v82, v73
	;; [unrolled: 1-line block ×8, first 2 shown]
	v_lshlrev_b32_e32 v74, 3, v81
	s_waitcnt lgkmcnt(0)
	s_barrier
	ds_read_b64 v[0:1], v53
	s_waitcnt lgkmcnt(0)
	s_barrier
	ds_write_b64 v74, v[30:31]
	v_lshlrev_b32_e32 v30, 3, v82
	ds_write_b64 v30, v[32:33]
	v_lshlrev_b32_e32 v30, 3, v42
	;; [unrolled: 2-line block ×7, first 2 shown]
	v_lshlrev_b32_e32 v30, 3, v53
	ds_write_b64 v18, v[20:21]
	s_waitcnt lgkmcnt(0)
	s_barrier
	ds_read2_b64 v[18:21], v30 offset1:1
	ds_read2_b64 v[22:25], v30 offset0:2 offset1:3
	ds_read2_b64 v[26:29], v30 offset0:4 offset1:5
	ds_read2_b64 v[30:33], v30 offset0:6 offset1:7
	v_lshrrev_b32_e32 v72, 8, v0
	v_lshrrev_b32_e32 v73, 8, v1
	v_xor_b32_e32 v42, 0x80, v0
	v_xor_b32_sdwa v43, v72, s4 dst_sel:BYTE_1 dst_unused:UNUSED_PAD src0_sel:DWORD src1_sel:DWORD
	v_xor_b32_sdwa v72, v0, s4 dst_sel:DWORD dst_unused:UNUSED_PAD src0_sel:WORD_1 src1_sel:DWORD
	v_xor_b32_sdwa v0, v0, s4 dst_sel:BYTE_1 dst_unused:UNUSED_PAD src0_sel:BYTE_3 src1_sel:DWORD
	v_xor_b32_e32 v74, 0x80, v1
	v_xor_b32_sdwa v73, v73, s4 dst_sel:BYTE_1 dst_unused:UNUSED_PAD src0_sel:DWORD src1_sel:DWORD
	v_xor_b32_sdwa v75, v1, s4 dst_sel:DWORD dst_unused:UNUSED_PAD src0_sel:WORD_1 src1_sel:DWORD
	v_xor_b32_sdwa v1, v1, s4 dst_sel:BYTE_1 dst_unused:UNUSED_PAD src0_sel:BYTE_3 src1_sel:DWORD
	v_or_b32_sdwa v42, v42, v43 dst_sel:DWORD dst_unused:UNUSED_PAD src0_sel:BYTE_0 src1_sel:DWORD
	v_or_b32_sdwa v0, v72, v0 dst_sel:WORD_1 dst_unused:UNUSED_PAD src0_sel:BYTE_0 src1_sel:DWORD
	v_or_b32_sdwa v0, v42, v0 dst_sel:DWORD dst_unused:UNUSED_PAD src0_sel:WORD_0 src1_sel:DWORD
	v_or_b32_sdwa v42, v74, v73 dst_sel:DWORD dst_unused:UNUSED_PAD src0_sel:BYTE_0 src1_sel:DWORD
	v_or_b32_sdwa v1, v75, v1 dst_sel:WORD_1 dst_unused:UNUSED_PAD src0_sel:BYTE_0 src1_sel:DWORD
	v_or_b32_sdwa v1, v42, v1 dst_sel:DWORD dst_unused:UNUSED_PAD src0_sel:WORD_0 src1_sel:DWORD
	s_branch .LBB111_87
.LBB111_56:
	v_mov_b32_e32 v35, 0
	v_lshlrev_b64 v[2:3], 3, v[34:35]
	v_mov_b32_e32 v4, s23
	v_add_co_u32_e32 v2, vcc, s19, v2
	v_addc_co_u32_e32 v3, vcc, v4, v3, vcc
	global_load_dwordx2 v[2:3], v[2:3], off
	v_mov_b32_e32 v4, v35
	v_mov_b32_e32 v5, v35
	;; [unrolled: 1-line block ×14, first 2 shown]
	s_or_b64 exec, exec, s[4:5]
	s_and_saveexec_b64 s[4:5], s[2:3]
	s_cbranch_execz .LBB111_25
.LBB111_57:
	v_mul_lo_u32 v4, v32, s18
	v_mov_b32_e32 v5, 0
	v_lshlrev_b64 v[4:5], 3, v[4:5]
	v_mov_b32_e32 v32, s23
	v_add_co_u32_e32 v4, vcc, s19, v4
	v_addc_co_u32_e32 v5, vcc, v32, v5, vcc
	global_load_dwordx2 v[4:5], v[4:5], off
	s_or_b64 exec, exec, s[4:5]
	s_and_saveexec_b64 s[4:5], s[16:17]
	s_cbranch_execz .LBB111_26
.LBB111_58:
	v_mul_lo_u32 v6, v31, s18
	v_mov_b32_e32 v7, 0
	v_lshlrev_b64 v[6:7], 3, v[6:7]
	v_mov_b32_e32 v31, s23
	v_add_co_u32_e32 v6, vcc, s19, v6
	v_addc_co_u32_e32 v7, vcc, v31, v7, vcc
	global_load_dwordx2 v[6:7], v[6:7], off
	s_or_b64 exec, exec, s[4:5]
	s_and_saveexec_b64 s[4:5], s[6:7]
	s_cbranch_execz .LBB111_27
.LBB111_59:
	v_mul_lo_u32 v8, v30, s18
	v_mov_b32_e32 v9, 0
	v_lshlrev_b64 v[8:9], 3, v[8:9]
	v_mov_b32_e32 v30, s23
	v_add_co_u32_e32 v8, vcc, s19, v8
	v_addc_co_u32_e32 v9, vcc, v30, v9, vcc
	global_load_dwordx2 v[8:9], v[8:9], off
	s_or_b64 exec, exec, s[4:5]
	s_and_saveexec_b64 s[4:5], s[8:9]
	s_cbranch_execz .LBB111_28
.LBB111_60:
	v_mul_lo_u32 v10, v29, s18
	v_mov_b32_e32 v11, 0
	v_lshlrev_b64 v[10:11], 3, v[10:11]
	v_mov_b32_e32 v29, s23
	v_add_co_u32_e32 v10, vcc, s19, v10
	v_addc_co_u32_e32 v11, vcc, v29, v11, vcc
	global_load_dwordx2 v[10:11], v[10:11], off
	s_or_b64 exec, exec, s[4:5]
	s_and_saveexec_b64 s[4:5], s[10:11]
	s_cbranch_execz .LBB111_29
.LBB111_61:
	v_mul_lo_u32 v12, v28, s18
	v_mov_b32_e32 v13, 0
	v_lshlrev_b64 v[12:13], 3, v[12:13]
	v_mov_b32_e32 v28, s23
	v_add_co_u32_e32 v12, vcc, s19, v12
	v_addc_co_u32_e32 v13, vcc, v28, v13, vcc
	global_load_dwordx2 v[12:13], v[12:13], off
	s_or_b64 exec, exec, s[4:5]
	s_and_saveexec_b64 s[4:5], s[12:13]
	s_cbranch_execz .LBB111_30
.LBB111_62:
	v_mul_lo_u32 v14, v27, s18
	v_mov_b32_e32 v15, 0
	v_lshlrev_b64 v[14:15], 3, v[14:15]
	v_mov_b32_e32 v27, s23
	v_add_co_u32_e32 v14, vcc, s19, v14
	v_addc_co_u32_e32 v15, vcc, v27, v15, vcc
	global_load_dwordx2 v[14:15], v[14:15], off
	s_or_b64 exec, exec, s[4:5]
	s_xor_b64 s[4:5], s[28:29], -1
	s_and_saveexec_b64 s[20:21], s[14:15]
	s_cbranch_execnz .LBB111_31
	s_branch .LBB111_32
.LBB111_63:
                                        ; implicit-def: $vgpr1
                                        ; implicit-def: $vgpr32_vgpr33
                                        ; implicit-def: $vgpr28_vgpr29
                                        ; implicit-def: $vgpr24_vgpr25
                                        ; implicit-def: $vgpr20_vgpr21
	s_cbranch_execz .LBB111_87
; %bb.64:
	s_movk_i32 s4, 0x7f
	v_xor_b32_sdwa v0, v67, s4 dst_sel:BYTE_1 dst_unused:UNUSED_PAD src0_sel:DWORD src1_sel:DWORD
	v_xor_b32_e32 v1, 0x7f, v39
	v_or_b32_sdwa v0, v1, v0 dst_sel:DWORD dst_unused:UNUSED_PAD src0_sel:BYTE_0 src1_sel:DWORD
	v_xor_b32_sdwa v1, v39, s4 dst_sel:DWORD dst_unused:UNUSED_PAD src0_sel:BYTE_3 src1_sel:DWORD
	v_lshlrev_b16_e32 v1, 8, v1
	s_waitcnt lgkmcnt(3)
	v_xor_b32_sdwa v18, v39, s4 dst_sel:DWORD dst_unused:UNUSED_PAD src0_sel:WORD_1 src1_sel:DWORD
	v_or_b32_sdwa v1, v18, v1 dst_sel:WORD_1 dst_unused:UNUSED_PAD src0_sel:BYTE_0 src1_sel:DWORD
	v_or_b32_sdwa v1, v0, v1 dst_sel:DWORD dst_unused:UNUSED_PAD src0_sel:WORD_0 src1_sel:DWORD
	v_xor_b32_sdwa v0, v64, s4 dst_sel:BYTE_1 dst_unused:UNUSED_PAD src0_sel:DWORD src1_sel:DWORD
	v_xor_b32_e32 v18, 0x7f, v38
	v_or_b32_sdwa v0, v18, v0 dst_sel:DWORD dst_unused:UNUSED_PAD src0_sel:BYTE_0 src1_sel:DWORD
	v_xor_b32_sdwa v18, v40, s4 dst_sel:BYTE_1 dst_unused:UNUSED_PAD src0_sel:DWORD src1_sel:DWORD
	v_xor_b32_sdwa v19, v38, s4 dst_sel:DWORD dst_unused:UNUSED_PAD src0_sel:WORD_1 src1_sel:DWORD
	v_or_b32_sdwa v18, v19, v18 dst_sel:WORD_1 dst_unused:UNUSED_PAD src0_sel:BYTE_0 src1_sel:DWORD
	v_or_b32_sdwa v0, v0, v18 dst_sel:DWORD dst_unused:UNUSED_PAD src0_sel:WORD_0 src1_sel:DWORD
	s_getpc_b64 s[4:5]
	s_add_u32 s4, s4, _ZN7rocprim17ROCPRIM_400000_NS16block_radix_sortIaLj256ELj8ElLj1ELj1ELj0ELNS0_26block_radix_rank_algorithmE1ELNS0_18block_padding_hintE2ELNS0_4arch9wavefront6targetE1EE19radix_bits_per_passE@rel32@lo+4
	s_addc_u32 s5, s5, _ZN7rocprim17ROCPRIM_400000_NS16block_radix_sortIaLj256ELj8ElLj1ELj1ELj0ELNS0_26block_radix_rank_algorithmE1ELNS0_18block_padding_hintE2ELNS0_4arch9wavefront6targetE1EE19radix_bits_per_passE@rel32@hi+12
	ds_write_b64 v71, v[0:1]
	; wave barrier
	ds_read_u8 v20, v70
	ds_read_u8 v21, v70 offset:64
	s_waitcnt lgkmcnt(5)
	ds_read_u8 v22, v70 offset:128
	ds_read_u8 v23, v70 offset:192
	;; [unrolled: 1-line block ×4, first 2 shown]
	s_waitcnt lgkmcnt(8)
	ds_read_u8 v26, v70 offset:384
	ds_read_u8 v27, v70 offset:448
	s_waitcnt lgkmcnt(0)
	s_barrier
	ds_write2_b64 v69, v[14:15], v[16:17] offset1:1
	ds_write2_b64 v69, v[10:11], v[12:13] offset0:2 offset1:3
	ds_write2_b64 v69, v[6:7], v[8:9] offset0:4 offset1:5
	;; [unrolled: 1-line block ×3, first 2 shown]
	; wave barrier
	ds_read2st64_b64 v[12:15], v68 offset1:1
	ds_read2st64_b64 v[8:11], v68 offset0:2 offset1:3
	ds_read2st64_b64 v[4:7], v68 offset0:4 offset1:5
	;; [unrolled: 1-line block ×3, first 2 shown]
	s_waitcnt lgkmcnt(0)
	s_barrier
	s_load_dword s20, s[4:5], 0x0
	s_load_dword s21, s[26:27], 0xc
	v_mov_b32_e32 v30, 2
	s_waitcnt lgkmcnt(0)
	s_min_u32 s20, s20, 8
	s_lshr_b32 s4, s21, 16
	s_and_b32 s5, s21, 0xffff
	v_mad_u32_u24 v16, v66, s4, v65
	v_mad_u64_u32 v[18:19], s[4:5], v16, s5, v[36:37]
	s_lshl_b32 s4, -1, s20
	s_not_b32 s20, s4
	v_lshrrev_b32_e32 v38, 6, v18
	v_and_b32_e32 v18, s20, v20
	v_lshlrev_b32_sdwa v17, v30, v18 dst_sel:DWORD dst_unused:UNUSED_PAD src0_sel:DWORD src1_sel:BYTE_0
	v_add_lshl_u32 v28, v38, v17, 2
	v_and_b32_e32 v17, 1, v18
	v_add_co_u32_e32 v19, vcc, -1, v17
	v_addc_co_u32_e64 v29, s[4:5], 0, -1, vcc
	v_cmp_ne_u32_e32 vcc, 0, v17
	v_xor_b32_e32 v17, vcc_hi, v29
	v_mov_b32_e32 v16, 0
	v_and_b32_e32 v29, exec_hi, v17
	v_lshlrev_b32_e32 v17, 30, v18
	v_xor_b32_e32 v19, vcc_lo, v19
	v_cmp_gt_i64_e32 vcc, 0, v[16:17]
	v_not_b32_e32 v17, v17
	v_ashrrev_i32_e32 v17, 31, v17
	v_and_b32_e32 v19, exec_lo, v19
	v_xor_b32_e32 v31, vcc_hi, v17
	v_xor_b32_e32 v17, vcc_lo, v17
	v_and_b32_e32 v19, v19, v17
	v_lshlrev_b32_e32 v17, 29, v18
	v_cmp_gt_i64_e32 vcc, 0, v[16:17]
	v_not_b32_e32 v17, v17
	v_ashrrev_i32_e32 v17, 31, v17
	v_and_b32_e32 v29, v29, v31
	v_xor_b32_e32 v31, vcc_hi, v17
	v_xor_b32_e32 v17, vcc_lo, v17
	v_and_b32_e32 v19, v19, v17
	v_lshlrev_b32_e32 v17, 28, v18
	v_cmp_gt_i64_e32 vcc, 0, v[16:17]
	v_not_b32_e32 v17, v17
	v_ashrrev_i32_e32 v17, 31, v17
	v_and_b32_e32 v29, v29, v31
	;; [unrolled: 8-line block ×5, first 2 shown]
	v_xor_b32_e32 v31, vcc_hi, v17
	v_xor_b32_e32 v17, vcc_lo, v17
	v_and_b32_e32 v29, v29, v31
	v_and_b32_e32 v31, v19, v17
	v_lshlrev_b32_e32 v17, 24, v18
	v_cmp_gt_i64_e32 vcc, 0, v[16:17]
	v_not_b32_e32 v17, v17
	v_ashrrev_i32_e32 v17, 31, v17
	v_xor_b32_e32 v18, vcc_hi, v17
	v_xor_b32_e32 v17, vcc_lo, v17
	v_and_b32_e32 v19, v29, v18
	v_and_b32_e32 v18, v31, v17
	v_mbcnt_lo_u32_b32 v17, v18, 0
	v_mbcnt_hi_u32_b32 v29, v19, v17
	v_cmp_eq_u32_e32 vcc, 0, v29
	v_cmp_ne_u64_e64 s[4:5], 0, v[18:19]
	s_and_b64 s[26:27], s[4:5], vcc
	ds_write2_b32 v62, v16, v16 offset0:4 offset1:5
	ds_write2_b32 v62, v16, v16 offset0:6 offset1:7
	s_waitcnt lgkmcnt(0)
	s_barrier
	s_waitcnt lgkmcnt(0)
	; wave barrier
	s_and_saveexec_b64 s[4:5], s[26:27]
	s_cbranch_execz .LBB111_66
; %bb.65:
	v_bcnt_u32_b32 v17, v18, 0
	v_bcnt_u32_b32 v17, v19, v17
	ds_write_b32 v28, v17 offset:16
.LBB111_66:
	s_or_b64 exec, exec, s[4:5]
	v_and_b32_e32 v18, s20, v21
	v_lshlrev_b32_sdwa v17, v30, v18 dst_sel:DWORD dst_unused:UNUSED_PAD src0_sel:DWORD src1_sel:BYTE_0
	v_add_lshl_u32 v31, v38, v17, 2
	v_and_b32_e32 v17, 1, v18
	v_add_co_u32_e32 v19, vcc, -1, v17
	v_addc_co_u32_e64 v32, s[4:5], 0, -1, vcc
	v_cmp_ne_u32_e32 vcc, 0, v17
	v_xor_b32_e32 v17, vcc_hi, v32
	v_and_b32_e32 v32, exec_hi, v17
	v_lshlrev_b32_e32 v17, 30, v18
	v_xor_b32_e32 v19, vcc_lo, v19
	v_cmp_gt_i64_e32 vcc, 0, v[16:17]
	v_not_b32_e32 v17, v17
	v_ashrrev_i32_e32 v17, 31, v17
	v_and_b32_e32 v19, exec_lo, v19
	v_xor_b32_e32 v33, vcc_hi, v17
	v_xor_b32_e32 v17, vcc_lo, v17
	v_and_b32_e32 v19, v19, v17
	v_lshlrev_b32_e32 v17, 29, v18
	v_cmp_gt_i64_e32 vcc, 0, v[16:17]
	v_not_b32_e32 v17, v17
	v_ashrrev_i32_e32 v17, 31, v17
	v_and_b32_e32 v32, v32, v33
	v_xor_b32_e32 v33, vcc_hi, v17
	v_xor_b32_e32 v17, vcc_lo, v17
	v_and_b32_e32 v19, v19, v17
	v_lshlrev_b32_e32 v17, 28, v18
	v_cmp_gt_i64_e32 vcc, 0, v[16:17]
	v_not_b32_e32 v17, v17
	v_ashrrev_i32_e32 v17, 31, v17
	v_and_b32_e32 v32, v32, v33
	;; [unrolled: 8-line block ×5, first 2 shown]
	v_xor_b32_e32 v33, vcc_hi, v17
	v_xor_b32_e32 v17, vcc_lo, v17
	v_and_b32_e32 v19, v19, v17
	v_lshlrev_b32_e32 v17, 24, v18
	v_cmp_gt_i64_e32 vcc, 0, v[16:17]
	v_not_b32_e32 v16, v17
	v_ashrrev_i32_e32 v16, 31, v16
	v_xor_b32_e32 v17, vcc_hi, v16
	v_xor_b32_e32 v16, vcc_lo, v16
	; wave barrier
	ds_read_b32 v30, v31 offset:16
	v_and_b32_e32 v32, v32, v33
	v_and_b32_e32 v16, v19, v16
	;; [unrolled: 1-line block ×3, first 2 shown]
	v_mbcnt_lo_u32_b32 v18, v16, 0
	v_mbcnt_hi_u32_b32 v32, v17, v18
	v_cmp_eq_u32_e32 vcc, 0, v32
	v_cmp_ne_u64_e64 s[4:5], 0, v[16:17]
	s_and_b64 s[26:27], s[4:5], vcc
	; wave barrier
	s_and_saveexec_b64 s[4:5], s[26:27]
	s_cbranch_execz .LBB111_68
; %bb.67:
	v_bcnt_u32_b32 v16, v16, 0
	v_bcnt_u32_b32 v16, v17, v16
	s_waitcnt lgkmcnt(0)
	v_add_u32_e32 v16, v30, v16
	ds_write_b32 v31, v16 offset:16
.LBB111_68:
	s_or_b64 exec, exec, s[4:5]
	v_and_b32_e32 v18, s20, v22
	v_and_b32_e32 v17, 1, v18
	v_add_co_u32_e32 v19, vcc, -1, v17
	v_mov_b32_e32 v42, 2
	v_addc_co_u32_e64 v40, s[4:5], 0, -1, vcc
	v_cmp_ne_u32_e32 vcc, 0, v17
	v_lshlrev_b32_sdwa v16, v42, v18 dst_sel:DWORD dst_unused:UNUSED_PAD src0_sel:DWORD src1_sel:BYTE_0
	v_xor_b32_e32 v17, vcc_hi, v40
	v_add_lshl_u32 v39, v38, v16, 2
	v_mov_b32_e32 v16, 0
	v_and_b32_e32 v40, exec_hi, v17
	v_lshlrev_b32_e32 v17, 30, v18
	v_xor_b32_e32 v19, vcc_lo, v19
	v_cmp_gt_i64_e32 vcc, 0, v[16:17]
	v_not_b32_e32 v17, v17
	v_ashrrev_i32_e32 v17, 31, v17
	v_and_b32_e32 v19, exec_lo, v19
	v_xor_b32_e32 v43, vcc_hi, v17
	v_xor_b32_e32 v17, vcc_lo, v17
	v_and_b32_e32 v19, v19, v17
	v_lshlrev_b32_e32 v17, 29, v18
	v_cmp_gt_i64_e32 vcc, 0, v[16:17]
	v_not_b32_e32 v17, v17
	v_ashrrev_i32_e32 v17, 31, v17
	v_and_b32_e32 v40, v40, v43
	v_xor_b32_e32 v43, vcc_hi, v17
	v_xor_b32_e32 v17, vcc_lo, v17
	v_and_b32_e32 v19, v19, v17
	v_lshlrev_b32_e32 v17, 28, v18
	v_cmp_gt_i64_e32 vcc, 0, v[16:17]
	v_not_b32_e32 v17, v17
	v_ashrrev_i32_e32 v17, 31, v17
	v_and_b32_e32 v40, v40, v43
	;; [unrolled: 8-line block ×5, first 2 shown]
	v_xor_b32_e32 v43, vcc_hi, v17
	v_xor_b32_e32 v17, vcc_lo, v17
	v_and_b32_e32 v40, v40, v43
	v_and_b32_e32 v43, v19, v17
	v_lshlrev_b32_e32 v17, 24, v18
	v_cmp_gt_i64_e32 vcc, 0, v[16:17]
	v_not_b32_e32 v17, v17
	v_ashrrev_i32_e32 v17, 31, v17
	v_xor_b32_e32 v18, vcc_hi, v17
	v_xor_b32_e32 v17, vcc_lo, v17
	; wave barrier
	ds_read_b32 v33, v39 offset:16
	v_and_b32_e32 v19, v40, v18
	v_and_b32_e32 v18, v43, v17
	v_mbcnt_lo_u32_b32 v17, v18, 0
	v_mbcnt_hi_u32_b32 v40, v19, v17
	v_cmp_eq_u32_e32 vcc, 0, v40
	v_cmp_ne_u64_e64 s[4:5], 0, v[18:19]
	s_and_b64 s[26:27], s[4:5], vcc
	; wave barrier
	s_and_saveexec_b64 s[4:5], s[26:27]
	s_cbranch_execz .LBB111_70
; %bb.69:
	v_bcnt_u32_b32 v17, v18, 0
	v_bcnt_u32_b32 v17, v19, v17
	s_waitcnt lgkmcnt(0)
	v_add_u32_e32 v17, v33, v17
	ds_write_b32 v39, v17 offset:16
.LBB111_70:
	s_or_b64 exec, exec, s[4:5]
	v_and_b32_e32 v18, s20, v23
	v_lshlrev_b32_sdwa v17, v42, v18 dst_sel:DWORD dst_unused:UNUSED_PAD src0_sel:DWORD src1_sel:BYTE_0
	v_add_lshl_u32 v43, v38, v17, 2
	v_and_b32_e32 v17, 1, v18
	v_add_co_u32_e32 v19, vcc, -1, v17
	v_addc_co_u32_e64 v64, s[4:5], 0, -1, vcc
	v_cmp_ne_u32_e32 vcc, 0, v17
	v_xor_b32_e32 v17, vcc_hi, v64
	v_and_b32_e32 v64, exec_hi, v17
	v_lshlrev_b32_e32 v17, 30, v18
	v_xor_b32_e32 v19, vcc_lo, v19
	v_cmp_gt_i64_e32 vcc, 0, v[16:17]
	v_not_b32_e32 v17, v17
	v_ashrrev_i32_e32 v17, 31, v17
	v_and_b32_e32 v19, exec_lo, v19
	v_xor_b32_e32 v65, vcc_hi, v17
	v_xor_b32_e32 v17, vcc_lo, v17
	v_and_b32_e32 v19, v19, v17
	v_lshlrev_b32_e32 v17, 29, v18
	v_cmp_gt_i64_e32 vcc, 0, v[16:17]
	v_not_b32_e32 v17, v17
	v_ashrrev_i32_e32 v17, 31, v17
	v_and_b32_e32 v64, v64, v65
	v_xor_b32_e32 v65, vcc_hi, v17
	v_xor_b32_e32 v17, vcc_lo, v17
	v_and_b32_e32 v19, v19, v17
	v_lshlrev_b32_e32 v17, 28, v18
	v_cmp_gt_i64_e32 vcc, 0, v[16:17]
	v_not_b32_e32 v17, v17
	v_ashrrev_i32_e32 v17, 31, v17
	v_and_b32_e32 v64, v64, v65
	;; [unrolled: 8-line block ×5, first 2 shown]
	v_xor_b32_e32 v65, vcc_hi, v17
	v_xor_b32_e32 v17, vcc_lo, v17
	v_and_b32_e32 v19, v19, v17
	v_lshlrev_b32_e32 v17, 24, v18
	v_cmp_gt_i64_e32 vcc, 0, v[16:17]
	v_not_b32_e32 v16, v17
	v_ashrrev_i32_e32 v16, 31, v16
	v_xor_b32_e32 v17, vcc_hi, v16
	v_xor_b32_e32 v16, vcc_lo, v16
	; wave barrier
	ds_read_b32 v42, v43 offset:16
	v_and_b32_e32 v64, v64, v65
	v_and_b32_e32 v16, v19, v16
	;; [unrolled: 1-line block ×3, first 2 shown]
	v_mbcnt_lo_u32_b32 v18, v16, 0
	v_mbcnt_hi_u32_b32 v64, v17, v18
	v_cmp_eq_u32_e32 vcc, 0, v64
	v_cmp_ne_u64_e64 s[4:5], 0, v[16:17]
	s_and_b64 s[26:27], s[4:5], vcc
	; wave barrier
	s_and_saveexec_b64 s[4:5], s[26:27]
	s_cbranch_execz .LBB111_72
; %bb.71:
	v_bcnt_u32_b32 v16, v16, 0
	v_bcnt_u32_b32 v16, v17, v16
	s_waitcnt lgkmcnt(0)
	v_add_u32_e32 v16, v42, v16
	ds_write_b32 v43, v16 offset:16
.LBB111_72:
	s_or_b64 exec, exec, s[4:5]
	v_and_b32_e32 v18, s20, v24
	v_and_b32_e32 v17, 1, v18
	v_add_co_u32_e32 v19, vcc, -1, v17
	v_mov_b32_e32 v68, 2
	v_addc_co_u32_e64 v67, s[4:5], 0, -1, vcc
	v_cmp_ne_u32_e32 vcc, 0, v17
	v_lshlrev_b32_sdwa v16, v68, v18 dst_sel:DWORD dst_unused:UNUSED_PAD src0_sel:DWORD src1_sel:BYTE_0
	v_xor_b32_e32 v17, vcc_hi, v67
	v_add_lshl_u32 v66, v38, v16, 2
	v_mov_b32_e32 v16, 0
	v_and_b32_e32 v67, exec_hi, v17
	v_lshlrev_b32_e32 v17, 30, v18
	v_xor_b32_e32 v19, vcc_lo, v19
	v_cmp_gt_i64_e32 vcc, 0, v[16:17]
	v_not_b32_e32 v17, v17
	v_ashrrev_i32_e32 v17, 31, v17
	v_and_b32_e32 v19, exec_lo, v19
	v_xor_b32_e32 v69, vcc_hi, v17
	v_xor_b32_e32 v17, vcc_lo, v17
	v_and_b32_e32 v19, v19, v17
	v_lshlrev_b32_e32 v17, 29, v18
	v_cmp_gt_i64_e32 vcc, 0, v[16:17]
	v_not_b32_e32 v17, v17
	v_ashrrev_i32_e32 v17, 31, v17
	v_and_b32_e32 v67, v67, v69
	v_xor_b32_e32 v69, vcc_hi, v17
	v_xor_b32_e32 v17, vcc_lo, v17
	v_and_b32_e32 v19, v19, v17
	v_lshlrev_b32_e32 v17, 28, v18
	v_cmp_gt_i64_e32 vcc, 0, v[16:17]
	v_not_b32_e32 v17, v17
	v_ashrrev_i32_e32 v17, 31, v17
	v_and_b32_e32 v67, v67, v69
	;; [unrolled: 8-line block ×5, first 2 shown]
	v_xor_b32_e32 v69, vcc_hi, v17
	v_xor_b32_e32 v17, vcc_lo, v17
	v_and_b32_e32 v67, v67, v69
	v_and_b32_e32 v69, v19, v17
	v_lshlrev_b32_e32 v17, 24, v18
	v_cmp_gt_i64_e32 vcc, 0, v[16:17]
	v_not_b32_e32 v17, v17
	v_ashrrev_i32_e32 v17, 31, v17
	v_xor_b32_e32 v18, vcc_hi, v17
	v_xor_b32_e32 v17, vcc_lo, v17
	; wave barrier
	ds_read_b32 v65, v66 offset:16
	v_and_b32_e32 v19, v67, v18
	v_and_b32_e32 v18, v69, v17
	v_mbcnt_lo_u32_b32 v17, v18, 0
	v_mbcnt_hi_u32_b32 v67, v19, v17
	v_cmp_eq_u32_e32 vcc, 0, v67
	v_cmp_ne_u64_e64 s[4:5], 0, v[18:19]
	s_and_b64 s[26:27], s[4:5], vcc
	; wave barrier
	s_and_saveexec_b64 s[4:5], s[26:27]
	s_cbranch_execz .LBB111_74
; %bb.73:
	v_bcnt_u32_b32 v17, v18, 0
	v_bcnt_u32_b32 v17, v19, v17
	s_waitcnt lgkmcnt(0)
	v_add_u32_e32 v17, v65, v17
	ds_write_b32 v66, v17 offset:16
.LBB111_74:
	s_or_b64 exec, exec, s[4:5]
	v_and_b32_e32 v18, s20, v25
	v_lshlrev_b32_sdwa v17, v68, v18 dst_sel:DWORD dst_unused:UNUSED_PAD src0_sel:DWORD src1_sel:BYTE_0
	v_add_lshl_u32 v69, v38, v17, 2
	v_and_b32_e32 v17, 1, v18
	v_add_co_u32_e32 v19, vcc, -1, v17
	v_addc_co_u32_e64 v70, s[4:5], 0, -1, vcc
	v_cmp_ne_u32_e32 vcc, 0, v17
	v_xor_b32_e32 v17, vcc_hi, v70
	v_and_b32_e32 v70, exec_hi, v17
	v_lshlrev_b32_e32 v17, 30, v18
	v_xor_b32_e32 v19, vcc_lo, v19
	v_cmp_gt_i64_e32 vcc, 0, v[16:17]
	v_not_b32_e32 v17, v17
	v_ashrrev_i32_e32 v17, 31, v17
	v_and_b32_e32 v19, exec_lo, v19
	v_xor_b32_e32 v71, vcc_hi, v17
	v_xor_b32_e32 v17, vcc_lo, v17
	v_and_b32_e32 v19, v19, v17
	v_lshlrev_b32_e32 v17, 29, v18
	v_cmp_gt_i64_e32 vcc, 0, v[16:17]
	v_not_b32_e32 v17, v17
	v_ashrrev_i32_e32 v17, 31, v17
	v_and_b32_e32 v70, v70, v71
	v_xor_b32_e32 v71, vcc_hi, v17
	v_xor_b32_e32 v17, vcc_lo, v17
	v_and_b32_e32 v19, v19, v17
	v_lshlrev_b32_e32 v17, 28, v18
	v_cmp_gt_i64_e32 vcc, 0, v[16:17]
	v_not_b32_e32 v17, v17
	v_ashrrev_i32_e32 v17, 31, v17
	v_and_b32_e32 v70, v70, v71
	;; [unrolled: 8-line block ×5, first 2 shown]
	v_xor_b32_e32 v71, vcc_hi, v17
	v_xor_b32_e32 v17, vcc_lo, v17
	v_and_b32_e32 v19, v19, v17
	v_lshlrev_b32_e32 v17, 24, v18
	v_cmp_gt_i64_e32 vcc, 0, v[16:17]
	v_not_b32_e32 v16, v17
	v_ashrrev_i32_e32 v16, 31, v16
	v_xor_b32_e32 v17, vcc_hi, v16
	v_xor_b32_e32 v16, vcc_lo, v16
	; wave barrier
	ds_read_b32 v68, v69 offset:16
	v_and_b32_e32 v70, v70, v71
	v_and_b32_e32 v16, v19, v16
	;; [unrolled: 1-line block ×3, first 2 shown]
	v_mbcnt_lo_u32_b32 v18, v16, 0
	v_mbcnt_hi_u32_b32 v70, v17, v18
	v_cmp_eq_u32_e32 vcc, 0, v70
	v_cmp_ne_u64_e64 s[4:5], 0, v[16:17]
	s_and_b64 s[26:27], s[4:5], vcc
	; wave barrier
	s_and_saveexec_b64 s[4:5], s[26:27]
	s_cbranch_execz .LBB111_76
; %bb.75:
	v_bcnt_u32_b32 v16, v16, 0
	v_bcnt_u32_b32 v16, v17, v16
	s_waitcnt lgkmcnt(0)
	v_add_u32_e32 v16, v68, v16
	ds_write_b32 v69, v16 offset:16
.LBB111_76:
	s_or_b64 exec, exec, s[4:5]
	v_and_b32_e32 v18, s20, v26
	v_and_b32_e32 v17, 1, v18
	v_add_co_u32_e32 v19, vcc, -1, v17
	v_mov_b32_e32 v74, 2
	v_addc_co_u32_e64 v73, s[4:5], 0, -1, vcc
	v_cmp_ne_u32_e32 vcc, 0, v17
	v_lshlrev_b32_sdwa v16, v74, v18 dst_sel:DWORD dst_unused:UNUSED_PAD src0_sel:DWORD src1_sel:BYTE_0
	v_xor_b32_e32 v17, vcc_hi, v73
	v_add_lshl_u32 v72, v38, v16, 2
	v_mov_b32_e32 v16, 0
	v_and_b32_e32 v73, exec_hi, v17
	v_lshlrev_b32_e32 v17, 30, v18
	v_xor_b32_e32 v19, vcc_lo, v19
	v_cmp_gt_i64_e32 vcc, 0, v[16:17]
	v_not_b32_e32 v17, v17
	v_ashrrev_i32_e32 v17, 31, v17
	v_and_b32_e32 v19, exec_lo, v19
	v_xor_b32_e32 v75, vcc_hi, v17
	v_xor_b32_e32 v17, vcc_lo, v17
	v_and_b32_e32 v19, v19, v17
	v_lshlrev_b32_e32 v17, 29, v18
	v_cmp_gt_i64_e32 vcc, 0, v[16:17]
	v_not_b32_e32 v17, v17
	v_ashrrev_i32_e32 v17, 31, v17
	v_and_b32_e32 v73, v73, v75
	v_xor_b32_e32 v75, vcc_hi, v17
	v_xor_b32_e32 v17, vcc_lo, v17
	v_and_b32_e32 v19, v19, v17
	v_lshlrev_b32_e32 v17, 28, v18
	v_cmp_gt_i64_e32 vcc, 0, v[16:17]
	v_not_b32_e32 v17, v17
	v_ashrrev_i32_e32 v17, 31, v17
	v_and_b32_e32 v73, v73, v75
	v_xor_b32_e32 v75, vcc_hi, v17
	v_xor_b32_e32 v17, vcc_lo, v17
	v_and_b32_e32 v19, v19, v17
	v_lshlrev_b32_e32 v17, 27, v18
	v_cmp_gt_i64_e32 vcc, 0, v[16:17]
	v_not_b32_e32 v17, v17
	v_ashrrev_i32_e32 v17, 31, v17
	v_and_b32_e32 v73, v73, v75
	v_xor_b32_e32 v75, vcc_hi, v17
	v_xor_b32_e32 v17, vcc_lo, v17
	v_and_b32_e32 v19, v19, v17
	v_lshlrev_b32_e32 v17, 26, v18
	v_cmp_gt_i64_e32 vcc, 0, v[16:17]
	v_not_b32_e32 v17, v17
	v_ashrrev_i32_e32 v17, 31, v17
	v_and_b32_e32 v73, v73, v75
	v_xor_b32_e32 v75, vcc_hi, v17
	v_xor_b32_e32 v17, vcc_lo, v17
	v_and_b32_e32 v19, v19, v17
	v_lshlrev_b32_e32 v17, 25, v18
	v_cmp_gt_i64_e32 vcc, 0, v[16:17]
	v_not_b32_e32 v17, v17
	v_ashrrev_i32_e32 v17, 31, v17
	v_and_b32_e32 v73, v73, v75
	v_xor_b32_e32 v75, vcc_hi, v17
	v_xor_b32_e32 v17, vcc_lo, v17
	v_and_b32_e32 v73, v73, v75
	v_and_b32_e32 v75, v19, v17
	v_lshlrev_b32_e32 v17, 24, v18
	v_cmp_gt_i64_e32 vcc, 0, v[16:17]
	v_not_b32_e32 v17, v17
	v_ashrrev_i32_e32 v17, 31, v17
	v_xor_b32_e32 v18, vcc_hi, v17
	v_xor_b32_e32 v17, vcc_lo, v17
	; wave barrier
	ds_read_b32 v71, v72 offset:16
	v_and_b32_e32 v19, v73, v18
	v_and_b32_e32 v18, v75, v17
	v_mbcnt_lo_u32_b32 v17, v18, 0
	v_mbcnt_hi_u32_b32 v73, v19, v17
	v_cmp_eq_u32_e32 vcc, 0, v73
	v_cmp_ne_u64_e64 s[4:5], 0, v[18:19]
	s_and_b64 s[26:27], s[4:5], vcc
	; wave barrier
	s_and_saveexec_b64 s[4:5], s[26:27]
	s_cbranch_execz .LBB111_78
; %bb.77:
	v_bcnt_u32_b32 v17, v18, 0
	v_bcnt_u32_b32 v17, v19, v17
	s_waitcnt lgkmcnt(0)
	v_add_u32_e32 v17, v71, v17
	ds_write_b32 v72, v17 offset:16
.LBB111_78:
	s_or_b64 exec, exec, s[4:5]
	v_and_b32_e32 v18, s20, v27
	v_lshlrev_b32_sdwa v17, v74, v18 dst_sel:DWORD dst_unused:UNUSED_PAD src0_sel:DWORD src1_sel:BYTE_0
	v_add_lshl_u32 v74, v38, v17, 2
	v_and_b32_e32 v17, 1, v18
	v_add_co_u32_e32 v19, vcc, -1, v17
	v_addc_co_u32_e64 v76, s[4:5], 0, -1, vcc
	v_cmp_ne_u32_e32 vcc, 0, v17
	v_xor_b32_e32 v17, vcc_hi, v76
	v_and_b32_e32 v76, exec_hi, v17
	v_lshlrev_b32_e32 v17, 30, v18
	v_xor_b32_e32 v19, vcc_lo, v19
	v_cmp_gt_i64_e32 vcc, 0, v[16:17]
	v_not_b32_e32 v17, v17
	v_ashrrev_i32_e32 v17, 31, v17
	v_and_b32_e32 v19, exec_lo, v19
	v_xor_b32_e32 v77, vcc_hi, v17
	v_xor_b32_e32 v17, vcc_lo, v17
	v_and_b32_e32 v19, v19, v17
	v_lshlrev_b32_e32 v17, 29, v18
	v_cmp_gt_i64_e32 vcc, 0, v[16:17]
	v_not_b32_e32 v17, v17
	v_ashrrev_i32_e32 v17, 31, v17
	v_and_b32_e32 v76, v76, v77
	v_xor_b32_e32 v77, vcc_hi, v17
	v_xor_b32_e32 v17, vcc_lo, v17
	v_and_b32_e32 v19, v19, v17
	v_lshlrev_b32_e32 v17, 28, v18
	v_cmp_gt_i64_e32 vcc, 0, v[16:17]
	v_not_b32_e32 v17, v17
	v_ashrrev_i32_e32 v17, 31, v17
	v_and_b32_e32 v76, v76, v77
	;; [unrolled: 8-line block ×5, first 2 shown]
	v_xor_b32_e32 v77, vcc_hi, v17
	v_xor_b32_e32 v17, vcc_lo, v17
	v_and_b32_e32 v19, v19, v17
	v_lshlrev_b32_e32 v17, 24, v18
	v_cmp_gt_i64_e32 vcc, 0, v[16:17]
	v_not_b32_e32 v16, v17
	v_ashrrev_i32_e32 v16, 31, v16
	v_xor_b32_e32 v17, vcc_hi, v16
	v_xor_b32_e32 v16, vcc_lo, v16
	; wave barrier
	ds_read_b32 v38, v74 offset:16
	v_and_b32_e32 v76, v76, v77
	v_and_b32_e32 v16, v19, v16
	;; [unrolled: 1-line block ×3, first 2 shown]
	v_mbcnt_lo_u32_b32 v18, v16, 0
	v_mbcnt_hi_u32_b32 v76, v17, v18
	v_cmp_eq_u32_e32 vcc, 0, v76
	v_cmp_ne_u64_e64 s[4:5], 0, v[16:17]
	v_add_u32_e32 v75, 16, v62
	s_and_b64 s[20:21], s[4:5], vcc
	; wave barrier
	s_and_saveexec_b64 s[4:5], s[20:21]
	s_cbranch_execz .LBB111_80
; %bb.79:
	v_bcnt_u32_b32 v16, v16, 0
	v_bcnt_u32_b32 v16, v17, v16
	s_waitcnt lgkmcnt(0)
	v_add_u32_e32 v16, v38, v16
	ds_write_b32 v74, v16 offset:16
.LBB111_80:
	s_or_b64 exec, exec, s[4:5]
	; wave barrier
	s_waitcnt lgkmcnt(0)
	s_barrier
	ds_read2_b32 v[16:17], v62 offset0:4 offset1:5
	ds_read2_b32 v[18:19], v75 offset0:2 offset1:3
	v_min_u32_e32 v63, 0xc0, v63
	v_or_b32_e32 v63, 63, v63
	s_waitcnt lgkmcnt(1)
	v_add_u32_e32 v77, v17, v16
	s_waitcnt lgkmcnt(0)
	v_add3_u32 v19, v77, v18, v19
	v_and_b32_e32 v77, 15, v61
	v_cmp_ne_u32_e32 vcc, 0, v77
	v_mov_b32_dpp v78, v19 row_shr:1 row_mask:0xf bank_mask:0xf
	v_cndmask_b32_e32 v78, 0, v78, vcc
	v_add_u32_e32 v19, v78, v19
	v_cmp_lt_u32_e32 vcc, 1, v77
	s_nop 0
	v_mov_b32_dpp v78, v19 row_shr:2 row_mask:0xf bank_mask:0xf
	v_cndmask_b32_e32 v78, 0, v78, vcc
	v_add_u32_e32 v19, v19, v78
	v_cmp_lt_u32_e32 vcc, 3, v77
	s_nop 0
	;; [unrolled: 5-line block ×3, first 2 shown]
	v_mov_b32_dpp v78, v19 row_shr:8 row_mask:0xf bank_mask:0xf
	v_cndmask_b32_e32 v77, 0, v78, vcc
	v_add_u32_e32 v19, v19, v77
	v_bfe_i32 v78, v61, 4, 1
	v_cmp_lt_u32_e32 vcc, 31, v61
	v_mov_b32_dpp v77, v19 row_bcast:15 row_mask:0xf bank_mask:0xf
	v_and_b32_e32 v77, v78, v77
	v_add_u32_e32 v19, v19, v77
	s_nop 1
	v_mov_b32_dpp v77, v19 row_bcast:31 row_mask:0xf bank_mask:0xf
	v_cndmask_b32_e32 v77, 0, v77, vcc
	v_add_u32_e32 v19, v19, v77
	v_lshrrev_b32_e32 v77, 6, v36
	v_cmp_eq_u32_e32 vcc, v63, v36
	s_and_saveexec_b64 s[4:5], vcc
	s_cbranch_execz .LBB111_82
; %bb.81:
	v_lshlrev_b32_e32 v63, 2, v77
	ds_write_b32 v63, v19
.LBB111_82:
	s_or_b64 exec, exec, s[4:5]
	v_cmp_gt_u32_e32 vcc, 4, v36
	s_waitcnt lgkmcnt(0)
	s_barrier
	s_and_saveexec_b64 s[4:5], vcc
	s_cbranch_execz .LBB111_84
; %bb.83:
	v_lshlrev_b32_e32 v63, 2, v36
	ds_read_b32 v78, v63
	v_and_b32_e32 v79, 3, v61
	v_cmp_ne_u32_e32 vcc, 0, v79
	s_waitcnt lgkmcnt(0)
	v_mov_b32_dpp v80, v78 row_shr:1 row_mask:0xf bank_mask:0xf
	v_cndmask_b32_e32 v80, 0, v80, vcc
	v_add_u32_e32 v78, v80, v78
	v_cmp_lt_u32_e32 vcc, 1, v79
	s_nop 0
	v_mov_b32_dpp v80, v78 row_shr:2 row_mask:0xf bank_mask:0xf
	v_cndmask_b32_e32 v79, 0, v80, vcc
	v_add_u32_e32 v78, v78, v79
	ds_write_b32 v63, v78
.LBB111_84:
	s_or_b64 exec, exec, s[4:5]
	v_cmp_lt_u32_e32 vcc, 63, v36
	v_mov_b32_e32 v63, 0
	s_waitcnt lgkmcnt(0)
	s_barrier
	s_and_saveexec_b64 s[4:5], vcc
	s_cbranch_execz .LBB111_86
; %bb.85:
	v_lshl_add_u32 v63, v77, 2, -4
	ds_read_b32 v63, v63
.LBB111_86:
	s_or_b64 exec, exec, s[4:5]
	v_add_u32_e32 v77, -1, v61
	v_and_b32_e32 v78, 64, v61
	v_cmp_lt_i32_e32 vcc, v77, v78
	v_cndmask_b32_e32 v77, v77, v61, vcc
	s_waitcnt lgkmcnt(0)
	v_add_u32_e32 v19, v63, v19
	v_lshlrev_b32_e32 v77, 2, v77
	ds_bpermute_b32 v19, v77, v19
	v_cmp_eq_u32_e32 vcc, 0, v61
	s_movk_i32 s4, 0x7f
	s_waitcnt lgkmcnt(0)
	v_cndmask_b32_e32 v19, v19, v63, vcc
	v_cmp_ne_u32_e32 vcc, 0, v36
	v_cndmask_b32_e32 v19, 0, v19, vcc
	v_add_u32_e32 v16, v19, v16
	v_add_u32_e32 v17, v16, v17
	;; [unrolled: 1-line block ×3, first 2 shown]
	ds_write2_b32 v62, v19, v16 offset0:4 offset1:5
	ds_write2_b32 v75, v17, v18 offset0:2 offset1:3
	s_waitcnt lgkmcnt(0)
	s_barrier
	ds_read_b32 v16, v28 offset:16
	ds_read_b32 v17, v31 offset:16
	;; [unrolled: 1-line block ×8, first 2 shown]
	s_waitcnt lgkmcnt(7)
	v_add_u32_e32 v29, v16, v29
	s_waitcnt lgkmcnt(6)
	v_add3_u32 v30, v32, v30, v17
	s_waitcnt lgkmcnt(5)
	v_add3_u32 v18, v40, v33, v18
	;; [unrolled: 2-line block ×7, first 2 shown]
	s_barrier
	ds_write_b8 v29, v20
	ds_write_b8 v30, v21
	;; [unrolled: 1-line block ×8, first 2 shown]
	v_lshlrev_b32_e32 v20, 3, v29
	s_waitcnt lgkmcnt(0)
	s_barrier
	ds_read_b64 v[16:17], v53
	s_waitcnt lgkmcnt(0)
	s_barrier
	ds_write_b64 v20, v[12:13]
	v_lshlrev_b32_e32 v12, 3, v30
	ds_write_b64 v12, v[14:15]
	v_lshlrev_b32_e32 v12, 3, v18
	;; [unrolled: 2-line block ×8, first 2 shown]
	s_waitcnt lgkmcnt(0)
	s_barrier
	ds_read2_b64 v[18:21], v0 offset1:1
	ds_read2_b64 v[22:25], v0 offset0:2 offset1:3
	ds_read2_b64 v[26:29], v0 offset0:4 offset1:5
	ds_read2_b64 v[30:33], v0 offset0:6 offset1:7
	v_lshrrev_b32_e32 v36, 8, v16
	v_lshrrev_b32_e32 v38, 8, v17
	v_xor_b32_e32 v0, 0x7f, v16
	v_xor_b32_sdwa v1, v36, s4 dst_sel:BYTE_1 dst_unused:UNUSED_PAD src0_sel:DWORD src1_sel:DWORD
	v_xor_b32_sdwa v2, v16, s4 dst_sel:DWORD dst_unused:UNUSED_PAD src0_sel:WORD_1 src1_sel:DWORD
	v_xor_b32_sdwa v3, v16, s4 dst_sel:BYTE_1 dst_unused:UNUSED_PAD src0_sel:BYTE_3 src1_sel:DWORD
	v_xor_b32_e32 v4, 0x7f, v17
	v_xor_b32_sdwa v5, v38, s4 dst_sel:BYTE_1 dst_unused:UNUSED_PAD src0_sel:DWORD src1_sel:DWORD
	v_xor_b32_sdwa v6, v17, s4 dst_sel:DWORD dst_unused:UNUSED_PAD src0_sel:WORD_1 src1_sel:DWORD
	v_xor_b32_sdwa v7, v17, s4 dst_sel:BYTE_1 dst_unused:UNUSED_PAD src0_sel:BYTE_3 src1_sel:DWORD
	v_or_b32_sdwa v0, v0, v1 dst_sel:DWORD dst_unused:UNUSED_PAD src0_sel:BYTE_0 src1_sel:DWORD
	v_or_b32_sdwa v1, v2, v3 dst_sel:WORD_1 dst_unused:UNUSED_PAD src0_sel:BYTE_0 src1_sel:DWORD
	v_or_b32_sdwa v0, v0, v1 dst_sel:DWORD dst_unused:UNUSED_PAD src0_sel:WORD_0 src1_sel:DWORD
	v_or_b32_sdwa v1, v4, v5 dst_sel:DWORD dst_unused:UNUSED_PAD src0_sel:BYTE_0 src1_sel:DWORD
	v_or_b32_sdwa v2, v6, v7 dst_sel:WORD_1 dst_unused:UNUSED_PAD src0_sel:BYTE_0 src1_sel:DWORD
	v_or_b32_sdwa v1, v1, v2 dst_sel:DWORD dst_unused:UNUSED_PAD src0_sel:WORD_0 src1_sel:DWORD
.LBB111_87:
	s_waitcnt lgkmcnt(0)
	s_barrier
	ds_write_b64 v52, v[0:1]
	s_waitcnt lgkmcnt(0)
	s_barrier
	ds_read_u8 v8, v45 offset:256
	ds_read_u8 v7, v46 offset:512
	;; [unrolled: 1-line block ×7, first 2 shown]
	v_mov_b32_e32 v1, s25
	v_add_co_u32_e32 v0, vcc, s24, v37
	v_addc_co_u32_e32 v1, vcc, 0, v1, vcc
	s_and_saveexec_b64 s[4:5], s[0:1]
	s_cbranch_execnz .LBB111_106
; %bb.88:
	s_or_b64 exec, exec, s[4:5]
	s_and_saveexec_b64 s[4:5], s[2:3]
	s_cbranch_execnz .LBB111_107
.LBB111_89:
	s_or_b64 exec, exec, s[4:5]
	s_and_saveexec_b64 s[4:5], s[16:17]
	s_cbranch_execnz .LBB111_108
.LBB111_90:
	s_or_b64 exec, exec, s[4:5]
	s_and_saveexec_b64 s[4:5], s[6:7]
	s_cbranch_execnz .LBB111_109
.LBB111_91:
	s_or_b64 exec, exec, s[4:5]
	s_and_saveexec_b64 s[4:5], s[8:9]
	s_cbranch_execnz .LBB111_110
.LBB111_92:
	s_or_b64 exec, exec, s[4:5]
	s_and_saveexec_b64 s[4:5], s[10:11]
	s_cbranch_execnz .LBB111_111
.LBB111_93:
	s_or_b64 exec, exec, s[4:5]
	s_and_saveexec_b64 s[4:5], s[12:13]
	s_cbranch_execnz .LBB111_112
.LBB111_94:
	s_or_b64 exec, exec, s[4:5]
	s_and_saveexec_b64 s[4:5], s[14:15]
	s_cbranch_execz .LBB111_96
.LBB111_95:
	s_mul_i32 s20, s22, 0x700
	v_add_co_u32_e32 v0, vcc, s20, v0
	v_addc_co_u32_e32 v1, vcc, 0, v1, vcc
	s_waitcnt lgkmcnt(0)
	global_store_byte v[0:1], v2, off
.LBB111_96:
	s_or_b64 exec, exec, s[4:5]
	s_waitcnt lgkmcnt(0)
	s_barrier
	ds_write2_b64 v60, v[18:19], v[20:21] offset1:1
	ds_write2_b64 v60, v[22:23], v[24:25] offset0:2 offset1:3
	ds_write2_b64 v60, v[26:27], v[28:29] offset0:4 offset1:5
	;; [unrolled: 1-line block ×3, first 2 shown]
	s_waitcnt lgkmcnt(0)
	s_barrier
	ds_read_b64 v[14:15], v35 offset:2048
	ds_read_b64 v[12:13], v54 offset:4096
	;; [unrolled: 1-line block ×7, first 2 shown]
	v_mov_b32_e32 v35, 0
	v_lshlrev_b64 v[2:3], 3, v[34:35]
	v_mov_b32_e32 v16, s23
	v_add_co_u32_e32 v2, vcc, s19, v2
	v_addc_co_u32_e32 v3, vcc, v16, v3, vcc
	s_and_saveexec_b64 s[4:5], s[0:1]
	s_cbranch_execnz .LBB111_113
; %bb.97:
	s_or_b64 exec, exec, s[4:5]
	s_and_saveexec_b64 s[0:1], s[2:3]
	s_cbranch_execnz .LBB111_114
.LBB111_98:
	s_or_b64 exec, exec, s[0:1]
	s_and_saveexec_b64 s[0:1], s[16:17]
	s_cbranch_execnz .LBB111_115
.LBB111_99:
	s_or_b64 exec, exec, s[0:1]
	s_and_saveexec_b64 s[0:1], s[6:7]
	s_cbranch_execnz .LBB111_116
.LBB111_100:
	s_or_b64 exec, exec, s[0:1]
	s_and_saveexec_b64 s[0:1], s[8:9]
	s_cbranch_execnz .LBB111_117
.LBB111_101:
	s_or_b64 exec, exec, s[0:1]
	s_and_saveexec_b64 s[0:1], s[10:11]
	s_cbranch_execnz .LBB111_118
.LBB111_102:
	s_or_b64 exec, exec, s[0:1]
	s_and_saveexec_b64 s[0:1], s[12:13]
	s_cbranch_execnz .LBB111_119
.LBB111_103:
	s_or_b64 exec, exec, s[0:1]
	s_and_saveexec_b64 s[0:1], s[14:15]
	s_cbranch_execz .LBB111_105
.LBB111_104:
	s_mul_i32 s0, s18, 0x700
	s_mov_b32 s1, 0
	s_lshl_b64 s[0:1], s[0:1], 3
	s_waitcnt lgkmcnt(1)
	v_mov_b32_e32 v4, s1
	v_add_co_u32_e32 v2, vcc, s0, v2
	v_addc_co_u32_e32 v3, vcc, v3, v4, vcc
	s_waitcnt lgkmcnt(0)
	global_store_dwordx2 v[2:3], v[0:1], off
.LBB111_105:
	s_endpgm
.LBB111_106:
	ds_read_u8 v9, v44
	s_waitcnt lgkmcnt(0)
	global_store_byte v[0:1], v9, off
	s_or_b64 exec, exec, s[4:5]
	s_and_saveexec_b64 s[4:5], s[2:3]
	s_cbranch_execz .LBB111_89
.LBB111_107:
	s_lshl_b32 s20, s22, 8
	v_add_co_u32_e32 v10, vcc, s20, v0
	v_addc_co_u32_e32 v11, vcc, 0, v1, vcc
	s_waitcnt lgkmcnt(6)
	global_store_byte v[10:11], v8, off
	s_or_b64 exec, exec, s[4:5]
	s_and_saveexec_b64 s[4:5], s[16:17]
	s_cbranch_execz .LBB111_90
.LBB111_108:
	s_lshl_b32 s20, s22, 9
	s_waitcnt lgkmcnt(6)
	v_add_co_u32_e32 v8, vcc, s20, v0
	v_addc_co_u32_e32 v9, vcc, 0, v1, vcc
	s_waitcnt lgkmcnt(5)
	global_store_byte v[8:9], v7, off
	s_or_b64 exec, exec, s[4:5]
	s_and_saveexec_b64 s[4:5], s[6:7]
	s_cbranch_execz .LBB111_91
.LBB111_109:
	s_mul_i32 s20, s22, 0x300
	s_waitcnt lgkmcnt(6)
	v_add_co_u32_e32 v8, vcc, s20, v0
	v_addc_co_u32_e32 v9, vcc, 0, v1, vcc
	s_waitcnt lgkmcnt(4)
	global_store_byte v[8:9], v6, off
	s_or_b64 exec, exec, s[4:5]
	s_and_saveexec_b64 s[4:5], s[8:9]
	s_cbranch_execz .LBB111_92
.LBB111_110:
	s_lshl_b32 s20, s22, 10
	s_waitcnt lgkmcnt(4)
	v_add_co_u32_e32 v6, vcc, s20, v0
	v_addc_co_u32_e32 v7, vcc, 0, v1, vcc
	s_waitcnt lgkmcnt(3)
	global_store_byte v[6:7], v5, off
	s_or_b64 exec, exec, s[4:5]
	s_and_saveexec_b64 s[4:5], s[10:11]
	s_cbranch_execz .LBB111_93
.LBB111_111:
	s_mul_i32 s20, s22, 0x500
	s_waitcnt lgkmcnt(4)
	v_add_co_u32_e32 v6, vcc, s20, v0
	v_addc_co_u32_e32 v7, vcc, 0, v1, vcc
	s_waitcnt lgkmcnt(2)
	global_store_byte v[6:7], v4, off
	s_or_b64 exec, exec, s[4:5]
	s_and_saveexec_b64 s[4:5], s[12:13]
	s_cbranch_execz .LBB111_94
.LBB111_112:
	s_mul_i32 s20, s22, 0x600
	s_waitcnt lgkmcnt(2)
	v_add_co_u32_e32 v4, vcc, s20, v0
	v_addc_co_u32_e32 v5, vcc, 0, v1, vcc
	s_waitcnt lgkmcnt(1)
	global_store_byte v[4:5], v3, off
	s_or_b64 exec, exec, s[4:5]
	s_and_saveexec_b64 s[4:5], s[14:15]
	s_cbranch_execnz .LBB111_95
	s_branch .LBB111_96
.LBB111_113:
	ds_read_b64 v[16:17], v41
	s_waitcnt lgkmcnt(0)
	global_store_dwordx2 v[2:3], v[16:17], off
	s_or_b64 exec, exec, s[4:5]
	s_and_saveexec_b64 s[0:1], s[2:3]
	s_cbranch_execz .LBB111_98
.LBB111_114:
	s_lshl_b32 s2, s18, 8
	s_mov_b32 s3, 0
	s_lshl_b64 s[2:3], s[2:3], 3
	v_mov_b32_e32 v17, s3
	v_add_co_u32_e32 v16, vcc, s2, v2
	v_addc_co_u32_e32 v17, vcc, v3, v17, vcc
	s_waitcnt lgkmcnt(6)
	global_store_dwordx2 v[16:17], v[14:15], off
	s_or_b64 exec, exec, s[0:1]
	s_and_saveexec_b64 s[0:1], s[16:17]
	s_cbranch_execz .LBB111_99
.LBB111_115:
	s_lshl_b32 s2, s18, 9
	s_mov_b32 s3, 0
	s_lshl_b64 s[2:3], s[2:3], 3
	s_waitcnt lgkmcnt(6)
	v_mov_b32_e32 v15, s3
	v_add_co_u32_e32 v14, vcc, s2, v2
	v_addc_co_u32_e32 v15, vcc, v3, v15, vcc
	s_waitcnt lgkmcnt(5)
	global_store_dwordx2 v[14:15], v[12:13], off
	s_or_b64 exec, exec, s[0:1]
	s_and_saveexec_b64 s[0:1], s[6:7]
	s_cbranch_execz .LBB111_100
.LBB111_116:
	s_mul_i32 s2, s18, 0x300
	s_mov_b32 s3, 0
	s_lshl_b64 s[2:3], s[2:3], 3
	s_waitcnt lgkmcnt(5)
	v_mov_b32_e32 v13, s3
	v_add_co_u32_e32 v12, vcc, s2, v2
	v_addc_co_u32_e32 v13, vcc, v3, v13, vcc
	s_waitcnt lgkmcnt(4)
	global_store_dwordx2 v[12:13], v[10:11], off
	s_or_b64 exec, exec, s[0:1]
	s_and_saveexec_b64 s[0:1], s[8:9]
	s_cbranch_execz .LBB111_101
.LBB111_117:
	s_lshl_b32 s2, s18, 10
	s_mov_b32 s3, 0
	s_lshl_b64 s[2:3], s[2:3], 3
	s_waitcnt lgkmcnt(4)
	v_mov_b32_e32 v11, s3
	v_add_co_u32_e32 v10, vcc, s2, v2
	v_addc_co_u32_e32 v11, vcc, v3, v11, vcc
	s_waitcnt lgkmcnt(3)
	global_store_dwordx2 v[10:11], v[8:9], off
	s_or_b64 exec, exec, s[0:1]
	s_and_saveexec_b64 s[0:1], s[10:11]
	s_cbranch_execz .LBB111_102
.LBB111_118:
	s_mul_i32 s2, s18, 0x500
	s_mov_b32 s3, 0
	s_lshl_b64 s[2:3], s[2:3], 3
	s_waitcnt lgkmcnt(3)
	v_mov_b32_e32 v9, s3
	v_add_co_u32_e32 v8, vcc, s2, v2
	v_addc_co_u32_e32 v9, vcc, v3, v9, vcc
	s_waitcnt lgkmcnt(2)
	global_store_dwordx2 v[8:9], v[6:7], off
	s_or_b64 exec, exec, s[0:1]
	s_and_saveexec_b64 s[0:1], s[12:13]
	s_cbranch_execz .LBB111_103
.LBB111_119:
	s_mul_i32 s2, s18, 0x600
	s_mov_b32 s3, 0
	s_lshl_b64 s[2:3], s[2:3], 3
	s_waitcnt lgkmcnt(2)
	v_mov_b32_e32 v7, s3
	v_add_co_u32_e32 v6, vcc, s2, v2
	v_addc_co_u32_e32 v7, vcc, v3, v7, vcc
	s_waitcnt lgkmcnt(1)
	global_store_dwordx2 v[6:7], v[4:5], off
	s_or_b64 exec, exec, s[0:1]
	s_and_saveexec_b64 s[0:1], s[14:15]
	s_cbranch_execnz .LBB111_104
	s_branch .LBB111_105
	.section	.rodata,"a",@progbits
	.p2align	6, 0x0
	.amdhsa_kernel _ZN2at6native18radixSortKVInPlaceILin1ELin1ELi256ELi8EaljEEvNS_4cuda6detail10TensorInfoIT3_T5_EES6_S6_S6_NS4_IT4_S6_EES6_b
		.amdhsa_group_segment_fixed_size 16896
		.amdhsa_private_segment_fixed_size 0
		.amdhsa_kernarg_size 712
		.amdhsa_user_sgpr_count 6
		.amdhsa_user_sgpr_private_segment_buffer 1
		.amdhsa_user_sgpr_dispatch_ptr 0
		.amdhsa_user_sgpr_queue_ptr 0
		.amdhsa_user_sgpr_kernarg_segment_ptr 1
		.amdhsa_user_sgpr_dispatch_id 0
		.amdhsa_user_sgpr_flat_scratch_init 0
		.amdhsa_user_sgpr_kernarg_preload_length 0
		.amdhsa_user_sgpr_kernarg_preload_offset 0
		.amdhsa_user_sgpr_private_segment_size 0
		.amdhsa_uses_dynamic_stack 0
		.amdhsa_system_sgpr_private_segment_wavefront_offset 0
		.amdhsa_system_sgpr_workgroup_id_x 1
		.amdhsa_system_sgpr_workgroup_id_y 1
		.amdhsa_system_sgpr_workgroup_id_z 1
		.amdhsa_system_sgpr_workgroup_info 0
		.amdhsa_system_vgpr_workitem_id 2
		.amdhsa_next_free_vgpr 109
		.amdhsa_next_free_sgpr 52
		.amdhsa_accum_offset 112
		.amdhsa_reserve_vcc 1
		.amdhsa_reserve_flat_scratch 0
		.amdhsa_float_round_mode_32 0
		.amdhsa_float_round_mode_16_64 0
		.amdhsa_float_denorm_mode_32 3
		.amdhsa_float_denorm_mode_16_64 3
		.amdhsa_dx10_clamp 1
		.amdhsa_ieee_mode 1
		.amdhsa_fp16_overflow 0
		.amdhsa_tg_split 0
		.amdhsa_exception_fp_ieee_invalid_op 0
		.amdhsa_exception_fp_denorm_src 0
		.amdhsa_exception_fp_ieee_div_zero 0
		.amdhsa_exception_fp_ieee_overflow 0
		.amdhsa_exception_fp_ieee_underflow 0
		.amdhsa_exception_fp_ieee_inexact 0
		.amdhsa_exception_int_div_zero 0
	.end_amdhsa_kernel
	.section	.text._ZN2at6native18radixSortKVInPlaceILin1ELin1ELi256ELi8EaljEEvNS_4cuda6detail10TensorInfoIT3_T5_EES6_S6_S6_NS4_IT4_S6_EES6_b,"axG",@progbits,_ZN2at6native18radixSortKVInPlaceILin1ELin1ELi256ELi8EaljEEvNS_4cuda6detail10TensorInfoIT3_T5_EES6_S6_S6_NS4_IT4_S6_EES6_b,comdat
.Lfunc_end111:
	.size	_ZN2at6native18radixSortKVInPlaceILin1ELin1ELi256ELi8EaljEEvNS_4cuda6detail10TensorInfoIT3_T5_EES6_S6_S6_NS4_IT4_S6_EES6_b, .Lfunc_end111-_ZN2at6native18radixSortKVInPlaceILin1ELin1ELi256ELi8EaljEEvNS_4cuda6detail10TensorInfoIT3_T5_EES6_S6_S6_NS4_IT4_S6_EES6_b
                                        ; -- End function
	.section	.AMDGPU.csdata,"",@progbits
; Kernel info:
; codeLenInByte = 12116
; NumSgprs: 56
; NumVgprs: 109
; NumAgprs: 0
; TotalNumVgprs: 109
; ScratchSize: 0
; MemoryBound: 0
; FloatMode: 240
; IeeeMode: 1
; LDSByteSize: 16896 bytes/workgroup (compile time only)
; SGPRBlocks: 6
; VGPRBlocks: 13
; NumSGPRsForWavesPerEU: 56
; NumVGPRsForWavesPerEU: 109
; AccumOffset: 112
; Occupancy: 3
; WaveLimiterHint : 1
; COMPUTE_PGM_RSRC2:SCRATCH_EN: 0
; COMPUTE_PGM_RSRC2:USER_SGPR: 6
; COMPUTE_PGM_RSRC2:TRAP_HANDLER: 0
; COMPUTE_PGM_RSRC2:TGID_X_EN: 1
; COMPUTE_PGM_RSRC2:TGID_Y_EN: 1
; COMPUTE_PGM_RSRC2:TGID_Z_EN: 1
; COMPUTE_PGM_RSRC2:TIDIG_COMP_CNT: 2
; COMPUTE_PGM_RSRC3_GFX90A:ACCUM_OFFSET: 27
; COMPUTE_PGM_RSRC3_GFX90A:TG_SPLIT: 0
	.section	.text._ZN2at6native18radixSortKVInPlaceILin1ELin1ELi128ELi8EaljEEvNS_4cuda6detail10TensorInfoIT3_T5_EES6_S6_S6_NS4_IT4_S6_EES6_b,"axG",@progbits,_ZN2at6native18radixSortKVInPlaceILin1ELin1ELi128ELi8EaljEEvNS_4cuda6detail10TensorInfoIT3_T5_EES6_S6_S6_NS4_IT4_S6_EES6_b,comdat
	.protected	_ZN2at6native18radixSortKVInPlaceILin1ELin1ELi128ELi8EaljEEvNS_4cuda6detail10TensorInfoIT3_T5_EES6_S6_S6_NS4_IT4_S6_EES6_b ; -- Begin function _ZN2at6native18radixSortKVInPlaceILin1ELin1ELi128ELi8EaljEEvNS_4cuda6detail10TensorInfoIT3_T5_EES6_S6_S6_NS4_IT4_S6_EES6_b
	.globl	_ZN2at6native18radixSortKVInPlaceILin1ELin1ELi128ELi8EaljEEvNS_4cuda6detail10TensorInfoIT3_T5_EES6_S6_S6_NS4_IT4_S6_EES6_b
	.p2align	8
	.type	_ZN2at6native18radixSortKVInPlaceILin1ELin1ELi128ELi8EaljEEvNS_4cuda6detail10TensorInfoIT3_T5_EES6_S6_S6_NS4_IT4_S6_EES6_b,@function
_ZN2at6native18radixSortKVInPlaceILin1ELin1ELi128ELi8EaljEEvNS_4cuda6detail10TensorInfoIT3_T5_EES6_S6_S6_NS4_IT4_S6_EES6_b: ; @_ZN2at6native18radixSortKVInPlaceILin1ELin1ELi128ELi8EaljEEvNS_4cuda6detail10TensorInfoIT3_T5_EES6_S6_S6_NS4_IT4_S6_EES6_b
; %bb.0:
	s_load_dwordx2 s[0:1], s[4:5], 0x1c8
	s_load_dwordx4 s[20:23], s[4:5], 0xd8
	s_add_u32 s26, s4, 0x1c8
	s_addc_u32 s27, s5, 0
	s_waitcnt lgkmcnt(0)
	s_mul_i32 s1, s1, s8
	s_add_i32 s1, s1, s7
	s_mul_i32 s0, s1, s0
	s_add_i32 s23, s0, s6
	s_cmp_ge_u32 s23, s20
	s_cbranch_scc1 .LBB112_105
; %bb.1:
	s_load_dword s2, s[4:5], 0xd0
	s_mov_b32 s1, 0
	s_mov_b32 s0, s23
	s_waitcnt lgkmcnt(0)
	s_cmp_lt_i32 s2, 2
	s_cbranch_scc1 .LBB112_4
; %bb.2:
	s_add_i32 s0, s2, -1
	s_add_i32 s6, s2, 1
	s_lshl_b64 s[2:3], s[0:1], 2
	s_add_u32 s0, s2, s4
	s_addc_u32 s3, s3, s5
	s_add_u32 s2, s0, 8
	s_addc_u32 s3, s3, 0
	s_mov_b32 s0, s23
.LBB112_3:                              ; =>This Inner Loop Header: Depth=1
	s_load_dword s7, s[2:3], 0x0
	s_load_dword s9, s[2:3], 0x64
	s_mov_b32 s8, s0
	s_waitcnt lgkmcnt(0)
	v_cvt_f32_u32_e32 v1, s7
	s_sub_i32 s0, 0, s7
	v_rcp_iflag_f32_e32 v1, v1
	v_mul_f32_e32 v1, 0x4f7ffffe, v1
	v_cvt_u32_f32_e32 v1, v1
	v_readfirstlane_b32 s10, v1
	s_mul_i32 s0, s0, s10
	s_mul_hi_u32 s0, s10, s0
	s_add_i32 s10, s10, s0
	s_mul_hi_u32 s0, s8, s10
	s_mul_i32 s10, s0, s7
	s_sub_i32 s10, s8, s10
	s_add_i32 s11, s0, 1
	s_sub_i32 s12, s10, s7
	s_cmp_ge_u32 s10, s7
	s_cselect_b32 s0, s11, s0
	s_cselect_b32 s10, s12, s10
	s_add_i32 s11, s0, 1
	s_cmp_ge_u32 s10, s7
	s_cselect_b32 s0, s11, s0
	s_mul_i32 s7, s0, s7
	s_sub_i32 s7, s8, s7
	s_mul_i32 s7, s9, s7
	s_add_i32 s6, s6, -1
	s_add_i32 s1, s7, s1
	s_add_u32 s2, s2, -4
	s_addc_u32 s3, s3, -1
	s_cmp_gt_u32 s6, 2
	s_cbranch_scc1 .LBB112_3
.LBB112_4:
	s_load_dword s2, s[4:5], 0x1b8
	s_mov_b32 s31, 0
	s_waitcnt lgkmcnt(0)
	s_cmp_lt_i32 s2, 2
	s_cbranch_scc1 .LBB112_7
; %bb.5:
	s_add_i32 s30, s2, -1
	s_add_i32 s6, s2, 1
	s_lshl_b64 s[2:3], s[30:31], 2
	s_add_u32 s2, s2, s4
	s_addc_u32 s3, s3, s5
	s_add_u32 s2, s2, 0xf0
	s_addc_u32 s3, s3, 0
.LBB112_6:                              ; =>This Inner Loop Header: Depth=1
	s_load_dword s7, s[2:3], 0x0
	s_load_dword s9, s[2:3], 0x64
	s_mov_b32 s8, s23
	s_waitcnt lgkmcnt(0)
	v_cvt_f32_u32_e32 v1, s7
	s_sub_i32 s10, 0, s7
	v_rcp_iflag_f32_e32 v1, v1
	v_mul_f32_e32 v1, 0x4f7ffffe, v1
	v_cvt_u32_f32_e32 v1, v1
	v_readfirstlane_b32 s11, v1
	s_mul_i32 s10, s10, s11
	s_mul_hi_u32 s10, s11, s10
	s_add_i32 s11, s11, s10
	s_mul_hi_u32 s10, s23, s11
	s_mul_i32 s11, s10, s7
	s_sub_i32 s11, s23, s11
	s_add_i32 s12, s10, 1
	s_sub_i32 s13, s11, s7
	s_cmp_ge_u32 s11, s7
	s_cselect_b32 s10, s12, s10
	s_cselect_b32 s11, s13, s11
	s_add_i32 s12, s10, 1
	s_cmp_ge_u32 s11, s7
	s_cselect_b32 s23, s12, s10
	s_mul_i32 s7, s23, s7
	s_sub_i32 s7, s8, s7
	s_mul_i32 s7, s9, s7
	s_add_i32 s6, s6, -1
	s_add_i32 s31, s7, s31
	s_add_u32 s2, s2, -4
	s_addc_u32 s3, s3, -1
	s_cmp_gt_u32 s6, 2
	s_cbranch_scc1 .LBB112_6
.LBB112_7:
	s_load_dword s2, s[4:5], 0x6c
	s_load_dwordx2 s[18:19], s[4:5], 0x1c0
	s_movk_i32 s6, 0x80
	v_and_b32_e32 v36, 0x3ff, v0
	v_mul_lo_u32 v37, v36, s22
	s_waitcnt lgkmcnt(0)
	s_mul_i32 s0, s2, s0
	s_add_i32 s7, s0, s1
	s_bitcmp1_b32 s19, 0
	s_cselect_b64 s[28:29], -1, 0
	s_load_dwordx2 s[2:3], s[4:5], 0x0
	s_and_b64 s[0:1], s[28:29], exec
	s_cselect_b32 s0, s6, 0x7f
	v_lshlrev_b16_e64 v2, 8, s0
	v_or_b32_e32 v2, s0, v2
	v_lshlrev_b32_e32 v3, 16, v2
	s_waitcnt lgkmcnt(0)
	s_add_u32 s24, s2, s7
	v_or_b32_sdwa v2, v2, v3 dst_sel:DWORD dst_unused:UNUSED_PAD src0_sel:WORD_0 src1_sel:DWORD
	s_addc_u32 s25, s3, 0
	v_mov_b32_e32 v1, s0
	v_mov_b32_e32 v3, v2
	v_cmp_gt_u32_e64 s[0:1], s21, v36
	s_and_saveexec_b64 s[2:3], s[0:1]
	s_cbranch_execz .LBB112_9
; %bb.8:
	global_load_ubyte v1, v37, s[24:25]
	s_mov_b32 s6, 0x3020104
	v_mov_b32_e32 v5, v2
	s_waitcnt vmcnt(0)
	v_perm_b32 v4, v1, v2, s6
	v_pk_mov_b32 v[2:3], v[4:5], v[4:5] op_sel:[0,1]
.LBB112_9:
	s_or_b64 exec, exec, s[2:3]
	v_add_u32_e32 v32, 0x80, v36
	v_cmp_gt_u32_e64 s[2:3], s21, v32
	s_and_saveexec_b64 s[6:7], s[2:3]
	s_cbranch_execz .LBB112_11
; %bb.10:
	v_mul_lo_u32 v4, v32, s22
	global_load_ubyte v4, v4, s[24:25]
	s_mov_b32 s8, 0x7060004
	s_waitcnt vmcnt(0)
	v_perm_b32 v2, v2, v4, s8
.LBB112_11:
	s_or_b64 exec, exec, s[6:7]
	v_add_u32_e32 v31, 0x100, v36
	v_cmp_gt_u32_e64 s[16:17], s21, v31
	s_and_saveexec_b64 s[6:7], s[16:17]
	s_cbranch_execz .LBB112_13
; %bb.12:
	v_mul_lo_u32 v4, v31, s22
	global_load_ubyte v4, v4, s[24:25]
	s_movk_i32 s8, 0xff00
	v_and_b32_sdwa v5, v2, s8 dst_sel:DWORD dst_unused:UNUSED_PAD src0_sel:WORD_1 src1_sel:DWORD
	s_mov_b32 s8, 0xffff
	s_waitcnt vmcnt(0)
	v_or_b32_sdwa v4, v4, v5 dst_sel:WORD_1 dst_unused:UNUSED_PAD src0_sel:DWORD src1_sel:DWORD
	v_and_or_b32 v2, v2, s8, v4
.LBB112_13:
	s_or_b64 exec, exec, s[6:7]
	v_add_u32_e32 v30, 0x180, v36
	v_cmp_gt_u32_e64 s[6:7], s21, v30
	s_and_saveexec_b64 s[8:9], s[6:7]
	s_cbranch_execz .LBB112_15
; %bb.14:
	v_mul_lo_u32 v4, v30, s22
	global_load_ubyte v4, v4, s[24:25]
	s_movk_i32 s10, 0xff
	v_and_b32_sdwa v5, v2, s10 dst_sel:DWORD dst_unused:UNUSED_PAD src0_sel:WORD_1 src1_sel:DWORD
	s_mov_b32 s10, 0xffff
	s_waitcnt vmcnt(0)
	v_lshlrev_b16_e32 v4, 8, v4
	v_or_b32_sdwa v4, v5, v4 dst_sel:WORD_1 dst_unused:UNUSED_PAD src0_sel:DWORD src1_sel:DWORD
	v_and_or_b32 v2, v2, s10, v4
.LBB112_15:
	s_or_b64 exec, exec, s[8:9]
	v_add_u32_e32 v29, 0x200, v36
	v_cmp_gt_u32_e64 s[8:9], s21, v29
	s_and_saveexec_b64 s[10:11], s[8:9]
	s_cbranch_execz .LBB112_17
; %bb.16:
	v_mul_lo_u32 v4, v29, s22
	global_load_ubyte v4, v4, s[24:25]
	s_mov_b32 s12, 0x3020104
	s_waitcnt vmcnt(0)
	v_perm_b32 v3, v4, v3, s12
.LBB112_17:
	s_or_b64 exec, exec, s[10:11]
	v_add_u32_e32 v28, 0x280, v36
	v_cmp_gt_u32_e64 s[10:11], s21, v28
	s_and_saveexec_b64 s[12:13], s[10:11]
	s_cbranch_execz .LBB112_19
; %bb.18:
	v_mul_lo_u32 v4, v28, s22
	global_load_ubyte v4, v4, s[24:25]
	s_mov_b32 s14, 0x7060004
	s_waitcnt vmcnt(0)
	v_perm_b32 v3, v3, v4, s14
.LBB112_19:
	s_or_b64 exec, exec, s[12:13]
	s_load_dwordx2 s[34:35], s[4:5], 0xe8
	v_add_u32_e32 v27, 0x300, v36
	v_cmp_gt_u32_e64 s[12:13], s21, v27
	s_and_saveexec_b64 s[14:15], s[12:13]
	s_cbranch_execz .LBB112_21
; %bb.20:
	v_mul_lo_u32 v4, v27, s22
	global_load_ubyte v4, v4, s[24:25]
	s_mov_b32 s19, 0x7000504
	s_waitcnt vmcnt(0)
	v_perm_b32 v3, v3, v4, s19
.LBB112_21:
	s_or_b64 exec, exec, s[14:15]
	s_load_dword s19, s[4:5], 0x154
	v_add_u32_e32 v22, 0x380, v36
	v_cmp_gt_u32_e64 s[14:15], s21, v22
	s_and_saveexec_b64 s[4:5], s[14:15]
	s_cbranch_execz .LBB112_23
; %bb.22:
	v_mul_lo_u32 v4, v22, s22
	global_load_ubyte v4, v4, s[24:25]
	s_mov_b32 s20, 0x60504
	s_waitcnt vmcnt(0)
	v_perm_b32 v3, v3, v4, s20
.LBB112_23:
	s_or_b64 exec, exec, s[4:5]
	v_lshrrev_b32_e32 v26, 5, v36
	v_and_b32_e32 v4, 28, v26
	v_add_u32_e32 v44, v4, v36
	v_lshrrev_b32_e32 v25, 5, v32
	ds_write_b8 v44, v1
	v_and_b32_e32 v1, 60, v25
	v_lshrrev_b32_e32 v24, 5, v31
	v_add_u32_e32 v45, v1, v36
	v_and_b32_e32 v1, 60, v24
	v_lshrrev_b32_e32 v23, 5, v30
	v_add_u32_e32 v46, v1, v36
	;; [unrolled: 3-line block ×3, first 2 shown]
	v_and_b32_e32 v1, 60, v21
	v_lshrrev_b32_e32 v19, 5, v28
	v_lshrrev_b32_e32 v4, 8, v2
	v_add_u32_e32 v48, v1, v36
	v_and_b32_e32 v1, 60, v19
	v_lshrrev_b32_e32 v18, 5, v27
	ds_write_b8 v45, v4 offset:128
	ds_write_b8_d16_hi v46, v2 offset:256
	v_lshrrev_b32_e32 v2, 24, v2
	v_add_u32_e32 v49, v1, v36
	v_and_b32_e32 v1, 60, v18
	ds_write_b8 v47, v2 offset:384
	v_lshrrev_b32_e32 v2, 8, v3
	v_add_u32_e32 v50, v1, v36
	v_lshrrev_b32_e32 v1, 5, v22
	ds_write_b8 v48, v3 offset:512
	ds_write_b8 v49, v2 offset:640
	v_and_b32_e32 v2, 60, v1
	v_lshrrev_b32_e32 v20, 2, v36
	v_add_u32_e32 v51, v2, v36
	v_lshlrev_b32_e32 v53, 3, v36
	v_and_b32_e32 v2, 0xfc, v20
	ds_write_b8_d16_hi v50, v3 offset:768
	v_lshrrev_b32_e32 v3, 24, v3
	v_add_u32_e32 v52, v2, v53
	s_waitcnt lgkmcnt(0)
	s_mul_i32 s4, s19, s23
	ds_write_b8 v51, v3 offset:896
	s_waitcnt lgkmcnt(0)
	s_barrier
	ds_read_b64 v[38:39], v52
	s_add_i32 s36, s4, s31
	s_mov_b32 s37, 0
	s_lshl_b64 s[4:5], s[36:37], 3
	s_mov_b32 s36, s37
	s_add_u32 s19, s34, s4
	s_mov_b32 s38, s37
	s_mov_b32 s39, s37
	s_mov_b32 s40, s37
	s_mov_b32 s41, s37
	s_mov_b32 s42, s37
	s_mov_b32 s43, s37
	s_mov_b32 s44, s37
	s_mov_b32 s45, s37
	s_mov_b32 s46, s37
	s_mov_b32 s47, s37
	s_mov_b32 s48, s37
	s_mov_b32 s49, s37
	s_mov_b32 s50, s37
	s_mov_b32 s51, s37
	v_pk_mov_b32 v[2:3], s[36:37], s[36:37] op_sel:[0,1]
	s_addc_u32 s23, s35, s5
	v_pk_mov_b32 v[4:5], s[38:39], s[38:39] op_sel:[0,1]
	v_pk_mov_b32 v[6:7], s[40:41], s[40:41] op_sel:[0,1]
	;; [unrolled: 1-line block ×7, first 2 shown]
	v_pk_mov_b32 v[2:3], 0, 0
	v_mul_lo_u32 v34, v36, s18
	s_waitcnt lgkmcnt(0)
	s_barrier
	s_and_saveexec_b64 s[4:5], s[0:1]
	s_cbranch_execnz .LBB112_56
; %bb.24:
	s_or_b64 exec, exec, s[4:5]
	s_and_saveexec_b64 s[4:5], s[2:3]
	s_cbranch_execnz .LBB112_57
.LBB112_25:
	s_or_b64 exec, exec, s[4:5]
	s_and_saveexec_b64 s[4:5], s[16:17]
	s_cbranch_execnz .LBB112_58
.LBB112_26:
	s_or_b64 exec, exec, s[4:5]
	s_and_saveexec_b64 s[4:5], s[6:7]
	s_cbranch_execnz .LBB112_59
.LBB112_27:
	s_or_b64 exec, exec, s[4:5]
	s_and_saveexec_b64 s[4:5], s[8:9]
	s_cbranch_execnz .LBB112_60
.LBB112_28:
	s_or_b64 exec, exec, s[4:5]
	s_and_saveexec_b64 s[4:5], s[10:11]
	s_cbranch_execnz .LBB112_61
.LBB112_29:
	s_or_b64 exec, exec, s[4:5]
	s_and_saveexec_b64 s[4:5], s[12:13]
	s_cbranch_execnz .LBB112_62
.LBB112_30:
	s_or_b64 exec, exec, s[4:5]
	s_xor_b64 s[4:5], s[28:29], -1
	s_and_saveexec_b64 s[20:21], s[14:15]
	s_cbranch_execz .LBB112_32
.LBB112_31:
	v_mul_lo_u32 v16, v22, s18
	v_mov_b32_e32 v17, 0
	v_lshlrev_b64 v[16:17], 3, v[16:17]
	v_mov_b32_e32 v22, s23
	v_add_co_u32_e32 v16, vcc, s19, v16
	v_addc_co_u32_e32 v17, vcc, v22, v17, vcc
	global_load_dwordx2 v[16:17], v[16:17], off
.LBB112_32:
	s_or_b64 exec, exec, s[20:21]
	v_lshrrev_b64 v[40:41], 24, v[38:39]
	v_add_lshl_u32 v41, v26, v36, 3
	v_add_lshl_u32 v35, v25, v36, 3
	;; [unrolled: 1-line block ×9, first 2 shown]
	s_waitcnt vmcnt(0)
	ds_write_b64 v41, v[2:3]
	ds_write_b64 v35, v[4:5] offset:1024
	ds_write_b64 v54, v[6:7] offset:2048
	;; [unrolled: 1-line block ×7, first 2 shown]
	s_waitcnt lgkmcnt(0)
	s_barrier
	ds_read2_b64 v[14:17], v60 offset1:1
	ds_read2_b64 v[10:13], v60 offset0:2 offset1:3
	ds_read2_b64 v[6:9], v60 offset0:4 offset1:5
	;; [unrolled: 1-line block ×3, first 2 shown]
	v_mbcnt_lo_u32_b32 v1, -1, 0
	v_mbcnt_hi_u32_b32 v61, -1, v1
	v_and_b32_e32 v63, 0x3c0, v36
	s_movk_i32 s20, 0x1e00
	v_add_lshl_u32 v71, v61, v63, 3
	v_and_or_b32 v70, v53, s20, v61
	v_lshrrev_b32_e32 v64, 8, v38
	v_lshrrev_b32_e32 v67, 8, v39
	s_and_b64 vcc, exec, s[4:5]
	v_bfe_u32 v65, v0, 10, 10
	v_bfe_u32 v66, v0, 20, 10
	v_lshlrev_b32_e32 v69, 3, v71
	v_lshlrev_b32_e32 v68, 3, v70
	;; [unrolled: 1-line block ×3, first 2 shown]
	s_waitcnt lgkmcnt(0)
	s_barrier
	s_cbranch_vccz .LBB112_63
; %bb.33:
	s_movk_i32 s4, 0x80
	v_xor_b32_sdwa v0, v67, s4 dst_sel:BYTE_1 dst_unused:UNUSED_PAD src0_sel:DWORD src1_sel:DWORD
	v_xor_b32_e32 v1, 0x80, v39
	v_or_b32_sdwa v0, v1, v0 dst_sel:DWORD dst_unused:UNUSED_PAD src0_sel:BYTE_0 src1_sel:DWORD
	v_xor_b32_sdwa v1, v39, s4 dst_sel:DWORD dst_unused:UNUSED_PAD src0_sel:BYTE_3 src1_sel:DWORD
	v_lshlrev_b16_e32 v1, 8, v1
	v_xor_b32_sdwa v18, v39, s4 dst_sel:DWORD dst_unused:UNUSED_PAD src0_sel:WORD_1 src1_sel:DWORD
	v_or_b32_sdwa v1, v18, v1 dst_sel:WORD_1 dst_unused:UNUSED_PAD src0_sel:BYTE_0 src1_sel:DWORD
	v_or_b32_sdwa v1, v0, v1 dst_sel:DWORD dst_unused:UNUSED_PAD src0_sel:WORD_0 src1_sel:DWORD
	v_xor_b32_sdwa v0, v64, s4 dst_sel:BYTE_1 dst_unused:UNUSED_PAD src0_sel:DWORD src1_sel:DWORD
	v_xor_b32_e32 v18, 0x80, v38
	v_or_b32_sdwa v0, v18, v0 dst_sel:DWORD dst_unused:UNUSED_PAD src0_sel:BYTE_0 src1_sel:DWORD
	v_xor_b32_sdwa v18, v40, s4 dst_sel:BYTE_1 dst_unused:UNUSED_PAD src0_sel:DWORD src1_sel:DWORD
	v_xor_b32_sdwa v19, v38, s4 dst_sel:DWORD dst_unused:UNUSED_PAD src0_sel:WORD_1 src1_sel:DWORD
	v_or_b32_sdwa v18, v19, v18 dst_sel:WORD_1 dst_unused:UNUSED_PAD src0_sel:BYTE_0 src1_sel:DWORD
	v_or_b32_sdwa v0, v0, v18 dst_sel:DWORD dst_unused:UNUSED_PAD src0_sel:WORD_0 src1_sel:DWORD
	s_getpc_b64 s[4:5]
	s_add_u32 s4, s4, _ZN7rocprim17ROCPRIM_400000_NS16block_radix_sortIaLj128ELj8ElLj1ELj1ELj0ELNS0_26block_radix_rank_algorithmE1ELNS0_18block_padding_hintE2ELNS0_4arch9wavefront6targetE1EE19radix_bits_per_passE@rel32@lo+4
	s_addc_u32 s5, s5, _ZN7rocprim17ROCPRIM_400000_NS16block_radix_sortIaLj128ELj8ElLj1ELj1ELj0ELNS0_26block_radix_rank_algorithmE1ELNS0_18block_padding_hintE2ELNS0_4arch9wavefront6targetE1EE19radix_bits_per_passE@rel32@hi+12
	ds_write_b64 v71, v[0:1]
	; wave barrier
	ds_read_u8 v72, v70
	ds_read_u8 v73, v70 offset:64
	ds_read_u8 v74, v70 offset:128
	;; [unrolled: 1-line block ×7, first 2 shown]
	s_waitcnt lgkmcnt(0)
	s_barrier
	ds_write2_b64 v69, v[14:15], v[16:17] offset1:1
	ds_write2_b64 v69, v[10:11], v[12:13] offset0:2 offset1:3
	ds_write2_b64 v69, v[6:7], v[8:9] offset0:4 offset1:5
	;; [unrolled: 1-line block ×3, first 2 shown]
	; wave barrier
	ds_read2st64_b64 v[30:33], v68 offset1:1
	ds_read2st64_b64 v[26:29], v68 offset0:2 offset1:3
	ds_read2st64_b64 v[22:25], v68 offset0:4 offset1:5
	;; [unrolled: 1-line block ×3, first 2 shown]
	s_waitcnt lgkmcnt(0)
	s_barrier
	s_load_dword s20, s[4:5], 0x0
	s_load_dword s21, s[26:27], 0xc
	v_mov_b32_e32 v82, 1
	s_waitcnt lgkmcnt(0)
	s_min_u32 s20, s20, 8
	s_lshr_b32 s4, s21, 16
	s_and_b32 s5, s21, 0xffff
	v_mad_u32_u24 v0, v66, s4, v65
	v_mad_u64_u32 v[42:43], s[4:5], v0, s5, v[36:37]
	s_lshl_b32 s4, -1, s20
	s_not_b32 s20, s4
	v_lshrrev_b32_e32 v85, 6, v42
	v_and_b32_e32 v42, s20, v72
	v_lshlrev_b32_sdwa v1, v82, v42 dst_sel:DWORD dst_unused:UNUSED_PAD src0_sel:DWORD src1_sel:BYTE_0
	v_add_lshl_u32 v80, v85, v1, 2
	v_and_b32_e32 v1, 1, v42
	v_add_co_u32_e32 v43, vcc, -1, v1
	v_addc_co_u32_e64 v81, s[4:5], 0, -1, vcc
	v_cmp_ne_u32_e32 vcc, 0, v1
	v_xor_b32_e32 v1, vcc_hi, v81
	v_mov_b32_e32 v0, 0
	v_and_b32_e32 v81, exec_hi, v1
	v_lshlrev_b32_e32 v1, 30, v42
	v_xor_b32_e32 v43, vcc_lo, v43
	v_cmp_gt_i64_e32 vcc, 0, v[0:1]
	v_not_b32_e32 v1, v1
	v_ashrrev_i32_e32 v1, 31, v1
	v_and_b32_e32 v43, exec_lo, v43
	v_xor_b32_e32 v83, vcc_hi, v1
	v_xor_b32_e32 v1, vcc_lo, v1
	v_and_b32_e32 v43, v43, v1
	v_lshlrev_b32_e32 v1, 29, v42
	v_cmp_gt_i64_e32 vcc, 0, v[0:1]
	v_not_b32_e32 v1, v1
	v_ashrrev_i32_e32 v1, 31, v1
	v_and_b32_e32 v81, v81, v83
	v_xor_b32_e32 v83, vcc_hi, v1
	v_xor_b32_e32 v1, vcc_lo, v1
	v_and_b32_e32 v43, v43, v1
	v_lshlrev_b32_e32 v1, 28, v42
	v_cmp_gt_i64_e32 vcc, 0, v[0:1]
	v_not_b32_e32 v1, v1
	v_ashrrev_i32_e32 v1, 31, v1
	v_and_b32_e32 v81, v81, v83
	;; [unrolled: 8-line block ×5, first 2 shown]
	v_xor_b32_e32 v83, vcc_hi, v1
	v_xor_b32_e32 v1, vcc_lo, v1
	v_and_b32_e32 v81, v81, v83
	v_and_b32_e32 v83, v43, v1
	v_lshlrev_b32_e32 v1, 24, v42
	v_cmp_gt_i64_e32 vcc, 0, v[0:1]
	v_not_b32_e32 v1, v1
	v_ashrrev_i32_e32 v1, 31, v1
	v_xor_b32_e32 v42, vcc_hi, v1
	v_xor_b32_e32 v1, vcc_lo, v1
	v_and_b32_e32 v43, v81, v42
	v_and_b32_e32 v42, v83, v1
	v_mbcnt_lo_u32_b32 v1, v42, 0
	v_mbcnt_hi_u32_b32 v81, v43, v1
	v_cmp_eq_u32_e32 vcc, 0, v81
	v_cmp_ne_u64_e64 s[4:5], 0, v[42:43]
	s_and_b64 s[28:29], s[4:5], vcc
	ds_write2_b32 v62, v0, v0 offset0:2 offset1:3
	ds_write2_b32 v62, v0, v0 offset0:4 offset1:5
	s_waitcnt lgkmcnt(0)
	s_barrier
	s_waitcnt lgkmcnt(0)
	; wave barrier
	s_and_saveexec_b64 s[4:5], s[28:29]
	s_cbranch_execz .LBB112_35
; %bb.34:
	v_bcnt_u32_b32 v1, v42, 0
	v_bcnt_u32_b32 v1, v43, v1
	ds_write_b32 v80, v1 offset:8
.LBB112_35:
	s_or_b64 exec, exec, s[4:5]
	v_and_b32_e32 v42, s20, v73
	v_lshlrev_b32_sdwa v1, v82, v42 dst_sel:DWORD dst_unused:UNUSED_PAD src0_sel:DWORD src1_sel:BYTE_0
	v_add_lshl_u32 v83, v85, v1, 2
	v_and_b32_e32 v1, 1, v42
	v_add_co_u32_e32 v43, vcc, -1, v1
	v_addc_co_u32_e64 v84, s[4:5], 0, -1, vcc
	v_cmp_ne_u32_e32 vcc, 0, v1
	v_xor_b32_e32 v1, vcc_hi, v84
	v_and_b32_e32 v84, exec_hi, v1
	v_lshlrev_b32_e32 v1, 30, v42
	v_xor_b32_e32 v43, vcc_lo, v43
	v_cmp_gt_i64_e32 vcc, 0, v[0:1]
	v_not_b32_e32 v1, v1
	v_ashrrev_i32_e32 v1, 31, v1
	v_and_b32_e32 v43, exec_lo, v43
	v_xor_b32_e32 v86, vcc_hi, v1
	v_xor_b32_e32 v1, vcc_lo, v1
	v_and_b32_e32 v43, v43, v1
	v_lshlrev_b32_e32 v1, 29, v42
	v_cmp_gt_i64_e32 vcc, 0, v[0:1]
	v_not_b32_e32 v1, v1
	v_ashrrev_i32_e32 v1, 31, v1
	v_and_b32_e32 v84, v84, v86
	v_xor_b32_e32 v86, vcc_hi, v1
	v_xor_b32_e32 v1, vcc_lo, v1
	v_and_b32_e32 v43, v43, v1
	v_lshlrev_b32_e32 v1, 28, v42
	v_cmp_gt_i64_e32 vcc, 0, v[0:1]
	v_not_b32_e32 v1, v1
	v_ashrrev_i32_e32 v1, 31, v1
	v_and_b32_e32 v84, v84, v86
	;; [unrolled: 8-line block ×5, first 2 shown]
	v_xor_b32_e32 v86, vcc_hi, v1
	v_xor_b32_e32 v1, vcc_lo, v1
	v_and_b32_e32 v43, v43, v1
	v_lshlrev_b32_e32 v1, 24, v42
	v_cmp_gt_i64_e32 vcc, 0, v[0:1]
	v_not_b32_e32 v0, v1
	v_ashrrev_i32_e32 v0, 31, v0
	v_xor_b32_e32 v1, vcc_hi, v0
	v_xor_b32_e32 v0, vcc_lo, v0
	; wave barrier
	ds_read_b32 v82, v83 offset:8
	v_and_b32_e32 v84, v84, v86
	v_and_b32_e32 v0, v43, v0
	;; [unrolled: 1-line block ×3, first 2 shown]
	v_mbcnt_lo_u32_b32 v42, v0, 0
	v_mbcnt_hi_u32_b32 v84, v1, v42
	v_cmp_eq_u32_e32 vcc, 0, v84
	v_cmp_ne_u64_e64 s[4:5], 0, v[0:1]
	s_and_b64 s[28:29], s[4:5], vcc
	; wave barrier
	s_and_saveexec_b64 s[4:5], s[28:29]
	s_cbranch_execz .LBB112_37
; %bb.36:
	v_bcnt_u32_b32 v0, v0, 0
	v_bcnt_u32_b32 v0, v1, v0
	s_waitcnt lgkmcnt(0)
	v_add_u32_e32 v0, v82, v0
	ds_write_b32 v83, v0 offset:8
.LBB112_37:
	s_or_b64 exec, exec, s[4:5]
	v_and_b32_e32 v42, s20, v74
	v_and_b32_e32 v1, 1, v42
	v_add_co_u32_e32 v43, vcc, -1, v1
	v_mov_b32_e32 v89, 1
	v_addc_co_u32_e64 v88, s[4:5], 0, -1, vcc
	v_cmp_ne_u32_e32 vcc, 0, v1
	v_lshlrev_b32_sdwa v0, v89, v42 dst_sel:DWORD dst_unused:UNUSED_PAD src0_sel:DWORD src1_sel:BYTE_0
	v_xor_b32_e32 v1, vcc_hi, v88
	v_add_lshl_u32 v87, v85, v0, 2
	v_mov_b32_e32 v0, 0
	v_and_b32_e32 v88, exec_hi, v1
	v_lshlrev_b32_e32 v1, 30, v42
	v_xor_b32_e32 v43, vcc_lo, v43
	v_cmp_gt_i64_e32 vcc, 0, v[0:1]
	v_not_b32_e32 v1, v1
	v_ashrrev_i32_e32 v1, 31, v1
	v_and_b32_e32 v43, exec_lo, v43
	v_xor_b32_e32 v90, vcc_hi, v1
	v_xor_b32_e32 v1, vcc_lo, v1
	v_and_b32_e32 v43, v43, v1
	v_lshlrev_b32_e32 v1, 29, v42
	v_cmp_gt_i64_e32 vcc, 0, v[0:1]
	v_not_b32_e32 v1, v1
	v_ashrrev_i32_e32 v1, 31, v1
	v_and_b32_e32 v88, v88, v90
	v_xor_b32_e32 v90, vcc_hi, v1
	v_xor_b32_e32 v1, vcc_lo, v1
	v_and_b32_e32 v43, v43, v1
	v_lshlrev_b32_e32 v1, 28, v42
	v_cmp_gt_i64_e32 vcc, 0, v[0:1]
	v_not_b32_e32 v1, v1
	v_ashrrev_i32_e32 v1, 31, v1
	v_and_b32_e32 v88, v88, v90
	v_xor_b32_e32 v90, vcc_hi, v1
	v_xor_b32_e32 v1, vcc_lo, v1
	v_and_b32_e32 v43, v43, v1
	v_lshlrev_b32_e32 v1, 27, v42
	v_cmp_gt_i64_e32 vcc, 0, v[0:1]
	v_not_b32_e32 v1, v1
	v_ashrrev_i32_e32 v1, 31, v1
	v_and_b32_e32 v88, v88, v90
	v_xor_b32_e32 v90, vcc_hi, v1
	v_xor_b32_e32 v1, vcc_lo, v1
	v_and_b32_e32 v43, v43, v1
	v_lshlrev_b32_e32 v1, 26, v42
	v_cmp_gt_i64_e32 vcc, 0, v[0:1]
	v_not_b32_e32 v1, v1
	v_ashrrev_i32_e32 v1, 31, v1
	v_and_b32_e32 v88, v88, v90
	v_xor_b32_e32 v90, vcc_hi, v1
	v_xor_b32_e32 v1, vcc_lo, v1
	v_and_b32_e32 v43, v43, v1
	v_lshlrev_b32_e32 v1, 25, v42
	v_cmp_gt_i64_e32 vcc, 0, v[0:1]
	v_not_b32_e32 v1, v1
	v_ashrrev_i32_e32 v1, 31, v1
	v_and_b32_e32 v88, v88, v90
	v_xor_b32_e32 v90, vcc_hi, v1
	v_xor_b32_e32 v1, vcc_lo, v1
	v_and_b32_e32 v88, v88, v90
	v_and_b32_e32 v90, v43, v1
	v_lshlrev_b32_e32 v1, 24, v42
	v_cmp_gt_i64_e32 vcc, 0, v[0:1]
	v_not_b32_e32 v1, v1
	v_ashrrev_i32_e32 v1, 31, v1
	v_xor_b32_e32 v42, vcc_hi, v1
	v_xor_b32_e32 v1, vcc_lo, v1
	; wave barrier
	ds_read_b32 v86, v87 offset:8
	v_and_b32_e32 v43, v88, v42
	v_and_b32_e32 v42, v90, v1
	v_mbcnt_lo_u32_b32 v1, v42, 0
	v_mbcnt_hi_u32_b32 v88, v43, v1
	v_cmp_eq_u32_e32 vcc, 0, v88
	v_cmp_ne_u64_e64 s[4:5], 0, v[42:43]
	s_and_b64 s[28:29], s[4:5], vcc
	; wave barrier
	s_and_saveexec_b64 s[4:5], s[28:29]
	s_cbranch_execz .LBB112_39
; %bb.38:
	v_bcnt_u32_b32 v1, v42, 0
	v_bcnt_u32_b32 v1, v43, v1
	s_waitcnt lgkmcnt(0)
	v_add_u32_e32 v1, v86, v1
	ds_write_b32 v87, v1 offset:8
.LBB112_39:
	s_or_b64 exec, exec, s[4:5]
	v_and_b32_e32 v42, s20, v75
	v_lshlrev_b32_sdwa v1, v89, v42 dst_sel:DWORD dst_unused:UNUSED_PAD src0_sel:DWORD src1_sel:BYTE_0
	v_add_lshl_u32 v90, v85, v1, 2
	v_and_b32_e32 v1, 1, v42
	v_add_co_u32_e32 v43, vcc, -1, v1
	v_addc_co_u32_e64 v91, s[4:5], 0, -1, vcc
	v_cmp_ne_u32_e32 vcc, 0, v1
	v_xor_b32_e32 v1, vcc_hi, v91
	v_and_b32_e32 v91, exec_hi, v1
	v_lshlrev_b32_e32 v1, 30, v42
	v_xor_b32_e32 v43, vcc_lo, v43
	v_cmp_gt_i64_e32 vcc, 0, v[0:1]
	v_not_b32_e32 v1, v1
	v_ashrrev_i32_e32 v1, 31, v1
	v_and_b32_e32 v43, exec_lo, v43
	v_xor_b32_e32 v92, vcc_hi, v1
	v_xor_b32_e32 v1, vcc_lo, v1
	v_and_b32_e32 v43, v43, v1
	v_lshlrev_b32_e32 v1, 29, v42
	v_cmp_gt_i64_e32 vcc, 0, v[0:1]
	v_not_b32_e32 v1, v1
	v_ashrrev_i32_e32 v1, 31, v1
	v_and_b32_e32 v91, v91, v92
	v_xor_b32_e32 v92, vcc_hi, v1
	v_xor_b32_e32 v1, vcc_lo, v1
	v_and_b32_e32 v43, v43, v1
	v_lshlrev_b32_e32 v1, 28, v42
	v_cmp_gt_i64_e32 vcc, 0, v[0:1]
	v_not_b32_e32 v1, v1
	v_ashrrev_i32_e32 v1, 31, v1
	v_and_b32_e32 v91, v91, v92
	;; [unrolled: 8-line block ×5, first 2 shown]
	v_xor_b32_e32 v92, vcc_hi, v1
	v_xor_b32_e32 v1, vcc_lo, v1
	v_and_b32_e32 v43, v43, v1
	v_lshlrev_b32_e32 v1, 24, v42
	v_cmp_gt_i64_e32 vcc, 0, v[0:1]
	v_not_b32_e32 v0, v1
	v_ashrrev_i32_e32 v0, 31, v0
	v_xor_b32_e32 v1, vcc_hi, v0
	v_xor_b32_e32 v0, vcc_lo, v0
	; wave barrier
	ds_read_b32 v89, v90 offset:8
	v_and_b32_e32 v91, v91, v92
	v_and_b32_e32 v0, v43, v0
	;; [unrolled: 1-line block ×3, first 2 shown]
	v_mbcnt_lo_u32_b32 v42, v0, 0
	v_mbcnt_hi_u32_b32 v91, v1, v42
	v_cmp_eq_u32_e32 vcc, 0, v91
	v_cmp_ne_u64_e64 s[4:5], 0, v[0:1]
	s_and_b64 s[28:29], s[4:5], vcc
	; wave barrier
	s_and_saveexec_b64 s[4:5], s[28:29]
	s_cbranch_execz .LBB112_41
; %bb.40:
	v_bcnt_u32_b32 v0, v0, 0
	v_bcnt_u32_b32 v0, v1, v0
	s_waitcnt lgkmcnt(0)
	v_add_u32_e32 v0, v89, v0
	ds_write_b32 v90, v0 offset:8
.LBB112_41:
	s_or_b64 exec, exec, s[4:5]
	v_and_b32_e32 v42, s20, v76
	v_and_b32_e32 v1, 1, v42
	v_add_co_u32_e32 v43, vcc, -1, v1
	v_mov_b32_e32 v95, 1
	v_addc_co_u32_e64 v94, s[4:5], 0, -1, vcc
	v_cmp_ne_u32_e32 vcc, 0, v1
	v_lshlrev_b32_sdwa v0, v95, v42 dst_sel:DWORD dst_unused:UNUSED_PAD src0_sel:DWORD src1_sel:BYTE_0
	v_xor_b32_e32 v1, vcc_hi, v94
	v_add_lshl_u32 v93, v85, v0, 2
	v_mov_b32_e32 v0, 0
	v_and_b32_e32 v94, exec_hi, v1
	v_lshlrev_b32_e32 v1, 30, v42
	v_xor_b32_e32 v43, vcc_lo, v43
	v_cmp_gt_i64_e32 vcc, 0, v[0:1]
	v_not_b32_e32 v1, v1
	v_ashrrev_i32_e32 v1, 31, v1
	v_and_b32_e32 v43, exec_lo, v43
	v_xor_b32_e32 v96, vcc_hi, v1
	v_xor_b32_e32 v1, vcc_lo, v1
	v_and_b32_e32 v43, v43, v1
	v_lshlrev_b32_e32 v1, 29, v42
	v_cmp_gt_i64_e32 vcc, 0, v[0:1]
	v_not_b32_e32 v1, v1
	v_ashrrev_i32_e32 v1, 31, v1
	v_and_b32_e32 v94, v94, v96
	v_xor_b32_e32 v96, vcc_hi, v1
	v_xor_b32_e32 v1, vcc_lo, v1
	v_and_b32_e32 v43, v43, v1
	v_lshlrev_b32_e32 v1, 28, v42
	v_cmp_gt_i64_e32 vcc, 0, v[0:1]
	v_not_b32_e32 v1, v1
	v_ashrrev_i32_e32 v1, 31, v1
	v_and_b32_e32 v94, v94, v96
	;; [unrolled: 8-line block ×5, first 2 shown]
	v_xor_b32_e32 v96, vcc_hi, v1
	v_xor_b32_e32 v1, vcc_lo, v1
	v_and_b32_e32 v94, v94, v96
	v_and_b32_e32 v96, v43, v1
	v_lshlrev_b32_e32 v1, 24, v42
	v_cmp_gt_i64_e32 vcc, 0, v[0:1]
	v_not_b32_e32 v1, v1
	v_ashrrev_i32_e32 v1, 31, v1
	v_xor_b32_e32 v42, vcc_hi, v1
	v_xor_b32_e32 v1, vcc_lo, v1
	; wave barrier
	ds_read_b32 v92, v93 offset:8
	v_and_b32_e32 v43, v94, v42
	v_and_b32_e32 v42, v96, v1
	v_mbcnt_lo_u32_b32 v1, v42, 0
	v_mbcnt_hi_u32_b32 v94, v43, v1
	v_cmp_eq_u32_e32 vcc, 0, v94
	v_cmp_ne_u64_e64 s[4:5], 0, v[42:43]
	s_and_b64 s[28:29], s[4:5], vcc
	; wave barrier
	s_and_saveexec_b64 s[4:5], s[28:29]
	s_cbranch_execz .LBB112_43
; %bb.42:
	v_bcnt_u32_b32 v1, v42, 0
	v_bcnt_u32_b32 v1, v43, v1
	s_waitcnt lgkmcnt(0)
	v_add_u32_e32 v1, v92, v1
	ds_write_b32 v93, v1 offset:8
.LBB112_43:
	s_or_b64 exec, exec, s[4:5]
	v_and_b32_e32 v42, s20, v77
	v_lshlrev_b32_sdwa v1, v95, v42 dst_sel:DWORD dst_unused:UNUSED_PAD src0_sel:DWORD src1_sel:BYTE_0
	v_add_lshl_u32 v96, v85, v1, 2
	v_and_b32_e32 v1, 1, v42
	v_add_co_u32_e32 v43, vcc, -1, v1
	v_addc_co_u32_e64 v97, s[4:5], 0, -1, vcc
	v_cmp_ne_u32_e32 vcc, 0, v1
	v_xor_b32_e32 v1, vcc_hi, v97
	v_and_b32_e32 v97, exec_hi, v1
	v_lshlrev_b32_e32 v1, 30, v42
	v_xor_b32_e32 v43, vcc_lo, v43
	v_cmp_gt_i64_e32 vcc, 0, v[0:1]
	v_not_b32_e32 v1, v1
	v_ashrrev_i32_e32 v1, 31, v1
	v_and_b32_e32 v43, exec_lo, v43
	v_xor_b32_e32 v98, vcc_hi, v1
	v_xor_b32_e32 v1, vcc_lo, v1
	v_and_b32_e32 v43, v43, v1
	v_lshlrev_b32_e32 v1, 29, v42
	v_cmp_gt_i64_e32 vcc, 0, v[0:1]
	v_not_b32_e32 v1, v1
	v_ashrrev_i32_e32 v1, 31, v1
	v_and_b32_e32 v97, v97, v98
	v_xor_b32_e32 v98, vcc_hi, v1
	v_xor_b32_e32 v1, vcc_lo, v1
	v_and_b32_e32 v43, v43, v1
	v_lshlrev_b32_e32 v1, 28, v42
	v_cmp_gt_i64_e32 vcc, 0, v[0:1]
	v_not_b32_e32 v1, v1
	v_ashrrev_i32_e32 v1, 31, v1
	v_and_b32_e32 v97, v97, v98
	;; [unrolled: 8-line block ×5, first 2 shown]
	v_xor_b32_e32 v98, vcc_hi, v1
	v_xor_b32_e32 v1, vcc_lo, v1
	v_and_b32_e32 v43, v43, v1
	v_lshlrev_b32_e32 v1, 24, v42
	v_cmp_gt_i64_e32 vcc, 0, v[0:1]
	v_not_b32_e32 v0, v1
	v_ashrrev_i32_e32 v0, 31, v0
	v_xor_b32_e32 v1, vcc_hi, v0
	v_xor_b32_e32 v0, vcc_lo, v0
	; wave barrier
	ds_read_b32 v95, v96 offset:8
	v_and_b32_e32 v97, v97, v98
	v_and_b32_e32 v0, v43, v0
	;; [unrolled: 1-line block ×3, first 2 shown]
	v_mbcnt_lo_u32_b32 v42, v0, 0
	v_mbcnt_hi_u32_b32 v97, v1, v42
	v_cmp_eq_u32_e32 vcc, 0, v97
	v_cmp_ne_u64_e64 s[4:5], 0, v[0:1]
	s_and_b64 s[28:29], s[4:5], vcc
	; wave barrier
	s_and_saveexec_b64 s[4:5], s[28:29]
	s_cbranch_execz .LBB112_45
; %bb.44:
	v_bcnt_u32_b32 v0, v0, 0
	v_bcnt_u32_b32 v0, v1, v0
	s_waitcnt lgkmcnt(0)
	v_add_u32_e32 v0, v95, v0
	ds_write_b32 v96, v0 offset:8
.LBB112_45:
	s_or_b64 exec, exec, s[4:5]
	v_and_b32_e32 v42, s20, v78
	v_and_b32_e32 v1, 1, v42
	v_add_co_u32_e32 v43, vcc, -1, v1
	v_mov_b32_e32 v101, 1
	v_addc_co_u32_e64 v100, s[4:5], 0, -1, vcc
	v_cmp_ne_u32_e32 vcc, 0, v1
	v_lshlrev_b32_sdwa v0, v101, v42 dst_sel:DWORD dst_unused:UNUSED_PAD src0_sel:DWORD src1_sel:BYTE_0
	v_xor_b32_e32 v1, vcc_hi, v100
	v_add_lshl_u32 v99, v85, v0, 2
	v_mov_b32_e32 v0, 0
	v_and_b32_e32 v100, exec_hi, v1
	v_lshlrev_b32_e32 v1, 30, v42
	v_xor_b32_e32 v43, vcc_lo, v43
	v_cmp_gt_i64_e32 vcc, 0, v[0:1]
	v_not_b32_e32 v1, v1
	v_ashrrev_i32_e32 v1, 31, v1
	v_and_b32_e32 v43, exec_lo, v43
	v_xor_b32_e32 v102, vcc_hi, v1
	v_xor_b32_e32 v1, vcc_lo, v1
	v_and_b32_e32 v43, v43, v1
	v_lshlrev_b32_e32 v1, 29, v42
	v_cmp_gt_i64_e32 vcc, 0, v[0:1]
	v_not_b32_e32 v1, v1
	v_ashrrev_i32_e32 v1, 31, v1
	v_and_b32_e32 v100, v100, v102
	v_xor_b32_e32 v102, vcc_hi, v1
	v_xor_b32_e32 v1, vcc_lo, v1
	v_and_b32_e32 v43, v43, v1
	v_lshlrev_b32_e32 v1, 28, v42
	v_cmp_gt_i64_e32 vcc, 0, v[0:1]
	v_not_b32_e32 v1, v1
	v_ashrrev_i32_e32 v1, 31, v1
	v_and_b32_e32 v100, v100, v102
	;; [unrolled: 8-line block ×5, first 2 shown]
	v_xor_b32_e32 v102, vcc_hi, v1
	v_xor_b32_e32 v1, vcc_lo, v1
	v_and_b32_e32 v100, v100, v102
	v_and_b32_e32 v102, v43, v1
	v_lshlrev_b32_e32 v1, 24, v42
	v_cmp_gt_i64_e32 vcc, 0, v[0:1]
	v_not_b32_e32 v1, v1
	v_ashrrev_i32_e32 v1, 31, v1
	v_xor_b32_e32 v42, vcc_hi, v1
	v_xor_b32_e32 v1, vcc_lo, v1
	; wave barrier
	ds_read_b32 v98, v99 offset:8
	v_and_b32_e32 v43, v100, v42
	v_and_b32_e32 v42, v102, v1
	v_mbcnt_lo_u32_b32 v1, v42, 0
	v_mbcnt_hi_u32_b32 v100, v43, v1
	v_cmp_eq_u32_e32 vcc, 0, v100
	v_cmp_ne_u64_e64 s[4:5], 0, v[42:43]
	s_and_b64 s[28:29], s[4:5], vcc
	; wave barrier
	s_and_saveexec_b64 s[4:5], s[28:29]
	s_cbranch_execz .LBB112_47
; %bb.46:
	v_bcnt_u32_b32 v1, v42, 0
	v_bcnt_u32_b32 v1, v43, v1
	s_waitcnt lgkmcnt(0)
	v_add_u32_e32 v1, v98, v1
	ds_write_b32 v99, v1 offset:8
.LBB112_47:
	s_or_b64 exec, exec, s[4:5]
	v_and_b32_e32 v42, s20, v79
	v_lshlrev_b32_sdwa v1, v101, v42 dst_sel:DWORD dst_unused:UNUSED_PAD src0_sel:DWORD src1_sel:BYTE_0
	v_add_lshl_u32 v101, v85, v1, 2
	v_and_b32_e32 v1, 1, v42
	v_add_co_u32_e32 v43, vcc, -1, v1
	v_addc_co_u32_e64 v103, s[4:5], 0, -1, vcc
	v_cmp_ne_u32_e32 vcc, 0, v1
	v_xor_b32_e32 v1, vcc_hi, v103
	v_and_b32_e32 v103, exec_hi, v1
	v_lshlrev_b32_e32 v1, 30, v42
	v_xor_b32_e32 v43, vcc_lo, v43
	v_cmp_gt_i64_e32 vcc, 0, v[0:1]
	v_not_b32_e32 v1, v1
	v_ashrrev_i32_e32 v1, 31, v1
	v_and_b32_e32 v43, exec_lo, v43
	v_xor_b32_e32 v104, vcc_hi, v1
	v_xor_b32_e32 v1, vcc_lo, v1
	v_and_b32_e32 v43, v43, v1
	v_lshlrev_b32_e32 v1, 29, v42
	v_cmp_gt_i64_e32 vcc, 0, v[0:1]
	v_not_b32_e32 v1, v1
	v_ashrrev_i32_e32 v1, 31, v1
	v_and_b32_e32 v103, v103, v104
	v_xor_b32_e32 v104, vcc_hi, v1
	v_xor_b32_e32 v1, vcc_lo, v1
	v_and_b32_e32 v43, v43, v1
	v_lshlrev_b32_e32 v1, 28, v42
	v_cmp_gt_i64_e32 vcc, 0, v[0:1]
	v_not_b32_e32 v1, v1
	v_ashrrev_i32_e32 v1, 31, v1
	v_and_b32_e32 v103, v103, v104
	;; [unrolled: 8-line block ×5, first 2 shown]
	v_xor_b32_e32 v104, vcc_hi, v1
	v_xor_b32_e32 v1, vcc_lo, v1
	v_and_b32_e32 v43, v43, v1
	v_lshlrev_b32_e32 v1, 24, v42
	v_cmp_gt_i64_e32 vcc, 0, v[0:1]
	v_not_b32_e32 v0, v1
	v_ashrrev_i32_e32 v0, 31, v0
	v_xor_b32_e32 v1, vcc_hi, v0
	v_xor_b32_e32 v0, vcc_lo, v0
	; wave barrier
	ds_read_b32 v85, v101 offset:8
	v_and_b32_e32 v103, v103, v104
	v_and_b32_e32 v0, v43, v0
	;; [unrolled: 1-line block ×3, first 2 shown]
	v_mbcnt_lo_u32_b32 v42, v0, 0
	v_mbcnt_hi_u32_b32 v103, v1, v42
	v_cmp_eq_u32_e32 vcc, 0, v103
	v_cmp_ne_u64_e64 s[4:5], 0, v[0:1]
	v_or_b32_e32 v102, 8, v62
	s_and_b64 s[20:21], s[4:5], vcc
	; wave barrier
	s_and_saveexec_b64 s[4:5], s[20:21]
	s_cbranch_execz .LBB112_49
; %bb.48:
	v_bcnt_u32_b32 v0, v0, 0
	v_bcnt_u32_b32 v0, v1, v0
	s_waitcnt lgkmcnt(0)
	v_add_u32_e32 v0, v85, v0
	ds_write_b32 v101, v0 offset:8
.LBB112_49:
	s_or_b64 exec, exec, s[4:5]
	; wave barrier
	s_waitcnt lgkmcnt(0)
	s_barrier
	ds_read2_b32 v[0:1], v62 offset0:2 offset1:3
	ds_read2_b32 v[42:43], v102 offset0:2 offset1:3
	s_waitcnt lgkmcnt(1)
	v_add_u32_e32 v104, v1, v0
	s_waitcnt lgkmcnt(0)
	v_add3_u32 v43, v104, v42, v43
	v_and_b32_e32 v104, 15, v61
	v_cmp_ne_u32_e32 vcc, 0, v104
	v_mov_b32_dpp v105, v43 row_shr:1 row_mask:0xf bank_mask:0xf
	v_cndmask_b32_e32 v105, 0, v105, vcc
	v_add_u32_e32 v43, v105, v43
	v_cmp_lt_u32_e32 vcc, 1, v104
	s_nop 0
	v_mov_b32_dpp v105, v43 row_shr:2 row_mask:0xf bank_mask:0xf
	v_cndmask_b32_e32 v105, 0, v105, vcc
	v_add_u32_e32 v43, v43, v105
	v_cmp_lt_u32_e32 vcc, 3, v104
	s_nop 0
	;; [unrolled: 5-line block ×3, first 2 shown]
	v_mov_b32_dpp v105, v43 row_shr:8 row_mask:0xf bank_mask:0xf
	v_cndmask_b32_e32 v104, 0, v105, vcc
	v_add_u32_e32 v43, v43, v104
	v_bfe_i32 v105, v61, 4, 1
	v_cmp_lt_u32_e32 vcc, 31, v61
	v_mov_b32_dpp v104, v43 row_bcast:15 row_mask:0xf bank_mask:0xf
	v_and_b32_e32 v104, v105, v104
	v_add_u32_e32 v43, v43, v104
	v_min_u32_e32 v105, 64, v63
	v_or_b32_e32 v105, 63, v105
	v_mov_b32_dpp v104, v43 row_bcast:31 row_mask:0xf bank_mask:0xf
	v_cndmask_b32_e32 v104, 0, v104, vcc
	v_add_u32_e32 v43, v43, v104
	v_lshrrev_b32_e32 v104, 6, v36
	v_cmp_eq_u32_e32 vcc, v105, v36
	s_and_saveexec_b64 s[4:5], vcc
	s_cbranch_execz .LBB112_51
; %bb.50:
	v_lshlrev_b32_e32 v105, 2, v104
	ds_write_b32 v105, v43
.LBB112_51:
	s_or_b64 exec, exec, s[4:5]
	v_cmp_gt_u32_e32 vcc, 2, v36
	s_waitcnt lgkmcnt(0)
	s_barrier
	s_and_saveexec_b64 s[4:5], vcc
	s_cbranch_execz .LBB112_53
; %bb.52:
	v_lshlrev_b32_e32 v105, 2, v36
	ds_read_b32 v106, v105
	v_bfe_i32 v107, v61, 0, 1
	s_waitcnt lgkmcnt(0)
	v_mov_b32_dpp v108, v106 row_shr:1 row_mask:0xf bank_mask:0xf
	v_and_b32_e32 v107, v107, v108
	v_add_u32_e32 v106, v107, v106
	ds_write_b32 v105, v106
.LBB112_53:
	s_or_b64 exec, exec, s[4:5]
	v_cmp_lt_u32_e32 vcc, 63, v36
	v_mov_b32_e32 v105, 0
	s_waitcnt lgkmcnt(0)
	s_barrier
	s_and_saveexec_b64 s[4:5], vcc
	s_cbranch_execz .LBB112_55
; %bb.54:
	v_lshl_add_u32 v104, v104, 2, -4
	ds_read_b32 v105, v104
.LBB112_55:
	s_or_b64 exec, exec, s[4:5]
	v_add_u32_e32 v104, -1, v61
	v_and_b32_e32 v106, 64, v61
	v_cmp_lt_i32_e32 vcc, v104, v106
	v_cndmask_b32_e32 v104, v104, v61, vcc
	s_waitcnt lgkmcnt(0)
	v_add_u32_e32 v43, v105, v43
	v_lshlrev_b32_e32 v104, 2, v104
	ds_bpermute_b32 v43, v104, v43
	v_cmp_eq_u32_e32 vcc, 0, v61
	s_movk_i32 s4, 0x80
	s_waitcnt lgkmcnt(0)
	v_cndmask_b32_e32 v43, v43, v105, vcc
	v_cmp_ne_u32_e32 vcc, 0, v36
	v_cndmask_b32_e32 v43, 0, v43, vcc
	v_add_u32_e32 v0, v43, v0
	v_add_u32_e32 v1, v0, v1
	;; [unrolled: 1-line block ×3, first 2 shown]
	ds_write2_b32 v62, v43, v0 offset0:2 offset1:3
	ds_write2_b32 v102, v1, v42 offset0:2 offset1:3
	s_waitcnt lgkmcnt(0)
	s_barrier
	ds_read_b32 v0, v80 offset:8
	ds_read_b32 v1, v83 offset:8
	ds_read_b32 v42, v87 offset:8
	ds_read_b32 v43, v90 offset:8
	ds_read_b32 v80, v93 offset:8
	ds_read_b32 v83, v96 offset:8
	ds_read_b32 v87, v99 offset:8
	ds_read_b32 v90, v101 offset:8
	s_waitcnt lgkmcnt(7)
	v_add_u32_e32 v81, v0, v81
	s_waitcnt lgkmcnt(6)
	v_add3_u32 v82, v84, v82, v1
	s_waitcnt lgkmcnt(5)
	v_add3_u32 v42, v88, v86, v42
	;; [unrolled: 2-line block ×7, first 2 shown]
	s_barrier
	ds_write_b8 v81, v72
	ds_write_b8 v82, v73
	;; [unrolled: 1-line block ×8, first 2 shown]
	v_lshlrev_b32_e32 v74, 3, v81
	s_waitcnt lgkmcnt(0)
	s_barrier
	ds_read_b64 v[0:1], v53
	s_waitcnt lgkmcnt(0)
	s_barrier
	ds_write_b64 v74, v[30:31]
	v_lshlrev_b32_e32 v30, 3, v82
	ds_write_b64 v30, v[32:33]
	v_lshlrev_b32_e32 v30, 3, v42
	;; [unrolled: 2-line block ×7, first 2 shown]
	v_lshlrev_b32_e32 v30, 3, v53
	ds_write_b64 v18, v[20:21]
	s_waitcnt lgkmcnt(0)
	s_barrier
	ds_read2_b64 v[18:21], v30 offset1:1
	ds_read2_b64 v[22:25], v30 offset0:2 offset1:3
	ds_read2_b64 v[26:29], v30 offset0:4 offset1:5
	;; [unrolled: 1-line block ×3, first 2 shown]
	v_lshrrev_b32_e32 v72, 8, v0
	v_lshrrev_b32_e32 v73, 8, v1
	v_xor_b32_e32 v42, 0x80, v0
	v_xor_b32_sdwa v43, v72, s4 dst_sel:BYTE_1 dst_unused:UNUSED_PAD src0_sel:DWORD src1_sel:DWORD
	v_xor_b32_sdwa v72, v0, s4 dst_sel:DWORD dst_unused:UNUSED_PAD src0_sel:WORD_1 src1_sel:DWORD
	v_xor_b32_sdwa v0, v0, s4 dst_sel:BYTE_1 dst_unused:UNUSED_PAD src0_sel:BYTE_3 src1_sel:DWORD
	v_xor_b32_e32 v74, 0x80, v1
	v_xor_b32_sdwa v73, v73, s4 dst_sel:BYTE_1 dst_unused:UNUSED_PAD src0_sel:DWORD src1_sel:DWORD
	v_xor_b32_sdwa v75, v1, s4 dst_sel:DWORD dst_unused:UNUSED_PAD src0_sel:WORD_1 src1_sel:DWORD
	v_xor_b32_sdwa v1, v1, s4 dst_sel:BYTE_1 dst_unused:UNUSED_PAD src0_sel:BYTE_3 src1_sel:DWORD
	v_or_b32_sdwa v42, v42, v43 dst_sel:DWORD dst_unused:UNUSED_PAD src0_sel:BYTE_0 src1_sel:DWORD
	v_or_b32_sdwa v0, v72, v0 dst_sel:WORD_1 dst_unused:UNUSED_PAD src0_sel:BYTE_0 src1_sel:DWORD
	v_or_b32_sdwa v0, v42, v0 dst_sel:DWORD dst_unused:UNUSED_PAD src0_sel:WORD_0 src1_sel:DWORD
	v_or_b32_sdwa v42, v74, v73 dst_sel:DWORD dst_unused:UNUSED_PAD src0_sel:BYTE_0 src1_sel:DWORD
	v_or_b32_sdwa v1, v75, v1 dst_sel:WORD_1 dst_unused:UNUSED_PAD src0_sel:BYTE_0 src1_sel:DWORD
	v_or_b32_sdwa v1, v42, v1 dst_sel:DWORD dst_unused:UNUSED_PAD src0_sel:WORD_0 src1_sel:DWORD
	s_branch .LBB112_87
.LBB112_56:
	v_mov_b32_e32 v35, 0
	v_lshlrev_b64 v[2:3], 3, v[34:35]
	v_mov_b32_e32 v4, s23
	v_add_co_u32_e32 v2, vcc, s19, v2
	v_addc_co_u32_e32 v3, vcc, v4, v3, vcc
	global_load_dwordx2 v[2:3], v[2:3], off
	v_mov_b32_e32 v4, v35
	v_mov_b32_e32 v5, v35
	;; [unrolled: 1-line block ×14, first 2 shown]
	s_or_b64 exec, exec, s[4:5]
	s_and_saveexec_b64 s[4:5], s[2:3]
	s_cbranch_execz .LBB112_25
.LBB112_57:
	v_mul_lo_u32 v4, v32, s18
	v_mov_b32_e32 v5, 0
	v_lshlrev_b64 v[4:5], 3, v[4:5]
	v_mov_b32_e32 v32, s23
	v_add_co_u32_e32 v4, vcc, s19, v4
	v_addc_co_u32_e32 v5, vcc, v32, v5, vcc
	global_load_dwordx2 v[4:5], v[4:5], off
	s_or_b64 exec, exec, s[4:5]
	s_and_saveexec_b64 s[4:5], s[16:17]
	s_cbranch_execz .LBB112_26
.LBB112_58:
	v_mul_lo_u32 v6, v31, s18
	v_mov_b32_e32 v7, 0
	v_lshlrev_b64 v[6:7], 3, v[6:7]
	v_mov_b32_e32 v31, s23
	v_add_co_u32_e32 v6, vcc, s19, v6
	v_addc_co_u32_e32 v7, vcc, v31, v7, vcc
	global_load_dwordx2 v[6:7], v[6:7], off
	s_or_b64 exec, exec, s[4:5]
	s_and_saveexec_b64 s[4:5], s[6:7]
	s_cbranch_execz .LBB112_27
.LBB112_59:
	v_mul_lo_u32 v8, v30, s18
	v_mov_b32_e32 v9, 0
	v_lshlrev_b64 v[8:9], 3, v[8:9]
	v_mov_b32_e32 v30, s23
	v_add_co_u32_e32 v8, vcc, s19, v8
	v_addc_co_u32_e32 v9, vcc, v30, v9, vcc
	global_load_dwordx2 v[8:9], v[8:9], off
	s_or_b64 exec, exec, s[4:5]
	s_and_saveexec_b64 s[4:5], s[8:9]
	s_cbranch_execz .LBB112_28
.LBB112_60:
	v_mul_lo_u32 v10, v29, s18
	v_mov_b32_e32 v11, 0
	v_lshlrev_b64 v[10:11], 3, v[10:11]
	v_mov_b32_e32 v29, s23
	v_add_co_u32_e32 v10, vcc, s19, v10
	v_addc_co_u32_e32 v11, vcc, v29, v11, vcc
	global_load_dwordx2 v[10:11], v[10:11], off
	s_or_b64 exec, exec, s[4:5]
	s_and_saveexec_b64 s[4:5], s[10:11]
	s_cbranch_execz .LBB112_29
.LBB112_61:
	v_mul_lo_u32 v12, v28, s18
	v_mov_b32_e32 v13, 0
	v_lshlrev_b64 v[12:13], 3, v[12:13]
	v_mov_b32_e32 v28, s23
	v_add_co_u32_e32 v12, vcc, s19, v12
	v_addc_co_u32_e32 v13, vcc, v28, v13, vcc
	global_load_dwordx2 v[12:13], v[12:13], off
	s_or_b64 exec, exec, s[4:5]
	s_and_saveexec_b64 s[4:5], s[12:13]
	s_cbranch_execz .LBB112_30
.LBB112_62:
	v_mul_lo_u32 v14, v27, s18
	v_mov_b32_e32 v15, 0
	v_lshlrev_b64 v[14:15], 3, v[14:15]
	v_mov_b32_e32 v27, s23
	v_add_co_u32_e32 v14, vcc, s19, v14
	v_addc_co_u32_e32 v15, vcc, v27, v15, vcc
	global_load_dwordx2 v[14:15], v[14:15], off
	s_or_b64 exec, exec, s[4:5]
	s_xor_b64 s[4:5], s[28:29], -1
	s_and_saveexec_b64 s[20:21], s[14:15]
	s_cbranch_execnz .LBB112_31
	s_branch .LBB112_32
.LBB112_63:
                                        ; implicit-def: $vgpr1
                                        ; implicit-def: $vgpr32_vgpr33
                                        ; implicit-def: $vgpr28_vgpr29
                                        ; implicit-def: $vgpr24_vgpr25
                                        ; implicit-def: $vgpr20_vgpr21
	s_cbranch_execz .LBB112_87
; %bb.64:
	s_movk_i32 s4, 0x7f
	v_xor_b32_sdwa v0, v67, s4 dst_sel:BYTE_1 dst_unused:UNUSED_PAD src0_sel:DWORD src1_sel:DWORD
	v_xor_b32_e32 v1, 0x7f, v39
	v_or_b32_sdwa v0, v1, v0 dst_sel:DWORD dst_unused:UNUSED_PAD src0_sel:BYTE_0 src1_sel:DWORD
	v_xor_b32_sdwa v1, v39, s4 dst_sel:DWORD dst_unused:UNUSED_PAD src0_sel:BYTE_3 src1_sel:DWORD
	v_lshlrev_b16_e32 v1, 8, v1
	s_waitcnt lgkmcnt(3)
	v_xor_b32_sdwa v18, v39, s4 dst_sel:DWORD dst_unused:UNUSED_PAD src0_sel:WORD_1 src1_sel:DWORD
	v_or_b32_sdwa v1, v18, v1 dst_sel:WORD_1 dst_unused:UNUSED_PAD src0_sel:BYTE_0 src1_sel:DWORD
	v_or_b32_sdwa v1, v0, v1 dst_sel:DWORD dst_unused:UNUSED_PAD src0_sel:WORD_0 src1_sel:DWORD
	v_xor_b32_sdwa v0, v64, s4 dst_sel:BYTE_1 dst_unused:UNUSED_PAD src0_sel:DWORD src1_sel:DWORD
	v_xor_b32_e32 v18, 0x7f, v38
	v_or_b32_sdwa v0, v18, v0 dst_sel:DWORD dst_unused:UNUSED_PAD src0_sel:BYTE_0 src1_sel:DWORD
	v_xor_b32_sdwa v18, v40, s4 dst_sel:BYTE_1 dst_unused:UNUSED_PAD src0_sel:DWORD src1_sel:DWORD
	v_xor_b32_sdwa v19, v38, s4 dst_sel:DWORD dst_unused:UNUSED_PAD src0_sel:WORD_1 src1_sel:DWORD
	v_or_b32_sdwa v18, v19, v18 dst_sel:WORD_1 dst_unused:UNUSED_PAD src0_sel:BYTE_0 src1_sel:DWORD
	v_or_b32_sdwa v0, v0, v18 dst_sel:DWORD dst_unused:UNUSED_PAD src0_sel:WORD_0 src1_sel:DWORD
	s_getpc_b64 s[4:5]
	s_add_u32 s4, s4, _ZN7rocprim17ROCPRIM_400000_NS16block_radix_sortIaLj128ELj8ElLj1ELj1ELj0ELNS0_26block_radix_rank_algorithmE1ELNS0_18block_padding_hintE2ELNS0_4arch9wavefront6targetE1EE19radix_bits_per_passE@rel32@lo+4
	s_addc_u32 s5, s5, _ZN7rocprim17ROCPRIM_400000_NS16block_radix_sortIaLj128ELj8ElLj1ELj1ELj0ELNS0_26block_radix_rank_algorithmE1ELNS0_18block_padding_hintE2ELNS0_4arch9wavefront6targetE1EE19radix_bits_per_passE@rel32@hi+12
	ds_write_b64 v71, v[0:1]
	; wave barrier
	ds_read_u8 v20, v70
	ds_read_u8 v21, v70 offset:64
	s_waitcnt lgkmcnt(5)
	ds_read_u8 v22, v70 offset:128
	ds_read_u8 v23, v70 offset:192
	;; [unrolled: 1-line block ×4, first 2 shown]
	s_waitcnt lgkmcnt(8)
	ds_read_u8 v26, v70 offset:384
	ds_read_u8 v27, v70 offset:448
	s_waitcnt lgkmcnt(0)
	s_barrier
	ds_write2_b64 v69, v[14:15], v[16:17] offset1:1
	ds_write2_b64 v69, v[10:11], v[12:13] offset0:2 offset1:3
	ds_write2_b64 v69, v[6:7], v[8:9] offset0:4 offset1:5
	ds_write2_b64 v69, v[2:3], v[4:5] offset0:6 offset1:7
	; wave barrier
	ds_read2st64_b64 v[12:15], v68 offset1:1
	ds_read2st64_b64 v[8:11], v68 offset0:2 offset1:3
	ds_read2st64_b64 v[4:7], v68 offset0:4 offset1:5
	;; [unrolled: 1-line block ×3, first 2 shown]
	s_waitcnt lgkmcnt(0)
	s_barrier
	s_load_dword s20, s[4:5], 0x0
	s_load_dword s21, s[26:27], 0xc
	v_mov_b32_e32 v30, 1
	s_waitcnt lgkmcnt(0)
	s_min_u32 s20, s20, 8
	s_lshr_b32 s4, s21, 16
	s_and_b32 s5, s21, 0xffff
	v_mad_u32_u24 v16, v66, s4, v65
	v_mad_u64_u32 v[18:19], s[4:5], v16, s5, v[36:37]
	s_lshl_b32 s4, -1, s20
	s_not_b32 s20, s4
	v_lshrrev_b32_e32 v33, 6, v18
	v_and_b32_e32 v18, s20, v20
	v_lshlrev_b32_sdwa v17, v30, v18 dst_sel:DWORD dst_unused:UNUSED_PAD src0_sel:DWORD src1_sel:BYTE_0
	v_add_lshl_u32 v28, v33, v17, 2
	v_and_b32_e32 v17, 1, v18
	v_add_co_u32_e32 v19, vcc, -1, v17
	v_addc_co_u32_e64 v29, s[4:5], 0, -1, vcc
	v_cmp_ne_u32_e32 vcc, 0, v17
	v_xor_b32_e32 v17, vcc_hi, v29
	v_mov_b32_e32 v16, 0
	v_and_b32_e32 v29, exec_hi, v17
	v_lshlrev_b32_e32 v17, 30, v18
	v_xor_b32_e32 v19, vcc_lo, v19
	v_cmp_gt_i64_e32 vcc, 0, v[16:17]
	v_not_b32_e32 v17, v17
	v_ashrrev_i32_e32 v17, 31, v17
	v_and_b32_e32 v19, exec_lo, v19
	v_xor_b32_e32 v31, vcc_hi, v17
	v_xor_b32_e32 v17, vcc_lo, v17
	v_and_b32_e32 v19, v19, v17
	v_lshlrev_b32_e32 v17, 29, v18
	v_cmp_gt_i64_e32 vcc, 0, v[16:17]
	v_not_b32_e32 v17, v17
	v_ashrrev_i32_e32 v17, 31, v17
	v_and_b32_e32 v29, v29, v31
	v_xor_b32_e32 v31, vcc_hi, v17
	v_xor_b32_e32 v17, vcc_lo, v17
	v_and_b32_e32 v19, v19, v17
	v_lshlrev_b32_e32 v17, 28, v18
	v_cmp_gt_i64_e32 vcc, 0, v[16:17]
	v_not_b32_e32 v17, v17
	v_ashrrev_i32_e32 v17, 31, v17
	v_and_b32_e32 v29, v29, v31
	;; [unrolled: 8-line block ×5, first 2 shown]
	v_xor_b32_e32 v31, vcc_hi, v17
	v_xor_b32_e32 v17, vcc_lo, v17
	v_and_b32_e32 v29, v29, v31
	v_and_b32_e32 v31, v19, v17
	v_lshlrev_b32_e32 v17, 24, v18
	v_cmp_gt_i64_e32 vcc, 0, v[16:17]
	v_not_b32_e32 v17, v17
	v_ashrrev_i32_e32 v17, 31, v17
	v_xor_b32_e32 v18, vcc_hi, v17
	v_xor_b32_e32 v17, vcc_lo, v17
	v_and_b32_e32 v19, v29, v18
	v_and_b32_e32 v18, v31, v17
	v_mbcnt_lo_u32_b32 v17, v18, 0
	v_mbcnt_hi_u32_b32 v29, v19, v17
	v_cmp_eq_u32_e32 vcc, 0, v29
	v_cmp_ne_u64_e64 s[4:5], 0, v[18:19]
	s_and_b64 s[26:27], s[4:5], vcc
	ds_write2_b32 v62, v16, v16 offset0:2 offset1:3
	ds_write2_b32 v62, v16, v16 offset0:4 offset1:5
	s_waitcnt lgkmcnt(0)
	s_barrier
	s_waitcnt lgkmcnt(0)
	; wave barrier
	s_and_saveexec_b64 s[4:5], s[26:27]
	s_cbranch_execz .LBB112_66
; %bb.65:
	v_bcnt_u32_b32 v17, v18, 0
	v_bcnt_u32_b32 v17, v19, v17
	ds_write_b32 v28, v17 offset:8
.LBB112_66:
	s_or_b64 exec, exec, s[4:5]
	v_and_b32_e32 v18, s20, v21
	v_lshlrev_b32_sdwa v17, v30, v18 dst_sel:DWORD dst_unused:UNUSED_PAD src0_sel:DWORD src1_sel:BYTE_0
	v_add_lshl_u32 v31, v33, v17, 2
	v_and_b32_e32 v17, 1, v18
	v_add_co_u32_e32 v19, vcc, -1, v17
	v_addc_co_u32_e64 v32, s[4:5], 0, -1, vcc
	v_cmp_ne_u32_e32 vcc, 0, v17
	v_xor_b32_e32 v17, vcc_hi, v32
	v_and_b32_e32 v32, exec_hi, v17
	v_lshlrev_b32_e32 v17, 30, v18
	v_xor_b32_e32 v19, vcc_lo, v19
	v_cmp_gt_i64_e32 vcc, 0, v[16:17]
	v_not_b32_e32 v17, v17
	v_ashrrev_i32_e32 v17, 31, v17
	v_and_b32_e32 v19, exec_lo, v19
	v_xor_b32_e32 v38, vcc_hi, v17
	v_xor_b32_e32 v17, vcc_lo, v17
	v_and_b32_e32 v19, v19, v17
	v_lshlrev_b32_e32 v17, 29, v18
	v_cmp_gt_i64_e32 vcc, 0, v[16:17]
	v_not_b32_e32 v17, v17
	v_ashrrev_i32_e32 v17, 31, v17
	v_and_b32_e32 v32, v32, v38
	v_xor_b32_e32 v38, vcc_hi, v17
	v_xor_b32_e32 v17, vcc_lo, v17
	v_and_b32_e32 v19, v19, v17
	v_lshlrev_b32_e32 v17, 28, v18
	v_cmp_gt_i64_e32 vcc, 0, v[16:17]
	v_not_b32_e32 v17, v17
	v_ashrrev_i32_e32 v17, 31, v17
	v_and_b32_e32 v32, v32, v38
	;; [unrolled: 8-line block ×5, first 2 shown]
	v_xor_b32_e32 v38, vcc_hi, v17
	v_xor_b32_e32 v17, vcc_lo, v17
	v_and_b32_e32 v19, v19, v17
	v_lshlrev_b32_e32 v17, 24, v18
	v_cmp_gt_i64_e32 vcc, 0, v[16:17]
	v_not_b32_e32 v16, v17
	v_ashrrev_i32_e32 v16, 31, v16
	v_xor_b32_e32 v17, vcc_hi, v16
	v_xor_b32_e32 v16, vcc_lo, v16
	; wave barrier
	ds_read_b32 v30, v31 offset:8
	v_and_b32_e32 v32, v32, v38
	v_and_b32_e32 v16, v19, v16
	;; [unrolled: 1-line block ×3, first 2 shown]
	v_mbcnt_lo_u32_b32 v18, v16, 0
	v_mbcnt_hi_u32_b32 v32, v17, v18
	v_cmp_eq_u32_e32 vcc, 0, v32
	v_cmp_ne_u64_e64 s[4:5], 0, v[16:17]
	s_and_b64 s[26:27], s[4:5], vcc
	; wave barrier
	s_and_saveexec_b64 s[4:5], s[26:27]
	s_cbranch_execz .LBB112_68
; %bb.67:
	v_bcnt_u32_b32 v16, v16, 0
	v_bcnt_u32_b32 v16, v17, v16
	s_waitcnt lgkmcnt(0)
	v_add_u32_e32 v16, v30, v16
	ds_write_b32 v31, v16 offset:8
.LBB112_68:
	s_or_b64 exec, exec, s[4:5]
	v_and_b32_e32 v18, s20, v22
	v_and_b32_e32 v17, 1, v18
	v_add_co_u32_e32 v19, vcc, -1, v17
	v_mov_b32_e32 v42, 1
	v_addc_co_u32_e64 v40, s[4:5], 0, -1, vcc
	v_cmp_ne_u32_e32 vcc, 0, v17
	v_lshlrev_b32_sdwa v16, v42, v18 dst_sel:DWORD dst_unused:UNUSED_PAD src0_sel:DWORD src1_sel:BYTE_0
	v_xor_b32_e32 v17, vcc_hi, v40
	v_add_lshl_u32 v39, v33, v16, 2
	v_mov_b32_e32 v16, 0
	v_and_b32_e32 v40, exec_hi, v17
	v_lshlrev_b32_e32 v17, 30, v18
	v_xor_b32_e32 v19, vcc_lo, v19
	v_cmp_gt_i64_e32 vcc, 0, v[16:17]
	v_not_b32_e32 v17, v17
	v_ashrrev_i32_e32 v17, 31, v17
	v_and_b32_e32 v19, exec_lo, v19
	v_xor_b32_e32 v43, vcc_hi, v17
	v_xor_b32_e32 v17, vcc_lo, v17
	v_and_b32_e32 v19, v19, v17
	v_lshlrev_b32_e32 v17, 29, v18
	v_cmp_gt_i64_e32 vcc, 0, v[16:17]
	v_not_b32_e32 v17, v17
	v_ashrrev_i32_e32 v17, 31, v17
	v_and_b32_e32 v40, v40, v43
	v_xor_b32_e32 v43, vcc_hi, v17
	v_xor_b32_e32 v17, vcc_lo, v17
	v_and_b32_e32 v19, v19, v17
	v_lshlrev_b32_e32 v17, 28, v18
	v_cmp_gt_i64_e32 vcc, 0, v[16:17]
	v_not_b32_e32 v17, v17
	v_ashrrev_i32_e32 v17, 31, v17
	v_and_b32_e32 v40, v40, v43
	;; [unrolled: 8-line block ×5, first 2 shown]
	v_xor_b32_e32 v43, vcc_hi, v17
	v_xor_b32_e32 v17, vcc_lo, v17
	v_and_b32_e32 v40, v40, v43
	v_and_b32_e32 v43, v19, v17
	v_lshlrev_b32_e32 v17, 24, v18
	v_cmp_gt_i64_e32 vcc, 0, v[16:17]
	v_not_b32_e32 v17, v17
	v_ashrrev_i32_e32 v17, 31, v17
	v_xor_b32_e32 v18, vcc_hi, v17
	v_xor_b32_e32 v17, vcc_lo, v17
	; wave barrier
	ds_read_b32 v38, v39 offset:8
	v_and_b32_e32 v19, v40, v18
	v_and_b32_e32 v18, v43, v17
	v_mbcnt_lo_u32_b32 v17, v18, 0
	v_mbcnt_hi_u32_b32 v40, v19, v17
	v_cmp_eq_u32_e32 vcc, 0, v40
	v_cmp_ne_u64_e64 s[4:5], 0, v[18:19]
	s_and_b64 s[26:27], s[4:5], vcc
	; wave barrier
	s_and_saveexec_b64 s[4:5], s[26:27]
	s_cbranch_execz .LBB112_70
; %bb.69:
	v_bcnt_u32_b32 v17, v18, 0
	v_bcnt_u32_b32 v17, v19, v17
	s_waitcnt lgkmcnt(0)
	v_add_u32_e32 v17, v38, v17
	ds_write_b32 v39, v17 offset:8
.LBB112_70:
	s_or_b64 exec, exec, s[4:5]
	v_and_b32_e32 v18, s20, v23
	v_lshlrev_b32_sdwa v17, v42, v18 dst_sel:DWORD dst_unused:UNUSED_PAD src0_sel:DWORD src1_sel:BYTE_0
	v_add_lshl_u32 v43, v33, v17, 2
	v_and_b32_e32 v17, 1, v18
	v_add_co_u32_e32 v19, vcc, -1, v17
	v_addc_co_u32_e64 v64, s[4:5], 0, -1, vcc
	v_cmp_ne_u32_e32 vcc, 0, v17
	v_xor_b32_e32 v17, vcc_hi, v64
	v_and_b32_e32 v64, exec_hi, v17
	v_lshlrev_b32_e32 v17, 30, v18
	v_xor_b32_e32 v19, vcc_lo, v19
	v_cmp_gt_i64_e32 vcc, 0, v[16:17]
	v_not_b32_e32 v17, v17
	v_ashrrev_i32_e32 v17, 31, v17
	v_and_b32_e32 v19, exec_lo, v19
	v_xor_b32_e32 v65, vcc_hi, v17
	v_xor_b32_e32 v17, vcc_lo, v17
	v_and_b32_e32 v19, v19, v17
	v_lshlrev_b32_e32 v17, 29, v18
	v_cmp_gt_i64_e32 vcc, 0, v[16:17]
	v_not_b32_e32 v17, v17
	v_ashrrev_i32_e32 v17, 31, v17
	v_and_b32_e32 v64, v64, v65
	v_xor_b32_e32 v65, vcc_hi, v17
	v_xor_b32_e32 v17, vcc_lo, v17
	v_and_b32_e32 v19, v19, v17
	v_lshlrev_b32_e32 v17, 28, v18
	v_cmp_gt_i64_e32 vcc, 0, v[16:17]
	v_not_b32_e32 v17, v17
	v_ashrrev_i32_e32 v17, 31, v17
	v_and_b32_e32 v64, v64, v65
	;; [unrolled: 8-line block ×5, first 2 shown]
	v_xor_b32_e32 v65, vcc_hi, v17
	v_xor_b32_e32 v17, vcc_lo, v17
	v_and_b32_e32 v19, v19, v17
	v_lshlrev_b32_e32 v17, 24, v18
	v_cmp_gt_i64_e32 vcc, 0, v[16:17]
	v_not_b32_e32 v16, v17
	v_ashrrev_i32_e32 v16, 31, v16
	v_xor_b32_e32 v17, vcc_hi, v16
	v_xor_b32_e32 v16, vcc_lo, v16
	; wave barrier
	ds_read_b32 v42, v43 offset:8
	v_and_b32_e32 v64, v64, v65
	v_and_b32_e32 v16, v19, v16
	;; [unrolled: 1-line block ×3, first 2 shown]
	v_mbcnt_lo_u32_b32 v18, v16, 0
	v_mbcnt_hi_u32_b32 v64, v17, v18
	v_cmp_eq_u32_e32 vcc, 0, v64
	v_cmp_ne_u64_e64 s[4:5], 0, v[16:17]
	s_and_b64 s[26:27], s[4:5], vcc
	; wave barrier
	s_and_saveexec_b64 s[4:5], s[26:27]
	s_cbranch_execz .LBB112_72
; %bb.71:
	v_bcnt_u32_b32 v16, v16, 0
	v_bcnt_u32_b32 v16, v17, v16
	s_waitcnt lgkmcnt(0)
	v_add_u32_e32 v16, v42, v16
	ds_write_b32 v43, v16 offset:8
.LBB112_72:
	s_or_b64 exec, exec, s[4:5]
	v_and_b32_e32 v18, s20, v24
	v_and_b32_e32 v17, 1, v18
	v_add_co_u32_e32 v19, vcc, -1, v17
	v_mov_b32_e32 v68, 1
	v_addc_co_u32_e64 v67, s[4:5], 0, -1, vcc
	v_cmp_ne_u32_e32 vcc, 0, v17
	v_lshlrev_b32_sdwa v16, v68, v18 dst_sel:DWORD dst_unused:UNUSED_PAD src0_sel:DWORD src1_sel:BYTE_0
	v_xor_b32_e32 v17, vcc_hi, v67
	v_add_lshl_u32 v66, v33, v16, 2
	v_mov_b32_e32 v16, 0
	v_and_b32_e32 v67, exec_hi, v17
	v_lshlrev_b32_e32 v17, 30, v18
	v_xor_b32_e32 v19, vcc_lo, v19
	v_cmp_gt_i64_e32 vcc, 0, v[16:17]
	v_not_b32_e32 v17, v17
	v_ashrrev_i32_e32 v17, 31, v17
	v_and_b32_e32 v19, exec_lo, v19
	v_xor_b32_e32 v69, vcc_hi, v17
	v_xor_b32_e32 v17, vcc_lo, v17
	v_and_b32_e32 v19, v19, v17
	v_lshlrev_b32_e32 v17, 29, v18
	v_cmp_gt_i64_e32 vcc, 0, v[16:17]
	v_not_b32_e32 v17, v17
	v_ashrrev_i32_e32 v17, 31, v17
	v_and_b32_e32 v67, v67, v69
	v_xor_b32_e32 v69, vcc_hi, v17
	v_xor_b32_e32 v17, vcc_lo, v17
	v_and_b32_e32 v19, v19, v17
	v_lshlrev_b32_e32 v17, 28, v18
	v_cmp_gt_i64_e32 vcc, 0, v[16:17]
	v_not_b32_e32 v17, v17
	v_ashrrev_i32_e32 v17, 31, v17
	v_and_b32_e32 v67, v67, v69
	;; [unrolled: 8-line block ×5, first 2 shown]
	v_xor_b32_e32 v69, vcc_hi, v17
	v_xor_b32_e32 v17, vcc_lo, v17
	v_and_b32_e32 v67, v67, v69
	v_and_b32_e32 v69, v19, v17
	v_lshlrev_b32_e32 v17, 24, v18
	v_cmp_gt_i64_e32 vcc, 0, v[16:17]
	v_not_b32_e32 v17, v17
	v_ashrrev_i32_e32 v17, 31, v17
	v_xor_b32_e32 v18, vcc_hi, v17
	v_xor_b32_e32 v17, vcc_lo, v17
	; wave barrier
	ds_read_b32 v65, v66 offset:8
	v_and_b32_e32 v19, v67, v18
	v_and_b32_e32 v18, v69, v17
	v_mbcnt_lo_u32_b32 v17, v18, 0
	v_mbcnt_hi_u32_b32 v67, v19, v17
	v_cmp_eq_u32_e32 vcc, 0, v67
	v_cmp_ne_u64_e64 s[4:5], 0, v[18:19]
	s_and_b64 s[26:27], s[4:5], vcc
	; wave barrier
	s_and_saveexec_b64 s[4:5], s[26:27]
	s_cbranch_execz .LBB112_74
; %bb.73:
	v_bcnt_u32_b32 v17, v18, 0
	v_bcnt_u32_b32 v17, v19, v17
	s_waitcnt lgkmcnt(0)
	v_add_u32_e32 v17, v65, v17
	ds_write_b32 v66, v17 offset:8
.LBB112_74:
	s_or_b64 exec, exec, s[4:5]
	v_and_b32_e32 v18, s20, v25
	v_lshlrev_b32_sdwa v17, v68, v18 dst_sel:DWORD dst_unused:UNUSED_PAD src0_sel:DWORD src1_sel:BYTE_0
	v_add_lshl_u32 v69, v33, v17, 2
	v_and_b32_e32 v17, 1, v18
	v_add_co_u32_e32 v19, vcc, -1, v17
	v_addc_co_u32_e64 v70, s[4:5], 0, -1, vcc
	v_cmp_ne_u32_e32 vcc, 0, v17
	v_xor_b32_e32 v17, vcc_hi, v70
	v_and_b32_e32 v70, exec_hi, v17
	v_lshlrev_b32_e32 v17, 30, v18
	v_xor_b32_e32 v19, vcc_lo, v19
	v_cmp_gt_i64_e32 vcc, 0, v[16:17]
	v_not_b32_e32 v17, v17
	v_ashrrev_i32_e32 v17, 31, v17
	v_and_b32_e32 v19, exec_lo, v19
	v_xor_b32_e32 v71, vcc_hi, v17
	v_xor_b32_e32 v17, vcc_lo, v17
	v_and_b32_e32 v19, v19, v17
	v_lshlrev_b32_e32 v17, 29, v18
	v_cmp_gt_i64_e32 vcc, 0, v[16:17]
	v_not_b32_e32 v17, v17
	v_ashrrev_i32_e32 v17, 31, v17
	v_and_b32_e32 v70, v70, v71
	v_xor_b32_e32 v71, vcc_hi, v17
	v_xor_b32_e32 v17, vcc_lo, v17
	v_and_b32_e32 v19, v19, v17
	v_lshlrev_b32_e32 v17, 28, v18
	v_cmp_gt_i64_e32 vcc, 0, v[16:17]
	v_not_b32_e32 v17, v17
	v_ashrrev_i32_e32 v17, 31, v17
	v_and_b32_e32 v70, v70, v71
	;; [unrolled: 8-line block ×5, first 2 shown]
	v_xor_b32_e32 v71, vcc_hi, v17
	v_xor_b32_e32 v17, vcc_lo, v17
	v_and_b32_e32 v19, v19, v17
	v_lshlrev_b32_e32 v17, 24, v18
	v_cmp_gt_i64_e32 vcc, 0, v[16:17]
	v_not_b32_e32 v16, v17
	v_ashrrev_i32_e32 v16, 31, v16
	v_xor_b32_e32 v17, vcc_hi, v16
	v_xor_b32_e32 v16, vcc_lo, v16
	; wave barrier
	ds_read_b32 v68, v69 offset:8
	v_and_b32_e32 v70, v70, v71
	v_and_b32_e32 v16, v19, v16
	;; [unrolled: 1-line block ×3, first 2 shown]
	v_mbcnt_lo_u32_b32 v18, v16, 0
	v_mbcnt_hi_u32_b32 v70, v17, v18
	v_cmp_eq_u32_e32 vcc, 0, v70
	v_cmp_ne_u64_e64 s[4:5], 0, v[16:17]
	s_and_b64 s[26:27], s[4:5], vcc
	; wave barrier
	s_and_saveexec_b64 s[4:5], s[26:27]
	s_cbranch_execz .LBB112_76
; %bb.75:
	v_bcnt_u32_b32 v16, v16, 0
	v_bcnt_u32_b32 v16, v17, v16
	s_waitcnt lgkmcnt(0)
	v_add_u32_e32 v16, v68, v16
	ds_write_b32 v69, v16 offset:8
.LBB112_76:
	s_or_b64 exec, exec, s[4:5]
	v_and_b32_e32 v18, s20, v26
	v_and_b32_e32 v17, 1, v18
	v_add_co_u32_e32 v19, vcc, -1, v17
	v_mov_b32_e32 v74, 1
	v_addc_co_u32_e64 v73, s[4:5], 0, -1, vcc
	v_cmp_ne_u32_e32 vcc, 0, v17
	v_lshlrev_b32_sdwa v16, v74, v18 dst_sel:DWORD dst_unused:UNUSED_PAD src0_sel:DWORD src1_sel:BYTE_0
	v_xor_b32_e32 v17, vcc_hi, v73
	v_add_lshl_u32 v72, v33, v16, 2
	v_mov_b32_e32 v16, 0
	v_and_b32_e32 v73, exec_hi, v17
	v_lshlrev_b32_e32 v17, 30, v18
	v_xor_b32_e32 v19, vcc_lo, v19
	v_cmp_gt_i64_e32 vcc, 0, v[16:17]
	v_not_b32_e32 v17, v17
	v_ashrrev_i32_e32 v17, 31, v17
	v_and_b32_e32 v19, exec_lo, v19
	v_xor_b32_e32 v75, vcc_hi, v17
	v_xor_b32_e32 v17, vcc_lo, v17
	v_and_b32_e32 v19, v19, v17
	v_lshlrev_b32_e32 v17, 29, v18
	v_cmp_gt_i64_e32 vcc, 0, v[16:17]
	v_not_b32_e32 v17, v17
	v_ashrrev_i32_e32 v17, 31, v17
	v_and_b32_e32 v73, v73, v75
	v_xor_b32_e32 v75, vcc_hi, v17
	v_xor_b32_e32 v17, vcc_lo, v17
	v_and_b32_e32 v19, v19, v17
	v_lshlrev_b32_e32 v17, 28, v18
	v_cmp_gt_i64_e32 vcc, 0, v[16:17]
	v_not_b32_e32 v17, v17
	v_ashrrev_i32_e32 v17, 31, v17
	v_and_b32_e32 v73, v73, v75
	;; [unrolled: 8-line block ×5, first 2 shown]
	v_xor_b32_e32 v75, vcc_hi, v17
	v_xor_b32_e32 v17, vcc_lo, v17
	v_and_b32_e32 v73, v73, v75
	v_and_b32_e32 v75, v19, v17
	v_lshlrev_b32_e32 v17, 24, v18
	v_cmp_gt_i64_e32 vcc, 0, v[16:17]
	v_not_b32_e32 v17, v17
	v_ashrrev_i32_e32 v17, 31, v17
	v_xor_b32_e32 v18, vcc_hi, v17
	v_xor_b32_e32 v17, vcc_lo, v17
	; wave barrier
	ds_read_b32 v71, v72 offset:8
	v_and_b32_e32 v19, v73, v18
	v_and_b32_e32 v18, v75, v17
	v_mbcnt_lo_u32_b32 v17, v18, 0
	v_mbcnt_hi_u32_b32 v73, v19, v17
	v_cmp_eq_u32_e32 vcc, 0, v73
	v_cmp_ne_u64_e64 s[4:5], 0, v[18:19]
	s_and_b64 s[26:27], s[4:5], vcc
	; wave barrier
	s_and_saveexec_b64 s[4:5], s[26:27]
	s_cbranch_execz .LBB112_78
; %bb.77:
	v_bcnt_u32_b32 v17, v18, 0
	v_bcnt_u32_b32 v17, v19, v17
	s_waitcnt lgkmcnt(0)
	v_add_u32_e32 v17, v71, v17
	ds_write_b32 v72, v17 offset:8
.LBB112_78:
	s_or_b64 exec, exec, s[4:5]
	v_and_b32_e32 v18, s20, v27
	v_lshlrev_b32_sdwa v17, v74, v18 dst_sel:DWORD dst_unused:UNUSED_PAD src0_sel:DWORD src1_sel:BYTE_0
	v_add_lshl_u32 v74, v33, v17, 2
	v_and_b32_e32 v17, 1, v18
	v_add_co_u32_e32 v19, vcc, -1, v17
	v_addc_co_u32_e64 v76, s[4:5], 0, -1, vcc
	v_cmp_ne_u32_e32 vcc, 0, v17
	v_xor_b32_e32 v17, vcc_hi, v76
	v_and_b32_e32 v76, exec_hi, v17
	v_lshlrev_b32_e32 v17, 30, v18
	v_xor_b32_e32 v19, vcc_lo, v19
	v_cmp_gt_i64_e32 vcc, 0, v[16:17]
	v_not_b32_e32 v17, v17
	v_ashrrev_i32_e32 v17, 31, v17
	v_and_b32_e32 v19, exec_lo, v19
	v_xor_b32_e32 v77, vcc_hi, v17
	v_xor_b32_e32 v17, vcc_lo, v17
	v_and_b32_e32 v19, v19, v17
	v_lshlrev_b32_e32 v17, 29, v18
	v_cmp_gt_i64_e32 vcc, 0, v[16:17]
	v_not_b32_e32 v17, v17
	v_ashrrev_i32_e32 v17, 31, v17
	v_and_b32_e32 v76, v76, v77
	v_xor_b32_e32 v77, vcc_hi, v17
	v_xor_b32_e32 v17, vcc_lo, v17
	v_and_b32_e32 v19, v19, v17
	v_lshlrev_b32_e32 v17, 28, v18
	v_cmp_gt_i64_e32 vcc, 0, v[16:17]
	v_not_b32_e32 v17, v17
	v_ashrrev_i32_e32 v17, 31, v17
	v_and_b32_e32 v76, v76, v77
	;; [unrolled: 8-line block ×5, first 2 shown]
	v_xor_b32_e32 v77, vcc_hi, v17
	v_xor_b32_e32 v17, vcc_lo, v17
	v_and_b32_e32 v19, v19, v17
	v_lshlrev_b32_e32 v17, 24, v18
	v_cmp_gt_i64_e32 vcc, 0, v[16:17]
	v_not_b32_e32 v16, v17
	v_ashrrev_i32_e32 v16, 31, v16
	v_xor_b32_e32 v17, vcc_hi, v16
	v_xor_b32_e32 v16, vcc_lo, v16
	; wave barrier
	ds_read_b32 v33, v74 offset:8
	v_and_b32_e32 v76, v76, v77
	v_and_b32_e32 v16, v19, v16
	;; [unrolled: 1-line block ×3, first 2 shown]
	v_mbcnt_lo_u32_b32 v18, v16, 0
	v_mbcnt_hi_u32_b32 v76, v17, v18
	v_cmp_eq_u32_e32 vcc, 0, v76
	v_cmp_ne_u64_e64 s[4:5], 0, v[16:17]
	v_or_b32_e32 v75, 8, v62
	s_and_b64 s[20:21], s[4:5], vcc
	; wave barrier
	s_and_saveexec_b64 s[4:5], s[20:21]
	s_cbranch_execz .LBB112_80
; %bb.79:
	v_bcnt_u32_b32 v16, v16, 0
	v_bcnt_u32_b32 v16, v17, v16
	s_waitcnt lgkmcnt(0)
	v_add_u32_e32 v16, v33, v16
	ds_write_b32 v74, v16 offset:8
.LBB112_80:
	s_or_b64 exec, exec, s[4:5]
	; wave barrier
	s_waitcnt lgkmcnt(0)
	s_barrier
	ds_read2_b32 v[16:17], v62 offset0:2 offset1:3
	ds_read2_b32 v[18:19], v75 offset0:2 offset1:3
	v_min_u32_e32 v63, 64, v63
	v_or_b32_e32 v63, 63, v63
	s_waitcnt lgkmcnt(1)
	v_add_u32_e32 v77, v17, v16
	s_waitcnt lgkmcnt(0)
	v_add3_u32 v19, v77, v18, v19
	v_and_b32_e32 v77, 15, v61
	v_cmp_ne_u32_e32 vcc, 0, v77
	v_mov_b32_dpp v78, v19 row_shr:1 row_mask:0xf bank_mask:0xf
	v_cndmask_b32_e32 v78, 0, v78, vcc
	v_add_u32_e32 v19, v78, v19
	v_cmp_lt_u32_e32 vcc, 1, v77
	s_nop 0
	v_mov_b32_dpp v78, v19 row_shr:2 row_mask:0xf bank_mask:0xf
	v_cndmask_b32_e32 v78, 0, v78, vcc
	v_add_u32_e32 v19, v19, v78
	v_cmp_lt_u32_e32 vcc, 3, v77
	s_nop 0
	;; [unrolled: 5-line block ×3, first 2 shown]
	v_mov_b32_dpp v78, v19 row_shr:8 row_mask:0xf bank_mask:0xf
	v_cndmask_b32_e32 v77, 0, v78, vcc
	v_add_u32_e32 v19, v19, v77
	v_bfe_i32 v78, v61, 4, 1
	v_cmp_lt_u32_e32 vcc, 31, v61
	v_mov_b32_dpp v77, v19 row_bcast:15 row_mask:0xf bank_mask:0xf
	v_and_b32_e32 v77, v78, v77
	v_add_u32_e32 v19, v19, v77
	s_nop 1
	v_mov_b32_dpp v77, v19 row_bcast:31 row_mask:0xf bank_mask:0xf
	v_cndmask_b32_e32 v77, 0, v77, vcc
	v_add_u32_e32 v19, v19, v77
	v_lshrrev_b32_e32 v77, 6, v36
	v_cmp_eq_u32_e32 vcc, v63, v36
	s_and_saveexec_b64 s[4:5], vcc
	s_cbranch_execz .LBB112_82
; %bb.81:
	v_lshlrev_b32_e32 v63, 2, v77
	ds_write_b32 v63, v19
.LBB112_82:
	s_or_b64 exec, exec, s[4:5]
	v_cmp_gt_u32_e32 vcc, 2, v36
	s_waitcnt lgkmcnt(0)
	s_barrier
	s_and_saveexec_b64 s[4:5], vcc
	s_cbranch_execz .LBB112_84
; %bb.83:
	v_lshlrev_b32_e32 v63, 2, v36
	ds_read_b32 v78, v63
	v_bfe_i32 v79, v61, 0, 1
	s_waitcnt lgkmcnt(0)
	v_mov_b32_dpp v80, v78 row_shr:1 row_mask:0xf bank_mask:0xf
	v_and_b32_e32 v79, v79, v80
	v_add_u32_e32 v78, v79, v78
	ds_write_b32 v63, v78
.LBB112_84:
	s_or_b64 exec, exec, s[4:5]
	v_cmp_lt_u32_e32 vcc, 63, v36
	v_mov_b32_e32 v63, 0
	s_waitcnt lgkmcnt(0)
	s_barrier
	s_and_saveexec_b64 s[4:5], vcc
	s_cbranch_execz .LBB112_86
; %bb.85:
	v_lshl_add_u32 v63, v77, 2, -4
	ds_read_b32 v63, v63
.LBB112_86:
	s_or_b64 exec, exec, s[4:5]
	v_add_u32_e32 v77, -1, v61
	v_and_b32_e32 v78, 64, v61
	v_cmp_lt_i32_e32 vcc, v77, v78
	v_cndmask_b32_e32 v77, v77, v61, vcc
	s_waitcnt lgkmcnt(0)
	v_add_u32_e32 v19, v63, v19
	v_lshlrev_b32_e32 v77, 2, v77
	ds_bpermute_b32 v19, v77, v19
	v_cmp_eq_u32_e32 vcc, 0, v61
	s_movk_i32 s4, 0x7f
	s_waitcnt lgkmcnt(0)
	v_cndmask_b32_e32 v19, v19, v63, vcc
	v_cmp_ne_u32_e32 vcc, 0, v36
	v_cndmask_b32_e32 v19, 0, v19, vcc
	v_add_u32_e32 v16, v19, v16
	v_add_u32_e32 v17, v16, v17
	;; [unrolled: 1-line block ×3, first 2 shown]
	ds_write2_b32 v62, v19, v16 offset0:2 offset1:3
	ds_write2_b32 v75, v17, v18 offset0:2 offset1:3
	s_waitcnt lgkmcnt(0)
	s_barrier
	ds_read_b32 v16, v28 offset:8
	ds_read_b32 v17, v31 offset:8
	;; [unrolled: 1-line block ×8, first 2 shown]
	s_waitcnt lgkmcnt(7)
	v_add_u32_e32 v29, v16, v29
	s_waitcnt lgkmcnt(6)
	v_add3_u32 v30, v32, v30, v17
	s_waitcnt lgkmcnt(5)
	v_add3_u32 v18, v40, v38, v18
	s_waitcnt lgkmcnt(4)
	v_add3_u32 v19, v64, v42, v19
	s_waitcnt lgkmcnt(3)
	v_add3_u32 v28, v67, v65, v28
	s_waitcnt lgkmcnt(2)
	v_add3_u32 v31, v70, v68, v31
	s_waitcnt lgkmcnt(1)
	v_add3_u32 v32, v73, v71, v36
	s_waitcnt lgkmcnt(0)
	v_add3_u32 v33, v76, v33, v39
	s_barrier
	ds_write_b8 v29, v20
	ds_write_b8 v30, v21
	;; [unrolled: 1-line block ×8, first 2 shown]
	v_lshlrev_b32_e32 v20, 3, v29
	s_waitcnt lgkmcnt(0)
	s_barrier
	ds_read_b64 v[16:17], v53
	s_waitcnt lgkmcnt(0)
	s_barrier
	ds_write_b64 v20, v[12:13]
	v_lshlrev_b32_e32 v12, 3, v30
	ds_write_b64 v12, v[14:15]
	v_lshlrev_b32_e32 v12, 3, v18
	;; [unrolled: 2-line block ×8, first 2 shown]
	s_waitcnt lgkmcnt(0)
	s_barrier
	ds_read2_b64 v[18:21], v0 offset1:1
	ds_read2_b64 v[22:25], v0 offset0:2 offset1:3
	ds_read2_b64 v[26:29], v0 offset0:4 offset1:5
	;; [unrolled: 1-line block ×3, first 2 shown]
	v_lshrrev_b32_e32 v36, 8, v16
	v_lshrrev_b32_e32 v38, 8, v17
	v_xor_b32_e32 v0, 0x7f, v16
	v_xor_b32_sdwa v1, v36, s4 dst_sel:BYTE_1 dst_unused:UNUSED_PAD src0_sel:DWORD src1_sel:DWORD
	v_xor_b32_sdwa v2, v16, s4 dst_sel:DWORD dst_unused:UNUSED_PAD src0_sel:WORD_1 src1_sel:DWORD
	v_xor_b32_sdwa v3, v16, s4 dst_sel:BYTE_1 dst_unused:UNUSED_PAD src0_sel:BYTE_3 src1_sel:DWORD
	v_xor_b32_e32 v4, 0x7f, v17
	v_xor_b32_sdwa v5, v38, s4 dst_sel:BYTE_1 dst_unused:UNUSED_PAD src0_sel:DWORD src1_sel:DWORD
	v_xor_b32_sdwa v6, v17, s4 dst_sel:DWORD dst_unused:UNUSED_PAD src0_sel:WORD_1 src1_sel:DWORD
	v_xor_b32_sdwa v7, v17, s4 dst_sel:BYTE_1 dst_unused:UNUSED_PAD src0_sel:BYTE_3 src1_sel:DWORD
	v_or_b32_sdwa v0, v0, v1 dst_sel:DWORD dst_unused:UNUSED_PAD src0_sel:BYTE_0 src1_sel:DWORD
	v_or_b32_sdwa v1, v2, v3 dst_sel:WORD_1 dst_unused:UNUSED_PAD src0_sel:BYTE_0 src1_sel:DWORD
	v_or_b32_sdwa v0, v0, v1 dst_sel:DWORD dst_unused:UNUSED_PAD src0_sel:WORD_0 src1_sel:DWORD
	v_or_b32_sdwa v1, v4, v5 dst_sel:DWORD dst_unused:UNUSED_PAD src0_sel:BYTE_0 src1_sel:DWORD
	v_or_b32_sdwa v2, v6, v7 dst_sel:WORD_1 dst_unused:UNUSED_PAD src0_sel:BYTE_0 src1_sel:DWORD
	v_or_b32_sdwa v1, v1, v2 dst_sel:DWORD dst_unused:UNUSED_PAD src0_sel:WORD_0 src1_sel:DWORD
.LBB112_87:
	s_waitcnt lgkmcnt(0)
	s_barrier
	ds_write_b64 v52, v[0:1]
	s_waitcnt lgkmcnt(0)
	s_barrier
	ds_read_u8 v8, v45 offset:128
	ds_read_u8 v7, v46 offset:256
	;; [unrolled: 1-line block ×7, first 2 shown]
	v_mov_b32_e32 v1, s25
	v_add_co_u32_e32 v0, vcc, s24, v37
	v_addc_co_u32_e32 v1, vcc, 0, v1, vcc
	s_and_saveexec_b64 s[4:5], s[0:1]
	s_cbranch_execnz .LBB112_106
; %bb.88:
	s_or_b64 exec, exec, s[4:5]
	s_and_saveexec_b64 s[4:5], s[2:3]
	s_cbranch_execnz .LBB112_107
.LBB112_89:
	s_or_b64 exec, exec, s[4:5]
	s_and_saveexec_b64 s[4:5], s[16:17]
	s_cbranch_execnz .LBB112_108
.LBB112_90:
	s_or_b64 exec, exec, s[4:5]
	s_and_saveexec_b64 s[4:5], s[6:7]
	s_cbranch_execnz .LBB112_109
.LBB112_91:
	s_or_b64 exec, exec, s[4:5]
	s_and_saveexec_b64 s[4:5], s[8:9]
	s_cbranch_execnz .LBB112_110
.LBB112_92:
	s_or_b64 exec, exec, s[4:5]
	s_and_saveexec_b64 s[4:5], s[10:11]
	s_cbranch_execnz .LBB112_111
.LBB112_93:
	s_or_b64 exec, exec, s[4:5]
	s_and_saveexec_b64 s[4:5], s[12:13]
	s_cbranch_execnz .LBB112_112
.LBB112_94:
	s_or_b64 exec, exec, s[4:5]
	s_and_saveexec_b64 s[4:5], s[14:15]
	s_cbranch_execz .LBB112_96
.LBB112_95:
	s_mul_i32 s20, s22, 0x380
	v_add_co_u32_e32 v0, vcc, s20, v0
	v_addc_co_u32_e32 v1, vcc, 0, v1, vcc
	s_waitcnt lgkmcnt(0)
	global_store_byte v[0:1], v2, off
.LBB112_96:
	s_or_b64 exec, exec, s[4:5]
	s_waitcnt lgkmcnt(0)
	s_barrier
	ds_write2_b64 v60, v[18:19], v[20:21] offset1:1
	ds_write2_b64 v60, v[22:23], v[24:25] offset0:2 offset1:3
	ds_write2_b64 v60, v[26:27], v[28:29] offset0:4 offset1:5
	;; [unrolled: 1-line block ×3, first 2 shown]
	s_waitcnt lgkmcnt(0)
	s_barrier
	ds_read_b64 v[14:15], v35 offset:1024
	ds_read_b64 v[12:13], v54 offset:2048
	;; [unrolled: 1-line block ×7, first 2 shown]
	v_mov_b32_e32 v35, 0
	v_lshlrev_b64 v[2:3], 3, v[34:35]
	v_mov_b32_e32 v16, s23
	v_add_co_u32_e32 v2, vcc, s19, v2
	v_addc_co_u32_e32 v3, vcc, v16, v3, vcc
	s_and_saveexec_b64 s[4:5], s[0:1]
	s_cbranch_execnz .LBB112_113
; %bb.97:
	s_or_b64 exec, exec, s[4:5]
	s_and_saveexec_b64 s[0:1], s[2:3]
	s_cbranch_execnz .LBB112_114
.LBB112_98:
	s_or_b64 exec, exec, s[0:1]
	s_and_saveexec_b64 s[0:1], s[16:17]
	s_cbranch_execnz .LBB112_115
.LBB112_99:
	s_or_b64 exec, exec, s[0:1]
	s_and_saveexec_b64 s[0:1], s[6:7]
	s_cbranch_execnz .LBB112_116
.LBB112_100:
	s_or_b64 exec, exec, s[0:1]
	s_and_saveexec_b64 s[0:1], s[8:9]
	s_cbranch_execnz .LBB112_117
.LBB112_101:
	s_or_b64 exec, exec, s[0:1]
	s_and_saveexec_b64 s[0:1], s[10:11]
	s_cbranch_execnz .LBB112_118
.LBB112_102:
	s_or_b64 exec, exec, s[0:1]
	s_and_saveexec_b64 s[0:1], s[12:13]
	s_cbranch_execnz .LBB112_119
.LBB112_103:
	s_or_b64 exec, exec, s[0:1]
	s_and_saveexec_b64 s[0:1], s[14:15]
	s_cbranch_execz .LBB112_105
.LBB112_104:
	s_mul_i32 s0, s18, 0x380
	s_mov_b32 s1, 0
	s_lshl_b64 s[0:1], s[0:1], 3
	s_waitcnt lgkmcnt(1)
	v_mov_b32_e32 v4, s1
	v_add_co_u32_e32 v2, vcc, s0, v2
	v_addc_co_u32_e32 v3, vcc, v3, v4, vcc
	s_waitcnt lgkmcnt(0)
	global_store_dwordx2 v[2:3], v[0:1], off
.LBB112_105:
	s_endpgm
.LBB112_106:
	ds_read_u8 v9, v44
	s_waitcnt lgkmcnt(0)
	global_store_byte v[0:1], v9, off
	s_or_b64 exec, exec, s[4:5]
	s_and_saveexec_b64 s[4:5], s[2:3]
	s_cbranch_execz .LBB112_89
.LBB112_107:
	s_lshl_b32 s20, s22, 7
	v_add_co_u32_e32 v10, vcc, s20, v0
	v_addc_co_u32_e32 v11, vcc, 0, v1, vcc
	s_waitcnt lgkmcnt(6)
	global_store_byte v[10:11], v8, off
	s_or_b64 exec, exec, s[4:5]
	s_and_saveexec_b64 s[4:5], s[16:17]
	s_cbranch_execz .LBB112_90
.LBB112_108:
	s_lshl_b32 s20, s22, 8
	s_waitcnt lgkmcnt(6)
	v_add_co_u32_e32 v8, vcc, s20, v0
	v_addc_co_u32_e32 v9, vcc, 0, v1, vcc
	s_waitcnt lgkmcnt(5)
	global_store_byte v[8:9], v7, off
	s_or_b64 exec, exec, s[4:5]
	s_and_saveexec_b64 s[4:5], s[6:7]
	s_cbranch_execz .LBB112_91
.LBB112_109:
	s_mul_i32 s20, s22, 0x180
	s_waitcnt lgkmcnt(6)
	v_add_co_u32_e32 v8, vcc, s20, v0
	v_addc_co_u32_e32 v9, vcc, 0, v1, vcc
	s_waitcnt lgkmcnt(4)
	global_store_byte v[8:9], v6, off
	s_or_b64 exec, exec, s[4:5]
	s_and_saveexec_b64 s[4:5], s[8:9]
	s_cbranch_execz .LBB112_92
.LBB112_110:
	s_lshl_b32 s20, s22, 9
	s_waitcnt lgkmcnt(4)
	v_add_co_u32_e32 v6, vcc, s20, v0
	v_addc_co_u32_e32 v7, vcc, 0, v1, vcc
	s_waitcnt lgkmcnt(3)
	global_store_byte v[6:7], v5, off
	s_or_b64 exec, exec, s[4:5]
	s_and_saveexec_b64 s[4:5], s[10:11]
	s_cbranch_execz .LBB112_93
.LBB112_111:
	s_mul_i32 s20, s22, 0x280
	s_waitcnt lgkmcnt(4)
	v_add_co_u32_e32 v6, vcc, s20, v0
	v_addc_co_u32_e32 v7, vcc, 0, v1, vcc
	s_waitcnt lgkmcnt(2)
	global_store_byte v[6:7], v4, off
	s_or_b64 exec, exec, s[4:5]
	s_and_saveexec_b64 s[4:5], s[12:13]
	s_cbranch_execz .LBB112_94
.LBB112_112:
	s_mul_i32 s20, s22, 0x300
	s_waitcnt lgkmcnt(2)
	v_add_co_u32_e32 v4, vcc, s20, v0
	v_addc_co_u32_e32 v5, vcc, 0, v1, vcc
	s_waitcnt lgkmcnt(1)
	global_store_byte v[4:5], v3, off
	s_or_b64 exec, exec, s[4:5]
	s_and_saveexec_b64 s[4:5], s[14:15]
	s_cbranch_execnz .LBB112_95
	s_branch .LBB112_96
.LBB112_113:
	ds_read_b64 v[16:17], v41
	s_waitcnt lgkmcnt(0)
	global_store_dwordx2 v[2:3], v[16:17], off
	s_or_b64 exec, exec, s[4:5]
	s_and_saveexec_b64 s[0:1], s[2:3]
	s_cbranch_execz .LBB112_98
.LBB112_114:
	s_lshl_b32 s2, s18, 7
	s_mov_b32 s3, 0
	s_lshl_b64 s[2:3], s[2:3], 3
	v_mov_b32_e32 v17, s3
	v_add_co_u32_e32 v16, vcc, s2, v2
	v_addc_co_u32_e32 v17, vcc, v3, v17, vcc
	s_waitcnt lgkmcnt(6)
	global_store_dwordx2 v[16:17], v[14:15], off
	s_or_b64 exec, exec, s[0:1]
	s_and_saveexec_b64 s[0:1], s[16:17]
	s_cbranch_execz .LBB112_99
.LBB112_115:
	s_lshl_b32 s2, s18, 8
	s_mov_b32 s3, 0
	s_lshl_b64 s[2:3], s[2:3], 3
	s_waitcnt lgkmcnt(6)
	v_mov_b32_e32 v15, s3
	v_add_co_u32_e32 v14, vcc, s2, v2
	v_addc_co_u32_e32 v15, vcc, v3, v15, vcc
	s_waitcnt lgkmcnt(5)
	global_store_dwordx2 v[14:15], v[12:13], off
	s_or_b64 exec, exec, s[0:1]
	s_and_saveexec_b64 s[0:1], s[6:7]
	s_cbranch_execz .LBB112_100
.LBB112_116:
	s_mul_i32 s2, s18, 0x180
	s_mov_b32 s3, 0
	s_lshl_b64 s[2:3], s[2:3], 3
	s_waitcnt lgkmcnt(5)
	v_mov_b32_e32 v13, s3
	v_add_co_u32_e32 v12, vcc, s2, v2
	v_addc_co_u32_e32 v13, vcc, v3, v13, vcc
	s_waitcnt lgkmcnt(4)
	global_store_dwordx2 v[12:13], v[10:11], off
	s_or_b64 exec, exec, s[0:1]
	s_and_saveexec_b64 s[0:1], s[8:9]
	s_cbranch_execz .LBB112_101
.LBB112_117:
	s_lshl_b32 s2, s18, 9
	s_mov_b32 s3, 0
	s_lshl_b64 s[2:3], s[2:3], 3
	s_waitcnt lgkmcnt(4)
	v_mov_b32_e32 v11, s3
	v_add_co_u32_e32 v10, vcc, s2, v2
	v_addc_co_u32_e32 v11, vcc, v3, v11, vcc
	s_waitcnt lgkmcnt(3)
	global_store_dwordx2 v[10:11], v[8:9], off
	s_or_b64 exec, exec, s[0:1]
	s_and_saveexec_b64 s[0:1], s[10:11]
	s_cbranch_execz .LBB112_102
.LBB112_118:
	s_mul_i32 s2, s18, 0x280
	s_mov_b32 s3, 0
	s_lshl_b64 s[2:3], s[2:3], 3
	s_waitcnt lgkmcnt(3)
	v_mov_b32_e32 v9, s3
	v_add_co_u32_e32 v8, vcc, s2, v2
	v_addc_co_u32_e32 v9, vcc, v3, v9, vcc
	s_waitcnt lgkmcnt(2)
	global_store_dwordx2 v[8:9], v[6:7], off
	s_or_b64 exec, exec, s[0:1]
	s_and_saveexec_b64 s[0:1], s[12:13]
	s_cbranch_execz .LBB112_103
.LBB112_119:
	s_mul_i32 s2, s18, 0x300
	s_mov_b32 s3, 0
	s_lshl_b64 s[2:3], s[2:3], 3
	s_waitcnt lgkmcnt(2)
	v_mov_b32_e32 v7, s3
	v_add_co_u32_e32 v6, vcc, s2, v2
	v_addc_co_u32_e32 v7, vcc, v3, v7, vcc
	s_waitcnt lgkmcnt(1)
	global_store_dwordx2 v[6:7], v[4:5], off
	s_or_b64 exec, exec, s[0:1]
	s_and_saveexec_b64 s[0:1], s[14:15]
	s_cbranch_execnz .LBB112_104
	s_branch .LBB112_105
	.section	.rodata,"a",@progbits
	.p2align	6, 0x0
	.amdhsa_kernel _ZN2at6native18radixSortKVInPlaceILin1ELin1ELi128ELi8EaljEEvNS_4cuda6detail10TensorInfoIT3_T5_EES6_S6_S6_NS4_IT4_S6_EES6_b
		.amdhsa_group_segment_fixed_size 8448
		.amdhsa_private_segment_fixed_size 0
		.amdhsa_kernarg_size 712
		.amdhsa_user_sgpr_count 6
		.amdhsa_user_sgpr_private_segment_buffer 1
		.amdhsa_user_sgpr_dispatch_ptr 0
		.amdhsa_user_sgpr_queue_ptr 0
		.amdhsa_user_sgpr_kernarg_segment_ptr 1
		.amdhsa_user_sgpr_dispatch_id 0
		.amdhsa_user_sgpr_flat_scratch_init 0
		.amdhsa_user_sgpr_kernarg_preload_length 0
		.amdhsa_user_sgpr_kernarg_preload_offset 0
		.amdhsa_user_sgpr_private_segment_size 0
		.amdhsa_uses_dynamic_stack 0
		.amdhsa_system_sgpr_private_segment_wavefront_offset 0
		.amdhsa_system_sgpr_workgroup_id_x 1
		.amdhsa_system_sgpr_workgroup_id_y 1
		.amdhsa_system_sgpr_workgroup_id_z 1
		.amdhsa_system_sgpr_workgroup_info 0
		.amdhsa_system_vgpr_workitem_id 2
		.amdhsa_next_free_vgpr 109
		.amdhsa_next_free_sgpr 52
		.amdhsa_accum_offset 112
		.amdhsa_reserve_vcc 1
		.amdhsa_reserve_flat_scratch 0
		.amdhsa_float_round_mode_32 0
		.amdhsa_float_round_mode_16_64 0
		.amdhsa_float_denorm_mode_32 3
		.amdhsa_float_denorm_mode_16_64 3
		.amdhsa_dx10_clamp 1
		.amdhsa_ieee_mode 1
		.amdhsa_fp16_overflow 0
		.amdhsa_tg_split 0
		.amdhsa_exception_fp_ieee_invalid_op 0
		.amdhsa_exception_fp_denorm_src 0
		.amdhsa_exception_fp_ieee_div_zero 0
		.amdhsa_exception_fp_ieee_overflow 0
		.amdhsa_exception_fp_ieee_underflow 0
		.amdhsa_exception_fp_ieee_inexact 0
		.amdhsa_exception_int_div_zero 0
	.end_amdhsa_kernel
	.section	.text._ZN2at6native18radixSortKVInPlaceILin1ELin1ELi128ELi8EaljEEvNS_4cuda6detail10TensorInfoIT3_T5_EES6_S6_S6_NS4_IT4_S6_EES6_b,"axG",@progbits,_ZN2at6native18radixSortKVInPlaceILin1ELin1ELi128ELi8EaljEEvNS_4cuda6detail10TensorInfoIT3_T5_EES6_S6_S6_NS4_IT4_S6_EES6_b,comdat
.Lfunc_end112:
	.size	_ZN2at6native18radixSortKVInPlaceILin1ELin1ELi128ELi8EaljEEvNS_4cuda6detail10TensorInfoIT3_T5_EES6_S6_S6_NS4_IT4_S6_EES6_b, .Lfunc_end112-_ZN2at6native18radixSortKVInPlaceILin1ELin1ELi128ELi8EaljEEvNS_4cuda6detail10TensorInfoIT3_T5_EES6_S6_S6_NS4_IT4_S6_EES6_b
                                        ; -- End function
	.section	.AMDGPU.csdata,"",@progbits
; Kernel info:
; codeLenInByte = 12048
; NumSgprs: 56
; NumVgprs: 109
; NumAgprs: 0
; TotalNumVgprs: 109
; ScratchSize: 0
; MemoryBound: 0
; FloatMode: 240
; IeeeMode: 1
; LDSByteSize: 8448 bytes/workgroup (compile time only)
; SGPRBlocks: 6
; VGPRBlocks: 13
; NumSGPRsForWavesPerEU: 56
; NumVGPRsForWavesPerEU: 109
; AccumOffset: 112
; Occupancy: 4
; WaveLimiterHint : 1
; COMPUTE_PGM_RSRC2:SCRATCH_EN: 0
; COMPUTE_PGM_RSRC2:USER_SGPR: 6
; COMPUTE_PGM_RSRC2:TRAP_HANDLER: 0
; COMPUTE_PGM_RSRC2:TGID_X_EN: 1
; COMPUTE_PGM_RSRC2:TGID_Y_EN: 1
; COMPUTE_PGM_RSRC2:TGID_Z_EN: 1
; COMPUTE_PGM_RSRC2:TIDIG_COMP_CNT: 2
; COMPUTE_PGM_RSRC3_GFX90A:ACCUM_OFFSET: 27
; COMPUTE_PGM_RSRC3_GFX90A:TG_SPLIT: 0
	.section	.text._ZN2at6native18radixSortKVInPlaceILin1ELin1ELi32ELi4EaljEEvNS_4cuda6detail10TensorInfoIT3_T5_EES6_S6_S6_NS4_IT4_S6_EES6_b,"axG",@progbits,_ZN2at6native18radixSortKVInPlaceILin1ELin1ELi32ELi4EaljEEvNS_4cuda6detail10TensorInfoIT3_T5_EES6_S6_S6_NS4_IT4_S6_EES6_b,comdat
	.protected	_ZN2at6native18radixSortKVInPlaceILin1ELin1ELi32ELi4EaljEEvNS_4cuda6detail10TensorInfoIT3_T5_EES6_S6_S6_NS4_IT4_S6_EES6_b ; -- Begin function _ZN2at6native18radixSortKVInPlaceILin1ELin1ELi32ELi4EaljEEvNS_4cuda6detail10TensorInfoIT3_T5_EES6_S6_S6_NS4_IT4_S6_EES6_b
	.globl	_ZN2at6native18radixSortKVInPlaceILin1ELin1ELi32ELi4EaljEEvNS_4cuda6detail10TensorInfoIT3_T5_EES6_S6_S6_NS4_IT4_S6_EES6_b
	.p2align	8
	.type	_ZN2at6native18radixSortKVInPlaceILin1ELin1ELi32ELi4EaljEEvNS_4cuda6detail10TensorInfoIT3_T5_EES6_S6_S6_NS4_IT4_S6_EES6_b,@function
_ZN2at6native18radixSortKVInPlaceILin1ELin1ELi32ELi4EaljEEvNS_4cuda6detail10TensorInfoIT3_T5_EES6_S6_S6_NS4_IT4_S6_EES6_b: ; @_ZN2at6native18radixSortKVInPlaceILin1ELin1ELi32ELi4EaljEEvNS_4cuda6detail10TensorInfoIT3_T5_EES6_S6_S6_NS4_IT4_S6_EES6_b
; %bb.0:
	s_load_dwordx2 s[0:1], s[4:5], 0x1c8
	s_load_dwordx4 s[28:31], s[4:5], 0xd8
	s_waitcnt lgkmcnt(0)
	s_mul_i32 s1, s1, s8
	s_add_i32 s1, s1, s7
	s_mul_i32 s0, s1, s0
	s_add_i32 s14, s0, s6
	s_cmp_ge_u32 s14, s28
	s_cbranch_scc1 .LBB113_73
; %bb.1:
	s_load_dword s2, s[4:5], 0xd0
	s_mov_b32 s1, 0
	s_mov_b32 s0, s14
	s_waitcnt lgkmcnt(0)
	s_cmp_lt_i32 s2, 2
	s_cbranch_scc1 .LBB113_4
; %bb.2:
	s_add_i32 s0, s2, -1
	s_add_i32 s6, s2, 1
	s_lshl_b64 s[2:3], s[0:1], 2
	s_add_u32 s0, s2, s4
	s_addc_u32 s3, s3, s5
	s_add_u32 s2, s0, 8
	s_addc_u32 s3, s3, 0
	s_mov_b32 s0, s14
.LBB113_3:                              ; =>This Inner Loop Header: Depth=1
	s_load_dword s7, s[2:3], 0x0
	s_load_dword s9, s[2:3], 0x64
	s_mov_b32 s8, s0
	s_waitcnt lgkmcnt(0)
	v_cvt_f32_u32_e32 v1, s7
	s_sub_i32 s0, 0, s7
	v_rcp_iflag_f32_e32 v1, v1
	v_mul_f32_e32 v1, 0x4f7ffffe, v1
	v_cvt_u32_f32_e32 v1, v1
	v_readfirstlane_b32 s10, v1
	s_mul_i32 s0, s0, s10
	s_mul_hi_u32 s0, s10, s0
	s_add_i32 s10, s10, s0
	s_mul_hi_u32 s0, s8, s10
	s_mul_i32 s10, s0, s7
	s_sub_i32 s10, s8, s10
	s_add_i32 s11, s0, 1
	s_sub_i32 s12, s10, s7
	s_cmp_ge_u32 s10, s7
	s_cselect_b32 s0, s11, s0
	s_cselect_b32 s10, s12, s10
	s_add_i32 s11, s0, 1
	s_cmp_ge_u32 s10, s7
	s_cselect_b32 s0, s11, s0
	s_mul_i32 s7, s0, s7
	s_sub_i32 s7, s8, s7
	s_mul_i32 s7, s9, s7
	s_add_i32 s6, s6, -1
	s_add_i32 s1, s7, s1
	s_add_u32 s2, s2, -4
	s_addc_u32 s3, s3, -1
	s_cmp_gt_u32 s6, 2
	s_cbranch_scc1 .LBB113_3
.LBB113_4:
	s_load_dword s2, s[4:5], 0x1b8
	s_mov_b32 s11, 0
	s_waitcnt lgkmcnt(0)
	s_cmp_lt_i32 s2, 2
	s_cbranch_scc1 .LBB113_7
; %bb.5:
	s_add_i32 s10, s2, -1
	s_add_i32 s6, s2, 1
	s_lshl_b64 s[2:3], s[10:11], 2
	s_add_u32 s2, s2, s4
	s_addc_u32 s3, s3, s5
	s_add_u32 s2, s2, 0xf0
	s_addc_u32 s3, s3, 0
.LBB113_6:                              ; =>This Inner Loop Header: Depth=1
	s_load_dword s7, s[2:3], 0x0
	s_load_dword s9, s[2:3], 0x64
	s_mov_b32 s8, s14
	s_waitcnt lgkmcnt(0)
	v_cvt_f32_u32_e32 v1, s7
	s_sub_i32 s10, 0, s7
	v_rcp_iflag_f32_e32 v1, v1
	v_mul_f32_e32 v1, 0x4f7ffffe, v1
	v_cvt_u32_f32_e32 v1, v1
	v_readfirstlane_b32 s12, v1
	s_mul_i32 s10, s10, s12
	s_mul_hi_u32 s10, s12, s10
	s_add_i32 s12, s12, s10
	s_mul_hi_u32 s10, s14, s12
	s_mul_i32 s12, s10, s7
	s_sub_i32 s12, s14, s12
	s_add_i32 s13, s10, 1
	s_sub_i32 s14, s12, s7
	s_cmp_ge_u32 s12, s7
	s_cselect_b32 s10, s13, s10
	s_cselect_b32 s12, s14, s12
	s_add_i32 s13, s10, 1
	s_cmp_ge_u32 s12, s7
	s_cselect_b32 s14, s13, s10
	s_mul_i32 s7, s14, s7
	s_sub_i32 s7, s8, s7
	s_mul_i32 s7, s9, s7
	s_add_i32 s6, s6, -1
	s_add_i32 s11, s7, s11
	s_add_u32 s2, s2, -4
	s_addc_u32 s3, s3, -1
	s_cmp_gt_u32 s6, 2
	s_cbranch_scc1 .LBB113_6
.LBB113_7:
	s_load_dword s2, s[4:5], 0x6c
	s_load_dwordx2 s[26:27], s[4:5], 0x1c0
	s_movk_i32 s6, 0x80
	v_mul_lo_u32 v28, v0, s30
	s_waitcnt lgkmcnt(0)
	s_mul_i32 s0, s2, s0
	s_add_i32 s7, s0, s1
	s_bitcmp1_b32 s27, 0
	s_load_dwordx2 s[2:3], s[4:5], 0x0
	s_cselect_b64 s[8:9], -1, 0
	s_and_b64 s[0:1], s[8:9], exec
	s_cselect_b32 s0, s6, 0x7f
	v_lshlrev_b16_e64 v1, 8, s0
	v_or_b32_e32 v1, s0, v1
	s_waitcnt lgkmcnt(0)
	s_add_u32 s34, s2, s7
	v_lshlrev_b32_e32 v2, 16, v1
	s_addc_u32 s35, s3, 0
	v_mov_b32_e32 v3, s0
	v_or_b32_sdwa v2, v1, v2 dst_sel:DWORD dst_unused:UNUSED_PAD src0_sel:WORD_0 src1_sel:DWORD
	v_cmp_gt_u32_e64 s[0:1], s29, v0
	s_and_saveexec_b64 s[2:3], s[0:1]
	s_cbranch_execz .LBB113_9
; %bb.8:
	global_load_ubyte v3, v28, s[34:35]
	s_mov_b32 s6, 0x3020104
	s_waitcnt vmcnt(0)
	v_perm_b32 v2, v3, v2, s6
.LBB113_9:
	s_or_b64 exec, exec, s[2:3]
	v_or_b32_e32 v1, 32, v0
	v_cmp_gt_u32_e64 s[6:7], s29, v1
	s_and_saveexec_b64 s[2:3], s[6:7]
	s_cbranch_execz .LBB113_11
; %bb.10:
	v_mul_lo_u32 v4, v1, s30
	global_load_ubyte v4, v4, s[34:35]
	s_mov_b32 s10, 0x7060004
	s_waitcnt vmcnt(0)
	v_perm_b32 v2, v2, v4, s10
.LBB113_11:
	s_or_b64 exec, exec, s[2:3]
	s_load_dwordx2 s[12:13], s[4:5], 0xe8
	v_or_b32_e32 v10, 64, v0
	v_cmp_gt_u32_e64 s[24:25], s29, v10
	s_and_saveexec_b64 s[2:3], s[24:25]
	s_cbranch_execz .LBB113_13
; %bb.12:
	v_mul_lo_u32 v4, v10, s30
	global_load_ubyte v4, v4, s[34:35]
	s_mov_b32 s10, 0x7000504
	s_waitcnt vmcnt(0)
	v_perm_b32 v2, v2, v4, s10
.LBB113_13:
	s_or_b64 exec, exec, s[2:3]
	s_load_dword s10, s[4:5], 0x154
	v_or_b32_e32 v11, 0x60, v0
	v_cmp_gt_u32_e64 s[2:3], s29, v11
	s_and_saveexec_b64 s[4:5], s[2:3]
	s_cbranch_execz .LBB113_15
; %bb.14:
	v_mul_lo_u32 v4, v11, s30
	global_load_ubyte v4, v4, s[34:35]
	s_mov_b32 s15, 0x60504
	s_waitcnt vmcnt(0)
	v_perm_b32 v2, v2, v4, s15
.LBB113_15:
	s_or_b64 exec, exec, s[4:5]
	ds_write_b8 v0, v3
	v_lshrrev_b32_e32 v3, 8, v2
	ds_write_b8 v0, v3 offset:32
	ds_write_b8_d16_hi v0, v2 offset:64
	v_lshrrev_b32_e32 v2, 24, v2
	v_lshlrev_b32_e32 v29, 2, v0
	ds_write_b8 v0, v2 offset:96
	s_waitcnt lgkmcnt(0)
	; wave barrier
	s_waitcnt lgkmcnt(0)
	ds_read_u8 v40, v29
	ds_read_u8 v39, v29 offset:1
	ds_read_u8 v38, v29 offset:2
	;; [unrolled: 1-line block ×3, first 2 shown]
	s_mul_i32 s4, s10, s14
	s_add_i32 s16, s4, s11
	s_mov_b32 s17, 0
	s_lshl_b64 s[4:5], s[16:17], 3
	s_mov_b32 s16, s17
	s_add_u32 s27, s12, s4
	s_mov_b32 s18, s17
	s_mov_b32 s19, s17
	;; [unrolled: 1-line block ×6, first 2 shown]
	v_pk_mov_b32 v[2:3], s[16:17], s[16:17] op_sel:[0,1]
	s_addc_u32 s31, s13, s5
	v_pk_mov_b32 v[4:5], s[18:19], s[18:19] op_sel:[0,1]
	v_pk_mov_b32 v[6:7], s[20:21], s[20:21] op_sel:[0,1]
	v_pk_mov_b32 v[8:9], s[22:23], s[22:23] op_sel:[0,1]
	v_pk_mov_b32 v[2:3], 0, 0
	v_mul_lo_u32 v18, v0, s26
	s_waitcnt lgkmcnt(0)
	; wave barrier
	s_waitcnt lgkmcnt(0)
	s_and_saveexec_b64 s[4:5], s[0:1]
	s_cbranch_execnz .LBB113_29
; %bb.16:
	s_or_b64 exec, exec, s[4:5]
	s_and_saveexec_b64 s[4:5], s[6:7]
	s_cbranch_execnz .LBB113_30
.LBB113_17:
	s_or_b64 exec, exec, s[4:5]
	s_and_saveexec_b64 s[4:5], s[24:25]
	s_cbranch_execz .LBB113_19
.LBB113_18:
	v_mul_lo_u32 v6, v10, s26
	v_mov_b32_e32 v7, 0
	v_lshlrev_b64 v[6:7], 3, v[6:7]
	v_mov_b32_e32 v12, s31
	v_add_co_u32_e32 v6, vcc, s27, v6
	v_addc_co_u32_e32 v7, vcc, v12, v7, vcc
	global_load_dwordx2 v[6:7], v[6:7], off
.LBB113_19:
	s_or_b64 exec, exec, s[4:5]
	s_xor_b64 s[4:5], s[8:9], -1
	v_lshrrev_b32_e32 v14, 5, v1
	v_lshrrev_b32_e32 v13, 5, v10
	;; [unrolled: 1-line block ×4, first 2 shown]
	s_and_saveexec_b64 s[8:9], s[2:3]
	s_cbranch_execz .LBB113_21
; %bb.20:
	v_mul_lo_u32 v8, v11, s26
	v_mov_b32_e32 v9, 0
	v_lshlrev_b64 v[8:9], 3, v[8:9]
	v_mov_b32_e32 v11, s31
	v_add_co_u32_e32 v8, vcc, s27, v8
	v_addc_co_u32_e32 v9, vcc, v11, v9, vcc
	global_load_dwordx2 v[8:9], v[8:9], off
.LBB113_21:
	s_or_b64 exec, exec, s[8:9]
	v_add_lshl_u32 v33, v10, v29, 3
	v_mbcnt_lo_u32_b32 v10, -1, 0
	s_getpc_b64 s[8:9]
	s_add_u32 s8, s8, _ZN7rocprim17ROCPRIM_400000_NS16block_radix_sortIaLj32ELj4ElLj1ELj1ELj0ELNS0_26block_radix_rank_algorithmE1ELNS0_18block_padding_hintE2ELNS0_4arch9wavefront6targetE1EE19radix_bits_per_passE@rel32@lo+4
	s_addc_u32 s9, s9, _ZN7rocprim17ROCPRIM_400000_NS16block_radix_sortIaLj32ELj4ElLj1ELj1ELj0ELNS0_26block_radix_rank_algorithmE1ELNS0_18block_padding_hintE2ELNS0_4arch9wavefront6targetE1EE19radix_bits_per_passE@rel32@hi+12
	v_mbcnt_hi_u32_b32 v10, -1, v10
	v_lshlrev_b32_e32 v30, 3, v0
	v_add_lshl_u32 v19, v14, v0, 3
	v_add_lshl_u32 v31, v13, v0, 3
	;; [unrolled: 1-line block ×3, first 2 shown]
	s_load_dword s33, s[8:9], 0x0
	v_and_b32_e32 v11, 15, v10
	s_waitcnt vmcnt(0)
	ds_write_b64 v30, v[2:3]
	ds_write_b64 v19, v[4:5] offset:256
	ds_write_b64 v31, v[6:7] offset:512
	;; [unrolled: 1-line block ×3, first 2 shown]
	s_waitcnt lgkmcnt(0)
	; wave barrier
	s_waitcnt lgkmcnt(0)
	ds_read2_b64 v[2:5], v33 offset1:1
	ds_read2_b64 v[6:9], v33 offset0:2 offset1:3
	v_cmp_eq_u32_e64 s[20:21], 0, v11
	v_cmp_lt_u32_e64 s[18:19], 1, v11
	v_cmp_lt_u32_e64 s[16:17], 3, v11
	;; [unrolled: 1-line block ×3, first 2 shown]
	v_and_b32_e32 v11, 16, v10
	v_cmp_eq_u32_e64 s[12:13], 0, v11
	v_add_u32_e32 v11, -1, v10
	v_and_b32_e32 v12, 0x60, v10
	v_cmp_lt_i32_e32 vcc, v11, v12
	s_movk_i32 s8, 0x100
	v_cndmask_b32_e32 v11, v11, v10, vcc
	v_cmp_gt_u32_e64 s[22:23], s8, v0
	v_lshlrev_b32_e32 v35, 5, v0
	v_cmp_eq_u32_e64 s[10:11], 31, v0
	v_lshlrev_b32_e32 v36, 2, v11
	v_cmp_eq_u32_e64 s[8:9], 0, v10
	v_lshlrev_b32_e32 v34, 3, v29
	s_min_u32 s40, s33, 8
	s_and_b64 vcc, exec, s[4:5]
	s_waitcnt lgkmcnt(0)
	; wave barrier
	s_waitcnt lgkmcnt(0)
	s_cbranch_vccz .LBB113_31
; %bb.22:
	s_and_saveexec_b64 s[4:5], s[22:23]
	s_cbranch_execz .LBB113_32
; %bb.23:
	s_mov_b32 s41, 0
	s_mov_b64 s[28:29], 0
	v_mov_b32_e32 v12, 0
	v_pk_mov_b32 v[10:11], v[0:1], v[0:1] op_sel:[0,1]
	s_branch .LBB113_25
.LBB113_24:                             ;   in Loop: Header=BB113_25 Depth=1
	s_or_b64 exec, exec, s[38:39]
	s_add_i32 s41, s41, 2
	v_cmp_eq_u32_e64 s[36:37], 8, s41
	v_add_u32_e32 v11, 64, v11
	s_or_b64 s[28:29], s[36:37], s[28:29]
	v_add_u32_e32 v10, 64, v10
	s_andn2_b64 exec, exec, s[28:29]
	s_cbranch_execz .LBB113_32
.LBB113_25:                             ; =>This Inner Loop Header: Depth=1
	s_or_b32 s36, s41, 1
	v_cmp_le_u32_e64 s[36:37], s36, 7
	v_cmp_le_u32_e64 s[42:43], s41, 7
	s_and_saveexec_b64 s[38:39], s[42:43]
	s_cbranch_execz .LBB113_27
; %bb.26:                               ;   in Loop: Header=BB113_25 Depth=1
	v_lshlrev_b32_e32 v13, 2, v10
	ds_write_b32 v13, v12
.LBB113_27:                             ;   in Loop: Header=BB113_25 Depth=1
	s_or_b64 exec, exec, s[38:39]
	s_and_saveexec_b64 s[38:39], s[36:37]
	s_cbranch_execz .LBB113_24
; %bb.28:                               ;   in Loop: Header=BB113_25 Depth=1
	v_lshlrev_b32_e32 v13, 2, v11
	ds_write_b32 v13, v12
	s_branch .LBB113_24
.LBB113_29:
	v_mov_b32_e32 v19, 0
	v_lshlrev_b64 v[2:3], 3, v[18:19]
	v_mov_b32_e32 v4, s31
	v_add_co_u32_e32 v2, vcc, s27, v2
	v_addc_co_u32_e32 v3, vcc, v4, v3, vcc
	global_load_dwordx2 v[2:3], v[2:3], off
	v_mov_b32_e32 v4, v19
	v_mov_b32_e32 v5, v19
	v_mov_b32_e32 v6, v19
	v_mov_b32_e32 v7, v19
	v_mov_b32_e32 v8, v19
	v_mov_b32_e32 v9, v19
	s_or_b64 exec, exec, s[4:5]
	s_and_saveexec_b64 s[4:5], s[6:7]
	s_cbranch_execz .LBB113_17
.LBB113_30:
	v_mul_lo_u32 v4, v1, s26
	v_mov_b32_e32 v5, 0
	v_lshlrev_b64 v[4:5], 3, v[4:5]
	v_mov_b32_e32 v12, s31
	v_add_co_u32_e32 v4, vcc, s27, v4
	v_addc_co_u32_e32 v5, vcc, v12, v5, vcc
	global_load_dwordx2 v[4:5], v[4:5], off
	s_or_b64 exec, exec, s[4:5]
	s_and_saveexec_b64 s[4:5], s[24:25]
	s_cbranch_execnz .LBB113_18
	s_branch .LBB113_19
.LBB113_31:
                                        ; implicit-def: $vgpr16_vgpr17
                                        ; implicit-def: $vgpr12_vgpr13
                                        ; implicit-def: $vgpr20
	s_cbranch_execnz .LBB113_44
	s_branch .LBB113_63
.LBB113_32:
	s_or_b64 exec, exec, s[4:5]
	s_lshl_b32 s4, -1, s40
	v_xor_b32_e32 v20, 0xffffff80, v40
	s_not_b32 s4, s4
	v_and_b32_e32 v10, s4, v20
	v_bfe_u32 v11, v10, 3, 5
	v_lshlrev_b32_e32 v10, 5, v10
	s_movk_i32 s5, 0xe0
	v_and_or_b32 v10, v10, s5, v0
	v_lshlrev_b32_e32 v10, 1, v10
	v_add_lshl_u32 v25, v10, v11, 1
	ds_read_u16 v23, v25
	v_xor_b32_e32 v21, 0xffffff80, v39
	v_xor_b32_e32 v24, 0xffffff80, v38
	;; [unrolled: 1-line block ×3, first 2 shown]
	s_waitcnt lgkmcnt(0)
	v_add_u16_e32 v10, 1, v23
	ds_write_b16 v25, v10
	v_and_b32_e32 v10, s4, v21
	v_bfe_u32 v11, v10, 3, 5
	v_lshlrev_b32_e32 v10, 5, v10
	v_and_or_b32 v10, v10, s5, v0
	v_lshlrev_b32_e32 v10, 1, v10
	v_add_lshl_u32 v41, v10, v11, 1
	ds_read_u16 v26, v41
	s_waitcnt lgkmcnt(0)
	v_add_u16_e32 v10, 1, v26
	ds_write_b16 v41, v10
	v_and_b32_e32 v10, s4, v24
	v_bfe_u32 v11, v10, 3, 5
	v_lshlrev_b32_e32 v10, 5, v10
	v_and_or_b32 v10, v10, s5, v0
	v_lshlrev_b32_e32 v10, 1, v10
	v_add_lshl_u32 v43, v10, v11, 1
	ds_read_u16 v42, v43
	;; [unrolled: 10-line block ×3, first 2 shown]
	s_waitcnt lgkmcnt(0)
	v_add_u16_e32 v10, 1, v44
	ds_write_b16 v45, v10
	s_waitcnt lgkmcnt(0)
	; wave barrier
	s_waitcnt lgkmcnt(0)
	ds_read2_b32 v[16:17], v35 offset1:1
	ds_read2_b32 v[14:15], v35 offset0:2 offset1:3
	ds_read2_b32 v[10:11], v35 offset0:4 offset1:5
	;; [unrolled: 1-line block ×3, first 2 shown]
	s_waitcnt lgkmcnt(3)
	v_add_u32_e32 v22, v17, v16
	s_waitcnt lgkmcnt(2)
	v_add3_u32 v22, v22, v14, v15
	s_waitcnt lgkmcnt(1)
	v_add3_u32 v22, v22, v10, v11
	;; [unrolled: 2-line block ×3, first 2 shown]
	s_nop 1
	v_mov_b32_dpp v22, v13 row_shr:1 row_mask:0xf bank_mask:0xf
	v_cndmask_b32_e64 v22, v22, 0, s[20:21]
	v_add_u32_e32 v13, v22, v13
	s_nop 1
	v_mov_b32_dpp v22, v13 row_shr:2 row_mask:0xf bank_mask:0xf
	v_cndmask_b32_e64 v22, 0, v22, s[18:19]
	v_add_u32_e32 v13, v13, v22
	;; [unrolled: 4-line block ×4, first 2 shown]
	s_nop 1
	v_mov_b32_dpp v22, v13 row_bcast:15 row_mask:0xf bank_mask:0xf
	v_cndmask_b32_e64 v22, v22, 0, s[12:13]
	v_add_u32_e32 v13, v13, v22
	s_and_saveexec_b64 s[4:5], s[10:11]
	s_cbranch_execz .LBB113_34
; %bb.33:
	v_mov_b32_e32 v22, 0
	ds_write_b32 v22, v13 offset:1024
.LBB113_34:
	s_or_b64 exec, exec, s[4:5]
	ds_bpermute_b32 v13, v36, v13
	v_mov_b32_e32 v22, 0
	s_waitcnt lgkmcnt(0)
	; wave barrier
	s_waitcnt lgkmcnt(0)
	ds_read_b32 v46, v22 offset:1024
	v_cndmask_b32_e64 v13, v13, 0, s[8:9]
	s_mov_b32 s41, 0
	s_waitcnt lgkmcnt(0)
	v_lshl_add_u32 v13, v46, 16, v13
	v_add_u32_e32 v16, v13, v16
	v_add_u32_e32 v17, v16, v17
	;; [unrolled: 1-line block ×7, first 2 shown]
	ds_write2_b32 v35, v13, v16 offset1:1
	ds_write2_b32 v35, v17, v14 offset0:2 offset1:3
	ds_write2_b32 v35, v15, v10 offset0:4 offset1:5
	;; [unrolled: 1-line block ×3, first 2 shown]
	s_waitcnt lgkmcnt(0)
	; wave barrier
	s_waitcnt lgkmcnt(0)
	ds_read_u16 v10, v25
	ds_read_u16 v11, v41
	ds_read_u16 v12, v43
	ds_read_u16 v13, v45
	s_waitcnt lgkmcnt(0)
	v_add_u32_sdwa v10, v10, v23 dst_sel:DWORD dst_unused:UNUSED_PAD src0_sel:DWORD src1_sel:WORD_0
	v_add_u32_sdwa v11, v11, v26 dst_sel:DWORD dst_unused:UNUSED_PAD src0_sel:DWORD src1_sel:WORD_0
	;; [unrolled: 1-line block ×4, first 2 shown]
	; wave barrier
	ds_write_b8 v10, v20
	ds_write_b8 v11, v21
	;; [unrolled: 1-line block ×4, first 2 shown]
	v_lshlrev_b32_e32 v10, 3, v10
	s_waitcnt lgkmcnt(0)
	; wave barrier
	s_waitcnt lgkmcnt(0)
	ds_read_u8 v41, v29
	ds_read_u8 v42, v29 offset:1
	ds_read_u8 v43, v29 offset:2
	;; [unrolled: 1-line block ×3, first 2 shown]
	s_waitcnt lgkmcnt(0)
	; wave barrier
	s_waitcnt lgkmcnt(0)
	ds_write_b64 v10, v[2:3]
	v_lshlrev_b32_e32 v10, 3, v11
	ds_write_b64 v10, v[4:5]
	v_lshlrev_b32_e32 v10, 3, v12
	;; [unrolled: 2-line block ×3, first 2 shown]
	ds_write_b64 v10, v[8:9]
	s_waitcnt lgkmcnt(0)
	; wave barrier
	s_waitcnt lgkmcnt(0)
	ds_read2_b64 v[14:17], v34 offset1:1
	ds_read2_b64 v[10:13], v34 offset0:2 offset1:3
	s_waitcnt lgkmcnt(0)
	; wave barrier
	s_waitcnt lgkmcnt(0)
	s_and_saveexec_b64 s[4:5], s[22:23]
	s_cbranch_execz .LBB113_41
; %bb.35:
	s_mov_b64 s[28:29], 0
	v_pk_mov_b32 v[20:21], v[0:1], v[0:1] op_sel:[0,1]
	s_branch .LBB113_37
.LBB113_36:                             ;   in Loop: Header=BB113_37 Depth=1
	s_or_b64 exec, exec, s[38:39]
	s_add_i32 s41, s41, 2
	v_cmp_eq_u32_e64 s[36:37], 8, s41
	v_add_u32_e32 v21, 64, v21
	s_or_b64 s[28:29], s[36:37], s[28:29]
	v_add_u32_e32 v20, 64, v20
	s_andn2_b64 exec, exec, s[28:29]
	s_cbranch_execz .LBB113_41
.LBB113_37:                             ; =>This Inner Loop Header: Depth=1
	s_or_b32 s36, s41, 1
	v_cmp_le_u32_e64 s[36:37], s36, 7
	v_cmp_le_u32_e64 s[42:43], s41, 7
	s_and_saveexec_b64 s[38:39], s[42:43]
	s_cbranch_execz .LBB113_39
; %bb.38:                               ;   in Loop: Header=BB113_37 Depth=1
	v_lshlrev_b32_e32 v23, 2, v20
	ds_write_b32 v23, v22
.LBB113_39:                             ;   in Loop: Header=BB113_37 Depth=1
	s_or_b64 exec, exec, s[38:39]
	s_and_saveexec_b64 s[38:39], s[36:37]
	s_cbranch_execz .LBB113_36
; %bb.40:                               ;   in Loop: Header=BB113_37 Depth=1
	v_lshlrev_b32_e32 v23, 2, v21
	ds_write_b32 v23, v22
	s_branch .LBB113_36
.LBB113_41:
	s_or_b64 exec, exec, s[4:5]
	s_min_u32 s4, s33, 4
	s_lshl_b32 s4, -1, s4
	v_lshrrev_b16_e32 v20, 4, v41
	s_not_b32 s4, s4
	v_and_b32_e32 v20, 15, v20
	v_and_b32_sdwa v20, v20, s4 dst_sel:DWORD dst_unused:UNUSED_PAD src0_sel:WORD_0 src1_sel:DWORD
	v_lshlrev_b32_e32 v21, 5, v20
	s_movk_i32 s5, 0xe0
	v_lshrrev_b32_e32 v20, 2, v20
	v_and_or_b32 v21, v21, s5, v0
	v_and_b32_e32 v20, 2, v20
	v_lshl_or_b32 v46, v21, 2, v20
	ds_read_u16 v45, v46
	s_waitcnt lgkmcnt(0)
	v_add_u16_e32 v20, 1, v45
	ds_write_b16 v46, v20
	v_lshrrev_b16_e32 v20, 4, v42
	v_and_b32_e32 v20, 15, v20
	v_and_b32_sdwa v20, v20, s4 dst_sel:DWORD dst_unused:UNUSED_PAD src0_sel:WORD_0 src1_sel:DWORD
	v_lshlrev_b32_e32 v21, 5, v20
	v_lshrrev_b32_e32 v20, 2, v20
	v_and_or_b32 v21, v21, s5, v0
	v_and_b32_e32 v20, 2, v20
	v_lshl_or_b32 v48, v21, 2, v20
	ds_read_u16 v47, v48
	s_waitcnt lgkmcnt(0)
	v_add_u16_e32 v20, 1, v47
	ds_write_b16 v48, v20
	v_lshrrev_b16_e32 v20, 4, v43
	v_and_b32_e32 v20, 15, v20
	v_and_b32_sdwa v20, v20, s4 dst_sel:DWORD dst_unused:UNUSED_PAD src0_sel:WORD_0 src1_sel:DWORD
	v_lshlrev_b32_e32 v21, 5, v20
	;; [unrolled: 12-line block ×3, first 2 shown]
	v_lshrrev_b32_e32 v20, 2, v20
	v_and_or_b32 v21, v21, s5, v0
	v_and_b32_e32 v20, 2, v20
	v_lshl_or_b32 v52, v21, 2, v20
	ds_read_u16 v51, v52
	s_waitcnt lgkmcnt(0)
	v_add_u16_e32 v20, 1, v51
	ds_write_b16 v52, v20
	s_waitcnt lgkmcnt(0)
	; wave barrier
	s_waitcnt lgkmcnt(0)
	ds_read2_b32 v[26:27], v35 offset1:1
	ds_read2_b32 v[24:25], v35 offset0:2 offset1:3
	ds_read2_b32 v[20:21], v35 offset0:4 offset1:5
	;; [unrolled: 1-line block ×3, first 2 shown]
	s_waitcnt lgkmcnt(3)
	v_add_u32_e32 v53, v27, v26
	s_waitcnt lgkmcnt(2)
	v_add3_u32 v53, v53, v24, v25
	s_waitcnt lgkmcnt(1)
	v_add3_u32 v53, v53, v20, v21
	;; [unrolled: 2-line block ×3, first 2 shown]
	s_nop 1
	v_mov_b32_dpp v53, v23 row_shr:1 row_mask:0xf bank_mask:0xf
	v_cndmask_b32_e64 v53, v53, 0, s[20:21]
	v_add_u32_e32 v23, v53, v23
	s_nop 1
	v_mov_b32_dpp v53, v23 row_shr:2 row_mask:0xf bank_mask:0xf
	v_cndmask_b32_e64 v53, 0, v53, s[18:19]
	v_add_u32_e32 v23, v23, v53
	;; [unrolled: 4-line block ×4, first 2 shown]
	s_nop 1
	v_mov_b32_dpp v53, v23 row_bcast:15 row_mask:0xf bank_mask:0xf
	v_cndmask_b32_e64 v53, v53, 0, s[12:13]
	v_add_u32_e32 v23, v23, v53
	s_and_saveexec_b64 s[4:5], s[10:11]
	s_cbranch_execz .LBB113_43
; %bb.42:
	v_mov_b32_e32 v53, 0
	ds_write_b32 v53, v23 offset:1024
.LBB113_43:
	s_or_b64 exec, exec, s[4:5]
	ds_bpermute_b32 v23, v36, v23
	v_mov_b32_e32 v53, 0
	s_waitcnt lgkmcnt(0)
	; wave barrier
	s_waitcnt lgkmcnt(0)
	ds_read_b32 v53, v53 offset:1024
	v_cndmask_b32_e64 v23, v23, 0, s[8:9]
	s_movk_i32 s4, 0x80
	s_waitcnt lgkmcnt(0)
	v_lshl_add_u32 v23, v53, 16, v23
	v_add_u32_e32 v26, v23, v26
	v_add_u32_e32 v27, v26, v27
	;; [unrolled: 1-line block ×7, first 2 shown]
	ds_write2_b32 v35, v23, v26 offset1:1
	ds_write2_b32 v35, v27, v24 offset0:2 offset1:3
	ds_write2_b32 v35, v25, v20 offset0:4 offset1:5
	;; [unrolled: 1-line block ×3, first 2 shown]
	s_waitcnt lgkmcnt(0)
	; wave barrier
	s_waitcnt lgkmcnt(0)
	ds_read_u16 v20, v52
	ds_read_u16 v21, v50
	;; [unrolled: 1-line block ×4, first 2 shown]
	s_waitcnt lgkmcnt(0)
	v_add_u32_sdwa v20, v20, v51 dst_sel:DWORD dst_unused:UNUSED_PAD src0_sel:DWORD src1_sel:WORD_0
	v_add_u32_sdwa v21, v21, v49 dst_sel:DWORD dst_unused:UNUSED_PAD src0_sel:DWORD src1_sel:WORD_0
	;; [unrolled: 1-line block ×4, first 2 shown]
	; wave barrier
	ds_write_b8 v23, v41
	ds_write_b8 v22, v42
	;; [unrolled: 1-line block ×4, first 2 shown]
	v_lshlrev_b32_e32 v23, 3, v23
	s_waitcnt lgkmcnt(0)
	; wave barrier
	s_waitcnt lgkmcnt(0)
	ds_read_u8 v24, v29
	ds_read_u8 v25, v29 offset:1
	ds_read_u8 v26, v29 offset:2
	;; [unrolled: 1-line block ×3, first 2 shown]
	s_waitcnt lgkmcnt(0)
	; wave barrier
	s_waitcnt lgkmcnt(0)
	ds_write_b64 v23, v[14:15]
	v_lshlrev_b32_e32 v14, 3, v22
	ds_write_b64 v14, v[16:17]
	v_lshlrev_b32_e32 v14, 3, v21
	;; [unrolled: 2-line block ×3, first 2 shown]
	ds_write_b64 v10, v[12:13]
	s_waitcnt lgkmcnt(0)
	; wave barrier
	s_waitcnt lgkmcnt(0)
	ds_read2_b64 v[10:13], v34 offset1:1
	ds_read2_b64 v[14:17], v34 offset0:2 offset1:3
	v_xor_b32_e32 v20, 0x80, v24
	v_xor_b32_sdwa v21, v25, s4 dst_sel:BYTE_1 dst_unused:UNUSED_PAD src0_sel:DWORD src1_sel:DWORD
	v_xor_b32_e32 v22, 0x80, v26
	v_xor_b32_sdwa v23, v27, s4 dst_sel:BYTE_1 dst_unused:UNUSED_PAD src0_sel:DWORD src1_sel:DWORD
	v_or_b32_e32 v20, v20, v21
	v_or_b32_sdwa v21, v22, v23 dst_sel:WORD_1 dst_unused:UNUSED_PAD src0_sel:DWORD src1_sel:DWORD
	v_or_b32_sdwa v20, v20, v21 dst_sel:DWORD dst_unused:UNUSED_PAD src0_sel:WORD_0 src1_sel:DWORD
	s_branch .LBB113_63
.LBB113_44:
	s_and_saveexec_b64 s[4:5], s[22:23]
	s_cbranch_execz .LBB113_51
; %bb.45:
	s_mov_b32 s41, 0
	s_mov_b64 s[28:29], 0
	s_waitcnt lgkmcnt(1)
	v_mov_b32_e32 v12, 0
	v_pk_mov_b32 v[10:11], v[0:1], v[0:1] op_sel:[0,1]
	s_branch .LBB113_47
.LBB113_46:                             ;   in Loop: Header=BB113_47 Depth=1
	s_or_b64 exec, exec, s[38:39]
	s_add_i32 s41, s41, 2
	v_cmp_eq_u32_e64 s[36:37], 8, s41
	v_add_u32_e32 v11, 64, v11
	s_or_b64 s[28:29], s[36:37], s[28:29]
	v_add_u32_e32 v10, 64, v10
	s_andn2_b64 exec, exec, s[28:29]
	s_cbranch_execz .LBB113_51
.LBB113_47:                             ; =>This Inner Loop Header: Depth=1
	s_or_b32 s36, s41, 1
	v_cmp_le_u32_e64 s[36:37], s36, 7
	v_cmp_le_u32_e64 s[42:43], s41, 7
	s_and_saveexec_b64 s[38:39], s[42:43]
	s_cbranch_execz .LBB113_49
; %bb.48:                               ;   in Loop: Header=BB113_47 Depth=1
	v_lshlrev_b32_e32 v13, 2, v10
	ds_write_b32 v13, v12
.LBB113_49:                             ;   in Loop: Header=BB113_47 Depth=1
	s_or_b64 exec, exec, s[38:39]
	s_and_saveexec_b64 s[38:39], s[36:37]
	s_cbranch_execz .LBB113_46
; %bb.50:                               ;   in Loop: Header=BB113_47 Depth=1
	v_lshlrev_b32_e32 v13, 2, v11
	ds_write_b32 v13, v12
	s_branch .LBB113_46
.LBB113_51:
	s_or_b64 exec, exec, s[4:5]
	s_lshl_b32 s4, -1, s40
	v_xor_b32_e32 v20, 0x7f, v40
	s_not_b32 s4, s4
	s_waitcnt lgkmcnt(1)
	v_and_b32_e32 v10, s4, v20
	v_bfe_u32 v11, v10, 3, 5
	v_lshlrev_b32_e32 v10, 5, v10
	s_movk_i32 s5, 0xe0
	v_and_or_b32 v10, v10, s5, v0
	v_lshlrev_b32_e32 v10, 1, v10
	v_add_lshl_u32 v24, v10, v11, 1
	ds_read_u16 v22, v24
	v_xor_b32_e32 v21, 0x7f, v39
	v_xor_b32_e32 v23, 0x7f, v38
	;; [unrolled: 1-line block ×3, first 2 shown]
	s_waitcnt lgkmcnt(0)
	v_add_u16_e32 v10, 1, v22
	ds_write_b16 v24, v10
	v_and_b32_e32 v10, s4, v21
	v_bfe_u32 v11, v10, 3, 5
	v_lshlrev_b32_e32 v10, 5, v10
	v_and_or_b32 v10, v10, s5, v0
	v_lshlrev_b32_e32 v10, 1, v10
	v_add_lshl_u32 v27, v10, v11, 1
	ds_read_u16 v25, v27
	s_waitcnt lgkmcnt(0)
	v_add_u16_e32 v10, 1, v25
	ds_write_b16 v27, v10
	v_and_b32_e32 v10, s4, v23
	v_bfe_u32 v11, v10, 3, 5
	v_lshlrev_b32_e32 v10, 5, v10
	v_and_or_b32 v10, v10, s5, v0
	v_lshlrev_b32_e32 v10, 1, v10
	v_add_lshl_u32 v39, v10, v11, 1
	ds_read_u16 v38, v39
	;; [unrolled: 10-line block ×3, first 2 shown]
	s_waitcnt lgkmcnt(0)
	v_add_u16_e32 v10, 1, v37
	ds_write_b16 v40, v10
	s_waitcnt lgkmcnt(0)
	; wave barrier
	s_waitcnt lgkmcnt(0)
	ds_read2_b32 v[16:17], v35 offset1:1
	ds_read2_b32 v[14:15], v35 offset0:2 offset1:3
	ds_read2_b32 v[10:11], v35 offset0:4 offset1:5
	ds_read2_b32 v[12:13], v35 offset0:6 offset1:7
	s_waitcnt lgkmcnt(3)
	v_add_u32_e32 v41, v17, v16
	s_waitcnt lgkmcnt(2)
	v_add3_u32 v41, v41, v14, v15
	s_waitcnt lgkmcnt(1)
	v_add3_u32 v41, v41, v10, v11
	;; [unrolled: 2-line block ×3, first 2 shown]
	s_nop 1
	v_mov_b32_dpp v41, v13 row_shr:1 row_mask:0xf bank_mask:0xf
	v_cndmask_b32_e64 v41, v41, 0, s[20:21]
	v_add_u32_e32 v13, v41, v13
	s_nop 1
	v_mov_b32_dpp v41, v13 row_shr:2 row_mask:0xf bank_mask:0xf
	v_cndmask_b32_e64 v41, 0, v41, s[18:19]
	v_add_u32_e32 v13, v13, v41
	;; [unrolled: 4-line block ×4, first 2 shown]
	s_nop 1
	v_mov_b32_dpp v41, v13 row_bcast:15 row_mask:0xf bank_mask:0xf
	v_cndmask_b32_e64 v41, v41, 0, s[12:13]
	v_add_u32_e32 v13, v13, v41
	s_and_saveexec_b64 s[4:5], s[10:11]
	s_cbranch_execz .LBB113_53
; %bb.52:
	v_mov_b32_e32 v41, 0
	ds_write_b32 v41, v13 offset:1024
.LBB113_53:
	s_or_b64 exec, exec, s[4:5]
	ds_bpermute_b32 v41, v36, v13
	v_mov_b32_e32 v13, 0
	s_waitcnt lgkmcnt(0)
	; wave barrier
	s_waitcnt lgkmcnt(0)
	ds_read_b32 v42, v13 offset:1024
	v_cndmask_b32_e64 v41, v41, 0, s[8:9]
	s_mov_b32 s38, 0
	s_waitcnt lgkmcnt(0)
	v_lshl_add_u32 v41, v42, 16, v41
	v_add_u32_e32 v16, v41, v16
	v_add_u32_e32 v17, v16, v17
	v_add_u32_e32 v14, v17, v14
	v_add_u32_e32 v15, v14, v15
	v_add_u32_e32 v10, v15, v10
	v_add_u32_e32 v11, v10, v11
	v_add_u32_e32 v12, v11, v12
	ds_write2_b32 v35, v41, v16 offset1:1
	ds_write2_b32 v35, v17, v14 offset0:2 offset1:3
	ds_write2_b32 v35, v15, v10 offset0:4 offset1:5
	ds_write2_b32 v35, v11, v12 offset0:6 offset1:7
	s_waitcnt lgkmcnt(0)
	; wave barrier
	s_waitcnt lgkmcnt(0)
	ds_read_u16 v10, v24
	ds_read_u16 v11, v27
	;; [unrolled: 1-line block ×4, first 2 shown]
	s_waitcnt lgkmcnt(0)
	v_add_u32_sdwa v10, v10, v22 dst_sel:DWORD dst_unused:UNUSED_PAD src0_sel:DWORD src1_sel:WORD_0
	v_add_u32_sdwa v11, v11, v25 dst_sel:DWORD dst_unused:UNUSED_PAD src0_sel:DWORD src1_sel:WORD_0
	;; [unrolled: 1-line block ×4, first 2 shown]
	; wave barrier
	ds_write_b8 v10, v20
	ds_write_b8 v11, v21
	;; [unrolled: 1-line block ×4, first 2 shown]
	v_lshlrev_b32_e32 v10, 3, v10
	s_waitcnt lgkmcnt(0)
	; wave barrier
	s_waitcnt lgkmcnt(0)
	ds_read_u8 v20, v29
	ds_read_u8 v21, v29 offset:1
	ds_read_u8 v22, v29 offset:2
	;; [unrolled: 1-line block ×3, first 2 shown]
	s_waitcnt lgkmcnt(0)
	; wave barrier
	s_waitcnt lgkmcnt(0)
	ds_write_b64 v10, v[2:3]
	v_lshlrev_b32_e32 v2, 3, v11
	ds_write_b64 v2, v[4:5]
	v_lshlrev_b32_e32 v2, 3, v12
	ds_write_b64 v2, v[6:7]
	v_lshlrev_b32_e32 v2, 3, v14
	ds_write_b64 v2, v[8:9]
	s_waitcnt lgkmcnt(0)
	; wave barrier
	s_waitcnt lgkmcnt(0)
	ds_read2_b64 v[6:9], v34 offset1:1
	ds_read2_b64 v[2:5], v34 offset0:2 offset1:3
	s_waitcnt lgkmcnt(0)
	; wave barrier
	s_waitcnt lgkmcnt(0)
	s_and_saveexec_b64 s[4:5], s[22:23]
	s_cbranch_execz .LBB113_60
; %bb.54:
	s_mov_b64 s[22:23], 0
	v_pk_mov_b32 v[10:11], v[0:1], v[0:1] op_sel:[0,1]
	s_branch .LBB113_56
.LBB113_55:                             ;   in Loop: Header=BB113_56 Depth=1
	s_or_b64 exec, exec, s[36:37]
	s_add_i32 s38, s38, 2
	v_cmp_eq_u32_e64 s[28:29], 8, s38
	v_add_u32_e32 v11, 64, v11
	s_or_b64 s[22:23], s[28:29], s[22:23]
	v_add_u32_e32 v10, 64, v10
	s_andn2_b64 exec, exec, s[22:23]
	s_cbranch_execz .LBB113_60
.LBB113_56:                             ; =>This Inner Loop Header: Depth=1
	s_or_b32 s28, s38, 1
	v_cmp_le_u32_e64 s[28:29], s28, 7
	v_cmp_le_u32_e64 s[40:41], s38, 7
	s_and_saveexec_b64 s[36:37], s[40:41]
	s_cbranch_execz .LBB113_58
; %bb.57:                               ;   in Loop: Header=BB113_56 Depth=1
	v_lshlrev_b32_e32 v1, 2, v10
	ds_write_b32 v1, v13
.LBB113_58:                             ;   in Loop: Header=BB113_56 Depth=1
	s_or_b64 exec, exec, s[36:37]
	s_and_saveexec_b64 s[36:37], s[28:29]
	s_cbranch_execz .LBB113_55
; %bb.59:                               ;   in Loop: Header=BB113_56 Depth=1
	v_lshlrev_b32_e32 v1, 2, v11
	ds_write_b32 v1, v13
	s_branch .LBB113_55
.LBB113_60:
	s_or_b64 exec, exec, s[4:5]
	s_min_u32 s4, s33, 4
	s_lshl_b32 s4, -1, s4
	v_lshrrev_b16_e32 v1, 4, v20
	s_not_b32 s4, s4
	v_and_b32_e32 v1, 15, v1
	v_and_b32_sdwa v1, v1, s4 dst_sel:DWORD dst_unused:UNUSED_PAD src0_sel:WORD_0 src1_sel:DWORD
	v_lshlrev_b32_e32 v10, 5, v1
	s_movk_i32 s5, 0xe0
	v_lshrrev_b32_e32 v1, 2, v1
	v_and_or_b32 v10, v10, s5, v0
	v_and_b32_e32 v1, 2, v1
	v_lshl_or_b32 v24, v10, 2, v1
	ds_read_u16 v1, v24
	s_waitcnt lgkmcnt(0)
	v_add_u16_e32 v10, 1, v1
	ds_write_b16 v24, v10
	v_lshrrev_b16_e32 v10, 4, v21
	v_and_b32_e32 v10, 15, v10
	v_and_b32_sdwa v10, v10, s4 dst_sel:DWORD dst_unused:UNUSED_PAD src0_sel:WORD_0 src1_sel:DWORD
	v_lshlrev_b32_e32 v11, 5, v10
	v_lshrrev_b32_e32 v10, 2, v10
	v_and_or_b32 v11, v11, s5, v0
	v_and_b32_e32 v10, 2, v10
	v_lshl_or_b32 v26, v11, 2, v10
	ds_read_u16 v25, v26
	s_waitcnt lgkmcnt(0)
	v_add_u16_e32 v10, 1, v25
	ds_write_b16 v26, v10
	v_lshrrev_b16_e32 v10, 4, v22
	v_and_b32_e32 v10, 15, v10
	v_and_b32_sdwa v10, v10, s4 dst_sel:DWORD dst_unused:UNUSED_PAD src0_sel:WORD_0 src1_sel:DWORD
	v_lshlrev_b32_e32 v11, 5, v10
	v_lshrrev_b32_e32 v10, 2, v10
	v_and_or_b32 v11, v11, s5, v0
	v_and_b32_e32 v10, 2, v10
	v_lshl_or_b32 v37, v11, 2, v10
	ds_read_u16 v27, v37
	s_waitcnt lgkmcnt(0)
	v_add_u16_e32 v10, 1, v27
	ds_write_b16 v37, v10
	v_lshrrev_b16_e32 v10, 4, v23
	v_and_b32_e32 v10, 15, v10
	v_and_b32_sdwa v10, v10, s4 dst_sel:DWORD dst_unused:UNUSED_PAD src0_sel:WORD_0 src1_sel:DWORD
	v_lshlrev_b32_e32 v11, 5, v10
	v_lshrrev_b32_e32 v10, 2, v10
	v_and_or_b32 v11, v11, s5, v0
	v_and_b32_e32 v10, 2, v10
	v_lshl_or_b32 v39, v11, 2, v10
	ds_read_u16 v38, v39
	s_waitcnt lgkmcnt(0)
	v_add_u16_e32 v10, 1, v38
	ds_write_b16 v39, v10
	s_waitcnt lgkmcnt(0)
	; wave barrier
	s_waitcnt lgkmcnt(0)
	ds_read2_b32 v[16:17], v35 offset1:1
	ds_read2_b32 v[14:15], v35 offset0:2 offset1:3
	ds_read2_b32 v[10:11], v35 offset0:4 offset1:5
	;; [unrolled: 1-line block ×3, first 2 shown]
	s_waitcnt lgkmcnt(3)
	v_add_u32_e32 v40, v17, v16
	s_waitcnt lgkmcnt(2)
	v_add3_u32 v40, v40, v14, v15
	s_waitcnt lgkmcnt(1)
	v_add3_u32 v40, v40, v10, v11
	;; [unrolled: 2-line block ×3, first 2 shown]
	s_nop 1
	v_mov_b32_dpp v40, v13 row_shr:1 row_mask:0xf bank_mask:0xf
	v_cndmask_b32_e64 v40, v40, 0, s[20:21]
	v_add_u32_e32 v13, v40, v13
	s_nop 1
	v_mov_b32_dpp v40, v13 row_shr:2 row_mask:0xf bank_mask:0xf
	v_cndmask_b32_e64 v40, 0, v40, s[18:19]
	v_add_u32_e32 v13, v13, v40
	;; [unrolled: 4-line block ×4, first 2 shown]
	s_nop 1
	v_mov_b32_dpp v40, v13 row_bcast:15 row_mask:0xf bank_mask:0xf
	v_cndmask_b32_e64 v40, v40, 0, s[12:13]
	v_add_u32_e32 v13, v13, v40
	s_and_saveexec_b64 s[4:5], s[10:11]
	s_cbranch_execz .LBB113_62
; %bb.61:
	v_mov_b32_e32 v40, 0
	ds_write_b32 v40, v13 offset:1024
.LBB113_62:
	s_or_b64 exec, exec, s[4:5]
	ds_bpermute_b32 v13, v36, v13
	v_mov_b32_e32 v36, 0
	s_waitcnt lgkmcnt(0)
	; wave barrier
	s_waitcnt lgkmcnt(0)
	ds_read_b32 v36, v36 offset:1024
	v_cndmask_b32_e64 v13, v13, 0, s[8:9]
	s_movk_i32 s4, 0x7f
	s_waitcnt lgkmcnt(0)
	v_lshl_add_u32 v13, v36, 16, v13
	v_add_u32_e32 v16, v13, v16
	v_add_u32_e32 v17, v16, v17
	;; [unrolled: 1-line block ×7, first 2 shown]
	ds_write2_b32 v35, v13, v16 offset1:1
	ds_write2_b32 v35, v17, v14 offset0:2 offset1:3
	ds_write2_b32 v35, v15, v10 offset0:4 offset1:5
	;; [unrolled: 1-line block ×3, first 2 shown]
	s_waitcnt lgkmcnt(0)
	; wave barrier
	s_waitcnt lgkmcnt(0)
	ds_read_u16 v10, v39
	ds_read_u16 v11, v37
	;; [unrolled: 1-line block ×4, first 2 shown]
	s_waitcnt lgkmcnt(0)
	v_add_u32_sdwa v10, v10, v38 dst_sel:DWORD dst_unused:UNUSED_PAD src0_sel:DWORD src1_sel:WORD_0
	v_add_u32_sdwa v11, v11, v27 dst_sel:DWORD dst_unused:UNUSED_PAD src0_sel:DWORD src1_sel:WORD_0
	v_add_u32_sdwa v12, v12, v25 dst_sel:DWORD dst_unused:UNUSED_PAD src0_sel:DWORD src1_sel:WORD_0
	v_add_u32_sdwa v1, v13, v1 dst_sel:DWORD dst_unused:UNUSED_PAD src0_sel:DWORD src1_sel:WORD_0
	; wave barrier
	ds_write_b8 v1, v20
	ds_write_b8 v12, v21
	ds_write_b8 v11, v22
	ds_write_b8 v10, v23
	v_lshlrev_b32_e32 v1, 3, v1
	s_waitcnt lgkmcnt(0)
	; wave barrier
	s_waitcnt lgkmcnt(0)
	ds_read_u8 v20, v29
	ds_read_u8 v21, v29 offset:1
	ds_read_u8 v22, v29 offset:2
	;; [unrolled: 1-line block ×3, first 2 shown]
	s_waitcnt lgkmcnt(0)
	; wave barrier
	s_waitcnt lgkmcnt(0)
	ds_write_b64 v1, v[6:7]
	v_lshlrev_b32_e32 v1, 3, v12
	ds_write_b64 v1, v[8:9]
	v_lshlrev_b32_e32 v1, 3, v11
	;; [unrolled: 2-line block ×3, first 2 shown]
	ds_write_b64 v1, v[4:5]
	s_waitcnt lgkmcnt(0)
	; wave barrier
	s_waitcnt lgkmcnt(0)
	ds_read2_b64 v[10:13], v34 offset1:1
	ds_read2_b64 v[14:17], v34 offset0:2 offset1:3
	v_xor_b32_e32 v1, 0x7f, v20
	v_xor_b32_sdwa v2, v21, s4 dst_sel:BYTE_1 dst_unused:UNUSED_PAD src0_sel:DWORD src1_sel:DWORD
	v_xor_b32_e32 v3, 0x7f, v22
	v_xor_b32_sdwa v4, v23, s4 dst_sel:BYTE_1 dst_unused:UNUSED_PAD src0_sel:DWORD src1_sel:DWORD
	v_or_b32_e32 v1, v1, v2
	v_or_b32_sdwa v2, v3, v4 dst_sel:WORD_1 dst_unused:UNUSED_PAD src0_sel:DWORD src1_sel:DWORD
	v_or_b32_sdwa v20, v1, v2 dst_sel:DWORD dst_unused:UNUSED_PAD src0_sel:WORD_0 src1_sel:DWORD
.LBB113_63:
	s_waitcnt lgkmcnt(0)
	; wave barrier
	s_waitcnt lgkmcnt(0)
	ds_write_b32 v29, v20
	s_waitcnt lgkmcnt(0)
	; wave barrier
	s_waitcnt lgkmcnt(0)
	ds_read_u8 v5, v0 offset:32
	ds_read_u8 v4, v0 offset:64
	;; [unrolled: 1-line block ×3, first 2 shown]
	v_mov_b32_e32 v3, s35
	v_add_co_u32_e32 v2, vcc, s34, v28
	v_addc_co_u32_e32 v3, vcc, 0, v3, vcc
	s_and_saveexec_b64 s[4:5], s[0:1]
	s_cbranch_execnz .LBB113_74
; %bb.64:
	s_or_b64 exec, exec, s[4:5]
	s_and_saveexec_b64 s[4:5], s[6:7]
	s_cbranch_execnz .LBB113_75
.LBB113_65:
	s_or_b64 exec, exec, s[4:5]
	s_and_saveexec_b64 s[4:5], s[24:25]
	s_cbranch_execnz .LBB113_76
.LBB113_66:
	s_or_b64 exec, exec, s[4:5]
	s_and_saveexec_b64 s[4:5], s[2:3]
	s_cbranch_execz .LBB113_68
.LBB113_67:
	s_mul_i32 s8, s30, 0x60
	v_add_co_u32_e32 v2, vcc, s8, v2
	v_addc_co_u32_e32 v3, vcc, 0, v3, vcc
	s_waitcnt lgkmcnt(0)
	global_store_byte v[2:3], v1, off
.LBB113_68:
	s_or_b64 exec, exec, s[4:5]
	s_waitcnt lgkmcnt(0)
	; wave barrier
	s_waitcnt lgkmcnt(0)
	ds_write2_b64 v33, v[10:11], v[12:13] offset1:1
	ds_write2_b64 v33, v[14:15], v[16:17] offset0:2 offset1:3
	s_waitcnt lgkmcnt(0)
	; wave barrier
	s_waitcnt lgkmcnt(0)
	ds_read_b64 v[6:7], v19 offset:256
	ds_read_b64 v[4:5], v31 offset:512
	;; [unrolled: 1-line block ×3, first 2 shown]
	v_mov_b32_e32 v19, 0
	v_lshlrev_b64 v[2:3], 3, v[18:19]
	v_mov_b32_e32 v8, s31
	v_add_co_u32_e32 v2, vcc, s27, v2
	v_addc_co_u32_e32 v3, vcc, v8, v3, vcc
	s_and_saveexec_b64 s[4:5], s[0:1]
	s_cbranch_execnz .LBB113_77
; %bb.69:
	s_or_b64 exec, exec, s[4:5]
	s_and_saveexec_b64 s[0:1], s[6:7]
	s_cbranch_execnz .LBB113_78
.LBB113_70:
	s_or_b64 exec, exec, s[0:1]
	s_and_saveexec_b64 s[0:1], s[24:25]
	s_cbranch_execnz .LBB113_79
.LBB113_71:
	s_or_b64 exec, exec, s[0:1]
	s_and_saveexec_b64 s[0:1], s[2:3]
	s_cbranch_execz .LBB113_73
.LBB113_72:
	s_mul_i32 s0, s26, 0x60
	s_mov_b32 s1, 0
	s_lshl_b64 s[0:1], s[0:1], 3
	s_waitcnt lgkmcnt(1)
	v_mov_b32_e32 v4, s1
	v_add_co_u32_e32 v2, vcc, s0, v2
	v_addc_co_u32_e32 v3, vcc, v3, v4, vcc
	s_waitcnt lgkmcnt(0)
	global_store_dwordx2 v[2:3], v[0:1], off
.LBB113_73:
	s_endpgm
.LBB113_74:
	ds_read_u8 v0, v0
	s_waitcnt lgkmcnt(0)
	global_store_byte v[2:3], v0, off
	s_or_b64 exec, exec, s[4:5]
	s_and_saveexec_b64 s[4:5], s[6:7]
	s_cbranch_execz .LBB113_65
.LBB113_75:
	s_lshl_b32 s8, s30, 5
	v_add_co_u32_e32 v6, vcc, s8, v2
	v_addc_co_u32_e32 v7, vcc, 0, v3, vcc
	s_waitcnt lgkmcnt(2)
	global_store_byte v[6:7], v5, off
	s_or_b64 exec, exec, s[4:5]
	s_and_saveexec_b64 s[4:5], s[24:25]
	s_cbranch_execz .LBB113_66
.LBB113_76:
	s_lshl_b32 s8, s30, 6
	v_add_co_u32_e32 v6, vcc, s8, v2
	v_addc_co_u32_e32 v7, vcc, 0, v3, vcc
	s_waitcnt lgkmcnt(1)
	global_store_byte v[6:7], v4, off
	s_or_b64 exec, exec, s[4:5]
	s_and_saveexec_b64 s[4:5], s[2:3]
	s_cbranch_execnz .LBB113_67
	s_branch .LBB113_68
.LBB113_77:
	ds_read_b64 v[8:9], v30
	s_waitcnt lgkmcnt(0)
	global_store_dwordx2 v[2:3], v[8:9], off
	s_or_b64 exec, exec, s[4:5]
	s_and_saveexec_b64 s[0:1], s[6:7]
	s_cbranch_execz .LBB113_70
.LBB113_78:
	s_lshl_b32 s4, s26, 5
	s_mov_b32 s5, 0
	s_lshl_b64 s[4:5], s[4:5], 3
	v_mov_b32_e32 v9, s5
	v_add_co_u32_e32 v8, vcc, s4, v2
	v_addc_co_u32_e32 v9, vcc, v3, v9, vcc
	s_waitcnt lgkmcnt(2)
	global_store_dwordx2 v[8:9], v[6:7], off
	s_or_b64 exec, exec, s[0:1]
	s_and_saveexec_b64 s[0:1], s[24:25]
	s_cbranch_execz .LBB113_71
.LBB113_79:
	s_lshl_b32 s4, s26, 6
	s_mov_b32 s5, 0
	s_lshl_b64 s[4:5], s[4:5], 3
	s_waitcnt lgkmcnt(2)
	v_mov_b32_e32 v7, s5
	v_add_co_u32_e32 v6, vcc, s4, v2
	v_addc_co_u32_e32 v7, vcc, v3, v7, vcc
	s_waitcnt lgkmcnt(1)
	global_store_dwordx2 v[6:7], v[4:5], off
	s_or_b64 exec, exec, s[0:1]
	s_and_saveexec_b64 s[0:1], s[2:3]
	s_cbranch_execnz .LBB113_72
	s_branch .LBB113_73
	.section	.rodata,"a",@progbits
	.p2align	6, 0x0
	.amdhsa_kernel _ZN2at6native18radixSortKVInPlaceILin1ELin1ELi32ELi4EaljEEvNS_4cuda6detail10TensorInfoIT3_T5_EES6_S6_S6_NS4_IT4_S6_EES6_b
		.amdhsa_group_segment_fixed_size 1056
		.amdhsa_private_segment_fixed_size 0
		.amdhsa_kernarg_size 712
		.amdhsa_user_sgpr_count 6
		.amdhsa_user_sgpr_private_segment_buffer 1
		.amdhsa_user_sgpr_dispatch_ptr 0
		.amdhsa_user_sgpr_queue_ptr 0
		.amdhsa_user_sgpr_kernarg_segment_ptr 1
		.amdhsa_user_sgpr_dispatch_id 0
		.amdhsa_user_sgpr_flat_scratch_init 0
		.amdhsa_user_sgpr_kernarg_preload_length 0
		.amdhsa_user_sgpr_kernarg_preload_offset 0
		.amdhsa_user_sgpr_private_segment_size 0
		.amdhsa_uses_dynamic_stack 0
		.amdhsa_system_sgpr_private_segment_wavefront_offset 0
		.amdhsa_system_sgpr_workgroup_id_x 1
		.amdhsa_system_sgpr_workgroup_id_y 1
		.amdhsa_system_sgpr_workgroup_id_z 1
		.amdhsa_system_sgpr_workgroup_info 0
		.amdhsa_system_vgpr_workitem_id 0
		.amdhsa_next_free_vgpr 54
		.amdhsa_next_free_sgpr 44
		.amdhsa_accum_offset 56
		.amdhsa_reserve_vcc 1
		.amdhsa_reserve_flat_scratch 0
		.amdhsa_float_round_mode_32 0
		.amdhsa_float_round_mode_16_64 0
		.amdhsa_float_denorm_mode_32 3
		.amdhsa_float_denorm_mode_16_64 3
		.amdhsa_dx10_clamp 1
		.amdhsa_ieee_mode 1
		.amdhsa_fp16_overflow 0
		.amdhsa_tg_split 0
		.amdhsa_exception_fp_ieee_invalid_op 0
		.amdhsa_exception_fp_denorm_src 0
		.amdhsa_exception_fp_ieee_div_zero 0
		.amdhsa_exception_fp_ieee_overflow 0
		.amdhsa_exception_fp_ieee_underflow 0
		.amdhsa_exception_fp_ieee_inexact 0
		.amdhsa_exception_int_div_zero 0
	.end_amdhsa_kernel
	.section	.text._ZN2at6native18radixSortKVInPlaceILin1ELin1ELi32ELi4EaljEEvNS_4cuda6detail10TensorInfoIT3_T5_EES6_S6_S6_NS4_IT4_S6_EES6_b,"axG",@progbits,_ZN2at6native18radixSortKVInPlaceILin1ELin1ELi32ELi4EaljEEvNS_4cuda6detail10TensorInfoIT3_T5_EES6_S6_S6_NS4_IT4_S6_EES6_b,comdat
.Lfunc_end113:
	.size	_ZN2at6native18radixSortKVInPlaceILin1ELin1ELi32ELi4EaljEEvNS_4cuda6detail10TensorInfoIT3_T5_EES6_S6_S6_NS4_IT4_S6_EES6_b, .Lfunc_end113-_ZN2at6native18radixSortKVInPlaceILin1ELin1ELi32ELi4EaljEEvNS_4cuda6detail10TensorInfoIT3_T5_EES6_S6_S6_NS4_IT4_S6_EES6_b
                                        ; -- End function
	.section	.AMDGPU.csdata,"",@progbits
; Kernel info:
; codeLenInByte = 6188
; NumSgprs: 48
; NumVgprs: 54
; NumAgprs: 0
; TotalNumVgprs: 54
; ScratchSize: 0
; MemoryBound: 0
; FloatMode: 240
; IeeeMode: 1
; LDSByteSize: 1056 bytes/workgroup (compile time only)
; SGPRBlocks: 5
; VGPRBlocks: 6
; NumSGPRsForWavesPerEU: 48
; NumVGPRsForWavesPerEU: 54
; AccumOffset: 56
; Occupancy: 8
; WaveLimiterHint : 1
; COMPUTE_PGM_RSRC2:SCRATCH_EN: 0
; COMPUTE_PGM_RSRC2:USER_SGPR: 6
; COMPUTE_PGM_RSRC2:TRAP_HANDLER: 0
; COMPUTE_PGM_RSRC2:TGID_X_EN: 1
; COMPUTE_PGM_RSRC2:TGID_Y_EN: 1
; COMPUTE_PGM_RSRC2:TGID_Z_EN: 1
; COMPUTE_PGM_RSRC2:TIDIG_COMP_CNT: 0
; COMPUTE_PGM_RSRC3_GFX90A:ACCUM_OFFSET: 13
; COMPUTE_PGM_RSRC3_GFX90A:TG_SPLIT: 0
	.section	.text._ZN2at6native18radixSortKVInPlaceILin1ELin1ELi16ELi2EaljEEvNS_4cuda6detail10TensorInfoIT3_T5_EES6_S6_S6_NS4_IT4_S6_EES6_b,"axG",@progbits,_ZN2at6native18radixSortKVInPlaceILin1ELin1ELi16ELi2EaljEEvNS_4cuda6detail10TensorInfoIT3_T5_EES6_S6_S6_NS4_IT4_S6_EES6_b,comdat
	.protected	_ZN2at6native18radixSortKVInPlaceILin1ELin1ELi16ELi2EaljEEvNS_4cuda6detail10TensorInfoIT3_T5_EES6_S6_S6_NS4_IT4_S6_EES6_b ; -- Begin function _ZN2at6native18radixSortKVInPlaceILin1ELin1ELi16ELi2EaljEEvNS_4cuda6detail10TensorInfoIT3_T5_EES6_S6_S6_NS4_IT4_S6_EES6_b
	.globl	_ZN2at6native18radixSortKVInPlaceILin1ELin1ELi16ELi2EaljEEvNS_4cuda6detail10TensorInfoIT3_T5_EES6_S6_S6_NS4_IT4_S6_EES6_b
	.p2align	8
	.type	_ZN2at6native18radixSortKVInPlaceILin1ELin1ELi16ELi2EaljEEvNS_4cuda6detail10TensorInfoIT3_T5_EES6_S6_S6_NS4_IT4_S6_EES6_b,@function
_ZN2at6native18radixSortKVInPlaceILin1ELin1ELi16ELi2EaljEEvNS_4cuda6detail10TensorInfoIT3_T5_EES6_S6_S6_NS4_IT4_S6_EES6_b: ; @_ZN2at6native18radixSortKVInPlaceILin1ELin1ELi16ELi2EaljEEvNS_4cuda6detail10TensorInfoIT3_T5_EES6_S6_S6_NS4_IT4_S6_EES6_b
; %bb.0:
	s_load_dwordx2 s[0:1], s[4:5], 0x1c8
	s_load_dwordx4 s[16:19], s[4:5], 0xd8
	s_waitcnt lgkmcnt(0)
	s_mul_i32 s1, s1, s8
	s_add_i32 s1, s1, s7
	s_mul_i32 s0, s1, s0
	s_add_i32 s12, s0, s6
	s_cmp_ge_u32 s12, s16
	s_cbranch_scc1 .LBB114_63
; %bb.1:
	s_load_dword s2, s[4:5], 0xd0
	s_mov_b32 s1, 0
	s_mov_b32 s0, s12
	s_waitcnt lgkmcnt(0)
	s_cmp_lt_i32 s2, 2
	s_cbranch_scc1 .LBB114_4
; %bb.2:
	s_add_i32 s0, s2, -1
	s_add_i32 s6, s2, 1
	s_lshl_b64 s[2:3], s[0:1], 2
	s_add_u32 s0, s2, s4
	s_addc_u32 s3, s3, s5
	s_add_u32 s2, s0, 8
	s_addc_u32 s3, s3, 0
	s_mov_b32 s0, s12
.LBB114_3:                              ; =>This Inner Loop Header: Depth=1
	s_load_dword s7, s[2:3], 0x0
	s_load_dword s9, s[2:3], 0x64
	s_mov_b32 s8, s0
	s_waitcnt lgkmcnt(0)
	v_cvt_f32_u32_e32 v1, s7
	s_sub_i32 s0, 0, s7
	v_rcp_iflag_f32_e32 v1, v1
	v_mul_f32_e32 v1, 0x4f7ffffe, v1
	v_cvt_u32_f32_e32 v1, v1
	v_readfirstlane_b32 s10, v1
	s_mul_i32 s0, s0, s10
	s_mul_hi_u32 s0, s10, s0
	s_add_i32 s10, s10, s0
	s_mul_hi_u32 s0, s8, s10
	s_mul_i32 s10, s0, s7
	s_sub_i32 s10, s8, s10
	s_add_i32 s11, s0, 1
	s_sub_i32 s13, s10, s7
	s_cmp_ge_u32 s10, s7
	s_cselect_b32 s0, s11, s0
	s_cselect_b32 s10, s13, s10
	s_add_i32 s11, s0, 1
	s_cmp_ge_u32 s10, s7
	s_cselect_b32 s0, s11, s0
	s_mul_i32 s7, s0, s7
	s_sub_i32 s7, s8, s7
	s_mul_i32 s7, s9, s7
	s_add_i32 s6, s6, -1
	s_add_i32 s1, s7, s1
	s_add_u32 s2, s2, -4
	s_addc_u32 s3, s3, -1
	s_cmp_gt_u32 s6, 2
	s_cbranch_scc1 .LBB114_3
.LBB114_4:
	s_load_dword s2, s[4:5], 0x1b8
	s_mov_b32 s7, 0
	s_waitcnt lgkmcnt(0)
	s_cmp_lt_i32 s2, 2
	s_cbranch_scc1 .LBB114_7
; %bb.5:
	s_add_i32 s6, s2, -1
	s_add_i32 s8, s2, 1
	s_lshl_b64 s[2:3], s[6:7], 2
	s_add_u32 s2, s2, s4
	s_addc_u32 s3, s3, s5
	s_add_u32 s2, s2, 0xf0
	s_addc_u32 s3, s3, 0
.LBB114_6:                              ; =>This Inner Loop Header: Depth=1
	s_load_dword s6, s[2:3], 0x0
	s_load_dword s10, s[2:3], 0x64
	s_mov_b32 s9, s12
	s_waitcnt lgkmcnt(0)
	v_cvt_f32_u32_e32 v1, s6
	s_sub_i32 s11, 0, s6
	v_rcp_iflag_f32_e32 v1, v1
	v_mul_f32_e32 v1, 0x4f7ffffe, v1
	v_cvt_u32_f32_e32 v1, v1
	v_readfirstlane_b32 s12, v1
	s_mul_i32 s11, s11, s12
	s_mul_hi_u32 s11, s12, s11
	s_add_i32 s12, s12, s11
	s_mul_hi_u32 s11, s9, s12
	s_mul_i32 s12, s11, s6
	s_sub_i32 s12, s9, s12
	s_add_i32 s13, s11, 1
	s_sub_i32 s14, s12, s6
	s_cmp_ge_u32 s12, s6
	s_cselect_b32 s11, s13, s11
	s_cselect_b32 s12, s14, s12
	s_add_i32 s13, s11, 1
	s_cmp_ge_u32 s12, s6
	s_cselect_b32 s12, s13, s11
	s_mul_i32 s6, s12, s6
	s_sub_i32 s6, s9, s6
	s_mul_i32 s6, s10, s6
	s_add_i32 s8, s8, -1
	s_add_i32 s7, s6, s7
	s_add_u32 s2, s2, -4
	s_addc_u32 s3, s3, -1
	s_cmp_gt_u32 s8, 2
	s_cbranch_scc1 .LBB114_6
.LBB114_7:
	s_load_dword s2, s[4:5], 0x6c
	s_load_dwordx2 s[20:21], s[4:5], 0x1c0
	s_movk_i32 s13, 0x80
	v_mul_lo_u32 v20, v0, s18
	s_waitcnt lgkmcnt(0)
	s_mul_i32 s0, s2, s0
	s_add_i32 s6, s0, s1
	s_bitcmp1_b32 s21, 0
	s_load_dwordx2 s[2:3], s[4:5], 0x0
	s_load_dwordx2 s[10:11], s[4:5], 0xe8
	s_cselect_b64 s[8:9], -1, 0
	s_and_b64 s[0:1], s[8:9], exec
	s_cselect_b32 s0, s13, 0x7f
	v_lshlrev_b16_e64 v1, 8, s0
	s_waitcnt lgkmcnt(0)
	s_add_u32 s22, s2, s6
	v_or_b32_e32 v1, s0, v1
	s_addc_u32 s23, s3, 0
	v_mov_b32_e32 v2, s0
	v_and_b32_e32 v3, 0xffff, v1
	v_cmp_gt_u32_e64 s[0:1], s17, v0
	s_and_saveexec_b64 s[2:3], s[0:1]
	s_cbranch_execz .LBB114_9
; %bb.8:
	global_load_ubyte v2, v20, s[22:23]
	v_and_b32_e32 v1, 0xffffff00, v3
	s_waitcnt vmcnt(0)
	v_or_b32_e32 v1, v2, v1
	v_and_b32_e32 v3, 0xffff, v1
.LBB114_9:
	s_or_b64 exec, exec, s[2:3]
	s_load_dword s6, s[4:5], 0x154
	v_or_b32_e32 v1, 16, v0
	v_cmp_gt_u32_e64 s[2:3], s17, v1
	s_and_saveexec_b64 s[4:5], s[2:3]
	s_cbranch_execz .LBB114_11
; %bb.10:
	v_mul_lo_u32 v4, v1, s18
	global_load_ubyte v4, v4, s[22:23]
	s_waitcnt vmcnt(0)
	v_lshlrev_b16_e32 v4, 8, v4
	v_or_b32_sdwa v3, v3, v4 dst_sel:DWORD dst_unused:UNUSED_PAD src0_sel:BYTE_0 src1_sel:DWORD
	v_and_b32_e32 v3, 0xffff, v3
.LBB114_11:
	s_or_b64 exec, exec, s[4:5]
	s_waitcnt lgkmcnt(0)
	s_mul_i32 s4, s6, s12
	ds_write_b8 v0, v2
	v_lshrrev_b16_e32 v2, 8, v3
	v_lshlrev_b32_e32 v21, 1, v0
	s_add_i32 s4, s4, s7
	s_mov_b32 s5, 0
	ds_write_b8 v0, v2 offset:16
	s_waitcnt lgkmcnt(0)
	; wave barrier
	s_waitcnt lgkmcnt(0)
	ds_read_u8 v26, v21
	ds_read_u8 v25, v21 offset:1
	s_lshl_b64 s[6:7], s[4:5], 3
	s_add_u32 s19, s10, s6
	s_mov_b32 s4, s5
	s_addc_u32 s21, s11, s7
	s_mov_b32 s6, s5
	s_mov_b32 s7, s5
	v_pk_mov_b32 v[2:3], s[4:5], s[4:5] op_sel:[0,1]
	v_pk_mov_b32 v[4:5], s[6:7], s[6:7] op_sel:[0,1]
	v_pk_mov_b32 v[2:3], 0, 0
	v_mul_lo_u32 v10, v0, s20
	s_waitcnt lgkmcnt(0)
	; wave barrier
	s_waitcnt lgkmcnt(0)
	s_and_saveexec_b64 s[4:5], s[0:1]
	s_cbranch_execz .LBB114_13
; %bb.12:
	v_mov_b32_e32 v11, 0
	v_lshlrev_b64 v[2:3], 3, v[10:11]
	v_mov_b32_e32 v4, s21
	v_add_co_u32_e32 v2, vcc, s19, v2
	v_addc_co_u32_e32 v3, vcc, v4, v3, vcc
	global_load_dwordx2 v[2:3], v[2:3], off
	v_mov_b32_e32 v4, v11
	v_mov_b32_e32 v5, v11
.LBB114_13:
	s_or_b64 exec, exec, s[4:5]
	s_xor_b64 s[24:25], s[8:9], -1
	s_and_saveexec_b64 s[4:5], s[2:3]
	s_cbranch_execz .LBB114_15
; %bb.14:
	v_mul_lo_u32 v4, v1, s20
	v_mov_b32_e32 v5, 0
	v_lshlrev_b64 v[4:5], 3, v[4:5]
	v_mov_b32_e32 v6, s21
	v_add_co_u32_e32 v4, vcc, s19, v4
	v_addc_co_u32_e32 v5, vcc, v6, v5, vcc
	global_load_dwordx2 v[4:5], v[4:5], off
.LBB114_15:
	s_or_b64 exec, exec, s[4:5]
	s_getpc_b64 s[4:5]
	s_add_u32 s4, s4, _ZN7rocprim17ROCPRIM_400000_NS16block_radix_sortIaLj16ELj2ElLj1ELj1ELj0ELNS0_26block_radix_rank_algorithmE1ELNS0_18block_padding_hintE2ELNS0_4arch9wavefront6targetE1EE19radix_bits_per_passE@rel32@lo+4
	s_addc_u32 s5, s5, _ZN7rocprim17ROCPRIM_400000_NS16block_radix_sortIaLj16ELj2ElLj1ELj1ELj0ELNS0_26block_radix_rank_algorithmE1ELNS0_18block_padding_hintE2ELNS0_4arch9wavefront6targetE1EE19radix_bits_per_passE@rel32@hi+12
	v_mbcnt_lo_u32_b32 v6, -1, 0
	v_lshlrev_b32_e32 v22, 3, v0
	v_lshlrev_b32_e32 v11, 3, v21
	s_load_dword s33, s[4:5], 0x0
	v_mbcnt_hi_u32_b32 v6, -1, v6
	s_waitcnt vmcnt(0)
	ds_write2_b64 v22, v[2:3], v[4:5] offset1:16
	s_waitcnt lgkmcnt(0)
	; wave barrier
	s_waitcnt lgkmcnt(0)
	ds_read2_b64 v[2:5], v11 offset1:1
	v_and_b32_e32 v7, 15, v6
	v_cmp_eq_u32_e64 s[14:15], 0, v7
	v_cmp_lt_u32_e64 s[12:13], 1, v7
	v_cmp_lt_u32_e64 s[10:11], 3, v7
	;; [unrolled: 1-line block ×3, first 2 shown]
	v_add_u32_e32 v7, -1, v6
	v_and_b32_e32 v8, 0x70, v6
	v_cmp_lt_i32_e32 vcc, v7, v8
	s_movk_i32 s4, 0x80
	v_cndmask_b32_e32 v7, v7, v6, vcc
	v_cmp_gt_u32_e64 s[16:17], s4, v0
	v_lshlrev_b32_e32 v23, 5, v0
	v_cmp_eq_u32_e64 s[6:7], 15, v0
	v_lshlrev_b32_e32 v24, 2, v7
	v_cmp_eq_u32_e64 s[4:5], 0, v6
	s_min_u32 s34, s33, 8
	s_and_b64 vcc, exec, s[24:25]
	s_waitcnt lgkmcnt(0)
	; wave barrier
	s_waitcnt lgkmcnt(0)
	s_cbranch_vccz .LBB114_23
; %bb.16:
	s_and_saveexec_b64 s[24:25], s[16:17]
	s_cbranch_execz .LBB114_24
; %bb.17:
	s_mov_b32 s35, 0
	s_mov_b64 s[26:27], 0
	v_mov_b32_e32 v8, 0
	v_pk_mov_b32 v[6:7], v[0:1], v[0:1] op_sel:[0,1]
	s_branch .LBB114_19
.LBB114_18:                             ;   in Loop: Header=BB114_19 Depth=1
	s_or_b64 exec, exec, s[30:31]
	s_add_i32 s35, s35, 2
	v_cmp_eq_u32_e64 s[28:29], 8, s35
	v_add_u32_e32 v7, 32, v7
	s_or_b64 s[26:27], s[28:29], s[26:27]
	v_add_u32_e32 v6, 32, v6
	s_andn2_b64 exec, exec, s[26:27]
	s_cbranch_execz .LBB114_24
.LBB114_19:                             ; =>This Inner Loop Header: Depth=1
	s_or_b32 s28, s35, 1
	v_cmp_le_u32_e64 s[28:29], s28, 7
	v_cmp_le_u32_e64 s[36:37], s35, 7
	s_and_saveexec_b64 s[30:31], s[36:37]
	s_cbranch_execz .LBB114_21
; %bb.20:                               ;   in Loop: Header=BB114_19 Depth=1
	v_lshlrev_b32_e32 v9, 2, v6
	ds_write_b32 v9, v8
.LBB114_21:                             ;   in Loop: Header=BB114_19 Depth=1
	s_or_b64 exec, exec, s[30:31]
	s_and_saveexec_b64 s[30:31], s[28:29]
	s_cbranch_execz .LBB114_18
; %bb.22:                               ;   in Loop: Header=BB114_19 Depth=1
	v_lshlrev_b32_e32 v9, 2, v7
	ds_write_b32 v9, v8
	s_branch .LBB114_18
.LBB114_23:
                                        ; implicit-def: $vgpr8_vgpr9
                                        ; implicit-def: $vgpr12
	s_cbranch_execnz .LBB114_36
	s_branch .LBB114_55
.LBB114_24:
	s_or_b64 exec, exec, s[24:25]
	s_lshl_b32 s24, -1, s34
	v_xor_b32_e32 v17, 0xffffff80, v26
	s_not_b32 s24, s24
	v_and_b32_e32 v6, s24, v17
	v_bfe_u32 v7, v6, 3, 5
	v_lshlrev_b32_e32 v6, 4, v6
	s_movk_i32 s25, 0x70
	v_and_or_b32 v6, v6, s25, v0
	v_lshlrev_b32_e32 v6, 1, v6
	v_add_lshl_u32 v27, v6, v7, 1
	ds_read_u16 v19, v27
	v_xor_b32_e32 v18, 0xffffff80, v25
	s_waitcnt lgkmcnt(0)
	v_add_u16_e32 v6, 1, v19
	ds_write_b16 v27, v6
	v_and_b32_e32 v6, s24, v18
	v_bfe_u32 v7, v6, 3, 5
	v_lshlrev_b32_e32 v6, 4, v6
	v_and_or_b32 v6, v6, s25, v0
	v_lshlrev_b32_e32 v6, 1, v6
	v_add_lshl_u32 v29, v6, v7, 1
	ds_read_u16 v28, v29
	s_waitcnt lgkmcnt(0)
	v_add_u16_e32 v6, 1, v28
	ds_write_b16 v29, v6
	s_waitcnt lgkmcnt(0)
	; wave barrier
	s_waitcnt lgkmcnt(0)
	ds_read2_b32 v[14:15], v23 offset1:1
	ds_read2_b32 v[12:13], v23 offset0:2 offset1:3
	ds_read2_b32 v[6:7], v23 offset0:4 offset1:5
	;; [unrolled: 1-line block ×3, first 2 shown]
	s_waitcnt lgkmcnt(3)
	v_add_u32_e32 v16, v15, v14
	s_waitcnt lgkmcnt(2)
	v_add3_u32 v16, v16, v12, v13
	s_waitcnt lgkmcnt(1)
	v_add3_u32 v16, v16, v6, v7
	;; [unrolled: 2-line block ×3, first 2 shown]
	s_nop 1
	v_mov_b32_dpp v16, v9 row_shr:1 row_mask:0xf bank_mask:0xf
	v_cndmask_b32_e64 v16, v16, 0, s[14:15]
	v_add_u32_e32 v9, v16, v9
	s_nop 1
	v_mov_b32_dpp v16, v9 row_shr:2 row_mask:0xf bank_mask:0xf
	v_cndmask_b32_e64 v16, 0, v16, s[12:13]
	v_add_u32_e32 v9, v9, v16
	s_nop 1
	v_mov_b32_dpp v16, v9 row_shr:4 row_mask:0xf bank_mask:0xf
	v_cndmask_b32_e64 v16, 0, v16, s[10:11]
	v_add_u32_e32 v9, v9, v16
	s_nop 1
	v_mov_b32_dpp v16, v9 row_shr:8 row_mask:0xf bank_mask:0xf
	v_cndmask_b32_e64 v16, 0, v16, s[8:9]
	v_add_u32_e32 v9, v9, v16
	s_and_saveexec_b64 s[24:25], s[6:7]
	s_cbranch_execz .LBB114_26
; %bb.25:
	v_mov_b32_e32 v16, 0
	ds_write_b32 v16, v9 offset:512
.LBB114_26:
	s_or_b64 exec, exec, s[24:25]
	ds_bpermute_b32 v9, v24, v9
	v_mov_b32_e32 v16, 0
	s_waitcnt lgkmcnt(0)
	; wave barrier
	s_waitcnt lgkmcnt(0)
	ds_read_b32 v30, v16 offset:512
	v_cndmask_b32_e64 v9, v9, 0, s[4:5]
	s_mov_b32 s35, 0
	s_waitcnt lgkmcnt(0)
	v_lshl_add_u32 v9, v30, 16, v9
	v_add_u32_e32 v14, v9, v14
	v_add_u32_e32 v15, v14, v15
	;; [unrolled: 1-line block ×7, first 2 shown]
	ds_write2_b32 v23, v9, v14 offset1:1
	ds_write2_b32 v23, v15, v12 offset0:2 offset1:3
	ds_write2_b32 v23, v13, v6 offset0:4 offset1:5
	;; [unrolled: 1-line block ×3, first 2 shown]
	s_waitcnt lgkmcnt(0)
	; wave barrier
	s_waitcnt lgkmcnt(0)
	ds_read_u16 v6, v27
	ds_read_u16 v7, v29
	s_waitcnt lgkmcnt(0)
	; wave barrier
	s_waitcnt lgkmcnt(0)
	v_add_u32_sdwa v6, v6, v19 dst_sel:DWORD dst_unused:UNUSED_PAD src0_sel:DWORD src1_sel:WORD_0
	v_add_u32_sdwa v7, v7, v28 dst_sel:DWORD dst_unused:UNUSED_PAD src0_sel:DWORD src1_sel:WORD_0
	ds_write_b8 v6, v17
	ds_write_b8 v7, v18
	v_lshlrev_b32_e32 v6, 3, v6
	s_waitcnt lgkmcnt(0)
	; wave barrier
	s_waitcnt lgkmcnt(0)
	ds_read_u8 v27, v21
	ds_read_u8 v28, v21 offset:1
	s_waitcnt lgkmcnt(0)
	; wave barrier
	s_waitcnt lgkmcnt(0)
	ds_write_b64 v6, v[2:3]
	v_lshlrev_b32_e32 v6, 3, v7
	ds_write_b64 v6, v[4:5]
	s_waitcnt lgkmcnt(0)
	; wave barrier
	s_waitcnt lgkmcnt(0)
	ds_read2_b64 v[6:9], v11 offset1:1
	s_waitcnt lgkmcnt(0)
	; wave barrier
	s_waitcnt lgkmcnt(0)
	s_and_saveexec_b64 s[24:25], s[16:17]
	s_cbranch_execz .LBB114_33
; %bb.27:
	s_mov_b64 s[26:27], 0
	v_pk_mov_b32 v[12:13], v[0:1], v[0:1] op_sel:[0,1]
	s_branch .LBB114_29
.LBB114_28:                             ;   in Loop: Header=BB114_29 Depth=1
	s_or_b64 exec, exec, s[30:31]
	s_add_i32 s35, s35, 2
	v_cmp_eq_u32_e64 s[28:29], 8, s35
	v_add_u32_e32 v13, 32, v13
	s_or_b64 s[26:27], s[28:29], s[26:27]
	v_add_u32_e32 v12, 32, v12
	s_andn2_b64 exec, exec, s[26:27]
	s_cbranch_execz .LBB114_33
.LBB114_29:                             ; =>This Inner Loop Header: Depth=1
	s_or_b32 s28, s35, 1
	v_cmp_le_u32_e64 s[28:29], s28, 7
	v_cmp_le_u32_e64 s[36:37], s35, 7
	s_and_saveexec_b64 s[30:31], s[36:37]
	s_cbranch_execz .LBB114_31
; %bb.30:                               ;   in Loop: Header=BB114_29 Depth=1
	v_lshlrev_b32_e32 v14, 2, v12
	ds_write_b32 v14, v16
.LBB114_31:                             ;   in Loop: Header=BB114_29 Depth=1
	s_or_b64 exec, exec, s[30:31]
	s_and_saveexec_b64 s[30:31], s[28:29]
	s_cbranch_execz .LBB114_28
; %bb.32:                               ;   in Loop: Header=BB114_29 Depth=1
	v_lshlrev_b32_e32 v14, 2, v13
	ds_write_b32 v14, v16
	s_branch .LBB114_28
.LBB114_33:
	s_or_b64 exec, exec, s[24:25]
	s_min_u32 s24, s33, 4
	s_lshl_b32 s24, -1, s24
	v_lshrrev_b16_e32 v12, 4, v27
	s_not_b32 s24, s24
	v_and_b32_e32 v12, 15, v12
	v_and_b32_sdwa v12, v12, s24 dst_sel:DWORD dst_unused:UNUSED_PAD src0_sel:WORD_0 src1_sel:DWORD
	v_lshlrev_b32_e32 v13, 4, v12
	s_movk_i32 s25, 0x70
	v_lshrrev_b32_e32 v12, 2, v12
	v_and_or_b32 v13, v13, s25, v0
	v_and_b32_e32 v12, 2, v12
	v_lshl_or_b32 v30, v13, 2, v12
	ds_read_u16 v29, v30
	s_waitcnt lgkmcnt(0)
	v_add_u16_e32 v12, 1, v29
	ds_write_b16 v30, v12
	v_lshrrev_b16_e32 v12, 4, v28
	v_and_b32_e32 v12, 15, v12
	v_and_b32_sdwa v12, v12, s24 dst_sel:DWORD dst_unused:UNUSED_PAD src0_sel:WORD_0 src1_sel:DWORD
	v_lshlrev_b32_e32 v13, 4, v12
	v_lshrrev_b32_e32 v12, 2, v12
	v_and_or_b32 v13, v13, s25, v0
	v_and_b32_e32 v12, 2, v12
	v_lshl_or_b32 v32, v13, 2, v12
	ds_read_u16 v31, v32
	s_waitcnt lgkmcnt(0)
	v_add_u16_e32 v12, 1, v31
	ds_write_b16 v32, v12
	s_waitcnt lgkmcnt(0)
	; wave barrier
	s_waitcnt lgkmcnt(0)
	ds_read2_b32 v[18:19], v23 offset1:1
	ds_read2_b32 v[16:17], v23 offset0:2 offset1:3
	ds_read2_b32 v[12:13], v23 offset0:4 offset1:5
	;; [unrolled: 1-line block ×3, first 2 shown]
	s_waitcnt lgkmcnt(3)
	v_add_u32_e32 v33, v19, v18
	s_waitcnt lgkmcnt(2)
	v_add3_u32 v33, v33, v16, v17
	s_waitcnt lgkmcnt(1)
	v_add3_u32 v33, v33, v12, v13
	;; [unrolled: 2-line block ×3, first 2 shown]
	s_nop 1
	v_mov_b32_dpp v33, v15 row_shr:1 row_mask:0xf bank_mask:0xf
	v_cndmask_b32_e64 v33, v33, 0, s[14:15]
	v_add_u32_e32 v15, v33, v15
	s_nop 1
	v_mov_b32_dpp v33, v15 row_shr:2 row_mask:0xf bank_mask:0xf
	v_cndmask_b32_e64 v33, 0, v33, s[12:13]
	v_add_u32_e32 v15, v15, v33
	;; [unrolled: 4-line block ×4, first 2 shown]
	s_and_saveexec_b64 s[24:25], s[6:7]
	s_cbranch_execz .LBB114_35
; %bb.34:
	v_mov_b32_e32 v33, 0
	ds_write_b32 v33, v15 offset:512
.LBB114_35:
	s_or_b64 exec, exec, s[24:25]
	ds_bpermute_b32 v15, v24, v15
	v_mov_b32_e32 v33, 0
	s_waitcnt lgkmcnt(0)
	; wave barrier
	s_waitcnt lgkmcnt(0)
	ds_read_b32 v33, v33 offset:512
	v_cndmask_b32_e64 v15, v15, 0, s[4:5]
	s_movk_i32 s24, 0x80
	s_waitcnt lgkmcnt(0)
	v_lshl_add_u32 v15, v33, 16, v15
	v_add_u32_e32 v18, v15, v18
	v_add_u32_e32 v19, v18, v19
	;; [unrolled: 1-line block ×7, first 2 shown]
	ds_write2_b32 v23, v15, v18 offset1:1
	ds_write2_b32 v23, v19, v16 offset0:2 offset1:3
	ds_write2_b32 v23, v17, v12 offset0:4 offset1:5
	;; [unrolled: 1-line block ×3, first 2 shown]
	s_waitcnt lgkmcnt(0)
	; wave barrier
	s_waitcnt lgkmcnt(0)
	ds_read_u16 v12, v32
	ds_read_u16 v13, v30
	s_waitcnt lgkmcnt(0)
	; wave barrier
	s_waitcnt lgkmcnt(0)
	v_add_u32_sdwa v12, v12, v31 dst_sel:DWORD dst_unused:UNUSED_PAD src0_sel:DWORD src1_sel:WORD_0
	v_add_u32_sdwa v13, v13, v29 dst_sel:DWORD dst_unused:UNUSED_PAD src0_sel:DWORD src1_sel:WORD_0
	ds_write_b8 v13, v27
	ds_write_b8 v12, v28
	s_waitcnt lgkmcnt(0)
	; wave barrier
	s_waitcnt lgkmcnt(0)
	ds_read_u8 v14, v21
	ds_read_u8 v15, v21 offset:1
	v_lshlrev_b32_e32 v13, 3, v13
	s_waitcnt lgkmcnt(0)
	; wave barrier
	s_waitcnt lgkmcnt(0)
	ds_write_b64 v13, v[6:7]
	v_lshlrev_b32_e32 v6, 3, v12
	ds_write_b64 v6, v[8:9]
	s_waitcnt lgkmcnt(0)
	; wave barrier
	s_waitcnt lgkmcnt(0)
	ds_read2_b64 v[6:9], v11 offset1:1
	v_xor_b32_e32 v12, 0x80, v14
	v_xor_b32_sdwa v13, v15, s24 dst_sel:BYTE_1 dst_unused:UNUSED_PAD src0_sel:DWORD src1_sel:DWORD
	v_or_b32_e32 v12, v12, v13
	v_and_b32_e32 v12, 0xffff, v12
	s_branch .LBB114_55
.LBB114_36:
	s_and_saveexec_b64 s[24:25], s[16:17]
	s_cbranch_execz .LBB114_43
; %bb.37:
	s_mov_b32 s35, 0
	s_mov_b64 s[26:27], 0
	s_waitcnt lgkmcnt(0)
	v_mov_b32_e32 v8, 0
	v_pk_mov_b32 v[6:7], v[0:1], v[0:1] op_sel:[0,1]
	s_branch .LBB114_39
.LBB114_38:                             ;   in Loop: Header=BB114_39 Depth=1
	s_or_b64 exec, exec, s[30:31]
	s_add_i32 s35, s35, 2
	v_cmp_eq_u32_e64 s[28:29], 8, s35
	v_add_u32_e32 v7, 32, v7
	s_or_b64 s[26:27], s[28:29], s[26:27]
	v_add_u32_e32 v6, 32, v6
	s_andn2_b64 exec, exec, s[26:27]
	s_cbranch_execz .LBB114_43
.LBB114_39:                             ; =>This Inner Loop Header: Depth=1
	s_or_b32 s28, s35, 1
	v_cmp_le_u32_e64 s[28:29], s28, 7
	v_cmp_le_u32_e64 s[36:37], s35, 7
	s_and_saveexec_b64 s[30:31], s[36:37]
	s_cbranch_execz .LBB114_41
; %bb.40:                               ;   in Loop: Header=BB114_39 Depth=1
	v_lshlrev_b32_e32 v9, 2, v6
	ds_write_b32 v9, v8
.LBB114_41:                             ;   in Loop: Header=BB114_39 Depth=1
	s_or_b64 exec, exec, s[30:31]
	s_and_saveexec_b64 s[30:31], s[28:29]
	s_cbranch_execz .LBB114_38
; %bb.42:                               ;   in Loop: Header=BB114_39 Depth=1
	v_lshlrev_b32_e32 v9, 2, v7
	ds_write_b32 v9, v8
	s_branch .LBB114_38
.LBB114_43:
	s_or_b64 exec, exec, s[24:25]
	s_lshl_b32 s24, -1, s34
	v_xor_b32_e32 v16, 0x7f, v26
	s_not_b32 s24, s24
	s_waitcnt lgkmcnt(0)
	v_and_b32_e32 v6, s24, v16
	v_bfe_u32 v7, v6, 3, 5
	v_lshlrev_b32_e32 v6, 4, v6
	s_movk_i32 s25, 0x70
	v_and_or_b32 v6, v6, s25, v0
	v_lshlrev_b32_e32 v6, 1, v6
	v_add_lshl_u32 v19, v6, v7, 1
	ds_read_u16 v18, v19
	v_xor_b32_e32 v17, 0x7f, v25
	s_waitcnt lgkmcnt(0)
	v_add_u16_e32 v6, 1, v18
	ds_write_b16 v19, v6
	v_and_b32_e32 v6, s24, v17
	v_bfe_u32 v7, v6, 3, 5
	v_lshlrev_b32_e32 v6, 4, v6
	v_and_or_b32 v6, v6, s25, v0
	v_lshlrev_b32_e32 v6, 1, v6
	v_add_lshl_u32 v26, v6, v7, 1
	ds_read_u16 v25, v26
	s_waitcnt lgkmcnt(0)
	v_add_u16_e32 v6, 1, v25
	ds_write_b16 v26, v6
	s_waitcnt lgkmcnt(0)
	; wave barrier
	s_waitcnt lgkmcnt(0)
	ds_read2_b32 v[14:15], v23 offset1:1
	ds_read2_b32 v[12:13], v23 offset0:2 offset1:3
	ds_read2_b32 v[6:7], v23 offset0:4 offset1:5
	;; [unrolled: 1-line block ×3, first 2 shown]
	s_waitcnt lgkmcnt(3)
	v_add_u32_e32 v27, v15, v14
	s_waitcnt lgkmcnt(2)
	v_add3_u32 v27, v27, v12, v13
	s_waitcnt lgkmcnt(1)
	v_add3_u32 v27, v27, v6, v7
	;; [unrolled: 2-line block ×3, first 2 shown]
	s_nop 1
	v_mov_b32_dpp v27, v9 row_shr:1 row_mask:0xf bank_mask:0xf
	v_cndmask_b32_e64 v27, v27, 0, s[14:15]
	v_add_u32_e32 v9, v27, v9
	s_nop 1
	v_mov_b32_dpp v27, v9 row_shr:2 row_mask:0xf bank_mask:0xf
	v_cndmask_b32_e64 v27, 0, v27, s[12:13]
	v_add_u32_e32 v9, v9, v27
	;; [unrolled: 4-line block ×4, first 2 shown]
	s_and_saveexec_b64 s[24:25], s[6:7]
	s_cbranch_execz .LBB114_45
; %bb.44:
	v_mov_b32_e32 v27, 0
	ds_write_b32 v27, v9 offset:512
.LBB114_45:
	s_or_b64 exec, exec, s[24:25]
	ds_bpermute_b32 v27, v24, v9
	v_mov_b32_e32 v9, 0
	s_waitcnt lgkmcnt(0)
	; wave barrier
	s_waitcnt lgkmcnt(0)
	ds_read_b32 v28, v9 offset:512
	v_cndmask_b32_e64 v27, v27, 0, s[4:5]
	s_mov_b32 s30, 0
	s_waitcnt lgkmcnt(0)
	v_lshl_add_u32 v27, v28, 16, v27
	v_add_u32_e32 v14, v27, v14
	v_add_u32_e32 v15, v14, v15
	;; [unrolled: 1-line block ×7, first 2 shown]
	ds_write2_b32 v23, v27, v14 offset1:1
	ds_write2_b32 v23, v15, v12 offset0:2 offset1:3
	ds_write2_b32 v23, v13, v6 offset0:4 offset1:5
	;; [unrolled: 1-line block ×3, first 2 shown]
	s_waitcnt lgkmcnt(0)
	; wave barrier
	s_waitcnt lgkmcnt(0)
	ds_read_u16 v6, v19
	ds_read_u16 v7, v26
	s_waitcnt lgkmcnt(0)
	; wave barrier
	s_waitcnt lgkmcnt(0)
	v_add_u32_sdwa v6, v6, v18 dst_sel:DWORD dst_unused:UNUSED_PAD src0_sel:DWORD src1_sel:WORD_0
	v_add_u32_sdwa v7, v7, v25 dst_sel:DWORD dst_unused:UNUSED_PAD src0_sel:DWORD src1_sel:WORD_0
	ds_write_b8 v6, v16
	ds_write_b8 v7, v17
	v_lshlrev_b32_e32 v6, 3, v6
	s_waitcnt lgkmcnt(0)
	; wave barrier
	s_waitcnt lgkmcnt(0)
	ds_read_u8 v16, v21
	ds_read_u8 v17, v21 offset:1
	s_waitcnt lgkmcnt(0)
	; wave barrier
	s_waitcnt lgkmcnt(0)
	ds_write_b64 v6, v[2:3]
	v_lshlrev_b32_e32 v2, 3, v7
	ds_write_b64 v2, v[4:5]
	s_waitcnt lgkmcnt(0)
	; wave barrier
	s_waitcnt lgkmcnt(0)
	ds_read2_b64 v[2:5], v11 offset1:1
	s_waitcnt lgkmcnt(0)
	; wave barrier
	s_waitcnt lgkmcnt(0)
	s_and_saveexec_b64 s[24:25], s[16:17]
	s_cbranch_execz .LBB114_52
; %bb.46:
	s_mov_b64 s[16:17], 0
	v_pk_mov_b32 v[6:7], v[0:1], v[0:1] op_sel:[0,1]
	s_branch .LBB114_48
.LBB114_47:                             ;   in Loop: Header=BB114_48 Depth=1
	s_or_b64 exec, exec, s[28:29]
	s_add_i32 s30, s30, 2
	v_cmp_eq_u32_e64 s[26:27], 8, s30
	v_add_u32_e32 v7, 32, v7
	s_or_b64 s[16:17], s[26:27], s[16:17]
	v_add_u32_e32 v6, 32, v6
	s_andn2_b64 exec, exec, s[16:17]
	s_cbranch_execz .LBB114_52
.LBB114_48:                             ; =>This Inner Loop Header: Depth=1
	s_or_b32 s26, s30, 1
	v_cmp_le_u32_e64 s[26:27], s26, 7
	v_cmp_le_u32_e64 s[34:35], s30, 7
	s_and_saveexec_b64 s[28:29], s[34:35]
	s_cbranch_execz .LBB114_50
; %bb.49:                               ;   in Loop: Header=BB114_48 Depth=1
	v_lshlrev_b32_e32 v1, 2, v6
	ds_write_b32 v1, v9
.LBB114_50:                             ;   in Loop: Header=BB114_48 Depth=1
	s_or_b64 exec, exec, s[28:29]
	s_and_saveexec_b64 s[28:29], s[26:27]
	s_cbranch_execz .LBB114_47
; %bb.51:                               ;   in Loop: Header=BB114_48 Depth=1
	v_lshlrev_b32_e32 v1, 2, v7
	ds_write_b32 v1, v9
	s_branch .LBB114_47
.LBB114_52:
	s_or_b64 exec, exec, s[24:25]
	s_min_u32 s16, s33, 4
	s_lshl_b32 s16, -1, s16
	v_lshrrev_b16_e32 v1, 4, v16
	s_not_b32 s16, s16
	v_and_b32_e32 v1, 15, v1
	v_and_b32_sdwa v1, v1, s16 dst_sel:DWORD dst_unused:UNUSED_PAD src0_sel:WORD_0 src1_sel:DWORD
	v_lshlrev_b32_e32 v6, 4, v1
	s_movk_i32 s17, 0x70
	v_lshrrev_b32_e32 v1, 2, v1
	v_and_or_b32 v6, v6, s17, v0
	v_and_b32_e32 v1, 2, v1
	v_lshl_or_b32 v18, v6, 2, v1
	ds_read_u16 v1, v18
	s_waitcnt lgkmcnt(0)
	v_add_u16_e32 v6, 1, v1
	ds_write_b16 v18, v6
	v_lshrrev_b16_e32 v6, 4, v17
	v_and_b32_e32 v6, 15, v6
	v_and_b32_sdwa v6, v6, s16 dst_sel:DWORD dst_unused:UNUSED_PAD src0_sel:WORD_0 src1_sel:DWORD
	v_lshlrev_b32_e32 v7, 4, v6
	v_lshrrev_b32_e32 v6, 2, v6
	v_and_or_b32 v7, v7, s17, v0
	v_and_b32_e32 v6, 2, v6
	v_lshl_or_b32 v25, v7, 2, v6
	ds_read_u16 v19, v25
	s_waitcnt lgkmcnt(0)
	v_add_u16_e32 v6, 1, v19
	ds_write_b16 v25, v6
	s_waitcnt lgkmcnt(0)
	; wave barrier
	s_waitcnt lgkmcnt(0)
	ds_read2_b32 v[14:15], v23 offset1:1
	ds_read2_b32 v[12:13], v23 offset0:2 offset1:3
	ds_read2_b32 v[6:7], v23 offset0:4 offset1:5
	;; [unrolled: 1-line block ×3, first 2 shown]
	s_waitcnt lgkmcnt(3)
	v_add_u32_e32 v26, v15, v14
	s_waitcnt lgkmcnt(2)
	v_add3_u32 v26, v26, v12, v13
	s_waitcnt lgkmcnt(1)
	v_add3_u32 v26, v26, v6, v7
	;; [unrolled: 2-line block ×3, first 2 shown]
	s_nop 1
	v_mov_b32_dpp v26, v9 row_shr:1 row_mask:0xf bank_mask:0xf
	v_cndmask_b32_e64 v26, v26, 0, s[14:15]
	v_add_u32_e32 v9, v26, v9
	s_nop 1
	v_mov_b32_dpp v26, v9 row_shr:2 row_mask:0xf bank_mask:0xf
	v_cndmask_b32_e64 v26, 0, v26, s[12:13]
	v_add_u32_e32 v9, v9, v26
	;; [unrolled: 4-line block ×4, first 2 shown]
	s_and_saveexec_b64 s[8:9], s[6:7]
	s_cbranch_execz .LBB114_54
; %bb.53:
	v_mov_b32_e32 v26, 0
	ds_write_b32 v26, v9 offset:512
.LBB114_54:
	s_or_b64 exec, exec, s[8:9]
	ds_bpermute_b32 v9, v24, v9
	v_mov_b32_e32 v24, 0
	s_waitcnt lgkmcnt(0)
	; wave barrier
	s_waitcnt lgkmcnt(0)
	ds_read_b32 v24, v24 offset:512
	v_cndmask_b32_e64 v9, v9, 0, s[4:5]
	s_movk_i32 s4, 0x7f
	s_waitcnt lgkmcnt(0)
	v_lshl_add_u32 v9, v24, 16, v9
	v_add_u32_e32 v14, v9, v14
	v_add_u32_e32 v15, v14, v15
	;; [unrolled: 1-line block ×7, first 2 shown]
	ds_write2_b32 v23, v9, v14 offset1:1
	ds_write2_b32 v23, v15, v12 offset0:2 offset1:3
	ds_write2_b32 v23, v13, v6 offset0:4 offset1:5
	;; [unrolled: 1-line block ×3, first 2 shown]
	s_waitcnt lgkmcnt(0)
	; wave barrier
	s_waitcnt lgkmcnt(0)
	ds_read_u16 v6, v25
	ds_read_u16 v7, v18
	s_waitcnt lgkmcnt(0)
	; wave barrier
	s_waitcnt lgkmcnt(0)
	v_add_u32_sdwa v6, v6, v19 dst_sel:DWORD dst_unused:UNUSED_PAD src0_sel:DWORD src1_sel:WORD_0
	v_add_u32_sdwa v1, v7, v1 dst_sel:DWORD dst_unused:UNUSED_PAD src0_sel:DWORD src1_sel:WORD_0
	ds_write_b8 v1, v16
	ds_write_b8 v6, v17
	s_waitcnt lgkmcnt(0)
	; wave barrier
	s_waitcnt lgkmcnt(0)
	ds_read_u8 v12, v21
	ds_read_u8 v13, v21 offset:1
	v_lshlrev_b32_e32 v1, 3, v1
	s_waitcnt lgkmcnt(0)
	; wave barrier
	s_waitcnt lgkmcnt(0)
	ds_write_b64 v1, v[2:3]
	v_lshlrev_b32_e32 v1, 3, v6
	ds_write_b64 v1, v[4:5]
	s_waitcnt lgkmcnt(0)
	; wave barrier
	s_waitcnt lgkmcnt(0)
	ds_read2_b64 v[6:9], v11 offset1:1
	v_xor_b32_e32 v1, 0x7f, v12
	v_xor_b32_sdwa v2, v13, s4 dst_sel:BYTE_1 dst_unused:UNUSED_PAD src0_sel:DWORD src1_sel:DWORD
	v_or_b32_e32 v1, v1, v2
	v_and_b32_e32 v12, 0xffff, v1
.LBB114_55:
	v_lshrrev_b16_e32 v1, 8, v12
	s_waitcnt lgkmcnt(0)
	; wave barrier
	s_waitcnt lgkmcnt(0)
	ds_write_b8 v21, v12
	ds_write_b8 v21, v1 offset:1
	s_waitcnt lgkmcnt(0)
	; wave barrier
	s_waitcnt lgkmcnt(0)
	ds_read_u8 v1, v0 offset:16
	v_mov_b32_e32 v3, s23
	v_add_co_u32_e32 v2, vcc, s22, v20
	v_addc_co_u32_e32 v3, vcc, 0, v3, vcc
	s_and_saveexec_b64 s[4:5], s[0:1]
	s_cbranch_execz .LBB114_57
; %bb.56:
	ds_read_u8 v0, v0
	s_waitcnt lgkmcnt(0)
	global_store_byte v[2:3], v0, off
.LBB114_57:
	s_or_b64 exec, exec, s[4:5]
	s_and_saveexec_b64 s[4:5], s[2:3]
	s_cbranch_execz .LBB114_59
; %bb.58:
	s_lshl_b32 s6, s18, 4
	v_add_co_u32_e32 v2, vcc, s6, v2
	v_addc_co_u32_e32 v3, vcc, 0, v3, vcc
	s_waitcnt lgkmcnt(0)
	global_store_byte v[2:3], v1, off
.LBB114_59:
	s_or_b64 exec, exec, s[4:5]
	s_waitcnt lgkmcnt(0)
	; wave barrier
	s_waitcnt lgkmcnt(0)
	ds_write2_b64 v11, v[6:7], v[8:9] offset1:1
	s_waitcnt lgkmcnt(0)
	; wave barrier
	s_waitcnt lgkmcnt(0)
	ds_read_b64 v[0:1], v22 offset:128
	v_mov_b32_e32 v11, 0
	v_lshlrev_b64 v[2:3], 3, v[10:11]
	v_mov_b32_e32 v4, s21
	v_add_co_u32_e32 v2, vcc, s19, v2
	v_addc_co_u32_e32 v3, vcc, v4, v3, vcc
	s_and_saveexec_b64 s[4:5], s[0:1]
	s_cbranch_execz .LBB114_61
; %bb.60:
	ds_read_b64 v[4:5], v22
	s_waitcnt lgkmcnt(0)
	global_store_dwordx2 v[2:3], v[4:5], off
.LBB114_61:
	s_or_b64 exec, exec, s[4:5]
	s_and_saveexec_b64 s[0:1], s[2:3]
	s_cbranch_execz .LBB114_63
; %bb.62:
	s_lshl_b32 s0, s20, 4
	s_mov_b32 s1, 0
	s_lshl_b64 s[0:1], s[0:1], 3
	v_mov_b32_e32 v4, s1
	v_add_co_u32_e32 v2, vcc, s0, v2
	v_addc_co_u32_e32 v3, vcc, v3, v4, vcc
	s_waitcnt lgkmcnt(0)
	global_store_dwordx2 v[2:3], v[0:1], off
.LBB114_63:
	s_endpgm
	.section	.rodata,"a",@progbits
	.p2align	6, 0x0
	.amdhsa_kernel _ZN2at6native18radixSortKVInPlaceILin1ELin1ELi16ELi2EaljEEvNS_4cuda6detail10TensorInfoIT3_T5_EES6_S6_S6_NS4_IT4_S6_EES6_b
		.amdhsa_group_segment_fixed_size 528
		.amdhsa_private_segment_fixed_size 0
		.amdhsa_kernarg_size 712
		.amdhsa_user_sgpr_count 6
		.amdhsa_user_sgpr_private_segment_buffer 1
		.amdhsa_user_sgpr_dispatch_ptr 0
		.amdhsa_user_sgpr_queue_ptr 0
		.amdhsa_user_sgpr_kernarg_segment_ptr 1
		.amdhsa_user_sgpr_dispatch_id 0
		.amdhsa_user_sgpr_flat_scratch_init 0
		.amdhsa_user_sgpr_kernarg_preload_length 0
		.amdhsa_user_sgpr_kernarg_preload_offset 0
		.amdhsa_user_sgpr_private_segment_size 0
		.amdhsa_uses_dynamic_stack 0
		.amdhsa_system_sgpr_private_segment_wavefront_offset 0
		.amdhsa_system_sgpr_workgroup_id_x 1
		.amdhsa_system_sgpr_workgroup_id_y 1
		.amdhsa_system_sgpr_workgroup_id_z 1
		.amdhsa_system_sgpr_workgroup_info 0
		.amdhsa_system_vgpr_workitem_id 0
		.amdhsa_next_free_vgpr 34
		.amdhsa_next_free_sgpr 38
		.amdhsa_accum_offset 36
		.amdhsa_reserve_vcc 1
		.amdhsa_reserve_flat_scratch 0
		.amdhsa_float_round_mode_32 0
		.amdhsa_float_round_mode_16_64 0
		.amdhsa_float_denorm_mode_32 3
		.amdhsa_float_denorm_mode_16_64 3
		.amdhsa_dx10_clamp 1
		.amdhsa_ieee_mode 1
		.amdhsa_fp16_overflow 0
		.amdhsa_tg_split 0
		.amdhsa_exception_fp_ieee_invalid_op 0
		.amdhsa_exception_fp_denorm_src 0
		.amdhsa_exception_fp_ieee_div_zero 0
		.amdhsa_exception_fp_ieee_overflow 0
		.amdhsa_exception_fp_ieee_underflow 0
		.amdhsa_exception_fp_ieee_inexact 0
		.amdhsa_exception_int_div_zero 0
	.end_amdhsa_kernel
	.section	.text._ZN2at6native18radixSortKVInPlaceILin1ELin1ELi16ELi2EaljEEvNS_4cuda6detail10TensorInfoIT3_T5_EES6_S6_S6_NS4_IT4_S6_EES6_b,"axG",@progbits,_ZN2at6native18radixSortKVInPlaceILin1ELin1ELi16ELi2EaljEEvNS_4cuda6detail10TensorInfoIT3_T5_EES6_S6_S6_NS4_IT4_S6_EES6_b,comdat
.Lfunc_end114:
	.size	_ZN2at6native18radixSortKVInPlaceILin1ELin1ELi16ELi2EaljEEvNS_4cuda6detail10TensorInfoIT3_T5_EES6_S6_S6_NS4_IT4_S6_EES6_b, .Lfunc_end114-_ZN2at6native18radixSortKVInPlaceILin1ELin1ELi16ELi2EaljEEvNS_4cuda6detail10TensorInfoIT3_T5_EES6_S6_S6_NS4_IT4_S6_EES6_b
                                        ; -- End function
	.section	.AMDGPU.csdata,"",@progbits
; Kernel info:
; codeLenInByte = 4416
; NumSgprs: 42
; NumVgprs: 34
; NumAgprs: 0
; TotalNumVgprs: 34
; ScratchSize: 0
; MemoryBound: 0
; FloatMode: 240
; IeeeMode: 1
; LDSByteSize: 528 bytes/workgroup (compile time only)
; SGPRBlocks: 5
; VGPRBlocks: 4
; NumSGPRsForWavesPerEU: 42
; NumVGPRsForWavesPerEU: 34
; AccumOffset: 36
; Occupancy: 8
; WaveLimiterHint : 1
; COMPUTE_PGM_RSRC2:SCRATCH_EN: 0
; COMPUTE_PGM_RSRC2:USER_SGPR: 6
; COMPUTE_PGM_RSRC2:TRAP_HANDLER: 0
; COMPUTE_PGM_RSRC2:TGID_X_EN: 1
; COMPUTE_PGM_RSRC2:TGID_Y_EN: 1
; COMPUTE_PGM_RSRC2:TGID_Z_EN: 1
; COMPUTE_PGM_RSRC2:TIDIG_COMP_CNT: 0
; COMPUTE_PGM_RSRC3_GFX90A:ACCUM_OFFSET: 8
; COMPUTE_PGM_RSRC3_GFX90A:TG_SPLIT: 0
	.section	.text._ZN2at6native18radixSortKVInPlaceILin1ELin1ELi512ELi8EalmEEvNS_4cuda6detail10TensorInfoIT3_T5_EES6_S6_S6_NS4_IT4_S6_EES6_b,"axG",@progbits,_ZN2at6native18radixSortKVInPlaceILin1ELin1ELi512ELi8EalmEEvNS_4cuda6detail10TensorInfoIT3_T5_EES6_S6_S6_NS4_IT4_S6_EES6_b,comdat
	.protected	_ZN2at6native18radixSortKVInPlaceILin1ELin1ELi512ELi8EalmEEvNS_4cuda6detail10TensorInfoIT3_T5_EES6_S6_S6_NS4_IT4_S6_EES6_b ; -- Begin function _ZN2at6native18radixSortKVInPlaceILin1ELin1ELi512ELi8EalmEEvNS_4cuda6detail10TensorInfoIT3_T5_EES6_S6_S6_NS4_IT4_S6_EES6_b
	.globl	_ZN2at6native18radixSortKVInPlaceILin1ELin1ELi512ELi8EalmEEvNS_4cuda6detail10TensorInfoIT3_T5_EES6_S6_S6_NS4_IT4_S6_EES6_b
	.p2align	8
	.type	_ZN2at6native18radixSortKVInPlaceILin1ELin1ELi512ELi8EalmEEvNS_4cuda6detail10TensorInfoIT3_T5_EES6_S6_S6_NS4_IT4_S6_EES6_b,@function
_ZN2at6native18radixSortKVInPlaceILin1ELin1ELi512ELi8EalmEEvNS_4cuda6detail10TensorInfoIT3_T5_EES6_S6_S6_NS4_IT4_S6_EES6_b: ; @_ZN2at6native18radixSortKVInPlaceILin1ELin1ELi512ELi8EalmEEvNS_4cuda6detail10TensorInfoIT3_T5_EES6_S6_S6_NS4_IT4_S6_EES6_b
; %bb.0:
	s_load_dwordx4 s[12:15], s[4:5], 0x1a0
	s_load_dwordx2 s[0:1], s[4:5], 0x368
	s_add_u32 s24, s4, 0x368
	s_addc_u32 s25, s5, 0
	s_waitcnt lgkmcnt(0)
	v_mov_b32_e32 v2, s12
	s_mul_i32 s1, s1, s8
	s_add_i32 s1, s1, s7
	s_mul_i32 s0, s1, s0
	v_mov_b32_e32 v3, s13
	s_add_i32 s6, s0, s6
	s_mov_b32 s7, 0
	v_cmp_ge_u64_e32 vcc, s[6:7], v[2:3]
	s_cbranch_vccnz .LBB115_116
; %bb.1:
	s_load_dword s0, s[4:5], 0x198
	s_load_dwordx2 s[18:19], s[4:5], 0x1b0
	s_mov_b64 s[2:3], 0
	s_mov_b64 s[8:9], s[6:7]
	s_waitcnt lgkmcnt(0)
	s_cmp_lt_i32 s0, 2
	s_cbranch_scc1 .LBB115_9
; %bb.2:
	s_mov_b32 s10, 0
	s_add_i32 s15, s0, 1
	s_add_i32 s0, s0, -1
	s_mov_b32 s1, s10
	s_lshl_b64 s[0:1], s[0:1], 3
	s_add_u32 s0, s0, s4
	s_addc_u32 s1, s1, s5
	s_add_u32 s12, s0, 8
	s_addc_u32 s13, s1, 0
	s_mov_b64 s[16:17], s[6:7]
.LBB115_3:                              ; =>This Inner Loop Header: Depth=1
	s_load_dwordx2 s[20:21], s[12:13], 0x0
	s_waitcnt lgkmcnt(0)
	s_or_b64 s[0:1], s[16:17], s[20:21]
	s_mov_b32 s11, s1
	s_cmp_lg_u64 s[10:11], 0
	s_cbranch_scc0 .LBB115_8
; %bb.4:                                ;   in Loop: Header=BB115_3 Depth=1
	v_cvt_f32_u32_e32 v1, s20
	v_cvt_f32_u32_e32 v2, s21
	s_sub_u32 s0, 0, s20
	s_subb_u32 s1, 0, s21
	v_mac_f32_e32 v1, 0x4f800000, v2
	v_rcp_f32_e32 v1, v1
	v_mul_f32_e32 v1, 0x5f7ffffc, v1
	v_mul_f32_e32 v2, 0x2f800000, v1
	v_trunc_f32_e32 v2, v2
	v_mac_f32_e32 v1, 0xcf800000, v2
	v_cvt_u32_f32_e32 v2, v2
	v_cvt_u32_f32_e32 v1, v1
	v_readfirstlane_b32 s8, v2
	v_readfirstlane_b32 s9, v1
	s_mul_i32 s11, s0, s8
	s_mul_hi_u32 s23, s0, s9
	s_mul_i32 s22, s1, s9
	s_add_i32 s11, s23, s11
	s_mul_i32 s26, s0, s9
	s_add_i32 s11, s11, s22
	s_mul_hi_u32 s22, s9, s11
	s_mul_i32 s23, s9, s11
	s_mul_hi_u32 s9, s9, s26
	s_add_u32 s9, s9, s23
	s_addc_u32 s22, 0, s22
	s_mul_hi_u32 s27, s8, s26
	s_mul_i32 s26, s8, s26
	s_add_u32 s9, s9, s26
	s_mul_hi_u32 s23, s8, s11
	s_addc_u32 s9, s22, s27
	s_addc_u32 s22, s23, 0
	s_mul_i32 s11, s8, s11
	s_add_u32 s9, s9, s11
	s_addc_u32 s11, 0, s22
	v_add_co_u32_e32 v1, vcc, s9, v1
	s_cmp_lg_u64 vcc, 0
	s_addc_u32 s8, s8, s11
	v_readfirstlane_b32 s11, v1
	s_mul_i32 s9, s0, s8
	s_mul_hi_u32 s22, s0, s11
	s_add_i32 s9, s22, s9
	s_mul_i32 s1, s1, s11
	s_add_i32 s9, s9, s1
	s_mul_i32 s0, s0, s11
	s_mul_hi_u32 s22, s8, s0
	s_mul_i32 s23, s8, s0
	s_mul_i32 s27, s11, s9
	s_mul_hi_u32 s0, s11, s0
	s_mul_hi_u32 s26, s11, s9
	s_add_u32 s0, s0, s27
	s_addc_u32 s11, 0, s26
	s_add_u32 s0, s0, s23
	s_mul_hi_u32 s1, s8, s9
	s_addc_u32 s0, s11, s22
	s_addc_u32 s1, s1, 0
	s_mul_i32 s9, s8, s9
	s_add_u32 s0, s0, s9
	s_addc_u32 s1, 0, s1
	v_add_co_u32_e32 v1, vcc, s0, v1
	s_cmp_lg_u64 vcc, 0
	s_addc_u32 s0, s8, s1
	v_readfirstlane_b32 s9, v1
	s_mul_i32 s8, s16, s0
	s_mul_hi_u32 s11, s16, s9
	s_mul_hi_u32 s1, s16, s0
	s_add_u32 s8, s11, s8
	s_addc_u32 s1, 0, s1
	s_mul_hi_u32 s22, s17, s9
	s_mul_i32 s9, s17, s9
	s_add_u32 s8, s8, s9
	s_mul_hi_u32 s11, s17, s0
	s_addc_u32 s1, s1, s22
	s_addc_u32 s8, s11, 0
	s_mul_i32 s0, s17, s0
	s_add_u32 s11, s1, s0
	s_addc_u32 s8, 0, s8
	s_mul_i32 s0, s20, s8
	s_mul_hi_u32 s1, s20, s11
	s_add_i32 s0, s1, s0
	s_mul_i32 s1, s21, s11
	s_add_i32 s9, s0, s1
	s_mul_i32 s1, s20, s11
	v_mov_b32_e32 v1, s1
	s_sub_i32 s0, s17, s9
	v_sub_co_u32_e32 v1, vcc, s16, v1
	s_cmp_lg_u64 vcc, 0
	s_subb_u32 s22, s0, s21
	v_subrev_co_u32_e64 v2, s[0:1], s20, v1
	s_cmp_lg_u64 s[0:1], 0
	s_subb_u32 s0, s22, 0
	s_cmp_ge_u32 s0, s21
	v_readfirstlane_b32 s22, v2
	s_cselect_b32 s1, -1, 0
	s_cmp_ge_u32 s22, s20
	s_cselect_b32 s22, -1, 0
	s_cmp_eq_u32 s0, s21
	s_cselect_b32 s0, s22, s1
	s_add_u32 s1, s11, 1
	s_addc_u32 s22, s8, 0
	s_add_u32 s23, s11, 2
	s_addc_u32 s26, s8, 0
	s_cmp_lg_u32 s0, 0
	s_cselect_b32 s0, s23, s1
	s_cselect_b32 s1, s26, s22
	s_cmp_lg_u64 vcc, 0
	s_subb_u32 s9, s17, s9
	s_cmp_ge_u32 s9, s21
	v_readfirstlane_b32 s23, v1
	s_cselect_b32 s22, -1, 0
	s_cmp_ge_u32 s23, s20
	s_cselect_b32 s23, -1, 0
	s_cmp_eq_u32 s9, s21
	s_cselect_b32 s9, s23, s22
	s_cmp_lg_u32 s9, 0
	s_cselect_b32 s9, s1, s8
	s_cselect_b32 s8, s0, s11
	s_cbranch_execnz .LBB115_6
.LBB115_5:                              ;   in Loop: Header=BB115_3 Depth=1
	v_cvt_f32_u32_e32 v1, s20
	s_sub_i32 s0, 0, s20
	v_rcp_iflag_f32_e32 v1, v1
	v_mul_f32_e32 v1, 0x4f7ffffe, v1
	v_cvt_u32_f32_e32 v1, v1
	v_readfirstlane_b32 s1, v1
	s_mul_i32 s0, s0, s1
	s_mul_hi_u32 s0, s1, s0
	s_add_i32 s1, s1, s0
	s_mul_hi_u32 s0, s16, s1
	s_mul_i32 s8, s0, s20
	s_sub_i32 s8, s16, s8
	s_add_i32 s1, s0, 1
	s_sub_i32 s9, s8, s20
	s_cmp_ge_u32 s8, s20
	s_cselect_b32 s0, s1, s0
	s_cselect_b32 s8, s9, s8
	s_add_i32 s1, s0, 1
	s_cmp_ge_u32 s8, s20
	s_cselect_b32 s8, s1, s0
	s_mov_b32 s9, s10
.LBB115_6:                              ;   in Loop: Header=BB115_3 Depth=1
	s_mul_i32 s0, s8, s21
	s_mul_hi_u32 s1, s8, s20
	s_add_i32 s11, s1, s0
	s_load_dwordx2 s[0:1], s[12:13], 0xc8
	s_mul_i32 s21, s9, s20
	s_add_i32 s11, s11, s21
	s_mul_i32 s20, s8, s20
	s_sub_u32 s16, s16, s20
	s_subb_u32 s11, s17, s11
	s_waitcnt lgkmcnt(0)
	s_mul_i32 s11, s0, s11
	s_mul_hi_u32 s17, s0, s16
	s_add_i32 s11, s17, s11
	s_mul_i32 s1, s1, s16
	s_add_i32 s11, s11, s1
	s_mul_i32 s0, s0, s16
	s_add_u32 s2, s0, s2
	s_addc_u32 s3, s11, s3
	s_add_i32 s15, s15, -1
	s_add_u32 s12, s12, -8
	s_addc_u32 s13, s13, -1
	s_cmp_gt_u32 s15, 2
	s_cbranch_scc0 .LBB115_9
; %bb.7:                                ;   in Loop: Header=BB115_3 Depth=1
	s_mov_b64 s[16:17], s[8:9]
	s_branch .LBB115_3
.LBB115_8:                              ;   in Loop: Header=BB115_3 Depth=1
                                        ; implicit-def: $sgpr8_sgpr9
	s_branch .LBB115_5
.LBB115_9:
	s_load_dword s0, s[4:5], 0x350
	s_load_dwordx2 s[10:11], s[4:5], 0xd0
	s_mov_b64 s[20:21], 0
	s_waitcnt lgkmcnt(0)
	s_cmp_lt_i32 s0, 2
	s_cbranch_scc1 .LBB115_17
; %bb.10:
	s_mov_b32 s12, 0
	s_add_i32 s15, s0, 1
	s_add_i32 s0, s0, -1
	s_mov_b32 s1, s12
	s_lshl_b64 s[0:1], s[0:1], 3
	s_add_u32 s0, s0, s4
	s_addc_u32 s1, s1, s5
	s_add_u32 s16, s0, 0x1c0
	s_addc_u32 s17, s1, 0
.LBB115_11:                             ; =>This Inner Loop Header: Depth=1
	s_load_dwordx2 s[22:23], s[16:17], 0x0
	s_waitcnt lgkmcnt(0)
	s_or_b64 s[0:1], s[6:7], s[22:23]
	s_mov_b32 s13, s1
	s_cmp_lg_u64 s[12:13], 0
	s_cbranch_scc0 .LBB115_16
; %bb.12:                               ;   in Loop: Header=BB115_11 Depth=1
	v_cvt_f32_u32_e32 v1, s22
	v_cvt_f32_u32_e32 v2, s23
	s_sub_u32 s0, 0, s22
	s_subb_u32 s1, 0, s23
	v_mac_f32_e32 v1, 0x4f800000, v2
	v_rcp_f32_e32 v1, v1
	v_mul_f32_e32 v1, 0x5f7ffffc, v1
	v_mul_f32_e32 v2, 0x2f800000, v1
	v_trunc_f32_e32 v2, v2
	v_mac_f32_e32 v1, 0xcf800000, v2
	v_cvt_u32_f32_e32 v2, v2
	v_cvt_u32_f32_e32 v1, v1
	v_readfirstlane_b32 s13, v2
	v_readfirstlane_b32 s26, v1
	s_mul_i32 s27, s0, s13
	s_mul_hi_u32 s29, s0, s26
	s_mul_i32 s28, s1, s26
	s_add_i32 s27, s29, s27
	s_mul_i32 s30, s0, s26
	s_add_i32 s27, s27, s28
	s_mul_hi_u32 s28, s26, s27
	s_mul_i32 s29, s26, s27
	s_mul_hi_u32 s26, s26, s30
	s_add_u32 s26, s26, s29
	s_addc_u32 s28, 0, s28
	s_mul_hi_u32 s31, s13, s30
	s_mul_i32 s30, s13, s30
	s_add_u32 s26, s26, s30
	s_mul_hi_u32 s29, s13, s27
	s_addc_u32 s26, s28, s31
	s_addc_u32 s28, s29, 0
	s_mul_i32 s27, s13, s27
	s_add_u32 s26, s26, s27
	s_addc_u32 s27, 0, s28
	v_add_co_u32_e32 v1, vcc, s26, v1
	s_cmp_lg_u64 vcc, 0
	s_addc_u32 s13, s13, s27
	v_readfirstlane_b32 s27, v1
	s_mul_i32 s26, s0, s13
	s_mul_hi_u32 s28, s0, s27
	s_add_i32 s26, s28, s26
	s_mul_i32 s1, s1, s27
	s_add_i32 s26, s26, s1
	s_mul_i32 s0, s0, s27
	s_mul_hi_u32 s28, s13, s0
	s_mul_i32 s29, s13, s0
	s_mul_i32 s31, s27, s26
	s_mul_hi_u32 s0, s27, s0
	s_mul_hi_u32 s30, s27, s26
	s_add_u32 s0, s0, s31
	s_addc_u32 s27, 0, s30
	s_add_u32 s0, s0, s29
	s_mul_hi_u32 s1, s13, s26
	s_addc_u32 s0, s27, s28
	s_addc_u32 s1, s1, 0
	s_mul_i32 s26, s13, s26
	s_add_u32 s0, s0, s26
	s_addc_u32 s1, 0, s1
	v_add_co_u32_e32 v1, vcc, s0, v1
	s_cmp_lg_u64 vcc, 0
	s_addc_u32 s0, s13, s1
	v_readfirstlane_b32 s26, v1
	s_mul_i32 s13, s6, s0
	s_mul_hi_u32 s27, s6, s26
	s_mul_hi_u32 s1, s6, s0
	s_add_u32 s13, s27, s13
	s_addc_u32 s1, 0, s1
	s_mul_hi_u32 s28, s7, s26
	s_mul_i32 s26, s7, s26
	s_add_u32 s13, s13, s26
	s_mul_hi_u32 s27, s7, s0
	s_addc_u32 s1, s1, s28
	s_addc_u32 s13, s27, 0
	s_mul_i32 s0, s7, s0
	s_add_u32 s26, s1, s0
	s_addc_u32 s13, 0, s13
	s_mul_i32 s0, s22, s13
	s_mul_hi_u32 s1, s22, s26
	s_add_i32 s0, s1, s0
	s_mul_i32 s1, s23, s26
	s_add_i32 s27, s0, s1
	s_mul_i32 s1, s22, s26
	v_mov_b32_e32 v1, s1
	s_sub_i32 s0, s7, s27
	v_sub_co_u32_e32 v1, vcc, s6, v1
	s_cmp_lg_u64 vcc, 0
	s_subb_u32 s28, s0, s23
	v_subrev_co_u32_e64 v2, s[0:1], s22, v1
	s_cmp_lg_u64 s[0:1], 0
	s_subb_u32 s0, s28, 0
	s_cmp_ge_u32 s0, s23
	v_readfirstlane_b32 s28, v2
	s_cselect_b32 s1, -1, 0
	s_cmp_ge_u32 s28, s22
	s_cselect_b32 s28, -1, 0
	s_cmp_eq_u32 s0, s23
	s_cselect_b32 s0, s28, s1
	s_add_u32 s1, s26, 1
	s_addc_u32 s28, s13, 0
	s_add_u32 s29, s26, 2
	s_addc_u32 s30, s13, 0
	s_cmp_lg_u32 s0, 0
	s_cselect_b32 s0, s29, s1
	s_cselect_b32 s1, s30, s28
	s_cmp_lg_u64 vcc, 0
	s_subb_u32 s27, s7, s27
	s_cmp_ge_u32 s27, s23
	v_readfirstlane_b32 s29, v1
	s_cselect_b32 s28, -1, 0
	s_cmp_ge_u32 s29, s22
	s_cselect_b32 s29, -1, 0
	s_cmp_eq_u32 s27, s23
	s_cselect_b32 s27, s29, s28
	s_cmp_lg_u32 s27, 0
	s_cselect_b32 s29, s1, s13
	s_cselect_b32 s28, s0, s26
	s_cbranch_execnz .LBB115_14
.LBB115_13:                             ;   in Loop: Header=BB115_11 Depth=1
	v_cvt_f32_u32_e32 v1, s22
	s_sub_i32 s0, 0, s22
	s_mov_b32 s29, s12
	v_rcp_iflag_f32_e32 v1, v1
	v_mul_f32_e32 v1, 0x4f7ffffe, v1
	v_cvt_u32_f32_e32 v1, v1
	v_readfirstlane_b32 s1, v1
	s_mul_i32 s0, s0, s1
	s_mul_hi_u32 s0, s1, s0
	s_add_i32 s1, s1, s0
	s_mul_hi_u32 s0, s6, s1
	s_mul_i32 s13, s0, s22
	s_sub_i32 s13, s6, s13
	s_add_i32 s1, s0, 1
	s_sub_i32 s26, s13, s22
	s_cmp_ge_u32 s13, s22
	s_cselect_b32 s0, s1, s0
	s_cselect_b32 s13, s26, s13
	s_add_i32 s1, s0, 1
	s_cmp_ge_u32 s13, s22
	s_cselect_b32 s28, s1, s0
.LBB115_14:                             ;   in Loop: Header=BB115_11 Depth=1
	s_mul_i32 s0, s28, s23
	s_mul_hi_u32 s1, s28, s22
	s_add_i32 s13, s1, s0
	s_load_dwordx2 s[0:1], s[16:17], 0xc8
	s_mul_i32 s23, s29, s22
	s_add_i32 s13, s13, s23
	s_mul_i32 s22, s28, s22
	s_sub_u32 s6, s6, s22
	s_subb_u32 s7, s7, s13
	s_waitcnt lgkmcnt(0)
	s_mul_i32 s7, s0, s7
	s_mul_hi_u32 s13, s0, s6
	s_add_i32 s7, s13, s7
	s_mul_i32 s1, s1, s6
	s_add_i32 s7, s7, s1
	s_mul_i32 s0, s0, s6
	s_add_u32 s20, s0, s20
	s_addc_u32 s21, s7, s21
	s_add_i32 s15, s15, -1
	s_add_u32 s16, s16, -8
	s_addc_u32 s17, s17, -1
	s_cmp_gt_u32 s15, 2
	s_cbranch_scc0 .LBB115_18
; %bb.15:                               ;   in Loop: Header=BB115_11 Depth=1
	s_mov_b64 s[6:7], s[28:29]
	s_branch .LBB115_11
.LBB115_16:                             ;   in Loop: Header=BB115_11 Depth=1
                                        ; implicit-def: $sgpr28_sgpr29
	s_branch .LBB115_13
.LBB115_17:
	s_mov_b64 s[28:29], s[6:7]
.LBB115_18:
	s_load_dword s6, s[4:5], 0x360
	s_mul_i32 s0, s10, s9
	s_mul_hi_u32 s1, s10, s8
	s_add_i32 s0, s1, s0
	s_mul_i32 s1, s11, s8
	s_add_i32 s9, s0, s1
	s_load_dwordx2 s[0:1], s[4:5], 0x0
	s_waitcnt lgkmcnt(0)
	s_bitcmp1_b32 s6, 0
	s_cselect_b64 s[26:27], -1, 0
	s_mul_i32 s8, s10, s8
	s_movk_i32 s10, 0x80
	s_and_b64 s[6:7], s[26:27], exec
	s_cselect_b32 s6, s10, 0x7f
	v_lshlrev_b16_e64 v1, 8, s6
	s_add_u32 s0, s0, s8
	v_or_b32_e32 v1, s6, v1
	s_addc_u32 s1, s1, s9
	v_lshlrev_b32_e32 v2, 16, v1
	s_add_u32 s22, s0, s2
	v_and_b32_e32 v34, 0x3ff, v0
	v_or_b32_sdwa v2, v1, v2 dst_sel:DWORD dst_unused:UNUSED_PAD src0_sel:WORD_0 src1_sel:DWORD
	s_addc_u32 s23, s1, s3
	v_mov_b32_e32 v4, s6
	v_mov_b32_e32 v3, v2
	v_cmp_gt_u32_e64 s[0:1], s14, v34
	s_and_saveexec_b64 s[2:3], s[0:1]
	s_cbranch_execz .LBB115_20
; %bb.19:
	v_pk_mov_b32 v[4:5], s[22:23], s[22:23] op_sel:[0,1]
	v_mad_u64_u32 v[4:5], s[6:7], v34, s18, v[4:5]
	v_mov_b32_e32 v6, v5
	v_mad_u64_u32 v[6:7], s[6:7], v34, s19, v[6:7]
	v_mov_b32_e32 v5, v6
	global_load_ubyte v4, v[4:5], off
	s_mov_b32 s6, 0x3020104
	v_mov_b32_e32 v7, v2
	s_waitcnt vmcnt(0)
	v_perm_b32 v6, v4, v2, s6
	v_pk_mov_b32 v[2:3], v[6:7], v[6:7] op_sel:[0,1]
.LBB115_20:
	s_or_b64 exec, exec, s[2:3]
	v_add_u32_e32 v27, 0x200, v34
	v_cmp_gt_u32_e64 s[2:3], s14, v27
	s_and_saveexec_b64 s[6:7], s[2:3]
	s_cbranch_execz .LBB115_22
; %bb.21:
	v_pk_mov_b32 v[6:7], s[22:23], s[22:23] op_sel:[0,1]
	v_mad_u64_u32 v[6:7], s[8:9], v27, s18, v[6:7]
	v_mov_b32_e32 v8, v7
	v_mad_u64_u32 v[8:9], s[8:9], v27, s19, v[8:9]
	v_mov_b32_e32 v7, v8
	global_load_ubyte v1, v[6:7], off
	s_mov_b32 s8, 0x7060004
	s_waitcnt vmcnt(0)
	v_perm_b32 v2, v2, v1, s8
.LBB115_22:
	s_or_b64 exec, exec, s[6:7]
	v_or_b32_e32 v20, 0x400, v34
	v_cmp_gt_u32_e64 s[16:17], s14, v20
	s_and_saveexec_b64 s[6:7], s[16:17]
	s_cbranch_execz .LBB115_24
; %bb.23:
	v_pk_mov_b32 v[6:7], s[22:23], s[22:23] op_sel:[0,1]
	v_mad_u64_u32 v[6:7], s[8:9], v20, s18, v[6:7]
	v_mov_b32_e32 v8, v7
	v_mad_u64_u32 v[8:9], s[8:9], v20, s19, v[8:9]
	v_mov_b32_e32 v7, v8
	global_load_ubyte v1, v[6:7], off
	s_movk_i32 s8, 0xff00
	v_and_b32_sdwa v5, v2, s8 dst_sel:DWORD dst_unused:UNUSED_PAD src0_sel:WORD_1 src1_sel:DWORD
	s_mov_b32 s8, 0xffff
	s_waitcnt vmcnt(0)
	v_or_b32_sdwa v1, v1, v5 dst_sel:WORD_1 dst_unused:UNUSED_PAD src0_sel:DWORD src1_sel:DWORD
	v_and_or_b32 v2, v2, s8, v1
.LBB115_24:
	s_or_b64 exec, exec, s[6:7]
	v_add_u32_e32 v21, 0x600, v34
	v_cmp_gt_u32_e64 s[6:7], s14, v21
	s_and_saveexec_b64 s[8:9], s[6:7]
	s_cbranch_execz .LBB115_26
; %bb.25:
	v_pk_mov_b32 v[6:7], s[22:23], s[22:23] op_sel:[0,1]
	v_mad_u64_u32 v[6:7], s[10:11], v21, s18, v[6:7]
	v_mov_b32_e32 v8, v7
	v_mad_u64_u32 v[8:9], s[10:11], v21, s19, v[8:9]
	v_mov_b32_e32 v7, v8
	global_load_ubyte v1, v[6:7], off
	s_movk_i32 s10, 0xff
	v_and_b32_sdwa v5, v2, s10 dst_sel:DWORD dst_unused:UNUSED_PAD src0_sel:WORD_1 src1_sel:DWORD
	s_mov_b32 s10, 0xffff
	s_waitcnt vmcnt(0)
	v_lshlrev_b16_e32 v1, 8, v1
	v_or_b32_sdwa v1, v5, v1 dst_sel:WORD_1 dst_unused:UNUSED_PAD src0_sel:DWORD src1_sel:DWORD
	v_and_or_b32 v2, v2, s10, v1
.LBB115_26:
	s_or_b64 exec, exec, s[8:9]
	v_or_b32_e32 v23, 0x800, v34
	v_cmp_gt_u32_e64 s[8:9], s14, v23
	s_and_saveexec_b64 s[10:11], s[8:9]
	s_cbranch_execz .LBB115_28
; %bb.27:
	v_pk_mov_b32 v[6:7], s[22:23], s[22:23] op_sel:[0,1]
	v_mad_u64_u32 v[6:7], s[12:13], v23, s18, v[6:7]
	v_mov_b32_e32 v8, v7
	v_mad_u64_u32 v[8:9], s[12:13], v23, s19, v[8:9]
	v_mov_b32_e32 v7, v8
	global_load_ubyte v1, v[6:7], off
	s_mov_b32 s12, 0x3020104
	s_waitcnt vmcnt(0)
	v_perm_b32 v3, v1, v3, s12
.LBB115_28:
	s_or_b64 exec, exec, s[10:11]
	v_add_u32_e32 v19, 0xa00, v34
	v_cmp_gt_u32_e64 s[10:11], s14, v19
	s_and_saveexec_b64 s[12:13], s[10:11]
	s_cbranch_execz .LBB115_30
; %bb.29:
	v_pk_mov_b32 v[6:7], s[22:23], s[22:23] op_sel:[0,1]
	v_mad_u64_u32 v[6:7], s[30:31], v19, s18, v[6:7]
	v_mov_b32_e32 v8, v7
	v_mad_u64_u32 v[8:9], s[30:31], v19, s19, v[8:9]
	v_mov_b32_e32 v7, v8
	global_load_ubyte v1, v[6:7], off
	s_mov_b32 s15, 0x7060004
	s_waitcnt vmcnt(0)
	v_perm_b32 v3, v3, v1, s15
.LBB115_30:
	s_or_b64 exec, exec, s[12:13]
	s_load_dwordx2 s[34:35], s[4:5], 0x288
	s_load_dwordx2 s[30:31], s[4:5], 0x1b8
	v_or_b32_e32 v18, 0xc00, v34
	v_cmp_gt_u32_e64 s[12:13], s14, v18
	s_and_saveexec_b64 s[36:37], s[12:13]
	s_cbranch_execz .LBB115_32
; %bb.31:
	v_pk_mov_b32 v[6:7], s[22:23], s[22:23] op_sel:[0,1]
	v_mad_u64_u32 v[6:7], s[38:39], v18, s18, v[6:7]
	v_mov_b32_e32 v8, v7
	v_mad_u64_u32 v[8:9], s[38:39], v18, s19, v[8:9]
	v_mov_b32_e32 v7, v8
	global_load_ubyte v1, v[6:7], off
	s_mov_b32 s15, 0x7000504
	s_waitcnt vmcnt(0)
	v_perm_b32 v3, v3, v1, s15
.LBB115_32:
	s_or_b64 exec, exec, s[36:37]
	v_add_u32_e32 v1, 0xe00, v34
	v_cmp_gt_u32_e64 s[14:15], s14, v1
	s_and_saveexec_b64 s[36:37], s[14:15]
	s_cbranch_execz .LBB115_34
; %bb.33:
	v_pk_mov_b32 v[6:7], s[22:23], s[22:23] op_sel:[0,1]
	v_mad_u64_u32 v[6:7], s[38:39], v1, s18, v[6:7]
	v_mov_b32_e32 v8, v7
	v_mad_u64_u32 v[8:9], s[38:39], v1, s19, v[8:9]
	v_mov_b32_e32 v7, v8
	global_load_ubyte v5, v[6:7], off
	s_mov_b32 s33, 0x60504
	s_waitcnt vmcnt(0)
	v_perm_b32 v3, v3, v5, s33
.LBB115_34:
	s_or_b64 exec, exec, s[36:37]
	v_lshrrev_b32_e32 v32, 5, v34
	v_and_b32_e32 v5, 28, v32
	v_add_u32_e32 v35, v5, v34
	v_lshrrev_b32_e32 v31, 5, v27
	ds_write_b8 v35, v4
	v_and_b32_e32 v4, 60, v31
	v_lshrrev_b32_e32 v30, 5, v20
	v_add_u32_e32 v42, v4, v34
	v_and_b32_e32 v4, 60, v30
	v_lshrrev_b32_e32 v29, 5, v21
	v_lshrrev_b32_e32 v5, 8, v2
	v_add_u32_e32 v43, v4, v34
	v_and_b32_e32 v4, 0x7c, v29
	s_waitcnt lgkmcnt(0)
	s_mul_i32 s29, s34, s29
	s_mul_hi_u32 s33, s34, s28
	ds_write_b8 v42, v5 offset:512
	ds_write_b8_d16_hi v43, v2 offset:1024
	v_lshrrev_b32_e32 v2, 24, v2
	v_add_u32_e32 v44, v4, v34
	v_lshrrev_b32_e32 v28, 5, v23
	s_add_i32 s29, s33, s29
	s_mul_i32 s33, s35, s28
	ds_write_b8 v44, v2 offset:1536
	v_and_b32_e32 v2, 0x5c, v28
	v_lshrrev_b32_e32 v25, 5, v19
	s_add_i32 s29, s29, s33
	s_mul_i32 s28, s34, s28
	v_add_u32_e32 v45, v2, v34
	v_and_b32_e32 v2, 0x7c, v25
	v_lshrrev_b32_e32 v24, 5, v18
	s_lshl_b64 s[28:29], s[28:29], 3
	v_add_u32_e32 v46, v2, v34
	v_and_b32_e32 v2, 0x7c, v24
	v_lshrrev_b32_e32 v22, 5, v1
	s_add_u32 s28, s30, s28
	v_add_u32_e32 v47, v2, v34
	v_and_b32_e32 v2, 0xfc, v22
	v_lshrrev_b32_e32 v26, 2, v34
	s_addc_u32 s29, s31, s29
	s_lshl_b64 s[20:21], s[20:21], 3
	v_lshrrev_b32_e32 v4, 8, v3
	v_add_u32_e32 v48, v2, v34
	v_lshlrev_b32_e32 v50, 3, v34
	v_and_b32_e32 v2, 0xfc, v26
	s_add_u32 s28, s28, s20
	ds_write_b8 v45, v3 offset:2048
	ds_write_b8 v46, v4 offset:2560
	ds_write_b8_d16_hi v47, v3 offset:3072
	v_lshrrev_b32_e32 v3, 24, v3
	v_add_u32_e32 v49, v2, v50
	s_addc_u32 s29, s29, s21
	s_load_dwordx2 s[20:21], s[4:5], 0x358
	ds_write_b8 v48, v3 offset:3584
	s_waitcnt lgkmcnt(0)
	s_barrier
	ds_read_b64 v[36:37], v49
	s_mov_b32 s36, 0
	s_mov_b32 s37, s36
	;; [unrolled: 1-line block ×16, first 2 shown]
	v_pk_mov_b32 v[2:3], s[36:37], s[36:37] op_sel:[0,1]
	v_pk_mov_b32 v[4:5], s[38:39], s[38:39] op_sel:[0,1]
	v_pk_mov_b32 v[6:7], s[40:41], s[40:41] op_sel:[0,1]
	v_pk_mov_b32 v[8:9], s[42:43], s[42:43] op_sel:[0,1]
	v_pk_mov_b32 v[10:11], s[44:45], s[44:45] op_sel:[0,1]
	v_pk_mov_b32 v[12:13], s[46:47], s[46:47] op_sel:[0,1]
	v_pk_mov_b32 v[14:15], s[48:49], s[48:49] op_sel:[0,1]
	v_pk_mov_b32 v[16:17], s[50:51], s[50:51] op_sel:[0,1]
	v_pk_mov_b32 v[2:3], 0, 0
	s_waitcnt lgkmcnt(0)
	s_barrier
	s_and_saveexec_b64 s[4:5], s[0:1]
	s_cbranch_execnz .LBB115_67
; %bb.35:
	s_or_b64 exec, exec, s[4:5]
	s_and_saveexec_b64 s[4:5], s[2:3]
	s_cbranch_execnz .LBB115_68
.LBB115_36:
	s_or_b64 exec, exec, s[4:5]
	s_and_saveexec_b64 s[4:5], s[16:17]
	s_cbranch_execnz .LBB115_69
.LBB115_37:
	s_or_b64 exec, exec, s[4:5]
	s_and_saveexec_b64 s[4:5], s[6:7]
	s_cbranch_execnz .LBB115_70
.LBB115_38:
	s_or_b64 exec, exec, s[4:5]
	s_and_saveexec_b64 s[4:5], s[8:9]
	s_cbranch_execnz .LBB115_71
.LBB115_39:
	s_or_b64 exec, exec, s[4:5]
	s_and_saveexec_b64 s[4:5], s[10:11]
	s_cbranch_execnz .LBB115_72
.LBB115_40:
	s_or_b64 exec, exec, s[4:5]
	s_and_saveexec_b64 s[4:5], s[12:13]
	s_cbranch_execnz .LBB115_73
.LBB115_41:
	s_or_b64 exec, exec, s[4:5]
	s_xor_b64 s[4:5], s[26:27], -1
	s_and_saveexec_b64 s[26:27], s[14:15]
	s_cbranch_execz .LBB115_43
.LBB115_42:
	v_mad_u64_u32 v[16:17], s[30:31], v1, s20, 0
	v_mov_b32_e32 v18, v17
	v_mad_u64_u32 v[18:19], s[30:31], v1, s21, v[18:19]
	v_mov_b32_e32 v17, v18
	v_lshlrev_b64 v[16:17], 3, v[16:17]
	v_mov_b32_e32 v1, s29
	v_add_co_u32_e32 v16, vcc, s28, v16
	v_addc_co_u32_e32 v17, vcc, v1, v17, vcc
	global_load_dwordx2 v[16:17], v[16:17], off
.LBB115_43:
	s_or_b64 exec, exec, s[26:27]
	v_lshrrev_b64 v[38:39], 24, v[36:37]
	v_add_lshl_u32 v39, v32, v34, 3
	v_add_lshl_u32 v51, v31, v34, 3
	v_add_lshl_u32 v52, v30, v34, 3
	v_add_lshl_u32 v53, v29, v34, 3
	v_add_lshl_u32 v54, v28, v34, 3
	v_add_lshl_u32 v55, v25, v34, 3
	v_add_lshl_u32 v56, v24, v34, 3
	v_add_lshl_u32 v57, v22, v34, 3
	v_add_lshl_u32 v58, v26, v50, 3
	s_waitcnt vmcnt(0)
	ds_write_b64 v39, v[2:3]
	ds_write_b64 v51, v[4:5] offset:4096
	ds_write_b64 v52, v[6:7] offset:8192
	;; [unrolled: 1-line block ×7, first 2 shown]
	s_waitcnt lgkmcnt(0)
	s_barrier
	ds_read2_b64 v[14:17], v58 offset1:1
	ds_read2_b64 v[10:13], v58 offset0:2 offset1:3
	ds_read2_b64 v[6:9], v58 offset0:4 offset1:5
	;; [unrolled: 1-line block ×3, first 2 shown]
	v_mbcnt_lo_u32_b32 v1, -1, 0
	v_mbcnt_hi_u32_b32 v59, -1, v1
	v_and_b32_e32 v61, 0x3c0, v34
	s_movk_i32 s26, 0x1e00
	v_add_lshl_u32 v69, v59, v61, 3
	v_and_or_b32 v68, v50, s26, v59
	v_lshrrev_b32_e32 v62, 8, v36
	v_lshrrev_b32_e32 v65, 8, v37
	s_and_b64 vcc, exec, s[4:5]
	v_bfe_u32 v63, v0, 10, 10
	v_bfe_u32 v64, v0, 20, 10
	v_lshlrev_b32_e32 v67, 3, v69
	v_lshlrev_b32_e32 v66, 3, v68
	v_lshlrev_b32_e32 v60, 4, v34
	s_waitcnt lgkmcnt(0)
	s_barrier
	s_cbranch_vccz .LBB115_74
; %bb.44:
	s_movk_i32 s4, 0x80
	v_xor_b32_sdwa v0, v65, s4 dst_sel:BYTE_1 dst_unused:UNUSED_PAD src0_sel:DWORD src1_sel:DWORD
	v_xor_b32_e32 v1, 0x80, v37
	v_or_b32_sdwa v0, v1, v0 dst_sel:DWORD dst_unused:UNUSED_PAD src0_sel:BYTE_0 src1_sel:DWORD
	v_xor_b32_sdwa v1, v37, s4 dst_sel:DWORD dst_unused:UNUSED_PAD src0_sel:BYTE_3 src1_sel:DWORD
	v_lshlrev_b16_e32 v1, 8, v1
	v_xor_b32_sdwa v18, v37, s4 dst_sel:DWORD dst_unused:UNUSED_PAD src0_sel:WORD_1 src1_sel:DWORD
	v_or_b32_sdwa v1, v18, v1 dst_sel:WORD_1 dst_unused:UNUSED_PAD src0_sel:BYTE_0 src1_sel:DWORD
	v_or_b32_sdwa v1, v0, v1 dst_sel:DWORD dst_unused:UNUSED_PAD src0_sel:WORD_0 src1_sel:DWORD
	v_xor_b32_sdwa v0, v62, s4 dst_sel:BYTE_1 dst_unused:UNUSED_PAD src0_sel:DWORD src1_sel:DWORD
	v_xor_b32_e32 v18, 0x80, v36
	v_or_b32_sdwa v0, v18, v0 dst_sel:DWORD dst_unused:UNUSED_PAD src0_sel:BYTE_0 src1_sel:DWORD
	v_xor_b32_sdwa v18, v38, s4 dst_sel:BYTE_1 dst_unused:UNUSED_PAD src0_sel:DWORD src1_sel:DWORD
	v_xor_b32_sdwa v19, v36, s4 dst_sel:DWORD dst_unused:UNUSED_PAD src0_sel:WORD_1 src1_sel:DWORD
	v_or_b32_sdwa v18, v19, v18 dst_sel:WORD_1 dst_unused:UNUSED_PAD src0_sel:BYTE_0 src1_sel:DWORD
	v_or_b32_sdwa v0, v0, v18 dst_sel:DWORD dst_unused:UNUSED_PAD src0_sel:WORD_0 src1_sel:DWORD
	s_getpc_b64 s[4:5]
	s_add_u32 s4, s4, _ZN7rocprim17ROCPRIM_400000_NS16block_radix_sortIaLj512ELj8ElLj1ELj1ELj0ELNS0_26block_radix_rank_algorithmE1ELNS0_18block_padding_hintE2ELNS0_4arch9wavefront6targetE1EE19radix_bits_per_passE@rel32@lo+4
	s_addc_u32 s5, s5, _ZN7rocprim17ROCPRIM_400000_NS16block_radix_sortIaLj512ELj8ElLj1ELj1ELj0ELNS0_26block_radix_rank_algorithmE1ELNS0_18block_padding_hintE2ELNS0_4arch9wavefront6targetE1EE19radix_bits_per_passE@rel32@hi+12
	ds_write_b64 v69, v[0:1]
	; wave barrier
	ds_read_u8 v70, v68
	ds_read_u8 v71, v68 offset:64
	ds_read_u8 v72, v68 offset:128
	;; [unrolled: 1-line block ×7, first 2 shown]
	s_waitcnt lgkmcnt(0)
	s_barrier
	ds_write2_b64 v67, v[14:15], v[16:17] offset1:1
	ds_write2_b64 v67, v[10:11], v[12:13] offset0:2 offset1:3
	ds_write2_b64 v67, v[6:7], v[8:9] offset0:4 offset1:5
	;; [unrolled: 1-line block ×3, first 2 shown]
	; wave barrier
	ds_read2st64_b64 v[30:33], v66 offset1:1
	ds_read2st64_b64 v[26:29], v66 offset0:2 offset1:3
	ds_read2st64_b64 v[22:25], v66 offset0:4 offset1:5
	;; [unrolled: 1-line block ×3, first 2 shown]
	s_waitcnt lgkmcnt(0)
	s_barrier
	s_load_dword s26, s[4:5], 0x0
	s_load_dword s27, s[24:25], 0xc
	v_mov_b32_e32 v80, 3
	s_waitcnt lgkmcnt(0)
	s_min_u32 s26, s26, 8
	s_lshr_b32 s4, s27, 16
	s_and_b32 s5, s27, 0xffff
	v_mad_u32_u24 v0, v64, s4, v63
	v_mad_u64_u32 v[40:41], s[4:5], v0, s5, v[34:35]
	s_lshl_b32 s4, -1, s26
	s_not_b32 s26, s4
	v_lshrrev_b32_e32 v84, 6, v40
	v_and_b32_e32 v40, s26, v70
	v_lshlrev_b32_sdwa v1, v80, v40 dst_sel:DWORD dst_unused:UNUSED_PAD src0_sel:DWORD src1_sel:BYTE_0
	v_add_lshl_u32 v78, v84, v1, 2
	v_and_b32_e32 v1, 1, v40
	v_add_co_u32_e32 v41, vcc, -1, v1
	v_addc_co_u32_e64 v79, s[4:5], 0, -1, vcc
	v_cmp_ne_u32_e32 vcc, 0, v1
	v_xor_b32_e32 v1, vcc_hi, v79
	v_mov_b32_e32 v0, 0
	v_and_b32_e32 v79, exec_hi, v1
	v_lshlrev_b32_e32 v1, 30, v40
	v_xor_b32_e32 v41, vcc_lo, v41
	v_cmp_gt_i64_e32 vcc, 0, v[0:1]
	v_not_b32_e32 v1, v1
	v_ashrrev_i32_e32 v1, 31, v1
	v_and_b32_e32 v41, exec_lo, v41
	v_xor_b32_e32 v81, vcc_hi, v1
	v_xor_b32_e32 v1, vcc_lo, v1
	v_and_b32_e32 v41, v41, v1
	v_lshlrev_b32_e32 v1, 29, v40
	v_cmp_gt_i64_e32 vcc, 0, v[0:1]
	v_not_b32_e32 v1, v1
	v_ashrrev_i32_e32 v1, 31, v1
	v_and_b32_e32 v79, v79, v81
	v_xor_b32_e32 v81, vcc_hi, v1
	v_xor_b32_e32 v1, vcc_lo, v1
	v_and_b32_e32 v41, v41, v1
	v_lshlrev_b32_e32 v1, 28, v40
	v_cmp_gt_i64_e32 vcc, 0, v[0:1]
	v_not_b32_e32 v1, v1
	v_ashrrev_i32_e32 v1, 31, v1
	v_and_b32_e32 v79, v79, v81
	;; [unrolled: 8-line block ×5, first 2 shown]
	v_xor_b32_e32 v81, vcc_hi, v1
	v_xor_b32_e32 v1, vcc_lo, v1
	v_and_b32_e32 v79, v79, v81
	v_and_b32_e32 v81, v41, v1
	v_lshlrev_b32_e32 v1, 24, v40
	v_cmp_gt_i64_e32 vcc, 0, v[0:1]
	v_not_b32_e32 v1, v1
	v_ashrrev_i32_e32 v1, 31, v1
	v_xor_b32_e32 v40, vcc_hi, v1
	v_xor_b32_e32 v1, vcc_lo, v1
	v_and_b32_e32 v41, v79, v40
	v_and_b32_e32 v40, v81, v1
	v_mbcnt_lo_u32_b32 v1, v40, 0
	v_mbcnt_hi_u32_b32 v79, v41, v1
	v_cmp_eq_u32_e32 vcc, 0, v79
	v_cmp_ne_u64_e64 s[4:5], 0, v[40:41]
	s_and_b64 s[30:31], s[4:5], vcc
	ds_write2_b32 v60, v0, v0 offset0:8 offset1:9
	ds_write2_b32 v60, v0, v0 offset0:10 offset1:11
	s_waitcnt lgkmcnt(0)
	s_barrier
	s_waitcnt lgkmcnt(0)
	; wave barrier
	s_and_saveexec_b64 s[4:5], s[30:31]
	s_cbranch_execz .LBB115_46
; %bb.45:
	v_bcnt_u32_b32 v1, v40, 0
	v_bcnt_u32_b32 v1, v41, v1
	ds_write_b32 v78, v1 offset:32
.LBB115_46:
	s_or_b64 exec, exec, s[4:5]
	v_and_b32_e32 v40, s26, v71
	v_lshlrev_b32_sdwa v1, v80, v40 dst_sel:DWORD dst_unused:UNUSED_PAD src0_sel:DWORD src1_sel:BYTE_0
	v_add_lshl_u32 v81, v84, v1, 2
	v_and_b32_e32 v1, 1, v40
	v_add_co_u32_e32 v41, vcc, -1, v1
	v_addc_co_u32_e64 v82, s[4:5], 0, -1, vcc
	v_cmp_ne_u32_e32 vcc, 0, v1
	v_xor_b32_e32 v1, vcc_hi, v82
	v_and_b32_e32 v82, exec_hi, v1
	v_lshlrev_b32_e32 v1, 30, v40
	v_xor_b32_e32 v41, vcc_lo, v41
	v_cmp_gt_i64_e32 vcc, 0, v[0:1]
	v_not_b32_e32 v1, v1
	v_ashrrev_i32_e32 v1, 31, v1
	v_and_b32_e32 v41, exec_lo, v41
	v_xor_b32_e32 v83, vcc_hi, v1
	v_xor_b32_e32 v1, vcc_lo, v1
	v_and_b32_e32 v41, v41, v1
	v_lshlrev_b32_e32 v1, 29, v40
	v_cmp_gt_i64_e32 vcc, 0, v[0:1]
	v_not_b32_e32 v1, v1
	v_ashrrev_i32_e32 v1, 31, v1
	v_and_b32_e32 v82, v82, v83
	v_xor_b32_e32 v83, vcc_hi, v1
	v_xor_b32_e32 v1, vcc_lo, v1
	v_and_b32_e32 v41, v41, v1
	v_lshlrev_b32_e32 v1, 28, v40
	v_cmp_gt_i64_e32 vcc, 0, v[0:1]
	v_not_b32_e32 v1, v1
	v_ashrrev_i32_e32 v1, 31, v1
	v_and_b32_e32 v82, v82, v83
	;; [unrolled: 8-line block ×5, first 2 shown]
	v_xor_b32_e32 v83, vcc_hi, v1
	v_xor_b32_e32 v1, vcc_lo, v1
	v_and_b32_e32 v41, v41, v1
	v_lshlrev_b32_e32 v1, 24, v40
	v_cmp_gt_i64_e32 vcc, 0, v[0:1]
	v_not_b32_e32 v0, v1
	v_ashrrev_i32_e32 v0, 31, v0
	v_xor_b32_e32 v1, vcc_hi, v0
	v_xor_b32_e32 v0, vcc_lo, v0
	; wave barrier
	ds_read_b32 v80, v81 offset:32
	v_and_b32_e32 v82, v82, v83
	v_and_b32_e32 v0, v41, v0
	;; [unrolled: 1-line block ×3, first 2 shown]
	v_mbcnt_lo_u32_b32 v40, v0, 0
	v_mbcnt_hi_u32_b32 v82, v1, v40
	v_cmp_eq_u32_e32 vcc, 0, v82
	v_cmp_ne_u64_e64 s[4:5], 0, v[0:1]
	s_and_b64 s[30:31], s[4:5], vcc
	; wave barrier
	s_and_saveexec_b64 s[4:5], s[30:31]
	s_cbranch_execz .LBB115_48
; %bb.47:
	v_bcnt_u32_b32 v0, v0, 0
	v_bcnt_u32_b32 v0, v1, v0
	s_waitcnt lgkmcnt(0)
	v_add_u32_e32 v0, v80, v0
	ds_write_b32 v81, v0 offset:32
.LBB115_48:
	s_or_b64 exec, exec, s[4:5]
	v_and_b32_e32 v40, s26, v72
	v_and_b32_e32 v1, 1, v40
	v_add_co_u32_e32 v41, vcc, -1, v1
	v_mov_b32_e32 v87, 3
	v_addc_co_u32_e64 v86, s[4:5], 0, -1, vcc
	v_cmp_ne_u32_e32 vcc, 0, v1
	v_lshlrev_b32_sdwa v0, v87, v40 dst_sel:DWORD dst_unused:UNUSED_PAD src0_sel:DWORD src1_sel:BYTE_0
	v_xor_b32_e32 v1, vcc_hi, v86
	v_add_lshl_u32 v85, v84, v0, 2
	v_mov_b32_e32 v0, 0
	v_and_b32_e32 v86, exec_hi, v1
	v_lshlrev_b32_e32 v1, 30, v40
	v_xor_b32_e32 v41, vcc_lo, v41
	v_cmp_gt_i64_e32 vcc, 0, v[0:1]
	v_not_b32_e32 v1, v1
	v_ashrrev_i32_e32 v1, 31, v1
	v_and_b32_e32 v41, exec_lo, v41
	v_xor_b32_e32 v88, vcc_hi, v1
	v_xor_b32_e32 v1, vcc_lo, v1
	v_and_b32_e32 v41, v41, v1
	v_lshlrev_b32_e32 v1, 29, v40
	v_cmp_gt_i64_e32 vcc, 0, v[0:1]
	v_not_b32_e32 v1, v1
	v_ashrrev_i32_e32 v1, 31, v1
	v_and_b32_e32 v86, v86, v88
	v_xor_b32_e32 v88, vcc_hi, v1
	v_xor_b32_e32 v1, vcc_lo, v1
	v_and_b32_e32 v41, v41, v1
	v_lshlrev_b32_e32 v1, 28, v40
	v_cmp_gt_i64_e32 vcc, 0, v[0:1]
	v_not_b32_e32 v1, v1
	v_ashrrev_i32_e32 v1, 31, v1
	v_and_b32_e32 v86, v86, v88
	;; [unrolled: 8-line block ×5, first 2 shown]
	v_xor_b32_e32 v88, vcc_hi, v1
	v_xor_b32_e32 v1, vcc_lo, v1
	v_and_b32_e32 v86, v86, v88
	v_and_b32_e32 v88, v41, v1
	v_lshlrev_b32_e32 v1, 24, v40
	v_cmp_gt_i64_e32 vcc, 0, v[0:1]
	v_not_b32_e32 v1, v1
	v_ashrrev_i32_e32 v1, 31, v1
	v_xor_b32_e32 v40, vcc_hi, v1
	v_xor_b32_e32 v1, vcc_lo, v1
	; wave barrier
	ds_read_b32 v83, v85 offset:32
	v_and_b32_e32 v41, v86, v40
	v_and_b32_e32 v40, v88, v1
	v_mbcnt_lo_u32_b32 v1, v40, 0
	v_mbcnt_hi_u32_b32 v86, v41, v1
	v_cmp_eq_u32_e32 vcc, 0, v86
	v_cmp_ne_u64_e64 s[4:5], 0, v[40:41]
	s_and_b64 s[30:31], s[4:5], vcc
	; wave barrier
	s_and_saveexec_b64 s[4:5], s[30:31]
	s_cbranch_execz .LBB115_50
; %bb.49:
	v_bcnt_u32_b32 v1, v40, 0
	v_bcnt_u32_b32 v1, v41, v1
	s_waitcnt lgkmcnt(0)
	v_add_u32_e32 v1, v83, v1
	ds_write_b32 v85, v1 offset:32
.LBB115_50:
	s_or_b64 exec, exec, s[4:5]
	v_and_b32_e32 v40, s26, v73
	v_lshlrev_b32_sdwa v1, v87, v40 dst_sel:DWORD dst_unused:UNUSED_PAD src0_sel:DWORD src1_sel:BYTE_0
	v_add_lshl_u32 v88, v84, v1, 2
	v_and_b32_e32 v1, 1, v40
	v_add_co_u32_e32 v41, vcc, -1, v1
	v_addc_co_u32_e64 v89, s[4:5], 0, -1, vcc
	v_cmp_ne_u32_e32 vcc, 0, v1
	v_xor_b32_e32 v1, vcc_hi, v89
	v_and_b32_e32 v89, exec_hi, v1
	v_lshlrev_b32_e32 v1, 30, v40
	v_xor_b32_e32 v41, vcc_lo, v41
	v_cmp_gt_i64_e32 vcc, 0, v[0:1]
	v_not_b32_e32 v1, v1
	v_ashrrev_i32_e32 v1, 31, v1
	v_and_b32_e32 v41, exec_lo, v41
	v_xor_b32_e32 v90, vcc_hi, v1
	v_xor_b32_e32 v1, vcc_lo, v1
	v_and_b32_e32 v41, v41, v1
	v_lshlrev_b32_e32 v1, 29, v40
	v_cmp_gt_i64_e32 vcc, 0, v[0:1]
	v_not_b32_e32 v1, v1
	v_ashrrev_i32_e32 v1, 31, v1
	v_and_b32_e32 v89, v89, v90
	v_xor_b32_e32 v90, vcc_hi, v1
	v_xor_b32_e32 v1, vcc_lo, v1
	v_and_b32_e32 v41, v41, v1
	v_lshlrev_b32_e32 v1, 28, v40
	v_cmp_gt_i64_e32 vcc, 0, v[0:1]
	v_not_b32_e32 v1, v1
	v_ashrrev_i32_e32 v1, 31, v1
	v_and_b32_e32 v89, v89, v90
	;; [unrolled: 8-line block ×5, first 2 shown]
	v_xor_b32_e32 v90, vcc_hi, v1
	v_xor_b32_e32 v1, vcc_lo, v1
	v_and_b32_e32 v41, v41, v1
	v_lshlrev_b32_e32 v1, 24, v40
	v_cmp_gt_i64_e32 vcc, 0, v[0:1]
	v_not_b32_e32 v0, v1
	v_ashrrev_i32_e32 v0, 31, v0
	v_xor_b32_e32 v1, vcc_hi, v0
	v_xor_b32_e32 v0, vcc_lo, v0
	; wave barrier
	ds_read_b32 v87, v88 offset:32
	v_and_b32_e32 v89, v89, v90
	v_and_b32_e32 v0, v41, v0
	;; [unrolled: 1-line block ×3, first 2 shown]
	v_mbcnt_lo_u32_b32 v40, v0, 0
	v_mbcnt_hi_u32_b32 v89, v1, v40
	v_cmp_eq_u32_e32 vcc, 0, v89
	v_cmp_ne_u64_e64 s[4:5], 0, v[0:1]
	s_and_b64 s[30:31], s[4:5], vcc
	; wave barrier
	s_and_saveexec_b64 s[4:5], s[30:31]
	s_cbranch_execz .LBB115_52
; %bb.51:
	v_bcnt_u32_b32 v0, v0, 0
	v_bcnt_u32_b32 v0, v1, v0
	s_waitcnt lgkmcnt(0)
	v_add_u32_e32 v0, v87, v0
	ds_write_b32 v88, v0 offset:32
.LBB115_52:
	s_or_b64 exec, exec, s[4:5]
	v_and_b32_e32 v40, s26, v74
	v_and_b32_e32 v1, 1, v40
	v_add_co_u32_e32 v41, vcc, -1, v1
	v_mov_b32_e32 v93, 3
	v_addc_co_u32_e64 v92, s[4:5], 0, -1, vcc
	v_cmp_ne_u32_e32 vcc, 0, v1
	v_lshlrev_b32_sdwa v0, v93, v40 dst_sel:DWORD dst_unused:UNUSED_PAD src0_sel:DWORD src1_sel:BYTE_0
	v_xor_b32_e32 v1, vcc_hi, v92
	v_add_lshl_u32 v91, v84, v0, 2
	v_mov_b32_e32 v0, 0
	v_and_b32_e32 v92, exec_hi, v1
	v_lshlrev_b32_e32 v1, 30, v40
	v_xor_b32_e32 v41, vcc_lo, v41
	v_cmp_gt_i64_e32 vcc, 0, v[0:1]
	v_not_b32_e32 v1, v1
	v_ashrrev_i32_e32 v1, 31, v1
	v_and_b32_e32 v41, exec_lo, v41
	v_xor_b32_e32 v94, vcc_hi, v1
	v_xor_b32_e32 v1, vcc_lo, v1
	v_and_b32_e32 v41, v41, v1
	v_lshlrev_b32_e32 v1, 29, v40
	v_cmp_gt_i64_e32 vcc, 0, v[0:1]
	v_not_b32_e32 v1, v1
	v_ashrrev_i32_e32 v1, 31, v1
	v_and_b32_e32 v92, v92, v94
	v_xor_b32_e32 v94, vcc_hi, v1
	v_xor_b32_e32 v1, vcc_lo, v1
	v_and_b32_e32 v41, v41, v1
	v_lshlrev_b32_e32 v1, 28, v40
	v_cmp_gt_i64_e32 vcc, 0, v[0:1]
	v_not_b32_e32 v1, v1
	v_ashrrev_i32_e32 v1, 31, v1
	v_and_b32_e32 v92, v92, v94
	;; [unrolled: 8-line block ×5, first 2 shown]
	v_xor_b32_e32 v94, vcc_hi, v1
	v_xor_b32_e32 v1, vcc_lo, v1
	v_and_b32_e32 v92, v92, v94
	v_and_b32_e32 v94, v41, v1
	v_lshlrev_b32_e32 v1, 24, v40
	v_cmp_gt_i64_e32 vcc, 0, v[0:1]
	v_not_b32_e32 v1, v1
	v_ashrrev_i32_e32 v1, 31, v1
	v_xor_b32_e32 v40, vcc_hi, v1
	v_xor_b32_e32 v1, vcc_lo, v1
	; wave barrier
	ds_read_b32 v90, v91 offset:32
	v_and_b32_e32 v41, v92, v40
	v_and_b32_e32 v40, v94, v1
	v_mbcnt_lo_u32_b32 v1, v40, 0
	v_mbcnt_hi_u32_b32 v92, v41, v1
	v_cmp_eq_u32_e32 vcc, 0, v92
	v_cmp_ne_u64_e64 s[4:5], 0, v[40:41]
	s_and_b64 s[30:31], s[4:5], vcc
	; wave barrier
	s_and_saveexec_b64 s[4:5], s[30:31]
	s_cbranch_execz .LBB115_54
; %bb.53:
	v_bcnt_u32_b32 v1, v40, 0
	v_bcnt_u32_b32 v1, v41, v1
	s_waitcnt lgkmcnt(0)
	v_add_u32_e32 v1, v90, v1
	ds_write_b32 v91, v1 offset:32
.LBB115_54:
	s_or_b64 exec, exec, s[4:5]
	v_and_b32_e32 v40, s26, v75
	v_lshlrev_b32_sdwa v1, v93, v40 dst_sel:DWORD dst_unused:UNUSED_PAD src0_sel:DWORD src1_sel:BYTE_0
	v_add_lshl_u32 v94, v84, v1, 2
	v_and_b32_e32 v1, 1, v40
	v_add_co_u32_e32 v41, vcc, -1, v1
	v_addc_co_u32_e64 v95, s[4:5], 0, -1, vcc
	v_cmp_ne_u32_e32 vcc, 0, v1
	v_xor_b32_e32 v1, vcc_hi, v95
	v_and_b32_e32 v95, exec_hi, v1
	v_lshlrev_b32_e32 v1, 30, v40
	v_xor_b32_e32 v41, vcc_lo, v41
	v_cmp_gt_i64_e32 vcc, 0, v[0:1]
	v_not_b32_e32 v1, v1
	v_ashrrev_i32_e32 v1, 31, v1
	v_and_b32_e32 v41, exec_lo, v41
	v_xor_b32_e32 v96, vcc_hi, v1
	v_xor_b32_e32 v1, vcc_lo, v1
	v_and_b32_e32 v41, v41, v1
	v_lshlrev_b32_e32 v1, 29, v40
	v_cmp_gt_i64_e32 vcc, 0, v[0:1]
	v_not_b32_e32 v1, v1
	v_ashrrev_i32_e32 v1, 31, v1
	v_and_b32_e32 v95, v95, v96
	v_xor_b32_e32 v96, vcc_hi, v1
	v_xor_b32_e32 v1, vcc_lo, v1
	v_and_b32_e32 v41, v41, v1
	v_lshlrev_b32_e32 v1, 28, v40
	v_cmp_gt_i64_e32 vcc, 0, v[0:1]
	v_not_b32_e32 v1, v1
	v_ashrrev_i32_e32 v1, 31, v1
	v_and_b32_e32 v95, v95, v96
	;; [unrolled: 8-line block ×5, first 2 shown]
	v_xor_b32_e32 v96, vcc_hi, v1
	v_xor_b32_e32 v1, vcc_lo, v1
	v_and_b32_e32 v41, v41, v1
	v_lshlrev_b32_e32 v1, 24, v40
	v_cmp_gt_i64_e32 vcc, 0, v[0:1]
	v_not_b32_e32 v0, v1
	v_ashrrev_i32_e32 v0, 31, v0
	v_xor_b32_e32 v1, vcc_hi, v0
	v_xor_b32_e32 v0, vcc_lo, v0
	; wave barrier
	ds_read_b32 v93, v94 offset:32
	v_and_b32_e32 v95, v95, v96
	v_and_b32_e32 v0, v41, v0
	;; [unrolled: 1-line block ×3, first 2 shown]
	v_mbcnt_lo_u32_b32 v40, v0, 0
	v_mbcnt_hi_u32_b32 v95, v1, v40
	v_cmp_eq_u32_e32 vcc, 0, v95
	v_cmp_ne_u64_e64 s[4:5], 0, v[0:1]
	s_and_b64 s[30:31], s[4:5], vcc
	; wave barrier
	s_and_saveexec_b64 s[4:5], s[30:31]
	s_cbranch_execz .LBB115_56
; %bb.55:
	v_bcnt_u32_b32 v0, v0, 0
	v_bcnt_u32_b32 v0, v1, v0
	s_waitcnt lgkmcnt(0)
	v_add_u32_e32 v0, v93, v0
	ds_write_b32 v94, v0 offset:32
.LBB115_56:
	s_or_b64 exec, exec, s[4:5]
	v_and_b32_e32 v40, s26, v76
	v_and_b32_e32 v1, 1, v40
	v_add_co_u32_e32 v41, vcc, -1, v1
	v_mov_b32_e32 v99, 3
	v_addc_co_u32_e64 v98, s[4:5], 0, -1, vcc
	v_cmp_ne_u32_e32 vcc, 0, v1
	v_lshlrev_b32_sdwa v0, v99, v40 dst_sel:DWORD dst_unused:UNUSED_PAD src0_sel:DWORD src1_sel:BYTE_0
	v_xor_b32_e32 v1, vcc_hi, v98
	v_add_lshl_u32 v97, v84, v0, 2
	v_mov_b32_e32 v0, 0
	v_and_b32_e32 v98, exec_hi, v1
	v_lshlrev_b32_e32 v1, 30, v40
	v_xor_b32_e32 v41, vcc_lo, v41
	v_cmp_gt_i64_e32 vcc, 0, v[0:1]
	v_not_b32_e32 v1, v1
	v_ashrrev_i32_e32 v1, 31, v1
	v_and_b32_e32 v41, exec_lo, v41
	v_xor_b32_e32 v100, vcc_hi, v1
	v_xor_b32_e32 v1, vcc_lo, v1
	v_and_b32_e32 v41, v41, v1
	v_lshlrev_b32_e32 v1, 29, v40
	v_cmp_gt_i64_e32 vcc, 0, v[0:1]
	v_not_b32_e32 v1, v1
	v_ashrrev_i32_e32 v1, 31, v1
	v_and_b32_e32 v98, v98, v100
	v_xor_b32_e32 v100, vcc_hi, v1
	v_xor_b32_e32 v1, vcc_lo, v1
	v_and_b32_e32 v41, v41, v1
	v_lshlrev_b32_e32 v1, 28, v40
	v_cmp_gt_i64_e32 vcc, 0, v[0:1]
	v_not_b32_e32 v1, v1
	v_ashrrev_i32_e32 v1, 31, v1
	v_and_b32_e32 v98, v98, v100
	;; [unrolled: 8-line block ×5, first 2 shown]
	v_xor_b32_e32 v100, vcc_hi, v1
	v_xor_b32_e32 v1, vcc_lo, v1
	v_and_b32_e32 v98, v98, v100
	v_and_b32_e32 v100, v41, v1
	v_lshlrev_b32_e32 v1, 24, v40
	v_cmp_gt_i64_e32 vcc, 0, v[0:1]
	v_not_b32_e32 v1, v1
	v_ashrrev_i32_e32 v1, 31, v1
	v_xor_b32_e32 v40, vcc_hi, v1
	v_xor_b32_e32 v1, vcc_lo, v1
	; wave barrier
	ds_read_b32 v96, v97 offset:32
	v_and_b32_e32 v41, v98, v40
	v_and_b32_e32 v40, v100, v1
	v_mbcnt_lo_u32_b32 v1, v40, 0
	v_mbcnt_hi_u32_b32 v98, v41, v1
	v_cmp_eq_u32_e32 vcc, 0, v98
	v_cmp_ne_u64_e64 s[4:5], 0, v[40:41]
	s_and_b64 s[30:31], s[4:5], vcc
	; wave barrier
	s_and_saveexec_b64 s[4:5], s[30:31]
	s_cbranch_execz .LBB115_58
; %bb.57:
	v_bcnt_u32_b32 v1, v40, 0
	v_bcnt_u32_b32 v1, v41, v1
	s_waitcnt lgkmcnt(0)
	v_add_u32_e32 v1, v96, v1
	ds_write_b32 v97, v1 offset:32
.LBB115_58:
	s_or_b64 exec, exec, s[4:5]
	v_and_b32_e32 v40, s26, v77
	v_lshlrev_b32_sdwa v1, v99, v40 dst_sel:DWORD dst_unused:UNUSED_PAD src0_sel:DWORD src1_sel:BYTE_0
	v_add_lshl_u32 v99, v84, v1, 2
	v_and_b32_e32 v1, 1, v40
	v_add_co_u32_e32 v41, vcc, -1, v1
	v_addc_co_u32_e64 v101, s[4:5], 0, -1, vcc
	v_cmp_ne_u32_e32 vcc, 0, v1
	v_xor_b32_e32 v1, vcc_hi, v101
	v_and_b32_e32 v101, exec_hi, v1
	v_lshlrev_b32_e32 v1, 30, v40
	v_xor_b32_e32 v41, vcc_lo, v41
	v_cmp_gt_i64_e32 vcc, 0, v[0:1]
	v_not_b32_e32 v1, v1
	v_ashrrev_i32_e32 v1, 31, v1
	v_and_b32_e32 v41, exec_lo, v41
	v_xor_b32_e32 v102, vcc_hi, v1
	v_xor_b32_e32 v1, vcc_lo, v1
	v_and_b32_e32 v41, v41, v1
	v_lshlrev_b32_e32 v1, 29, v40
	v_cmp_gt_i64_e32 vcc, 0, v[0:1]
	v_not_b32_e32 v1, v1
	v_ashrrev_i32_e32 v1, 31, v1
	v_and_b32_e32 v101, v101, v102
	v_xor_b32_e32 v102, vcc_hi, v1
	v_xor_b32_e32 v1, vcc_lo, v1
	v_and_b32_e32 v41, v41, v1
	v_lshlrev_b32_e32 v1, 28, v40
	v_cmp_gt_i64_e32 vcc, 0, v[0:1]
	v_not_b32_e32 v1, v1
	v_ashrrev_i32_e32 v1, 31, v1
	v_and_b32_e32 v101, v101, v102
	;; [unrolled: 8-line block ×5, first 2 shown]
	v_xor_b32_e32 v102, vcc_hi, v1
	v_xor_b32_e32 v1, vcc_lo, v1
	v_and_b32_e32 v41, v41, v1
	v_lshlrev_b32_e32 v1, 24, v40
	v_cmp_gt_i64_e32 vcc, 0, v[0:1]
	v_not_b32_e32 v0, v1
	v_ashrrev_i32_e32 v0, 31, v0
	v_xor_b32_e32 v1, vcc_hi, v0
	v_xor_b32_e32 v0, vcc_lo, v0
	; wave barrier
	ds_read_b32 v84, v99 offset:32
	v_and_b32_e32 v101, v101, v102
	v_and_b32_e32 v0, v41, v0
	;; [unrolled: 1-line block ×3, first 2 shown]
	v_mbcnt_lo_u32_b32 v40, v0, 0
	v_mbcnt_hi_u32_b32 v101, v1, v40
	v_cmp_eq_u32_e32 vcc, 0, v101
	v_cmp_ne_u64_e64 s[4:5], 0, v[0:1]
	v_add_u32_e32 v100, 32, v60
	s_and_b64 s[26:27], s[4:5], vcc
	; wave barrier
	s_and_saveexec_b64 s[4:5], s[26:27]
	s_cbranch_execz .LBB115_60
; %bb.59:
	v_bcnt_u32_b32 v0, v0, 0
	v_bcnt_u32_b32 v0, v1, v0
	s_waitcnt lgkmcnt(0)
	v_add_u32_e32 v0, v84, v0
	ds_write_b32 v99, v0 offset:32
.LBB115_60:
	s_or_b64 exec, exec, s[4:5]
	; wave barrier
	s_waitcnt lgkmcnt(0)
	s_barrier
	ds_read2_b32 v[0:1], v60 offset0:8 offset1:9
	ds_read2_b32 v[40:41], v100 offset0:2 offset1:3
	s_waitcnt lgkmcnt(1)
	v_add_u32_e32 v102, v1, v0
	s_waitcnt lgkmcnt(0)
	v_add3_u32 v41, v102, v40, v41
	v_and_b32_e32 v102, 15, v59
	v_cmp_ne_u32_e32 vcc, 0, v102
	v_mov_b32_dpp v103, v41 row_shr:1 row_mask:0xf bank_mask:0xf
	v_cndmask_b32_e32 v103, 0, v103, vcc
	v_add_u32_e32 v41, v103, v41
	v_cmp_lt_u32_e32 vcc, 1, v102
	s_nop 0
	v_mov_b32_dpp v103, v41 row_shr:2 row_mask:0xf bank_mask:0xf
	v_cndmask_b32_e32 v103, 0, v103, vcc
	v_add_u32_e32 v41, v41, v103
	v_cmp_lt_u32_e32 vcc, 3, v102
	s_nop 0
	;; [unrolled: 5-line block ×3, first 2 shown]
	v_mov_b32_dpp v103, v41 row_shr:8 row_mask:0xf bank_mask:0xf
	v_cndmask_b32_e32 v102, 0, v103, vcc
	v_add_u32_e32 v41, v41, v102
	v_bfe_i32 v103, v59, 4, 1
	v_cmp_lt_u32_e32 vcc, 31, v59
	v_mov_b32_dpp v102, v41 row_bcast:15 row_mask:0xf bank_mask:0xf
	v_and_b32_e32 v102, v103, v102
	v_add_u32_e32 v41, v41, v102
	v_min_u32_e32 v103, 0x1c0, v61
	v_or_b32_e32 v103, 63, v103
	v_mov_b32_dpp v102, v41 row_bcast:31 row_mask:0xf bank_mask:0xf
	v_cndmask_b32_e32 v102, 0, v102, vcc
	v_add_u32_e32 v41, v41, v102
	v_lshrrev_b32_e32 v102, 6, v34
	v_cmp_eq_u32_e32 vcc, v103, v34
	s_and_saveexec_b64 s[4:5], vcc
	s_cbranch_execz .LBB115_62
; %bb.61:
	v_lshlrev_b32_e32 v103, 2, v102
	ds_write_b32 v103, v41
.LBB115_62:
	s_or_b64 exec, exec, s[4:5]
	v_cmp_gt_u32_e32 vcc, 8, v34
	s_waitcnt lgkmcnt(0)
	s_barrier
	s_and_saveexec_b64 s[4:5], vcc
	s_cbranch_execz .LBB115_64
; %bb.63:
	v_lshlrev_b32_e32 v103, 2, v34
	ds_read_b32 v104, v103
	v_and_b32_e32 v105, 7, v59
	v_cmp_ne_u32_e32 vcc, 0, v105
	s_waitcnt lgkmcnt(0)
	v_mov_b32_dpp v106, v104 row_shr:1 row_mask:0xf bank_mask:0xf
	v_cndmask_b32_e32 v106, 0, v106, vcc
	v_add_u32_e32 v104, v106, v104
	v_cmp_lt_u32_e32 vcc, 1, v105
	s_nop 0
	v_mov_b32_dpp v106, v104 row_shr:2 row_mask:0xf bank_mask:0xf
	v_cndmask_b32_e32 v106, 0, v106, vcc
	v_add_u32_e32 v104, v104, v106
	v_cmp_lt_u32_e32 vcc, 3, v105
	s_nop 0
	v_mov_b32_dpp v106, v104 row_shr:4 row_mask:0xf bank_mask:0xf
	v_cndmask_b32_e32 v105, 0, v106, vcc
	v_add_u32_e32 v104, v104, v105
	ds_write_b32 v103, v104
.LBB115_64:
	s_or_b64 exec, exec, s[4:5]
	v_cmp_lt_u32_e32 vcc, 63, v34
	v_mov_b32_e32 v103, 0
	s_waitcnt lgkmcnt(0)
	s_barrier
	s_and_saveexec_b64 s[4:5], vcc
	s_cbranch_execz .LBB115_66
; %bb.65:
	v_lshl_add_u32 v102, v102, 2, -4
	ds_read_b32 v103, v102
.LBB115_66:
	s_or_b64 exec, exec, s[4:5]
	v_add_u32_e32 v102, -1, v59
	v_and_b32_e32 v104, 64, v59
	v_cmp_lt_i32_e32 vcc, v102, v104
	v_cndmask_b32_e32 v102, v102, v59, vcc
	s_waitcnt lgkmcnt(0)
	v_add_u32_e32 v41, v103, v41
	v_lshlrev_b32_e32 v102, 2, v102
	ds_bpermute_b32 v41, v102, v41
	v_cmp_eq_u32_e32 vcc, 0, v59
	s_movk_i32 s4, 0x80
	s_waitcnt lgkmcnt(0)
	v_cndmask_b32_e32 v41, v41, v103, vcc
	v_cmp_ne_u32_e32 vcc, 0, v34
	v_cndmask_b32_e32 v41, 0, v41, vcc
	v_add_u32_e32 v0, v41, v0
	v_add_u32_e32 v1, v0, v1
	;; [unrolled: 1-line block ×3, first 2 shown]
	ds_write2_b32 v60, v41, v0 offset0:8 offset1:9
	ds_write2_b32 v100, v1, v40 offset0:2 offset1:3
	s_waitcnt lgkmcnt(0)
	s_barrier
	ds_read_b32 v0, v78 offset:32
	ds_read_b32 v1, v81 offset:32
	;; [unrolled: 1-line block ×8, first 2 shown]
	s_waitcnt lgkmcnt(7)
	v_add_u32_e32 v79, v0, v79
	s_waitcnt lgkmcnt(6)
	v_add3_u32 v80, v82, v80, v1
	s_waitcnt lgkmcnt(5)
	v_add3_u32 v40, v86, v83, v40
	;; [unrolled: 2-line block ×7, first 2 shown]
	s_barrier
	ds_write_b8 v79, v70
	ds_write_b8 v80, v71
	;; [unrolled: 1-line block ×8, first 2 shown]
	v_lshlrev_b32_e32 v72, 3, v79
	s_waitcnt lgkmcnt(0)
	s_barrier
	ds_read_b64 v[0:1], v50
	s_waitcnt lgkmcnt(0)
	s_barrier
	ds_write_b64 v72, v[30:31]
	v_lshlrev_b32_e32 v30, 3, v80
	ds_write_b64 v30, v[32:33]
	v_lshlrev_b32_e32 v30, 3, v40
	ds_write_b64 v30, v[26:27]
	v_lshlrev_b32_e32 v26, 3, v41
	ds_write_b64 v26, v[28:29]
	v_lshlrev_b32_e32 v26, 3, v78
	ds_write_b64 v26, v[22:23]
	v_lshlrev_b32_e32 v22, 3, v81
	ds_write_b64 v22, v[24:25]
	v_lshlrev_b32_e32 v22, 3, v82
	ds_write_b64 v22, v[18:19]
	v_lshlrev_b32_e32 v18, 3, v83
	v_lshlrev_b32_e32 v30, 3, v50
	ds_write_b64 v18, v[20:21]
	s_waitcnt lgkmcnt(0)
	s_barrier
	ds_read2_b64 v[18:21], v30 offset1:1
	ds_read2_b64 v[22:25], v30 offset0:2 offset1:3
	ds_read2_b64 v[26:29], v30 offset0:4 offset1:5
	;; [unrolled: 1-line block ×3, first 2 shown]
	v_lshrrev_b32_e32 v70, 8, v0
	v_lshrrev_b32_e32 v71, 8, v1
	v_xor_b32_e32 v40, 0x80, v0
	v_xor_b32_sdwa v41, v70, s4 dst_sel:BYTE_1 dst_unused:UNUSED_PAD src0_sel:DWORD src1_sel:DWORD
	v_xor_b32_sdwa v70, v0, s4 dst_sel:DWORD dst_unused:UNUSED_PAD src0_sel:WORD_1 src1_sel:DWORD
	v_xor_b32_sdwa v0, v0, s4 dst_sel:BYTE_1 dst_unused:UNUSED_PAD src0_sel:BYTE_3 src1_sel:DWORD
	v_xor_b32_e32 v72, 0x80, v1
	v_xor_b32_sdwa v71, v71, s4 dst_sel:BYTE_1 dst_unused:UNUSED_PAD src0_sel:DWORD src1_sel:DWORD
	v_xor_b32_sdwa v73, v1, s4 dst_sel:DWORD dst_unused:UNUSED_PAD src0_sel:WORD_1 src1_sel:DWORD
	v_xor_b32_sdwa v1, v1, s4 dst_sel:BYTE_1 dst_unused:UNUSED_PAD src0_sel:BYTE_3 src1_sel:DWORD
	v_or_b32_sdwa v40, v40, v41 dst_sel:DWORD dst_unused:UNUSED_PAD src0_sel:BYTE_0 src1_sel:DWORD
	v_or_b32_sdwa v0, v70, v0 dst_sel:WORD_1 dst_unused:UNUSED_PAD src0_sel:BYTE_0 src1_sel:DWORD
	v_or_b32_sdwa v0, v40, v0 dst_sel:DWORD dst_unused:UNUSED_PAD src0_sel:WORD_0 src1_sel:DWORD
	v_or_b32_sdwa v40, v72, v71 dst_sel:DWORD dst_unused:UNUSED_PAD src0_sel:BYTE_0 src1_sel:DWORD
	v_or_b32_sdwa v1, v73, v1 dst_sel:WORD_1 dst_unused:UNUSED_PAD src0_sel:BYTE_0 src1_sel:DWORD
	v_or_b32_sdwa v1, v40, v1 dst_sel:DWORD dst_unused:UNUSED_PAD src0_sel:WORD_0 src1_sel:DWORD
	s_branch .LBB115_98
.LBB115_67:
	v_mad_u64_u32 v[2:3], s[30:31], v34, s20, 0
	v_mov_b32_e32 v4, v3
	v_mad_u64_u32 v[4:5], s[30:31], v34, s21, v[4:5]
	v_mov_b32_e32 v3, v4
	v_lshlrev_b64 v[2:3], 3, v[2:3]
	v_mov_b32_e32 v4, s29
	v_add_co_u32_e32 v2, vcc, s28, v2
	v_addc_co_u32_e32 v3, vcc, v4, v3, vcc
	global_load_dwordx2 v[2:3], v[2:3], off
	v_mov_b32_e32 v4, 0
	v_mov_b32_e32 v5, v4
	;; [unrolled: 1-line block ×14, first 2 shown]
	s_or_b64 exec, exec, s[4:5]
	s_and_saveexec_b64 s[4:5], s[2:3]
	s_cbranch_execz .LBB115_36
.LBB115_68:
	v_mad_u64_u32 v[4:5], s[30:31], v27, s20, 0
	v_mov_b32_e32 v38, v5
	v_mad_u64_u32 v[38:39], s[30:31], v27, s21, v[38:39]
	v_mov_b32_e32 v5, v38
	v_lshlrev_b64 v[4:5], 3, v[4:5]
	v_mov_b32_e32 v27, s29
	v_add_co_u32_e32 v4, vcc, s28, v4
	v_addc_co_u32_e32 v5, vcc, v27, v5, vcc
	global_load_dwordx2 v[4:5], v[4:5], off
	s_or_b64 exec, exec, s[4:5]
	s_and_saveexec_b64 s[4:5], s[16:17]
	s_cbranch_execz .LBB115_37
.LBB115_69:
	v_mad_u64_u32 v[6:7], s[30:31], v20, s20, 0
	v_mov_b32_e32 v38, v7
	v_mad_u64_u32 v[38:39], s[30:31], v20, s21, v[38:39]
	v_mov_b32_e32 v7, v38
	v_lshlrev_b64 v[6:7], 3, v[6:7]
	v_mov_b32_e32 v20, s29
	v_add_co_u32_e32 v6, vcc, s28, v6
	v_addc_co_u32_e32 v7, vcc, v20, v7, vcc
	global_load_dwordx2 v[6:7], v[6:7], off
	s_or_b64 exec, exec, s[4:5]
	s_and_saveexec_b64 s[4:5], s[6:7]
	s_cbranch_execz .LBB115_38
.LBB115_70:
	v_mad_u64_u32 v[8:9], s[30:31], v21, s20, 0
	v_mov_b32_e32 v20, v9
	v_mad_u64_u32 v[20:21], s[30:31], v21, s21, v[20:21]
	v_mov_b32_e32 v9, v20
	v_lshlrev_b64 v[8:9], 3, v[8:9]
	v_mov_b32_e32 v20, s29
	v_add_co_u32_e32 v8, vcc, s28, v8
	v_addc_co_u32_e32 v9, vcc, v20, v9, vcc
	global_load_dwordx2 v[8:9], v[8:9], off
	s_or_b64 exec, exec, s[4:5]
	s_and_saveexec_b64 s[4:5], s[8:9]
	s_cbranch_execz .LBB115_39
.LBB115_71:
	v_mad_u64_u32 v[10:11], s[30:31], v23, s20, 0
	v_mov_b32_e32 v20, v11
	v_mad_u64_u32 v[20:21], s[30:31], v23, s21, v[20:21]
	v_mov_b32_e32 v11, v20
	v_lshlrev_b64 v[10:11], 3, v[10:11]
	v_mov_b32_e32 v20, s29
	v_add_co_u32_e32 v10, vcc, s28, v10
	v_addc_co_u32_e32 v11, vcc, v20, v11, vcc
	global_load_dwordx2 v[10:11], v[10:11], off
	s_or_b64 exec, exec, s[4:5]
	s_and_saveexec_b64 s[4:5], s[10:11]
	s_cbranch_execz .LBB115_40
.LBB115_72:
	v_mad_u64_u32 v[12:13], s[30:31], v19, s20, 0
	v_mov_b32_e32 v20, v13
	v_mad_u64_u32 v[20:21], s[30:31], v19, s21, v[20:21]
	v_mov_b32_e32 v13, v20
	v_lshlrev_b64 v[12:13], 3, v[12:13]
	v_mov_b32_e32 v19, s29
	v_add_co_u32_e32 v12, vcc, s28, v12
	v_addc_co_u32_e32 v13, vcc, v19, v13, vcc
	global_load_dwordx2 v[12:13], v[12:13], off
	s_or_b64 exec, exec, s[4:5]
	s_and_saveexec_b64 s[4:5], s[12:13]
	s_cbranch_execz .LBB115_41
.LBB115_73:
	v_mad_u64_u32 v[14:15], s[30:31], v18, s20, 0
	v_mov_b32_e32 v20, v15
	v_mad_u64_u32 v[18:19], s[30:31], v18, s21, v[20:21]
	v_mov_b32_e32 v15, v18
	v_lshlrev_b64 v[14:15], 3, v[14:15]
	v_mov_b32_e32 v18, s29
	v_add_co_u32_e32 v14, vcc, s28, v14
	v_addc_co_u32_e32 v15, vcc, v18, v15, vcc
	global_load_dwordx2 v[14:15], v[14:15], off
	s_or_b64 exec, exec, s[4:5]
	s_xor_b64 s[4:5], s[26:27], -1
	s_and_saveexec_b64 s[26:27], s[14:15]
	s_cbranch_execnz .LBB115_42
	s_branch .LBB115_43
.LBB115_74:
                                        ; implicit-def: $vgpr1
                                        ; implicit-def: $vgpr32_vgpr33
                                        ; implicit-def: $vgpr28_vgpr29
                                        ; implicit-def: $vgpr24_vgpr25
                                        ; implicit-def: $vgpr20_vgpr21
	s_cbranch_execz .LBB115_98
; %bb.75:
	s_movk_i32 s4, 0x7f
	v_xor_b32_sdwa v0, v65, s4 dst_sel:BYTE_1 dst_unused:UNUSED_PAD src0_sel:DWORD src1_sel:DWORD
	v_xor_b32_e32 v1, 0x7f, v37
	v_or_b32_sdwa v0, v1, v0 dst_sel:DWORD dst_unused:UNUSED_PAD src0_sel:BYTE_0 src1_sel:DWORD
	v_xor_b32_sdwa v1, v37, s4 dst_sel:DWORD dst_unused:UNUSED_PAD src0_sel:BYTE_3 src1_sel:DWORD
	v_lshlrev_b16_e32 v1, 8, v1
	s_waitcnt lgkmcnt(3)
	v_xor_b32_sdwa v18, v37, s4 dst_sel:DWORD dst_unused:UNUSED_PAD src0_sel:WORD_1 src1_sel:DWORD
	v_or_b32_sdwa v1, v18, v1 dst_sel:WORD_1 dst_unused:UNUSED_PAD src0_sel:BYTE_0 src1_sel:DWORD
	v_or_b32_sdwa v1, v0, v1 dst_sel:DWORD dst_unused:UNUSED_PAD src0_sel:WORD_0 src1_sel:DWORD
	v_xor_b32_sdwa v0, v62, s4 dst_sel:BYTE_1 dst_unused:UNUSED_PAD src0_sel:DWORD src1_sel:DWORD
	v_xor_b32_e32 v18, 0x7f, v36
	v_or_b32_sdwa v0, v18, v0 dst_sel:DWORD dst_unused:UNUSED_PAD src0_sel:BYTE_0 src1_sel:DWORD
	v_xor_b32_sdwa v18, v38, s4 dst_sel:BYTE_1 dst_unused:UNUSED_PAD src0_sel:DWORD src1_sel:DWORD
	v_xor_b32_sdwa v19, v36, s4 dst_sel:DWORD dst_unused:UNUSED_PAD src0_sel:WORD_1 src1_sel:DWORD
	v_or_b32_sdwa v18, v19, v18 dst_sel:WORD_1 dst_unused:UNUSED_PAD src0_sel:BYTE_0 src1_sel:DWORD
	v_or_b32_sdwa v0, v0, v18 dst_sel:DWORD dst_unused:UNUSED_PAD src0_sel:WORD_0 src1_sel:DWORD
	s_getpc_b64 s[4:5]
	s_add_u32 s4, s4, _ZN7rocprim17ROCPRIM_400000_NS16block_radix_sortIaLj512ELj8ElLj1ELj1ELj0ELNS0_26block_radix_rank_algorithmE1ELNS0_18block_padding_hintE2ELNS0_4arch9wavefront6targetE1EE19radix_bits_per_passE@rel32@lo+4
	s_addc_u32 s5, s5, _ZN7rocprim17ROCPRIM_400000_NS16block_radix_sortIaLj512ELj8ElLj1ELj1ELj0ELNS0_26block_radix_rank_algorithmE1ELNS0_18block_padding_hintE2ELNS0_4arch9wavefront6targetE1EE19radix_bits_per_passE@rel32@hi+12
	ds_write_b64 v69, v[0:1]
	; wave barrier
	ds_read_u8 v20, v68
	ds_read_u8 v21, v68 offset:64
	s_waitcnt lgkmcnt(5)
	ds_read_u8 v22, v68 offset:128
	ds_read_u8 v23, v68 offset:192
	ds_read_u8 v24, v68 offset:256
	ds_read_u8 v25, v68 offset:320
	s_waitcnt lgkmcnt(8)
	ds_read_u8 v26, v68 offset:384
	ds_read_u8 v27, v68 offset:448
	s_waitcnt lgkmcnt(0)
	s_barrier
	ds_write2_b64 v67, v[14:15], v[16:17] offset1:1
	ds_write2_b64 v67, v[10:11], v[12:13] offset0:2 offset1:3
	ds_write2_b64 v67, v[6:7], v[8:9] offset0:4 offset1:5
	;; [unrolled: 1-line block ×3, first 2 shown]
	; wave barrier
	ds_read2st64_b64 v[12:15], v66 offset1:1
	ds_read2st64_b64 v[8:11], v66 offset0:2 offset1:3
	ds_read2st64_b64 v[4:7], v66 offset0:4 offset1:5
	;; [unrolled: 1-line block ×3, first 2 shown]
	s_waitcnt lgkmcnt(0)
	s_barrier
	s_load_dword s26, s[4:5], 0x0
	s_load_dword s27, s[24:25], 0xc
	v_mov_b32_e32 v30, 3
	s_waitcnt lgkmcnt(0)
	s_min_u32 s24, s26, 8
	s_lshr_b32 s4, s27, 16
	s_and_b32 s5, s27, 0xffff
	v_mad_u32_u24 v16, v64, s4, v63
	v_mad_u64_u32 v[18:19], s[4:5], v16, s5, v[34:35]
	s_lshl_b32 s4, -1, s24
	s_not_b32 s24, s4
	v_lshrrev_b32_e32 v36, 6, v18
	v_and_b32_e32 v18, s24, v20
	v_lshlrev_b32_sdwa v17, v30, v18 dst_sel:DWORD dst_unused:UNUSED_PAD src0_sel:DWORD src1_sel:BYTE_0
	v_add_lshl_u32 v28, v36, v17, 2
	v_and_b32_e32 v17, 1, v18
	v_add_co_u32_e32 v19, vcc, -1, v17
	v_addc_co_u32_e64 v29, s[4:5], 0, -1, vcc
	v_cmp_ne_u32_e32 vcc, 0, v17
	v_xor_b32_e32 v17, vcc_hi, v29
	v_mov_b32_e32 v16, 0
	v_and_b32_e32 v29, exec_hi, v17
	v_lshlrev_b32_e32 v17, 30, v18
	v_xor_b32_e32 v19, vcc_lo, v19
	v_cmp_gt_i64_e32 vcc, 0, v[16:17]
	v_not_b32_e32 v17, v17
	v_ashrrev_i32_e32 v17, 31, v17
	v_and_b32_e32 v19, exec_lo, v19
	v_xor_b32_e32 v31, vcc_hi, v17
	v_xor_b32_e32 v17, vcc_lo, v17
	v_and_b32_e32 v19, v19, v17
	v_lshlrev_b32_e32 v17, 29, v18
	v_cmp_gt_i64_e32 vcc, 0, v[16:17]
	v_not_b32_e32 v17, v17
	v_ashrrev_i32_e32 v17, 31, v17
	v_and_b32_e32 v29, v29, v31
	v_xor_b32_e32 v31, vcc_hi, v17
	v_xor_b32_e32 v17, vcc_lo, v17
	v_and_b32_e32 v19, v19, v17
	v_lshlrev_b32_e32 v17, 28, v18
	v_cmp_gt_i64_e32 vcc, 0, v[16:17]
	v_not_b32_e32 v17, v17
	v_ashrrev_i32_e32 v17, 31, v17
	v_and_b32_e32 v29, v29, v31
	;; [unrolled: 8-line block ×5, first 2 shown]
	v_xor_b32_e32 v31, vcc_hi, v17
	v_xor_b32_e32 v17, vcc_lo, v17
	v_and_b32_e32 v29, v29, v31
	v_and_b32_e32 v31, v19, v17
	v_lshlrev_b32_e32 v17, 24, v18
	v_cmp_gt_i64_e32 vcc, 0, v[16:17]
	v_not_b32_e32 v17, v17
	v_ashrrev_i32_e32 v17, 31, v17
	v_xor_b32_e32 v18, vcc_hi, v17
	v_xor_b32_e32 v17, vcc_lo, v17
	v_and_b32_e32 v19, v29, v18
	v_and_b32_e32 v18, v31, v17
	v_mbcnt_lo_u32_b32 v17, v18, 0
	v_mbcnt_hi_u32_b32 v29, v19, v17
	v_cmp_eq_u32_e32 vcc, 0, v29
	v_cmp_ne_u64_e64 s[4:5], 0, v[18:19]
	s_and_b64 s[26:27], s[4:5], vcc
	ds_write2_b32 v60, v16, v16 offset0:8 offset1:9
	ds_write2_b32 v60, v16, v16 offset0:10 offset1:11
	s_waitcnt lgkmcnt(0)
	s_barrier
	s_waitcnt lgkmcnt(0)
	; wave barrier
	s_and_saveexec_b64 s[4:5], s[26:27]
	s_cbranch_execz .LBB115_77
; %bb.76:
	v_bcnt_u32_b32 v17, v18, 0
	v_bcnt_u32_b32 v17, v19, v17
	ds_write_b32 v28, v17 offset:32
.LBB115_77:
	s_or_b64 exec, exec, s[4:5]
	v_and_b32_e32 v18, s24, v21
	v_lshlrev_b32_sdwa v17, v30, v18 dst_sel:DWORD dst_unused:UNUSED_PAD src0_sel:DWORD src1_sel:BYTE_0
	v_add_lshl_u32 v31, v36, v17, 2
	v_and_b32_e32 v17, 1, v18
	v_add_co_u32_e32 v19, vcc, -1, v17
	v_addc_co_u32_e64 v32, s[4:5], 0, -1, vcc
	v_cmp_ne_u32_e32 vcc, 0, v17
	v_xor_b32_e32 v17, vcc_hi, v32
	v_and_b32_e32 v32, exec_hi, v17
	v_lshlrev_b32_e32 v17, 30, v18
	v_xor_b32_e32 v19, vcc_lo, v19
	v_cmp_gt_i64_e32 vcc, 0, v[16:17]
	v_not_b32_e32 v17, v17
	v_ashrrev_i32_e32 v17, 31, v17
	v_and_b32_e32 v19, exec_lo, v19
	v_xor_b32_e32 v33, vcc_hi, v17
	v_xor_b32_e32 v17, vcc_lo, v17
	v_and_b32_e32 v19, v19, v17
	v_lshlrev_b32_e32 v17, 29, v18
	v_cmp_gt_i64_e32 vcc, 0, v[16:17]
	v_not_b32_e32 v17, v17
	v_ashrrev_i32_e32 v17, 31, v17
	v_and_b32_e32 v32, v32, v33
	v_xor_b32_e32 v33, vcc_hi, v17
	v_xor_b32_e32 v17, vcc_lo, v17
	v_and_b32_e32 v19, v19, v17
	v_lshlrev_b32_e32 v17, 28, v18
	v_cmp_gt_i64_e32 vcc, 0, v[16:17]
	v_not_b32_e32 v17, v17
	v_ashrrev_i32_e32 v17, 31, v17
	v_and_b32_e32 v32, v32, v33
	;; [unrolled: 8-line block ×5, first 2 shown]
	v_xor_b32_e32 v33, vcc_hi, v17
	v_xor_b32_e32 v17, vcc_lo, v17
	v_and_b32_e32 v19, v19, v17
	v_lshlrev_b32_e32 v17, 24, v18
	v_cmp_gt_i64_e32 vcc, 0, v[16:17]
	v_not_b32_e32 v16, v17
	v_ashrrev_i32_e32 v16, 31, v16
	v_xor_b32_e32 v17, vcc_hi, v16
	v_xor_b32_e32 v16, vcc_lo, v16
	; wave barrier
	ds_read_b32 v30, v31 offset:32
	v_and_b32_e32 v32, v32, v33
	v_and_b32_e32 v16, v19, v16
	;; [unrolled: 1-line block ×3, first 2 shown]
	v_mbcnt_lo_u32_b32 v18, v16, 0
	v_mbcnt_hi_u32_b32 v32, v17, v18
	v_cmp_eq_u32_e32 vcc, 0, v32
	v_cmp_ne_u64_e64 s[4:5], 0, v[16:17]
	s_and_b64 s[26:27], s[4:5], vcc
	; wave barrier
	s_and_saveexec_b64 s[4:5], s[26:27]
	s_cbranch_execz .LBB115_79
; %bb.78:
	v_bcnt_u32_b32 v16, v16, 0
	v_bcnt_u32_b32 v16, v17, v16
	s_waitcnt lgkmcnt(0)
	v_add_u32_e32 v16, v30, v16
	ds_write_b32 v31, v16 offset:32
.LBB115_79:
	s_or_b64 exec, exec, s[4:5]
	v_and_b32_e32 v18, s24, v22
	v_and_b32_e32 v17, 1, v18
	v_add_co_u32_e32 v19, vcc, -1, v17
	v_mov_b32_e32 v40, 3
	v_addc_co_u32_e64 v38, s[4:5], 0, -1, vcc
	v_cmp_ne_u32_e32 vcc, 0, v17
	v_lshlrev_b32_sdwa v16, v40, v18 dst_sel:DWORD dst_unused:UNUSED_PAD src0_sel:DWORD src1_sel:BYTE_0
	v_xor_b32_e32 v17, vcc_hi, v38
	v_add_lshl_u32 v37, v36, v16, 2
	v_mov_b32_e32 v16, 0
	v_and_b32_e32 v38, exec_hi, v17
	v_lshlrev_b32_e32 v17, 30, v18
	v_xor_b32_e32 v19, vcc_lo, v19
	v_cmp_gt_i64_e32 vcc, 0, v[16:17]
	v_not_b32_e32 v17, v17
	v_ashrrev_i32_e32 v17, 31, v17
	v_and_b32_e32 v19, exec_lo, v19
	v_xor_b32_e32 v41, vcc_hi, v17
	v_xor_b32_e32 v17, vcc_lo, v17
	v_and_b32_e32 v19, v19, v17
	v_lshlrev_b32_e32 v17, 29, v18
	v_cmp_gt_i64_e32 vcc, 0, v[16:17]
	v_not_b32_e32 v17, v17
	v_ashrrev_i32_e32 v17, 31, v17
	v_and_b32_e32 v38, v38, v41
	v_xor_b32_e32 v41, vcc_hi, v17
	v_xor_b32_e32 v17, vcc_lo, v17
	v_and_b32_e32 v19, v19, v17
	v_lshlrev_b32_e32 v17, 28, v18
	v_cmp_gt_i64_e32 vcc, 0, v[16:17]
	v_not_b32_e32 v17, v17
	v_ashrrev_i32_e32 v17, 31, v17
	v_and_b32_e32 v38, v38, v41
	;; [unrolled: 8-line block ×5, first 2 shown]
	v_xor_b32_e32 v41, vcc_hi, v17
	v_xor_b32_e32 v17, vcc_lo, v17
	v_and_b32_e32 v38, v38, v41
	v_and_b32_e32 v41, v19, v17
	v_lshlrev_b32_e32 v17, 24, v18
	v_cmp_gt_i64_e32 vcc, 0, v[16:17]
	v_not_b32_e32 v17, v17
	v_ashrrev_i32_e32 v17, 31, v17
	v_xor_b32_e32 v18, vcc_hi, v17
	v_xor_b32_e32 v17, vcc_lo, v17
	; wave barrier
	ds_read_b32 v33, v37 offset:32
	v_and_b32_e32 v19, v38, v18
	v_and_b32_e32 v18, v41, v17
	v_mbcnt_lo_u32_b32 v17, v18, 0
	v_mbcnt_hi_u32_b32 v38, v19, v17
	v_cmp_eq_u32_e32 vcc, 0, v38
	v_cmp_ne_u64_e64 s[4:5], 0, v[18:19]
	s_and_b64 s[26:27], s[4:5], vcc
	; wave barrier
	s_and_saveexec_b64 s[4:5], s[26:27]
	s_cbranch_execz .LBB115_81
; %bb.80:
	v_bcnt_u32_b32 v17, v18, 0
	v_bcnt_u32_b32 v17, v19, v17
	s_waitcnt lgkmcnt(0)
	v_add_u32_e32 v17, v33, v17
	ds_write_b32 v37, v17 offset:32
.LBB115_81:
	s_or_b64 exec, exec, s[4:5]
	v_and_b32_e32 v18, s24, v23
	v_lshlrev_b32_sdwa v17, v40, v18 dst_sel:DWORD dst_unused:UNUSED_PAD src0_sel:DWORD src1_sel:BYTE_0
	v_add_lshl_u32 v41, v36, v17, 2
	v_and_b32_e32 v17, 1, v18
	v_add_co_u32_e32 v19, vcc, -1, v17
	v_addc_co_u32_e64 v62, s[4:5], 0, -1, vcc
	v_cmp_ne_u32_e32 vcc, 0, v17
	v_xor_b32_e32 v17, vcc_hi, v62
	v_and_b32_e32 v62, exec_hi, v17
	v_lshlrev_b32_e32 v17, 30, v18
	v_xor_b32_e32 v19, vcc_lo, v19
	v_cmp_gt_i64_e32 vcc, 0, v[16:17]
	v_not_b32_e32 v17, v17
	v_ashrrev_i32_e32 v17, 31, v17
	v_and_b32_e32 v19, exec_lo, v19
	v_xor_b32_e32 v63, vcc_hi, v17
	v_xor_b32_e32 v17, vcc_lo, v17
	v_and_b32_e32 v19, v19, v17
	v_lshlrev_b32_e32 v17, 29, v18
	v_cmp_gt_i64_e32 vcc, 0, v[16:17]
	v_not_b32_e32 v17, v17
	v_ashrrev_i32_e32 v17, 31, v17
	v_and_b32_e32 v62, v62, v63
	v_xor_b32_e32 v63, vcc_hi, v17
	v_xor_b32_e32 v17, vcc_lo, v17
	v_and_b32_e32 v19, v19, v17
	v_lshlrev_b32_e32 v17, 28, v18
	v_cmp_gt_i64_e32 vcc, 0, v[16:17]
	v_not_b32_e32 v17, v17
	v_ashrrev_i32_e32 v17, 31, v17
	v_and_b32_e32 v62, v62, v63
	;; [unrolled: 8-line block ×5, first 2 shown]
	v_xor_b32_e32 v63, vcc_hi, v17
	v_xor_b32_e32 v17, vcc_lo, v17
	v_and_b32_e32 v19, v19, v17
	v_lshlrev_b32_e32 v17, 24, v18
	v_cmp_gt_i64_e32 vcc, 0, v[16:17]
	v_not_b32_e32 v16, v17
	v_ashrrev_i32_e32 v16, 31, v16
	v_xor_b32_e32 v17, vcc_hi, v16
	v_xor_b32_e32 v16, vcc_lo, v16
	; wave barrier
	ds_read_b32 v40, v41 offset:32
	v_and_b32_e32 v62, v62, v63
	v_and_b32_e32 v16, v19, v16
	;; [unrolled: 1-line block ×3, first 2 shown]
	v_mbcnt_lo_u32_b32 v18, v16, 0
	v_mbcnt_hi_u32_b32 v62, v17, v18
	v_cmp_eq_u32_e32 vcc, 0, v62
	v_cmp_ne_u64_e64 s[4:5], 0, v[16:17]
	s_and_b64 s[26:27], s[4:5], vcc
	; wave barrier
	s_and_saveexec_b64 s[4:5], s[26:27]
	s_cbranch_execz .LBB115_83
; %bb.82:
	v_bcnt_u32_b32 v16, v16, 0
	v_bcnt_u32_b32 v16, v17, v16
	s_waitcnt lgkmcnt(0)
	v_add_u32_e32 v16, v40, v16
	ds_write_b32 v41, v16 offset:32
.LBB115_83:
	s_or_b64 exec, exec, s[4:5]
	v_and_b32_e32 v18, s24, v24
	v_and_b32_e32 v17, 1, v18
	v_add_co_u32_e32 v19, vcc, -1, v17
	v_mov_b32_e32 v66, 3
	v_addc_co_u32_e64 v65, s[4:5], 0, -1, vcc
	v_cmp_ne_u32_e32 vcc, 0, v17
	v_lshlrev_b32_sdwa v16, v66, v18 dst_sel:DWORD dst_unused:UNUSED_PAD src0_sel:DWORD src1_sel:BYTE_0
	v_xor_b32_e32 v17, vcc_hi, v65
	v_add_lshl_u32 v64, v36, v16, 2
	v_mov_b32_e32 v16, 0
	v_and_b32_e32 v65, exec_hi, v17
	v_lshlrev_b32_e32 v17, 30, v18
	v_xor_b32_e32 v19, vcc_lo, v19
	v_cmp_gt_i64_e32 vcc, 0, v[16:17]
	v_not_b32_e32 v17, v17
	v_ashrrev_i32_e32 v17, 31, v17
	v_and_b32_e32 v19, exec_lo, v19
	v_xor_b32_e32 v67, vcc_hi, v17
	v_xor_b32_e32 v17, vcc_lo, v17
	v_and_b32_e32 v19, v19, v17
	v_lshlrev_b32_e32 v17, 29, v18
	v_cmp_gt_i64_e32 vcc, 0, v[16:17]
	v_not_b32_e32 v17, v17
	v_ashrrev_i32_e32 v17, 31, v17
	v_and_b32_e32 v65, v65, v67
	v_xor_b32_e32 v67, vcc_hi, v17
	v_xor_b32_e32 v17, vcc_lo, v17
	v_and_b32_e32 v19, v19, v17
	v_lshlrev_b32_e32 v17, 28, v18
	v_cmp_gt_i64_e32 vcc, 0, v[16:17]
	v_not_b32_e32 v17, v17
	v_ashrrev_i32_e32 v17, 31, v17
	v_and_b32_e32 v65, v65, v67
	;; [unrolled: 8-line block ×5, first 2 shown]
	v_xor_b32_e32 v67, vcc_hi, v17
	v_xor_b32_e32 v17, vcc_lo, v17
	v_and_b32_e32 v65, v65, v67
	v_and_b32_e32 v67, v19, v17
	v_lshlrev_b32_e32 v17, 24, v18
	v_cmp_gt_i64_e32 vcc, 0, v[16:17]
	v_not_b32_e32 v17, v17
	v_ashrrev_i32_e32 v17, 31, v17
	v_xor_b32_e32 v18, vcc_hi, v17
	v_xor_b32_e32 v17, vcc_lo, v17
	; wave barrier
	ds_read_b32 v63, v64 offset:32
	v_and_b32_e32 v19, v65, v18
	v_and_b32_e32 v18, v67, v17
	v_mbcnt_lo_u32_b32 v17, v18, 0
	v_mbcnt_hi_u32_b32 v65, v19, v17
	v_cmp_eq_u32_e32 vcc, 0, v65
	v_cmp_ne_u64_e64 s[4:5], 0, v[18:19]
	s_and_b64 s[26:27], s[4:5], vcc
	; wave barrier
	s_and_saveexec_b64 s[4:5], s[26:27]
	s_cbranch_execz .LBB115_85
; %bb.84:
	v_bcnt_u32_b32 v17, v18, 0
	v_bcnt_u32_b32 v17, v19, v17
	s_waitcnt lgkmcnt(0)
	v_add_u32_e32 v17, v63, v17
	ds_write_b32 v64, v17 offset:32
.LBB115_85:
	s_or_b64 exec, exec, s[4:5]
	v_and_b32_e32 v18, s24, v25
	v_lshlrev_b32_sdwa v17, v66, v18 dst_sel:DWORD dst_unused:UNUSED_PAD src0_sel:DWORD src1_sel:BYTE_0
	v_add_lshl_u32 v67, v36, v17, 2
	v_and_b32_e32 v17, 1, v18
	v_add_co_u32_e32 v19, vcc, -1, v17
	v_addc_co_u32_e64 v68, s[4:5], 0, -1, vcc
	v_cmp_ne_u32_e32 vcc, 0, v17
	v_xor_b32_e32 v17, vcc_hi, v68
	v_and_b32_e32 v68, exec_hi, v17
	v_lshlrev_b32_e32 v17, 30, v18
	v_xor_b32_e32 v19, vcc_lo, v19
	v_cmp_gt_i64_e32 vcc, 0, v[16:17]
	v_not_b32_e32 v17, v17
	v_ashrrev_i32_e32 v17, 31, v17
	v_and_b32_e32 v19, exec_lo, v19
	v_xor_b32_e32 v69, vcc_hi, v17
	v_xor_b32_e32 v17, vcc_lo, v17
	v_and_b32_e32 v19, v19, v17
	v_lshlrev_b32_e32 v17, 29, v18
	v_cmp_gt_i64_e32 vcc, 0, v[16:17]
	v_not_b32_e32 v17, v17
	v_ashrrev_i32_e32 v17, 31, v17
	v_and_b32_e32 v68, v68, v69
	v_xor_b32_e32 v69, vcc_hi, v17
	v_xor_b32_e32 v17, vcc_lo, v17
	v_and_b32_e32 v19, v19, v17
	v_lshlrev_b32_e32 v17, 28, v18
	v_cmp_gt_i64_e32 vcc, 0, v[16:17]
	v_not_b32_e32 v17, v17
	v_ashrrev_i32_e32 v17, 31, v17
	v_and_b32_e32 v68, v68, v69
	;; [unrolled: 8-line block ×5, first 2 shown]
	v_xor_b32_e32 v69, vcc_hi, v17
	v_xor_b32_e32 v17, vcc_lo, v17
	v_and_b32_e32 v19, v19, v17
	v_lshlrev_b32_e32 v17, 24, v18
	v_cmp_gt_i64_e32 vcc, 0, v[16:17]
	v_not_b32_e32 v16, v17
	v_ashrrev_i32_e32 v16, 31, v16
	v_xor_b32_e32 v17, vcc_hi, v16
	v_xor_b32_e32 v16, vcc_lo, v16
	; wave barrier
	ds_read_b32 v66, v67 offset:32
	v_and_b32_e32 v68, v68, v69
	v_and_b32_e32 v16, v19, v16
	;; [unrolled: 1-line block ×3, first 2 shown]
	v_mbcnt_lo_u32_b32 v18, v16, 0
	v_mbcnt_hi_u32_b32 v68, v17, v18
	v_cmp_eq_u32_e32 vcc, 0, v68
	v_cmp_ne_u64_e64 s[4:5], 0, v[16:17]
	s_and_b64 s[26:27], s[4:5], vcc
	; wave barrier
	s_and_saveexec_b64 s[4:5], s[26:27]
	s_cbranch_execz .LBB115_87
; %bb.86:
	v_bcnt_u32_b32 v16, v16, 0
	v_bcnt_u32_b32 v16, v17, v16
	s_waitcnt lgkmcnt(0)
	v_add_u32_e32 v16, v66, v16
	ds_write_b32 v67, v16 offset:32
.LBB115_87:
	s_or_b64 exec, exec, s[4:5]
	v_and_b32_e32 v18, s24, v26
	v_and_b32_e32 v17, 1, v18
	v_add_co_u32_e32 v19, vcc, -1, v17
	v_mov_b32_e32 v72, 3
	v_addc_co_u32_e64 v71, s[4:5], 0, -1, vcc
	v_cmp_ne_u32_e32 vcc, 0, v17
	v_lshlrev_b32_sdwa v16, v72, v18 dst_sel:DWORD dst_unused:UNUSED_PAD src0_sel:DWORD src1_sel:BYTE_0
	v_xor_b32_e32 v17, vcc_hi, v71
	v_add_lshl_u32 v70, v36, v16, 2
	v_mov_b32_e32 v16, 0
	v_and_b32_e32 v71, exec_hi, v17
	v_lshlrev_b32_e32 v17, 30, v18
	v_xor_b32_e32 v19, vcc_lo, v19
	v_cmp_gt_i64_e32 vcc, 0, v[16:17]
	v_not_b32_e32 v17, v17
	v_ashrrev_i32_e32 v17, 31, v17
	v_and_b32_e32 v19, exec_lo, v19
	v_xor_b32_e32 v73, vcc_hi, v17
	v_xor_b32_e32 v17, vcc_lo, v17
	v_and_b32_e32 v19, v19, v17
	v_lshlrev_b32_e32 v17, 29, v18
	v_cmp_gt_i64_e32 vcc, 0, v[16:17]
	v_not_b32_e32 v17, v17
	v_ashrrev_i32_e32 v17, 31, v17
	v_and_b32_e32 v71, v71, v73
	v_xor_b32_e32 v73, vcc_hi, v17
	v_xor_b32_e32 v17, vcc_lo, v17
	v_and_b32_e32 v19, v19, v17
	v_lshlrev_b32_e32 v17, 28, v18
	v_cmp_gt_i64_e32 vcc, 0, v[16:17]
	v_not_b32_e32 v17, v17
	v_ashrrev_i32_e32 v17, 31, v17
	v_and_b32_e32 v71, v71, v73
	;; [unrolled: 8-line block ×5, first 2 shown]
	v_xor_b32_e32 v73, vcc_hi, v17
	v_xor_b32_e32 v17, vcc_lo, v17
	v_and_b32_e32 v71, v71, v73
	v_and_b32_e32 v73, v19, v17
	v_lshlrev_b32_e32 v17, 24, v18
	v_cmp_gt_i64_e32 vcc, 0, v[16:17]
	v_not_b32_e32 v17, v17
	v_ashrrev_i32_e32 v17, 31, v17
	v_xor_b32_e32 v18, vcc_hi, v17
	v_xor_b32_e32 v17, vcc_lo, v17
	; wave barrier
	ds_read_b32 v69, v70 offset:32
	v_and_b32_e32 v19, v71, v18
	v_and_b32_e32 v18, v73, v17
	v_mbcnt_lo_u32_b32 v17, v18, 0
	v_mbcnt_hi_u32_b32 v71, v19, v17
	v_cmp_eq_u32_e32 vcc, 0, v71
	v_cmp_ne_u64_e64 s[4:5], 0, v[18:19]
	s_and_b64 s[26:27], s[4:5], vcc
	; wave barrier
	s_and_saveexec_b64 s[4:5], s[26:27]
	s_cbranch_execz .LBB115_89
; %bb.88:
	v_bcnt_u32_b32 v17, v18, 0
	v_bcnt_u32_b32 v17, v19, v17
	s_waitcnt lgkmcnt(0)
	v_add_u32_e32 v17, v69, v17
	ds_write_b32 v70, v17 offset:32
.LBB115_89:
	s_or_b64 exec, exec, s[4:5]
	v_and_b32_e32 v18, s24, v27
	v_lshlrev_b32_sdwa v17, v72, v18 dst_sel:DWORD dst_unused:UNUSED_PAD src0_sel:DWORD src1_sel:BYTE_0
	v_add_lshl_u32 v72, v36, v17, 2
	v_and_b32_e32 v17, 1, v18
	v_add_co_u32_e32 v19, vcc, -1, v17
	v_addc_co_u32_e64 v74, s[4:5], 0, -1, vcc
	v_cmp_ne_u32_e32 vcc, 0, v17
	v_xor_b32_e32 v17, vcc_hi, v74
	v_and_b32_e32 v74, exec_hi, v17
	v_lshlrev_b32_e32 v17, 30, v18
	v_xor_b32_e32 v19, vcc_lo, v19
	v_cmp_gt_i64_e32 vcc, 0, v[16:17]
	v_not_b32_e32 v17, v17
	v_ashrrev_i32_e32 v17, 31, v17
	v_and_b32_e32 v19, exec_lo, v19
	v_xor_b32_e32 v75, vcc_hi, v17
	v_xor_b32_e32 v17, vcc_lo, v17
	v_and_b32_e32 v19, v19, v17
	v_lshlrev_b32_e32 v17, 29, v18
	v_cmp_gt_i64_e32 vcc, 0, v[16:17]
	v_not_b32_e32 v17, v17
	v_ashrrev_i32_e32 v17, 31, v17
	v_and_b32_e32 v74, v74, v75
	v_xor_b32_e32 v75, vcc_hi, v17
	v_xor_b32_e32 v17, vcc_lo, v17
	v_and_b32_e32 v19, v19, v17
	v_lshlrev_b32_e32 v17, 28, v18
	v_cmp_gt_i64_e32 vcc, 0, v[16:17]
	v_not_b32_e32 v17, v17
	v_ashrrev_i32_e32 v17, 31, v17
	v_and_b32_e32 v74, v74, v75
	;; [unrolled: 8-line block ×5, first 2 shown]
	v_xor_b32_e32 v75, vcc_hi, v17
	v_xor_b32_e32 v17, vcc_lo, v17
	v_and_b32_e32 v19, v19, v17
	v_lshlrev_b32_e32 v17, 24, v18
	v_cmp_gt_i64_e32 vcc, 0, v[16:17]
	v_not_b32_e32 v16, v17
	v_ashrrev_i32_e32 v16, 31, v16
	v_xor_b32_e32 v17, vcc_hi, v16
	v_xor_b32_e32 v16, vcc_lo, v16
	; wave barrier
	ds_read_b32 v36, v72 offset:32
	v_and_b32_e32 v74, v74, v75
	v_and_b32_e32 v16, v19, v16
	;; [unrolled: 1-line block ×3, first 2 shown]
	v_mbcnt_lo_u32_b32 v18, v16, 0
	v_mbcnt_hi_u32_b32 v74, v17, v18
	v_cmp_eq_u32_e32 vcc, 0, v74
	v_cmp_ne_u64_e64 s[4:5], 0, v[16:17]
	v_add_u32_e32 v73, 32, v60
	s_and_b64 s[24:25], s[4:5], vcc
	; wave barrier
	s_and_saveexec_b64 s[4:5], s[24:25]
	s_cbranch_execz .LBB115_91
; %bb.90:
	v_bcnt_u32_b32 v16, v16, 0
	v_bcnt_u32_b32 v16, v17, v16
	s_waitcnt lgkmcnt(0)
	v_add_u32_e32 v16, v36, v16
	ds_write_b32 v72, v16 offset:32
.LBB115_91:
	s_or_b64 exec, exec, s[4:5]
	; wave barrier
	s_waitcnt lgkmcnt(0)
	s_barrier
	ds_read2_b32 v[16:17], v60 offset0:8 offset1:9
	ds_read2_b32 v[18:19], v73 offset0:2 offset1:3
	v_min_u32_e32 v61, 0x1c0, v61
	v_or_b32_e32 v61, 63, v61
	s_waitcnt lgkmcnt(1)
	v_add_u32_e32 v75, v17, v16
	s_waitcnt lgkmcnt(0)
	v_add3_u32 v19, v75, v18, v19
	v_and_b32_e32 v75, 15, v59
	v_cmp_ne_u32_e32 vcc, 0, v75
	v_mov_b32_dpp v76, v19 row_shr:1 row_mask:0xf bank_mask:0xf
	v_cndmask_b32_e32 v76, 0, v76, vcc
	v_add_u32_e32 v19, v76, v19
	v_cmp_lt_u32_e32 vcc, 1, v75
	s_nop 0
	v_mov_b32_dpp v76, v19 row_shr:2 row_mask:0xf bank_mask:0xf
	v_cndmask_b32_e32 v76, 0, v76, vcc
	v_add_u32_e32 v19, v19, v76
	v_cmp_lt_u32_e32 vcc, 3, v75
	s_nop 0
	;; [unrolled: 5-line block ×3, first 2 shown]
	v_mov_b32_dpp v76, v19 row_shr:8 row_mask:0xf bank_mask:0xf
	v_cndmask_b32_e32 v75, 0, v76, vcc
	v_add_u32_e32 v19, v19, v75
	v_bfe_i32 v76, v59, 4, 1
	v_cmp_lt_u32_e32 vcc, 31, v59
	v_mov_b32_dpp v75, v19 row_bcast:15 row_mask:0xf bank_mask:0xf
	v_and_b32_e32 v75, v76, v75
	v_add_u32_e32 v19, v19, v75
	s_nop 1
	v_mov_b32_dpp v75, v19 row_bcast:31 row_mask:0xf bank_mask:0xf
	v_cndmask_b32_e32 v75, 0, v75, vcc
	v_add_u32_e32 v19, v19, v75
	v_lshrrev_b32_e32 v75, 6, v34
	v_cmp_eq_u32_e32 vcc, v61, v34
	s_and_saveexec_b64 s[4:5], vcc
	s_cbranch_execz .LBB115_93
; %bb.92:
	v_lshlrev_b32_e32 v61, 2, v75
	ds_write_b32 v61, v19
.LBB115_93:
	s_or_b64 exec, exec, s[4:5]
	v_cmp_gt_u32_e32 vcc, 8, v34
	s_waitcnt lgkmcnt(0)
	s_barrier
	s_and_saveexec_b64 s[4:5], vcc
	s_cbranch_execz .LBB115_95
; %bb.94:
	v_lshlrev_b32_e32 v61, 2, v34
	ds_read_b32 v76, v61
	v_and_b32_e32 v77, 7, v59
	v_cmp_ne_u32_e32 vcc, 0, v77
	s_waitcnt lgkmcnt(0)
	v_mov_b32_dpp v78, v76 row_shr:1 row_mask:0xf bank_mask:0xf
	v_cndmask_b32_e32 v78, 0, v78, vcc
	v_add_u32_e32 v76, v78, v76
	v_cmp_lt_u32_e32 vcc, 1, v77
	s_nop 0
	v_mov_b32_dpp v78, v76 row_shr:2 row_mask:0xf bank_mask:0xf
	v_cndmask_b32_e32 v78, 0, v78, vcc
	v_add_u32_e32 v76, v76, v78
	v_cmp_lt_u32_e32 vcc, 3, v77
	s_nop 0
	v_mov_b32_dpp v78, v76 row_shr:4 row_mask:0xf bank_mask:0xf
	v_cndmask_b32_e32 v77, 0, v78, vcc
	v_add_u32_e32 v76, v76, v77
	ds_write_b32 v61, v76
.LBB115_95:
	s_or_b64 exec, exec, s[4:5]
	v_cmp_lt_u32_e32 vcc, 63, v34
	v_mov_b32_e32 v61, 0
	s_waitcnt lgkmcnt(0)
	s_barrier
	s_and_saveexec_b64 s[4:5], vcc
	s_cbranch_execz .LBB115_97
; %bb.96:
	v_lshl_add_u32 v61, v75, 2, -4
	ds_read_b32 v61, v61
.LBB115_97:
	s_or_b64 exec, exec, s[4:5]
	v_add_u32_e32 v75, -1, v59
	v_and_b32_e32 v76, 64, v59
	v_cmp_lt_i32_e32 vcc, v75, v76
	v_cndmask_b32_e32 v75, v75, v59, vcc
	s_waitcnt lgkmcnt(0)
	v_add_u32_e32 v19, v61, v19
	v_lshlrev_b32_e32 v75, 2, v75
	ds_bpermute_b32 v19, v75, v19
	v_cmp_eq_u32_e32 vcc, 0, v59
	s_movk_i32 s4, 0x7f
	s_waitcnt lgkmcnt(0)
	v_cndmask_b32_e32 v19, v19, v61, vcc
	v_cmp_ne_u32_e32 vcc, 0, v34
	v_cndmask_b32_e32 v19, 0, v19, vcc
	v_add_u32_e32 v16, v19, v16
	v_add_u32_e32 v17, v16, v17
	;; [unrolled: 1-line block ×3, first 2 shown]
	ds_write2_b32 v60, v19, v16 offset0:8 offset1:9
	ds_write2_b32 v73, v17, v18 offset0:2 offset1:3
	s_waitcnt lgkmcnt(0)
	s_barrier
	ds_read_b32 v16, v28 offset:32
	ds_read_b32 v17, v31 offset:32
	ds_read_b32 v18, v37 offset:32
	ds_read_b32 v19, v41 offset:32
	ds_read_b32 v28, v64 offset:32
	ds_read_b32 v31, v67 offset:32
	ds_read_b32 v37, v70 offset:32
	ds_read_b32 v41, v72 offset:32
	s_waitcnt lgkmcnt(7)
	v_add_u32_e32 v29, v16, v29
	s_waitcnt lgkmcnt(6)
	v_add3_u32 v30, v32, v30, v17
	s_waitcnt lgkmcnt(5)
	v_add3_u32 v18, v38, v33, v18
	;; [unrolled: 2-line block ×7, first 2 shown]
	s_barrier
	ds_write_b8 v29, v20
	ds_write_b8 v30, v21
	;; [unrolled: 1-line block ×8, first 2 shown]
	v_lshlrev_b32_e32 v20, 3, v29
	s_waitcnt lgkmcnt(0)
	s_barrier
	ds_read_b64 v[16:17], v50
	s_waitcnt lgkmcnt(0)
	s_barrier
	ds_write_b64 v20, v[12:13]
	v_lshlrev_b32_e32 v12, 3, v30
	ds_write_b64 v12, v[14:15]
	v_lshlrev_b32_e32 v12, 3, v18
	ds_write_b64 v12, v[8:9]
	v_lshlrev_b32_e32 v8, 3, v19
	ds_write_b64 v8, v[10:11]
	v_lshlrev_b32_e32 v8, 3, v28
	ds_write_b64 v8, v[4:5]
	v_lshlrev_b32_e32 v4, 3, v31
	ds_write_b64 v4, v[6:7]
	v_lshlrev_b32_e32 v4, 3, v32
	ds_write_b64 v4, v[0:1]
	v_lshlrev_b32_e32 v0, 3, v33
	ds_write_b64 v0, v[2:3]
	v_lshlrev_b32_e32 v0, 3, v50
	s_waitcnt lgkmcnt(0)
	s_barrier
	ds_read2_b64 v[18:21], v0 offset1:1
	ds_read2_b64 v[22:25], v0 offset0:2 offset1:3
	ds_read2_b64 v[26:29], v0 offset0:4 offset1:5
	;; [unrolled: 1-line block ×3, first 2 shown]
	v_lshrrev_b32_e32 v36, 8, v16
	v_lshrrev_b32_e32 v37, 8, v17
	v_xor_b32_e32 v0, 0x7f, v16
	v_xor_b32_sdwa v1, v36, s4 dst_sel:BYTE_1 dst_unused:UNUSED_PAD src0_sel:DWORD src1_sel:DWORD
	v_xor_b32_sdwa v2, v16, s4 dst_sel:DWORD dst_unused:UNUSED_PAD src0_sel:WORD_1 src1_sel:DWORD
	v_xor_b32_sdwa v3, v16, s4 dst_sel:BYTE_1 dst_unused:UNUSED_PAD src0_sel:BYTE_3 src1_sel:DWORD
	v_xor_b32_e32 v4, 0x7f, v17
	v_xor_b32_sdwa v5, v37, s4 dst_sel:BYTE_1 dst_unused:UNUSED_PAD src0_sel:DWORD src1_sel:DWORD
	v_xor_b32_sdwa v6, v17, s4 dst_sel:DWORD dst_unused:UNUSED_PAD src0_sel:WORD_1 src1_sel:DWORD
	v_xor_b32_sdwa v7, v17, s4 dst_sel:BYTE_1 dst_unused:UNUSED_PAD src0_sel:BYTE_3 src1_sel:DWORD
	v_or_b32_sdwa v0, v0, v1 dst_sel:DWORD dst_unused:UNUSED_PAD src0_sel:BYTE_0 src1_sel:DWORD
	v_or_b32_sdwa v1, v2, v3 dst_sel:WORD_1 dst_unused:UNUSED_PAD src0_sel:BYTE_0 src1_sel:DWORD
	v_or_b32_sdwa v0, v0, v1 dst_sel:DWORD dst_unused:UNUSED_PAD src0_sel:WORD_0 src1_sel:DWORD
	v_or_b32_sdwa v1, v4, v5 dst_sel:DWORD dst_unused:UNUSED_PAD src0_sel:BYTE_0 src1_sel:DWORD
	v_or_b32_sdwa v2, v6, v7 dst_sel:WORD_1 dst_unused:UNUSED_PAD src0_sel:BYTE_0 src1_sel:DWORD
	v_or_b32_sdwa v1, v1, v2 dst_sel:DWORD dst_unused:UNUSED_PAD src0_sel:WORD_0 src1_sel:DWORD
.LBB115_98:
	s_waitcnt lgkmcnt(0)
	s_barrier
	ds_write_b64 v49, v[0:1]
	s_waitcnt lgkmcnt(0)
	s_barrier
	ds_read_u8 v8, v42 offset:512
	ds_read_u8 v7, v43 offset:1024
	;; [unrolled: 1-line block ×7, first 2 shown]
	v_pk_mov_b32 v[0:1], s[22:23], s[22:23] op_sel:[0,1]
	v_mad_u64_u32 v[0:1], s[4:5], v34, s18, v[0:1]
	v_mov_b32_e32 v10, v1
	v_mad_u64_u32 v[10:11], s[4:5], v34, s19, v[10:11]
	v_mov_b32_e32 v1, v10
	s_and_saveexec_b64 s[4:5], s[0:1]
	s_cbranch_execnz .LBB115_117
; %bb.99:
	s_or_b64 exec, exec, s[4:5]
	s_and_saveexec_b64 s[4:5], s[2:3]
	s_cbranch_execnz .LBB115_118
.LBB115_100:
	s_or_b64 exec, exec, s[4:5]
	s_and_saveexec_b64 s[4:5], s[16:17]
	s_cbranch_execnz .LBB115_119
.LBB115_101:
	s_or_b64 exec, exec, s[4:5]
	s_and_saveexec_b64 s[4:5], s[6:7]
	s_cbranch_execnz .LBB115_120
.LBB115_102:
	s_or_b64 exec, exec, s[4:5]
	s_and_saveexec_b64 s[4:5], s[8:9]
	s_cbranch_execnz .LBB115_121
.LBB115_103:
	s_or_b64 exec, exec, s[4:5]
	s_and_saveexec_b64 s[4:5], s[10:11]
	s_cbranch_execnz .LBB115_122
.LBB115_104:
	s_or_b64 exec, exec, s[4:5]
	s_and_saveexec_b64 s[4:5], s[12:13]
	s_cbranch_execnz .LBB115_123
.LBB115_105:
	s_or_b64 exec, exec, s[4:5]
	s_and_saveexec_b64 s[4:5], s[14:15]
	s_cbranch_execz .LBB115_107
.LBB115_106:
	s_waitcnt lgkmcnt(1)
	v_mov_b32_e32 v3, 0xe00
	v_mad_u64_u32 v[0:1], s[22:23], s18, v3, v[0:1]
	s_mul_i32 s18, s19, 0xe00
	v_add_u32_e32 v1, s18, v1
	s_waitcnt lgkmcnt(0)
	global_store_byte v[0:1], v2, off
.LBB115_107:
	s_or_b64 exec, exec, s[4:5]
	s_waitcnt lgkmcnt(0)
	s_barrier
	ds_write2_b64 v58, v[18:19], v[20:21] offset1:1
	ds_write2_b64 v58, v[22:23], v[24:25] offset0:2 offset1:3
	ds_write2_b64 v58, v[26:27], v[28:29] offset0:4 offset1:5
	;; [unrolled: 1-line block ×3, first 2 shown]
	s_waitcnt lgkmcnt(0)
	s_barrier
	ds_read_b64 v[14:15], v51 offset:4096
	ds_read_b64 v[12:13], v52 offset:8192
	;; [unrolled: 1-line block ×7, first 2 shown]
	v_mad_u64_u32 v[4:5], s[4:5], v34, s20, 0
	v_mov_b32_e32 v16, v5
	v_mad_u64_u32 v[16:17], s[4:5], v34, s21, v[16:17]
	v_mov_b32_e32 v5, v16
	v_lshlrev_b64 v[4:5], 3, v[4:5]
	v_mov_b32_e32 v16, s29
	v_add_co_u32_e32 v4, vcc, s28, v4
	v_addc_co_u32_e32 v5, vcc, v16, v5, vcc
	s_and_saveexec_b64 s[4:5], s[0:1]
	s_cbranch_execnz .LBB115_124
; %bb.108:
	s_or_b64 exec, exec, s[4:5]
	s_and_saveexec_b64 s[0:1], s[2:3]
	s_cbranch_execnz .LBB115_125
.LBB115_109:
	s_or_b64 exec, exec, s[0:1]
	s_and_saveexec_b64 s[0:1], s[16:17]
	s_cbranch_execnz .LBB115_126
.LBB115_110:
	s_or_b64 exec, exec, s[0:1]
	s_and_saveexec_b64 s[0:1], s[6:7]
	s_cbranch_execnz .LBB115_127
.LBB115_111:
	s_or_b64 exec, exec, s[0:1]
	s_and_saveexec_b64 s[0:1], s[8:9]
	s_cbranch_execnz .LBB115_128
.LBB115_112:
	s_or_b64 exec, exec, s[0:1]
	s_and_saveexec_b64 s[0:1], s[10:11]
	s_cbranch_execnz .LBB115_129
.LBB115_113:
	s_or_b64 exec, exec, s[0:1]
	s_and_saveexec_b64 s[0:1], s[12:13]
	s_cbranch_execnz .LBB115_130
.LBB115_114:
	s_or_b64 exec, exec, s[0:1]
	s_and_saveexec_b64 s[0:1], s[14:15]
	s_cbranch_execz .LBB115_116
.LBB115_115:
	s_waitcnt lgkmcnt(1)
	v_mov_b32_e32 v2, 0x7000
	v_mad_u64_u32 v[2:3], s[0:1], s20, v2, v[4:5]
	s_mul_i32 s0, s21, 0x7000
	v_add_u32_e32 v3, s0, v3
	s_waitcnt lgkmcnt(0)
	global_store_dwordx2 v[2:3], v[0:1], off
.LBB115_116:
	s_endpgm
.LBB115_117:
	ds_read_u8 v9, v35
	s_waitcnt lgkmcnt(0)
	global_store_byte v[0:1], v9, off
	s_or_b64 exec, exec, s[4:5]
	s_and_saveexec_b64 s[4:5], s[2:3]
	s_cbranch_execz .LBB115_100
.LBB115_118:
	s_lshl_b64 s[22:23], s[18:19], 9
	v_mov_b32_e32 v9, s23
	v_add_co_u32_e32 v10, vcc, s22, v0
	v_addc_co_u32_e32 v11, vcc, v1, v9, vcc
	s_waitcnt lgkmcnt(6)
	global_store_byte v[10:11], v8, off
	s_or_b64 exec, exec, s[4:5]
	s_and_saveexec_b64 s[4:5], s[16:17]
	s_cbranch_execz .LBB115_101
.LBB115_119:
	s_lshl_b64 s[22:23], s[18:19], 10
	v_mov_b32_e32 v9, s23
	s_waitcnt lgkmcnt(6)
	v_add_co_u32_e32 v8, vcc, s22, v0
	v_addc_co_u32_e32 v9, vcc, v1, v9, vcc
	s_waitcnt lgkmcnt(5)
	global_store_byte v[8:9], v7, off
	s_or_b64 exec, exec, s[4:5]
	s_and_saveexec_b64 s[4:5], s[6:7]
	s_cbranch_execz .LBB115_102
.LBB115_120:
	s_waitcnt lgkmcnt(5)
	v_mov_b32_e32 v7, 0x600
	v_mad_u64_u32 v[8:9], s[22:23], s18, v7, v[0:1]
	s_mul_i32 s22, s19, 0x600
	v_add_u32_e32 v9, s22, v9
	s_waitcnt lgkmcnt(4)
	global_store_byte v[8:9], v6, off
	s_or_b64 exec, exec, s[4:5]
	s_and_saveexec_b64 s[4:5], s[8:9]
	s_cbranch_execz .LBB115_103
.LBB115_121:
	s_lshl_b64 s[22:23], s[18:19], 11
	s_waitcnt lgkmcnt(5)
	v_mov_b32_e32 v7, s23
	s_waitcnt lgkmcnt(4)
	v_add_co_u32_e32 v6, vcc, s22, v0
	v_addc_co_u32_e32 v7, vcc, v1, v7, vcc
	s_waitcnt lgkmcnt(3)
	global_store_byte v[6:7], v5, off
	s_or_b64 exec, exec, s[4:5]
	s_and_saveexec_b64 s[4:5], s[10:11]
	s_cbranch_execz .LBB115_104
.LBB115_122:
	s_waitcnt lgkmcnt(3)
	v_mov_b32_e32 v5, 0xa00
	v_mad_u64_u32 v[6:7], s[22:23], s18, v5, v[0:1]
	s_mul_i32 s22, s19, 0xa00
	v_add_u32_e32 v7, s22, v7
	s_waitcnt lgkmcnt(2)
	global_store_byte v[6:7], v4, off
	s_or_b64 exec, exec, s[4:5]
	s_and_saveexec_b64 s[4:5], s[12:13]
	s_cbranch_execz .LBB115_105
.LBB115_123:
	s_waitcnt lgkmcnt(2)
	v_mov_b32_e32 v4, 0xc00
	v_mad_u64_u32 v[4:5], s[22:23], s18, v4, v[0:1]
	s_mul_i32 s22, s19, 0xc00
	v_add_u32_e32 v5, s22, v5
	s_waitcnt lgkmcnt(1)
	global_store_byte v[4:5], v3, off
	s_or_b64 exec, exec, s[4:5]
	s_and_saveexec_b64 s[4:5], s[14:15]
	s_cbranch_execnz .LBB115_106
	s_branch .LBB115_107
.LBB115_124:
	ds_read_b64 v[16:17], v39
	s_waitcnt lgkmcnt(0)
	global_store_dwordx2 v[4:5], v[16:17], off
	s_or_b64 exec, exec, s[4:5]
	s_and_saveexec_b64 s[0:1], s[2:3]
	s_cbranch_execz .LBB115_109
.LBB115_125:
	s_lshl_b64 s[2:3], s[20:21], 12
	v_mov_b32_e32 v17, s3
	v_add_co_u32_e32 v16, vcc, s2, v4
	v_addc_co_u32_e32 v17, vcc, v5, v17, vcc
	s_waitcnt lgkmcnt(6)
	global_store_dwordx2 v[16:17], v[14:15], off
	s_or_b64 exec, exec, s[0:1]
	s_and_saveexec_b64 s[0:1], s[16:17]
	s_cbranch_execz .LBB115_110
.LBB115_126:
	s_lshl_b64 s[2:3], s[20:21], 13
	s_waitcnt lgkmcnt(6)
	v_mov_b32_e32 v15, s3
	v_add_co_u32_e32 v14, vcc, s2, v4
	v_addc_co_u32_e32 v15, vcc, v5, v15, vcc
	s_waitcnt lgkmcnt(5)
	global_store_dwordx2 v[14:15], v[12:13], off
	s_or_b64 exec, exec, s[0:1]
	s_and_saveexec_b64 s[0:1], s[6:7]
	s_cbranch_execz .LBB115_111
.LBB115_127:
	s_waitcnt lgkmcnt(5)
	v_mov_b32_e32 v12, 0x3000
	v_mad_u64_u32 v[12:13], s[2:3], s20, v12, v[4:5]
	s_mul_i32 s2, s21, 0x3000
	v_add_u32_e32 v13, s2, v13
	s_waitcnt lgkmcnt(4)
	global_store_dwordx2 v[12:13], v[10:11], off
	s_or_b64 exec, exec, s[0:1]
	s_and_saveexec_b64 s[0:1], s[8:9]
	s_cbranch_execz .LBB115_112
.LBB115_128:
	s_lshl_b64 s[2:3], s[20:21], 14
	s_waitcnt lgkmcnt(4)
	v_mov_b32_e32 v11, s3
	v_add_co_u32_e32 v10, vcc, s2, v4
	v_addc_co_u32_e32 v11, vcc, v5, v11, vcc
	s_waitcnt lgkmcnt(3)
	global_store_dwordx2 v[10:11], v[8:9], off
	s_or_b64 exec, exec, s[0:1]
	s_and_saveexec_b64 s[0:1], s[10:11]
	s_cbranch_execz .LBB115_113
.LBB115_129:
	s_waitcnt lgkmcnt(3)
	v_mov_b32_e32 v8, 0x5000
	v_mad_u64_u32 v[8:9], s[2:3], s20, v8, v[4:5]
	s_mul_i32 s2, s21, 0x5000
	v_add_u32_e32 v9, s2, v9
	s_waitcnt lgkmcnt(2)
	global_store_dwordx2 v[8:9], v[6:7], off
	s_or_b64 exec, exec, s[0:1]
	s_and_saveexec_b64 s[0:1], s[12:13]
	s_cbranch_execz .LBB115_114
.LBB115_130:
	s_waitcnt lgkmcnt(2)
	v_mov_b32_e32 v6, 0x6000
	v_mad_u64_u32 v[6:7], s[2:3], s20, v6, v[4:5]
	s_mul_i32 s2, s21, 0x6000
	v_add_u32_e32 v7, s2, v7
	s_waitcnt lgkmcnt(1)
	global_store_dwordx2 v[6:7], v[2:3], off
	s_or_b64 exec, exec, s[0:1]
	s_and_saveexec_b64 s[0:1], s[14:15]
	s_cbranch_execnz .LBB115_115
	s_branch .LBB115_116
	.section	.rodata,"a",@progbits
	.p2align	6, 0x0
	.amdhsa_kernel _ZN2at6native18radixSortKVInPlaceILin1ELin1ELi512ELi8EalmEEvNS_4cuda6detail10TensorInfoIT3_T5_EES6_S6_S6_NS4_IT4_S6_EES6_b
		.amdhsa_group_segment_fixed_size 33792
		.amdhsa_private_segment_fixed_size 0
		.amdhsa_kernarg_size 1128
		.amdhsa_user_sgpr_count 6
		.amdhsa_user_sgpr_private_segment_buffer 1
		.amdhsa_user_sgpr_dispatch_ptr 0
		.amdhsa_user_sgpr_queue_ptr 0
		.amdhsa_user_sgpr_kernarg_segment_ptr 1
		.amdhsa_user_sgpr_dispatch_id 0
		.amdhsa_user_sgpr_flat_scratch_init 0
		.amdhsa_user_sgpr_kernarg_preload_length 0
		.amdhsa_user_sgpr_kernarg_preload_offset 0
		.amdhsa_user_sgpr_private_segment_size 0
		.amdhsa_uses_dynamic_stack 0
		.amdhsa_system_sgpr_private_segment_wavefront_offset 0
		.amdhsa_system_sgpr_workgroup_id_x 1
		.amdhsa_system_sgpr_workgroup_id_y 1
		.amdhsa_system_sgpr_workgroup_id_z 1
		.amdhsa_system_sgpr_workgroup_info 0
		.amdhsa_system_vgpr_workitem_id 2
		.amdhsa_next_free_vgpr 107
		.amdhsa_next_free_sgpr 52
		.amdhsa_accum_offset 108
		.amdhsa_reserve_vcc 1
		.amdhsa_reserve_flat_scratch 0
		.amdhsa_float_round_mode_32 0
		.amdhsa_float_round_mode_16_64 0
		.amdhsa_float_denorm_mode_32 3
		.amdhsa_float_denorm_mode_16_64 3
		.amdhsa_dx10_clamp 1
		.amdhsa_ieee_mode 1
		.amdhsa_fp16_overflow 0
		.amdhsa_tg_split 0
		.amdhsa_exception_fp_ieee_invalid_op 0
		.amdhsa_exception_fp_denorm_src 0
		.amdhsa_exception_fp_ieee_div_zero 0
		.amdhsa_exception_fp_ieee_overflow 0
		.amdhsa_exception_fp_ieee_underflow 0
		.amdhsa_exception_fp_ieee_inexact 0
		.amdhsa_exception_int_div_zero 0
	.end_amdhsa_kernel
	.section	.text._ZN2at6native18radixSortKVInPlaceILin1ELin1ELi512ELi8EalmEEvNS_4cuda6detail10TensorInfoIT3_T5_EES6_S6_S6_NS4_IT4_S6_EES6_b,"axG",@progbits,_ZN2at6native18radixSortKVInPlaceILin1ELin1ELi512ELi8EalmEEvNS_4cuda6detail10TensorInfoIT3_T5_EES6_S6_S6_NS4_IT4_S6_EES6_b,comdat
.Lfunc_end115:
	.size	_ZN2at6native18radixSortKVInPlaceILin1ELin1ELi512ELi8EalmEEvNS_4cuda6detail10TensorInfoIT3_T5_EES6_S6_S6_NS4_IT4_S6_EES6_b, .Lfunc_end115-_ZN2at6native18radixSortKVInPlaceILin1ELin1ELi512ELi8EalmEEvNS_4cuda6detail10TensorInfoIT3_T5_EES6_S6_S6_NS4_IT4_S6_EES6_b
                                        ; -- End function
	.section	.AMDGPU.csdata,"",@progbits
; Kernel info:
; codeLenInByte = 13776
; NumSgprs: 56
; NumVgprs: 107
; NumAgprs: 0
; TotalNumVgprs: 107
; ScratchSize: 0
; MemoryBound: 0
; FloatMode: 240
; IeeeMode: 1
; LDSByteSize: 33792 bytes/workgroup (compile time only)
; SGPRBlocks: 6
; VGPRBlocks: 13
; NumSGPRsForWavesPerEU: 56
; NumVGPRsForWavesPerEU: 107
; AccumOffset: 108
; Occupancy: 2
; WaveLimiterHint : 1
; COMPUTE_PGM_RSRC2:SCRATCH_EN: 0
; COMPUTE_PGM_RSRC2:USER_SGPR: 6
; COMPUTE_PGM_RSRC2:TRAP_HANDLER: 0
; COMPUTE_PGM_RSRC2:TGID_X_EN: 1
; COMPUTE_PGM_RSRC2:TGID_Y_EN: 1
; COMPUTE_PGM_RSRC2:TGID_Z_EN: 1
; COMPUTE_PGM_RSRC2:TIDIG_COMP_CNT: 2
; COMPUTE_PGM_RSRC3_GFX90A:ACCUM_OFFSET: 26
; COMPUTE_PGM_RSRC3_GFX90A:TG_SPLIT: 0
	.section	.text._ZN2at6native18radixSortKVInPlaceILin1ELin1ELi256ELi8EalmEEvNS_4cuda6detail10TensorInfoIT3_T5_EES6_S6_S6_NS4_IT4_S6_EES6_b,"axG",@progbits,_ZN2at6native18radixSortKVInPlaceILin1ELin1ELi256ELi8EalmEEvNS_4cuda6detail10TensorInfoIT3_T5_EES6_S6_S6_NS4_IT4_S6_EES6_b,comdat
	.protected	_ZN2at6native18radixSortKVInPlaceILin1ELin1ELi256ELi8EalmEEvNS_4cuda6detail10TensorInfoIT3_T5_EES6_S6_S6_NS4_IT4_S6_EES6_b ; -- Begin function _ZN2at6native18radixSortKVInPlaceILin1ELin1ELi256ELi8EalmEEvNS_4cuda6detail10TensorInfoIT3_T5_EES6_S6_S6_NS4_IT4_S6_EES6_b
	.globl	_ZN2at6native18radixSortKVInPlaceILin1ELin1ELi256ELi8EalmEEvNS_4cuda6detail10TensorInfoIT3_T5_EES6_S6_S6_NS4_IT4_S6_EES6_b
	.p2align	8
	.type	_ZN2at6native18radixSortKVInPlaceILin1ELin1ELi256ELi8EalmEEvNS_4cuda6detail10TensorInfoIT3_T5_EES6_S6_S6_NS4_IT4_S6_EES6_b,@function
_ZN2at6native18radixSortKVInPlaceILin1ELin1ELi256ELi8EalmEEvNS_4cuda6detail10TensorInfoIT3_T5_EES6_S6_S6_NS4_IT4_S6_EES6_b: ; @_ZN2at6native18radixSortKVInPlaceILin1ELin1ELi256ELi8EalmEEvNS_4cuda6detail10TensorInfoIT3_T5_EES6_S6_S6_NS4_IT4_S6_EES6_b
; %bb.0:
	s_load_dwordx4 s[12:15], s[4:5], 0x1a0
	s_load_dwordx2 s[0:1], s[4:5], 0x368
	s_add_u32 s24, s4, 0x368
	s_addc_u32 s25, s5, 0
	s_waitcnt lgkmcnt(0)
	v_mov_b32_e32 v2, s12
	s_mul_i32 s1, s1, s8
	s_add_i32 s1, s1, s7
	s_mul_i32 s0, s1, s0
	v_mov_b32_e32 v3, s13
	s_add_i32 s6, s0, s6
	s_mov_b32 s7, 0
	v_cmp_ge_u64_e32 vcc, s[6:7], v[2:3]
	s_cbranch_vccnz .LBB116_116
; %bb.1:
	s_load_dword s0, s[4:5], 0x198
	s_load_dwordx2 s[18:19], s[4:5], 0x1b0
	s_mov_b64 s[2:3], 0
	s_mov_b64 s[8:9], s[6:7]
	s_waitcnt lgkmcnt(0)
	s_cmp_lt_i32 s0, 2
	s_cbranch_scc1 .LBB116_9
; %bb.2:
	s_mov_b32 s10, 0
	s_add_i32 s15, s0, 1
	s_add_i32 s0, s0, -1
	s_mov_b32 s1, s10
	s_lshl_b64 s[0:1], s[0:1], 3
	s_add_u32 s0, s0, s4
	s_addc_u32 s1, s1, s5
	s_add_u32 s12, s0, 8
	s_addc_u32 s13, s1, 0
	s_mov_b64 s[16:17], s[6:7]
.LBB116_3:                              ; =>This Inner Loop Header: Depth=1
	s_load_dwordx2 s[20:21], s[12:13], 0x0
	s_waitcnt lgkmcnt(0)
	s_or_b64 s[0:1], s[16:17], s[20:21]
	s_mov_b32 s11, s1
	s_cmp_lg_u64 s[10:11], 0
	s_cbranch_scc0 .LBB116_8
; %bb.4:                                ;   in Loop: Header=BB116_3 Depth=1
	v_cvt_f32_u32_e32 v1, s20
	v_cvt_f32_u32_e32 v2, s21
	s_sub_u32 s0, 0, s20
	s_subb_u32 s1, 0, s21
	v_mac_f32_e32 v1, 0x4f800000, v2
	v_rcp_f32_e32 v1, v1
	v_mul_f32_e32 v1, 0x5f7ffffc, v1
	v_mul_f32_e32 v2, 0x2f800000, v1
	v_trunc_f32_e32 v2, v2
	v_mac_f32_e32 v1, 0xcf800000, v2
	v_cvt_u32_f32_e32 v2, v2
	v_cvt_u32_f32_e32 v1, v1
	v_readfirstlane_b32 s8, v2
	v_readfirstlane_b32 s9, v1
	s_mul_i32 s11, s0, s8
	s_mul_hi_u32 s23, s0, s9
	s_mul_i32 s22, s1, s9
	s_add_i32 s11, s23, s11
	s_mul_i32 s26, s0, s9
	s_add_i32 s11, s11, s22
	s_mul_hi_u32 s22, s9, s11
	s_mul_i32 s23, s9, s11
	s_mul_hi_u32 s9, s9, s26
	s_add_u32 s9, s9, s23
	s_addc_u32 s22, 0, s22
	s_mul_hi_u32 s27, s8, s26
	s_mul_i32 s26, s8, s26
	s_add_u32 s9, s9, s26
	s_mul_hi_u32 s23, s8, s11
	s_addc_u32 s9, s22, s27
	s_addc_u32 s22, s23, 0
	s_mul_i32 s11, s8, s11
	s_add_u32 s9, s9, s11
	s_addc_u32 s11, 0, s22
	v_add_co_u32_e32 v1, vcc, s9, v1
	s_cmp_lg_u64 vcc, 0
	s_addc_u32 s8, s8, s11
	v_readfirstlane_b32 s11, v1
	s_mul_i32 s9, s0, s8
	s_mul_hi_u32 s22, s0, s11
	s_add_i32 s9, s22, s9
	s_mul_i32 s1, s1, s11
	s_add_i32 s9, s9, s1
	s_mul_i32 s0, s0, s11
	s_mul_hi_u32 s22, s8, s0
	s_mul_i32 s23, s8, s0
	s_mul_i32 s27, s11, s9
	s_mul_hi_u32 s0, s11, s0
	s_mul_hi_u32 s26, s11, s9
	s_add_u32 s0, s0, s27
	s_addc_u32 s11, 0, s26
	s_add_u32 s0, s0, s23
	s_mul_hi_u32 s1, s8, s9
	s_addc_u32 s0, s11, s22
	s_addc_u32 s1, s1, 0
	s_mul_i32 s9, s8, s9
	s_add_u32 s0, s0, s9
	s_addc_u32 s1, 0, s1
	v_add_co_u32_e32 v1, vcc, s0, v1
	s_cmp_lg_u64 vcc, 0
	s_addc_u32 s0, s8, s1
	v_readfirstlane_b32 s9, v1
	s_mul_i32 s8, s16, s0
	s_mul_hi_u32 s11, s16, s9
	s_mul_hi_u32 s1, s16, s0
	s_add_u32 s8, s11, s8
	s_addc_u32 s1, 0, s1
	s_mul_hi_u32 s22, s17, s9
	s_mul_i32 s9, s17, s9
	s_add_u32 s8, s8, s9
	s_mul_hi_u32 s11, s17, s0
	s_addc_u32 s1, s1, s22
	s_addc_u32 s8, s11, 0
	s_mul_i32 s0, s17, s0
	s_add_u32 s11, s1, s0
	s_addc_u32 s8, 0, s8
	s_mul_i32 s0, s20, s8
	s_mul_hi_u32 s1, s20, s11
	s_add_i32 s0, s1, s0
	s_mul_i32 s1, s21, s11
	s_add_i32 s9, s0, s1
	s_mul_i32 s1, s20, s11
	v_mov_b32_e32 v1, s1
	s_sub_i32 s0, s17, s9
	v_sub_co_u32_e32 v1, vcc, s16, v1
	s_cmp_lg_u64 vcc, 0
	s_subb_u32 s22, s0, s21
	v_subrev_co_u32_e64 v2, s[0:1], s20, v1
	s_cmp_lg_u64 s[0:1], 0
	s_subb_u32 s0, s22, 0
	s_cmp_ge_u32 s0, s21
	v_readfirstlane_b32 s22, v2
	s_cselect_b32 s1, -1, 0
	s_cmp_ge_u32 s22, s20
	s_cselect_b32 s22, -1, 0
	s_cmp_eq_u32 s0, s21
	s_cselect_b32 s0, s22, s1
	s_add_u32 s1, s11, 1
	s_addc_u32 s22, s8, 0
	s_add_u32 s23, s11, 2
	s_addc_u32 s26, s8, 0
	s_cmp_lg_u32 s0, 0
	s_cselect_b32 s0, s23, s1
	s_cselect_b32 s1, s26, s22
	s_cmp_lg_u64 vcc, 0
	s_subb_u32 s9, s17, s9
	s_cmp_ge_u32 s9, s21
	v_readfirstlane_b32 s23, v1
	s_cselect_b32 s22, -1, 0
	s_cmp_ge_u32 s23, s20
	s_cselect_b32 s23, -1, 0
	s_cmp_eq_u32 s9, s21
	s_cselect_b32 s9, s23, s22
	s_cmp_lg_u32 s9, 0
	s_cselect_b32 s9, s1, s8
	s_cselect_b32 s8, s0, s11
	s_cbranch_execnz .LBB116_6
.LBB116_5:                              ;   in Loop: Header=BB116_3 Depth=1
	v_cvt_f32_u32_e32 v1, s20
	s_sub_i32 s0, 0, s20
	v_rcp_iflag_f32_e32 v1, v1
	v_mul_f32_e32 v1, 0x4f7ffffe, v1
	v_cvt_u32_f32_e32 v1, v1
	v_readfirstlane_b32 s1, v1
	s_mul_i32 s0, s0, s1
	s_mul_hi_u32 s0, s1, s0
	s_add_i32 s1, s1, s0
	s_mul_hi_u32 s0, s16, s1
	s_mul_i32 s8, s0, s20
	s_sub_i32 s8, s16, s8
	s_add_i32 s1, s0, 1
	s_sub_i32 s9, s8, s20
	s_cmp_ge_u32 s8, s20
	s_cselect_b32 s0, s1, s0
	s_cselect_b32 s8, s9, s8
	s_add_i32 s1, s0, 1
	s_cmp_ge_u32 s8, s20
	s_cselect_b32 s8, s1, s0
	s_mov_b32 s9, s10
.LBB116_6:                              ;   in Loop: Header=BB116_3 Depth=1
	s_mul_i32 s0, s8, s21
	s_mul_hi_u32 s1, s8, s20
	s_add_i32 s11, s1, s0
	s_load_dwordx2 s[0:1], s[12:13], 0xc8
	s_mul_i32 s21, s9, s20
	s_add_i32 s11, s11, s21
	s_mul_i32 s20, s8, s20
	s_sub_u32 s16, s16, s20
	s_subb_u32 s11, s17, s11
	s_waitcnt lgkmcnt(0)
	s_mul_i32 s11, s0, s11
	s_mul_hi_u32 s17, s0, s16
	s_add_i32 s11, s17, s11
	s_mul_i32 s1, s1, s16
	s_add_i32 s11, s11, s1
	s_mul_i32 s0, s0, s16
	s_add_u32 s2, s0, s2
	s_addc_u32 s3, s11, s3
	s_add_i32 s15, s15, -1
	s_add_u32 s12, s12, -8
	s_addc_u32 s13, s13, -1
	s_cmp_gt_u32 s15, 2
	s_cbranch_scc0 .LBB116_9
; %bb.7:                                ;   in Loop: Header=BB116_3 Depth=1
	s_mov_b64 s[16:17], s[8:9]
	s_branch .LBB116_3
.LBB116_8:                              ;   in Loop: Header=BB116_3 Depth=1
                                        ; implicit-def: $sgpr8_sgpr9
	s_branch .LBB116_5
.LBB116_9:
	s_load_dword s0, s[4:5], 0x350
	s_load_dwordx2 s[10:11], s[4:5], 0xd0
	s_mov_b64 s[20:21], 0
	s_waitcnt lgkmcnt(0)
	s_cmp_lt_i32 s0, 2
	s_cbranch_scc1 .LBB116_17
; %bb.10:
	s_mov_b32 s12, 0
	s_add_i32 s15, s0, 1
	s_add_i32 s0, s0, -1
	s_mov_b32 s1, s12
	s_lshl_b64 s[0:1], s[0:1], 3
	s_add_u32 s0, s0, s4
	s_addc_u32 s1, s1, s5
	s_add_u32 s16, s0, 0x1c0
	s_addc_u32 s17, s1, 0
.LBB116_11:                             ; =>This Inner Loop Header: Depth=1
	s_load_dwordx2 s[22:23], s[16:17], 0x0
	s_waitcnt lgkmcnt(0)
	s_or_b64 s[0:1], s[6:7], s[22:23]
	s_mov_b32 s13, s1
	s_cmp_lg_u64 s[12:13], 0
	s_cbranch_scc0 .LBB116_16
; %bb.12:                               ;   in Loop: Header=BB116_11 Depth=1
	v_cvt_f32_u32_e32 v1, s22
	v_cvt_f32_u32_e32 v2, s23
	s_sub_u32 s0, 0, s22
	s_subb_u32 s1, 0, s23
	v_mac_f32_e32 v1, 0x4f800000, v2
	v_rcp_f32_e32 v1, v1
	v_mul_f32_e32 v1, 0x5f7ffffc, v1
	v_mul_f32_e32 v2, 0x2f800000, v1
	v_trunc_f32_e32 v2, v2
	v_mac_f32_e32 v1, 0xcf800000, v2
	v_cvt_u32_f32_e32 v2, v2
	v_cvt_u32_f32_e32 v1, v1
	v_readfirstlane_b32 s13, v2
	v_readfirstlane_b32 s26, v1
	s_mul_i32 s27, s0, s13
	s_mul_hi_u32 s29, s0, s26
	s_mul_i32 s28, s1, s26
	s_add_i32 s27, s29, s27
	s_mul_i32 s30, s0, s26
	s_add_i32 s27, s27, s28
	s_mul_hi_u32 s28, s26, s27
	s_mul_i32 s29, s26, s27
	s_mul_hi_u32 s26, s26, s30
	s_add_u32 s26, s26, s29
	s_addc_u32 s28, 0, s28
	s_mul_hi_u32 s31, s13, s30
	s_mul_i32 s30, s13, s30
	s_add_u32 s26, s26, s30
	s_mul_hi_u32 s29, s13, s27
	s_addc_u32 s26, s28, s31
	s_addc_u32 s28, s29, 0
	s_mul_i32 s27, s13, s27
	s_add_u32 s26, s26, s27
	s_addc_u32 s27, 0, s28
	v_add_co_u32_e32 v1, vcc, s26, v1
	s_cmp_lg_u64 vcc, 0
	s_addc_u32 s13, s13, s27
	v_readfirstlane_b32 s27, v1
	s_mul_i32 s26, s0, s13
	s_mul_hi_u32 s28, s0, s27
	s_add_i32 s26, s28, s26
	s_mul_i32 s1, s1, s27
	s_add_i32 s26, s26, s1
	s_mul_i32 s0, s0, s27
	s_mul_hi_u32 s28, s13, s0
	s_mul_i32 s29, s13, s0
	s_mul_i32 s31, s27, s26
	s_mul_hi_u32 s0, s27, s0
	s_mul_hi_u32 s30, s27, s26
	s_add_u32 s0, s0, s31
	s_addc_u32 s27, 0, s30
	s_add_u32 s0, s0, s29
	s_mul_hi_u32 s1, s13, s26
	s_addc_u32 s0, s27, s28
	s_addc_u32 s1, s1, 0
	s_mul_i32 s26, s13, s26
	s_add_u32 s0, s0, s26
	s_addc_u32 s1, 0, s1
	v_add_co_u32_e32 v1, vcc, s0, v1
	s_cmp_lg_u64 vcc, 0
	s_addc_u32 s0, s13, s1
	v_readfirstlane_b32 s26, v1
	s_mul_i32 s13, s6, s0
	s_mul_hi_u32 s27, s6, s26
	s_mul_hi_u32 s1, s6, s0
	s_add_u32 s13, s27, s13
	s_addc_u32 s1, 0, s1
	s_mul_hi_u32 s28, s7, s26
	s_mul_i32 s26, s7, s26
	s_add_u32 s13, s13, s26
	s_mul_hi_u32 s27, s7, s0
	s_addc_u32 s1, s1, s28
	s_addc_u32 s13, s27, 0
	s_mul_i32 s0, s7, s0
	s_add_u32 s26, s1, s0
	s_addc_u32 s13, 0, s13
	s_mul_i32 s0, s22, s13
	s_mul_hi_u32 s1, s22, s26
	s_add_i32 s0, s1, s0
	s_mul_i32 s1, s23, s26
	s_add_i32 s27, s0, s1
	s_mul_i32 s1, s22, s26
	v_mov_b32_e32 v1, s1
	s_sub_i32 s0, s7, s27
	v_sub_co_u32_e32 v1, vcc, s6, v1
	s_cmp_lg_u64 vcc, 0
	s_subb_u32 s28, s0, s23
	v_subrev_co_u32_e64 v2, s[0:1], s22, v1
	s_cmp_lg_u64 s[0:1], 0
	s_subb_u32 s0, s28, 0
	s_cmp_ge_u32 s0, s23
	v_readfirstlane_b32 s28, v2
	s_cselect_b32 s1, -1, 0
	s_cmp_ge_u32 s28, s22
	s_cselect_b32 s28, -1, 0
	s_cmp_eq_u32 s0, s23
	s_cselect_b32 s0, s28, s1
	s_add_u32 s1, s26, 1
	s_addc_u32 s28, s13, 0
	s_add_u32 s29, s26, 2
	s_addc_u32 s30, s13, 0
	s_cmp_lg_u32 s0, 0
	s_cselect_b32 s0, s29, s1
	s_cselect_b32 s1, s30, s28
	s_cmp_lg_u64 vcc, 0
	s_subb_u32 s27, s7, s27
	s_cmp_ge_u32 s27, s23
	v_readfirstlane_b32 s29, v1
	s_cselect_b32 s28, -1, 0
	s_cmp_ge_u32 s29, s22
	s_cselect_b32 s29, -1, 0
	s_cmp_eq_u32 s27, s23
	s_cselect_b32 s27, s29, s28
	s_cmp_lg_u32 s27, 0
	s_cselect_b32 s29, s1, s13
	s_cselect_b32 s28, s0, s26
	s_cbranch_execnz .LBB116_14
.LBB116_13:                             ;   in Loop: Header=BB116_11 Depth=1
	v_cvt_f32_u32_e32 v1, s22
	s_sub_i32 s0, 0, s22
	s_mov_b32 s29, s12
	v_rcp_iflag_f32_e32 v1, v1
	v_mul_f32_e32 v1, 0x4f7ffffe, v1
	v_cvt_u32_f32_e32 v1, v1
	v_readfirstlane_b32 s1, v1
	s_mul_i32 s0, s0, s1
	s_mul_hi_u32 s0, s1, s0
	s_add_i32 s1, s1, s0
	s_mul_hi_u32 s0, s6, s1
	s_mul_i32 s13, s0, s22
	s_sub_i32 s13, s6, s13
	s_add_i32 s1, s0, 1
	s_sub_i32 s26, s13, s22
	s_cmp_ge_u32 s13, s22
	s_cselect_b32 s0, s1, s0
	s_cselect_b32 s13, s26, s13
	s_add_i32 s1, s0, 1
	s_cmp_ge_u32 s13, s22
	s_cselect_b32 s28, s1, s0
.LBB116_14:                             ;   in Loop: Header=BB116_11 Depth=1
	s_mul_i32 s0, s28, s23
	s_mul_hi_u32 s1, s28, s22
	s_add_i32 s13, s1, s0
	s_load_dwordx2 s[0:1], s[16:17], 0xc8
	s_mul_i32 s23, s29, s22
	s_add_i32 s13, s13, s23
	s_mul_i32 s22, s28, s22
	s_sub_u32 s6, s6, s22
	s_subb_u32 s7, s7, s13
	s_waitcnt lgkmcnt(0)
	s_mul_i32 s7, s0, s7
	s_mul_hi_u32 s13, s0, s6
	s_add_i32 s7, s13, s7
	s_mul_i32 s1, s1, s6
	s_add_i32 s7, s7, s1
	s_mul_i32 s0, s0, s6
	s_add_u32 s20, s0, s20
	s_addc_u32 s21, s7, s21
	s_add_i32 s15, s15, -1
	s_add_u32 s16, s16, -8
	s_addc_u32 s17, s17, -1
	s_cmp_gt_u32 s15, 2
	s_cbranch_scc0 .LBB116_18
; %bb.15:                               ;   in Loop: Header=BB116_11 Depth=1
	s_mov_b64 s[6:7], s[28:29]
	s_branch .LBB116_11
.LBB116_16:                             ;   in Loop: Header=BB116_11 Depth=1
                                        ; implicit-def: $sgpr28_sgpr29
	s_branch .LBB116_13
.LBB116_17:
	s_mov_b64 s[28:29], s[6:7]
.LBB116_18:
	s_load_dword s6, s[4:5], 0x360
	s_mul_i32 s0, s10, s9
	s_mul_hi_u32 s1, s10, s8
	s_add_i32 s0, s1, s0
	s_mul_i32 s1, s11, s8
	s_add_i32 s9, s0, s1
	s_load_dwordx2 s[0:1], s[4:5], 0x0
	s_waitcnt lgkmcnt(0)
	s_bitcmp1_b32 s6, 0
	s_cselect_b64 s[26:27], -1, 0
	s_mul_i32 s8, s10, s8
	s_movk_i32 s10, 0x80
	s_and_b64 s[6:7], s[26:27], exec
	s_cselect_b32 s6, s10, 0x7f
	v_lshlrev_b16_e64 v1, 8, s6
	s_add_u32 s0, s0, s8
	v_or_b32_e32 v1, s6, v1
	s_addc_u32 s1, s1, s9
	v_lshlrev_b32_e32 v2, 16, v1
	s_add_u32 s22, s0, s2
	v_and_b32_e32 v34, 0x3ff, v0
	v_or_b32_sdwa v2, v1, v2 dst_sel:DWORD dst_unused:UNUSED_PAD src0_sel:WORD_0 src1_sel:DWORD
	s_addc_u32 s23, s1, s3
	v_mov_b32_e32 v4, s6
	v_mov_b32_e32 v3, v2
	v_cmp_gt_u32_e64 s[0:1], s14, v34
	s_and_saveexec_b64 s[2:3], s[0:1]
	s_cbranch_execz .LBB116_20
; %bb.19:
	v_pk_mov_b32 v[4:5], s[22:23], s[22:23] op_sel:[0,1]
	v_mad_u64_u32 v[4:5], s[6:7], v34, s18, v[4:5]
	v_mov_b32_e32 v6, v5
	v_mad_u64_u32 v[6:7], s[6:7], v34, s19, v[6:7]
	v_mov_b32_e32 v5, v6
	global_load_ubyte v4, v[4:5], off
	s_mov_b32 s6, 0x3020104
	v_mov_b32_e32 v7, v2
	s_waitcnt vmcnt(0)
	v_perm_b32 v6, v4, v2, s6
	v_pk_mov_b32 v[2:3], v[6:7], v[6:7] op_sel:[0,1]
.LBB116_20:
	s_or_b64 exec, exec, s[2:3]
	v_add_u32_e32 v27, 0x100, v34
	v_cmp_gt_u32_e64 s[2:3], s14, v27
	s_and_saveexec_b64 s[6:7], s[2:3]
	s_cbranch_execz .LBB116_22
; %bb.21:
	v_pk_mov_b32 v[6:7], s[22:23], s[22:23] op_sel:[0,1]
	v_mad_u64_u32 v[6:7], s[8:9], v27, s18, v[6:7]
	v_mov_b32_e32 v8, v7
	v_mad_u64_u32 v[8:9], s[8:9], v27, s19, v[8:9]
	v_mov_b32_e32 v7, v8
	global_load_ubyte v1, v[6:7], off
	s_mov_b32 s8, 0x7060004
	s_waitcnt vmcnt(0)
	v_perm_b32 v2, v2, v1, s8
.LBB116_22:
	s_or_b64 exec, exec, s[6:7]
	v_add_u32_e32 v20, 0x200, v34
	v_cmp_gt_u32_e64 s[16:17], s14, v20
	s_and_saveexec_b64 s[6:7], s[16:17]
	s_cbranch_execz .LBB116_24
; %bb.23:
	v_pk_mov_b32 v[6:7], s[22:23], s[22:23] op_sel:[0,1]
	v_mad_u64_u32 v[6:7], s[8:9], v20, s18, v[6:7]
	v_mov_b32_e32 v8, v7
	v_mad_u64_u32 v[8:9], s[8:9], v20, s19, v[8:9]
	v_mov_b32_e32 v7, v8
	global_load_ubyte v1, v[6:7], off
	s_movk_i32 s8, 0xff00
	v_and_b32_sdwa v5, v2, s8 dst_sel:DWORD dst_unused:UNUSED_PAD src0_sel:WORD_1 src1_sel:DWORD
	s_mov_b32 s8, 0xffff
	s_waitcnt vmcnt(0)
	v_or_b32_sdwa v1, v1, v5 dst_sel:WORD_1 dst_unused:UNUSED_PAD src0_sel:DWORD src1_sel:DWORD
	v_and_or_b32 v2, v2, s8, v1
.LBB116_24:
	s_or_b64 exec, exec, s[6:7]
	v_add_u32_e32 v21, 0x300, v34
	v_cmp_gt_u32_e64 s[6:7], s14, v21
	s_and_saveexec_b64 s[8:9], s[6:7]
	s_cbranch_execz .LBB116_26
; %bb.25:
	v_pk_mov_b32 v[6:7], s[22:23], s[22:23] op_sel:[0,1]
	v_mad_u64_u32 v[6:7], s[10:11], v21, s18, v[6:7]
	v_mov_b32_e32 v8, v7
	v_mad_u64_u32 v[8:9], s[10:11], v21, s19, v[8:9]
	v_mov_b32_e32 v7, v8
	global_load_ubyte v1, v[6:7], off
	s_movk_i32 s10, 0xff
	v_and_b32_sdwa v5, v2, s10 dst_sel:DWORD dst_unused:UNUSED_PAD src0_sel:WORD_1 src1_sel:DWORD
	s_mov_b32 s10, 0xffff
	s_waitcnt vmcnt(0)
	v_lshlrev_b16_e32 v1, 8, v1
	v_or_b32_sdwa v1, v5, v1 dst_sel:WORD_1 dst_unused:UNUSED_PAD src0_sel:DWORD src1_sel:DWORD
	v_and_or_b32 v2, v2, s10, v1
.LBB116_26:
	s_or_b64 exec, exec, s[8:9]
	v_or_b32_e32 v23, 0x400, v34
	v_cmp_gt_u32_e64 s[8:9], s14, v23
	s_and_saveexec_b64 s[10:11], s[8:9]
	s_cbranch_execz .LBB116_28
; %bb.27:
	v_pk_mov_b32 v[6:7], s[22:23], s[22:23] op_sel:[0,1]
	v_mad_u64_u32 v[6:7], s[12:13], v23, s18, v[6:7]
	v_mov_b32_e32 v8, v7
	v_mad_u64_u32 v[8:9], s[12:13], v23, s19, v[8:9]
	v_mov_b32_e32 v7, v8
	global_load_ubyte v1, v[6:7], off
	s_mov_b32 s12, 0x3020104
	s_waitcnt vmcnt(0)
	v_perm_b32 v3, v1, v3, s12
.LBB116_28:
	s_or_b64 exec, exec, s[10:11]
	v_add_u32_e32 v19, 0x500, v34
	v_cmp_gt_u32_e64 s[10:11], s14, v19
	s_and_saveexec_b64 s[12:13], s[10:11]
	s_cbranch_execz .LBB116_30
; %bb.29:
	v_pk_mov_b32 v[6:7], s[22:23], s[22:23] op_sel:[0,1]
	v_mad_u64_u32 v[6:7], s[30:31], v19, s18, v[6:7]
	v_mov_b32_e32 v8, v7
	v_mad_u64_u32 v[8:9], s[30:31], v19, s19, v[8:9]
	v_mov_b32_e32 v7, v8
	global_load_ubyte v1, v[6:7], off
	s_mov_b32 s15, 0x7060004
	s_waitcnt vmcnt(0)
	v_perm_b32 v3, v3, v1, s15
.LBB116_30:
	s_or_b64 exec, exec, s[12:13]
	s_load_dwordx2 s[34:35], s[4:5], 0x288
	s_load_dwordx2 s[30:31], s[4:5], 0x1b8
	v_add_u32_e32 v18, 0x600, v34
	v_cmp_gt_u32_e64 s[12:13], s14, v18
	s_and_saveexec_b64 s[36:37], s[12:13]
	s_cbranch_execz .LBB116_32
; %bb.31:
	v_pk_mov_b32 v[6:7], s[22:23], s[22:23] op_sel:[0,1]
	v_mad_u64_u32 v[6:7], s[38:39], v18, s18, v[6:7]
	v_mov_b32_e32 v8, v7
	v_mad_u64_u32 v[8:9], s[38:39], v18, s19, v[8:9]
	v_mov_b32_e32 v7, v8
	global_load_ubyte v1, v[6:7], off
	s_mov_b32 s15, 0x7000504
	s_waitcnt vmcnt(0)
	v_perm_b32 v3, v3, v1, s15
.LBB116_32:
	s_or_b64 exec, exec, s[36:37]
	v_add_u32_e32 v1, 0x700, v34
	v_cmp_gt_u32_e64 s[14:15], s14, v1
	s_and_saveexec_b64 s[36:37], s[14:15]
	s_cbranch_execz .LBB116_34
; %bb.33:
	v_pk_mov_b32 v[6:7], s[22:23], s[22:23] op_sel:[0,1]
	v_mad_u64_u32 v[6:7], s[38:39], v1, s18, v[6:7]
	v_mov_b32_e32 v8, v7
	v_mad_u64_u32 v[8:9], s[38:39], v1, s19, v[8:9]
	v_mov_b32_e32 v7, v8
	global_load_ubyte v5, v[6:7], off
	s_mov_b32 s33, 0x60504
	s_waitcnt vmcnt(0)
	v_perm_b32 v3, v3, v5, s33
.LBB116_34:
	s_or_b64 exec, exec, s[36:37]
	v_lshrrev_b32_e32 v32, 5, v34
	v_and_b32_e32 v5, 28, v32
	v_add_u32_e32 v35, v5, v34
	v_lshrrev_b32_e32 v31, 5, v27
	ds_write_b8 v35, v4
	v_and_b32_e32 v4, 60, v31
	v_lshrrev_b32_e32 v30, 5, v20
	v_add_u32_e32 v42, v4, v34
	v_and_b32_e32 v4, 60, v30
	v_lshrrev_b32_e32 v29, 5, v21
	v_lshrrev_b32_e32 v5, 8, v2
	v_add_u32_e32 v43, v4, v34
	v_and_b32_e32 v4, 60, v29
	s_waitcnt lgkmcnt(0)
	s_mul_i32 s29, s34, s29
	s_mul_hi_u32 s33, s34, s28
	ds_write_b8 v42, v5 offset:256
	ds_write_b8_d16_hi v43, v2 offset:512
	v_lshrrev_b32_e32 v2, 24, v2
	v_add_u32_e32 v44, v4, v34
	v_lshrrev_b32_e32 v28, 5, v23
	s_add_i32 s29, s33, s29
	s_mul_i32 s33, s35, s28
	ds_write_b8 v44, v2 offset:768
	v_and_b32_e32 v2, 60, v28
	v_lshrrev_b32_e32 v25, 5, v19
	s_add_i32 s29, s29, s33
	s_mul_i32 s28, s34, s28
	v_add_u32_e32 v45, v2, v34
	v_and_b32_e32 v2, 0x7c, v25
	v_lshrrev_b32_e32 v24, 5, v18
	s_lshl_b64 s[28:29], s[28:29], 3
	v_add_u32_e32 v46, v2, v34
	v_and_b32_e32 v2, 0x7c, v24
	v_lshrrev_b32_e32 v22, 5, v1
	s_add_u32 s28, s30, s28
	v_add_u32_e32 v47, v2, v34
	v_and_b32_e32 v2, 0x7c, v22
	v_lshrrev_b32_e32 v26, 2, v34
	s_addc_u32 s29, s31, s29
	s_lshl_b64 s[20:21], s[20:21], 3
	v_lshrrev_b32_e32 v4, 8, v3
	v_add_u32_e32 v48, v2, v34
	v_lshlrev_b32_e32 v50, 3, v34
	v_and_b32_e32 v2, 0xfc, v26
	s_add_u32 s28, s28, s20
	ds_write_b8 v45, v3 offset:1024
	ds_write_b8 v46, v4 offset:1280
	ds_write_b8_d16_hi v47, v3 offset:1536
	v_lshrrev_b32_e32 v3, 24, v3
	v_add_u32_e32 v49, v2, v50
	s_addc_u32 s29, s29, s21
	s_load_dwordx2 s[20:21], s[4:5], 0x358
	ds_write_b8 v48, v3 offset:1792
	s_waitcnt lgkmcnt(0)
	s_barrier
	ds_read_b64 v[36:37], v49
	s_mov_b32 s36, 0
	s_mov_b32 s37, s36
	;; [unrolled: 1-line block ×16, first 2 shown]
	v_pk_mov_b32 v[2:3], s[36:37], s[36:37] op_sel:[0,1]
	v_pk_mov_b32 v[4:5], s[38:39], s[38:39] op_sel:[0,1]
	;; [unrolled: 1-line block ×8, first 2 shown]
	v_pk_mov_b32 v[2:3], 0, 0
	s_waitcnt lgkmcnt(0)
	s_barrier
	s_and_saveexec_b64 s[4:5], s[0:1]
	s_cbranch_execnz .LBB116_67
; %bb.35:
	s_or_b64 exec, exec, s[4:5]
	s_and_saveexec_b64 s[4:5], s[2:3]
	s_cbranch_execnz .LBB116_68
.LBB116_36:
	s_or_b64 exec, exec, s[4:5]
	s_and_saveexec_b64 s[4:5], s[16:17]
	s_cbranch_execnz .LBB116_69
.LBB116_37:
	s_or_b64 exec, exec, s[4:5]
	s_and_saveexec_b64 s[4:5], s[6:7]
	s_cbranch_execnz .LBB116_70
.LBB116_38:
	s_or_b64 exec, exec, s[4:5]
	s_and_saveexec_b64 s[4:5], s[8:9]
	s_cbranch_execnz .LBB116_71
.LBB116_39:
	s_or_b64 exec, exec, s[4:5]
	s_and_saveexec_b64 s[4:5], s[10:11]
	s_cbranch_execnz .LBB116_72
.LBB116_40:
	s_or_b64 exec, exec, s[4:5]
	s_and_saveexec_b64 s[4:5], s[12:13]
	s_cbranch_execnz .LBB116_73
.LBB116_41:
	s_or_b64 exec, exec, s[4:5]
	s_xor_b64 s[4:5], s[26:27], -1
	s_and_saveexec_b64 s[26:27], s[14:15]
	s_cbranch_execz .LBB116_43
.LBB116_42:
	v_mad_u64_u32 v[16:17], s[30:31], v1, s20, 0
	v_mov_b32_e32 v18, v17
	v_mad_u64_u32 v[18:19], s[30:31], v1, s21, v[18:19]
	v_mov_b32_e32 v17, v18
	v_lshlrev_b64 v[16:17], 3, v[16:17]
	v_mov_b32_e32 v1, s29
	v_add_co_u32_e32 v16, vcc, s28, v16
	v_addc_co_u32_e32 v17, vcc, v1, v17, vcc
	global_load_dwordx2 v[16:17], v[16:17], off
.LBB116_43:
	s_or_b64 exec, exec, s[26:27]
	v_lshrrev_b64 v[38:39], 24, v[36:37]
	v_add_lshl_u32 v39, v32, v34, 3
	v_add_lshl_u32 v51, v31, v34, 3
	;; [unrolled: 1-line block ×9, first 2 shown]
	s_waitcnt vmcnt(0)
	ds_write_b64 v39, v[2:3]
	ds_write_b64 v51, v[4:5] offset:2048
	ds_write_b64 v52, v[6:7] offset:4096
	;; [unrolled: 1-line block ×7, first 2 shown]
	s_waitcnt lgkmcnt(0)
	s_barrier
	ds_read2_b64 v[14:17], v58 offset1:1
	ds_read2_b64 v[10:13], v58 offset0:2 offset1:3
	ds_read2_b64 v[6:9], v58 offset0:4 offset1:5
	;; [unrolled: 1-line block ×3, first 2 shown]
	v_mbcnt_lo_u32_b32 v1, -1, 0
	v_mbcnt_hi_u32_b32 v59, -1, v1
	v_and_b32_e32 v61, 0x3c0, v34
	s_movk_i32 s26, 0x1e00
	v_add_lshl_u32 v69, v59, v61, 3
	v_and_or_b32 v68, v50, s26, v59
	v_lshrrev_b32_e32 v62, 8, v36
	v_lshrrev_b32_e32 v65, 8, v37
	s_and_b64 vcc, exec, s[4:5]
	v_bfe_u32 v63, v0, 10, 10
	v_bfe_u32 v64, v0, 20, 10
	v_lshlrev_b32_e32 v67, 3, v69
	v_lshlrev_b32_e32 v66, 3, v68
	;; [unrolled: 1-line block ×3, first 2 shown]
	s_waitcnt lgkmcnt(0)
	s_barrier
	s_cbranch_vccz .LBB116_74
; %bb.44:
	s_movk_i32 s4, 0x80
	v_xor_b32_sdwa v0, v65, s4 dst_sel:BYTE_1 dst_unused:UNUSED_PAD src0_sel:DWORD src1_sel:DWORD
	v_xor_b32_e32 v1, 0x80, v37
	v_or_b32_sdwa v0, v1, v0 dst_sel:DWORD dst_unused:UNUSED_PAD src0_sel:BYTE_0 src1_sel:DWORD
	v_xor_b32_sdwa v1, v37, s4 dst_sel:DWORD dst_unused:UNUSED_PAD src0_sel:BYTE_3 src1_sel:DWORD
	v_lshlrev_b16_e32 v1, 8, v1
	v_xor_b32_sdwa v18, v37, s4 dst_sel:DWORD dst_unused:UNUSED_PAD src0_sel:WORD_1 src1_sel:DWORD
	v_or_b32_sdwa v1, v18, v1 dst_sel:WORD_1 dst_unused:UNUSED_PAD src0_sel:BYTE_0 src1_sel:DWORD
	v_or_b32_sdwa v1, v0, v1 dst_sel:DWORD dst_unused:UNUSED_PAD src0_sel:WORD_0 src1_sel:DWORD
	v_xor_b32_sdwa v0, v62, s4 dst_sel:BYTE_1 dst_unused:UNUSED_PAD src0_sel:DWORD src1_sel:DWORD
	v_xor_b32_e32 v18, 0x80, v36
	v_or_b32_sdwa v0, v18, v0 dst_sel:DWORD dst_unused:UNUSED_PAD src0_sel:BYTE_0 src1_sel:DWORD
	v_xor_b32_sdwa v18, v38, s4 dst_sel:BYTE_1 dst_unused:UNUSED_PAD src0_sel:DWORD src1_sel:DWORD
	v_xor_b32_sdwa v19, v36, s4 dst_sel:DWORD dst_unused:UNUSED_PAD src0_sel:WORD_1 src1_sel:DWORD
	v_or_b32_sdwa v18, v19, v18 dst_sel:WORD_1 dst_unused:UNUSED_PAD src0_sel:BYTE_0 src1_sel:DWORD
	v_or_b32_sdwa v0, v0, v18 dst_sel:DWORD dst_unused:UNUSED_PAD src0_sel:WORD_0 src1_sel:DWORD
	s_getpc_b64 s[4:5]
	s_add_u32 s4, s4, _ZN7rocprim17ROCPRIM_400000_NS16block_radix_sortIaLj256ELj8ElLj1ELj1ELj0ELNS0_26block_radix_rank_algorithmE1ELNS0_18block_padding_hintE2ELNS0_4arch9wavefront6targetE1EE19radix_bits_per_passE@rel32@lo+4
	s_addc_u32 s5, s5, _ZN7rocprim17ROCPRIM_400000_NS16block_radix_sortIaLj256ELj8ElLj1ELj1ELj0ELNS0_26block_radix_rank_algorithmE1ELNS0_18block_padding_hintE2ELNS0_4arch9wavefront6targetE1EE19radix_bits_per_passE@rel32@hi+12
	ds_write_b64 v69, v[0:1]
	; wave barrier
	ds_read_u8 v70, v68
	ds_read_u8 v71, v68 offset:64
	ds_read_u8 v72, v68 offset:128
	;; [unrolled: 1-line block ×7, first 2 shown]
	s_waitcnt lgkmcnt(0)
	s_barrier
	ds_write2_b64 v67, v[14:15], v[16:17] offset1:1
	ds_write2_b64 v67, v[10:11], v[12:13] offset0:2 offset1:3
	ds_write2_b64 v67, v[6:7], v[8:9] offset0:4 offset1:5
	;; [unrolled: 1-line block ×3, first 2 shown]
	; wave barrier
	ds_read2st64_b64 v[30:33], v66 offset1:1
	ds_read2st64_b64 v[26:29], v66 offset0:2 offset1:3
	ds_read2st64_b64 v[22:25], v66 offset0:4 offset1:5
	;; [unrolled: 1-line block ×3, first 2 shown]
	s_waitcnt lgkmcnt(0)
	s_barrier
	s_load_dword s26, s[4:5], 0x0
	s_load_dword s27, s[24:25], 0xc
	v_mov_b32_e32 v80, 2
	s_waitcnt lgkmcnt(0)
	s_min_u32 s26, s26, 8
	s_lshr_b32 s4, s27, 16
	s_and_b32 s5, s27, 0xffff
	v_mad_u32_u24 v0, v64, s4, v63
	v_mad_u64_u32 v[40:41], s[4:5], v0, s5, v[34:35]
	s_lshl_b32 s4, -1, s26
	s_not_b32 s26, s4
	v_lshrrev_b32_e32 v84, 6, v40
	v_and_b32_e32 v40, s26, v70
	v_lshlrev_b32_sdwa v1, v80, v40 dst_sel:DWORD dst_unused:UNUSED_PAD src0_sel:DWORD src1_sel:BYTE_0
	v_add_lshl_u32 v78, v84, v1, 2
	v_and_b32_e32 v1, 1, v40
	v_add_co_u32_e32 v41, vcc, -1, v1
	v_addc_co_u32_e64 v79, s[4:5], 0, -1, vcc
	v_cmp_ne_u32_e32 vcc, 0, v1
	v_xor_b32_e32 v1, vcc_hi, v79
	v_mov_b32_e32 v0, 0
	v_and_b32_e32 v79, exec_hi, v1
	v_lshlrev_b32_e32 v1, 30, v40
	v_xor_b32_e32 v41, vcc_lo, v41
	v_cmp_gt_i64_e32 vcc, 0, v[0:1]
	v_not_b32_e32 v1, v1
	v_ashrrev_i32_e32 v1, 31, v1
	v_and_b32_e32 v41, exec_lo, v41
	v_xor_b32_e32 v81, vcc_hi, v1
	v_xor_b32_e32 v1, vcc_lo, v1
	v_and_b32_e32 v41, v41, v1
	v_lshlrev_b32_e32 v1, 29, v40
	v_cmp_gt_i64_e32 vcc, 0, v[0:1]
	v_not_b32_e32 v1, v1
	v_ashrrev_i32_e32 v1, 31, v1
	v_and_b32_e32 v79, v79, v81
	v_xor_b32_e32 v81, vcc_hi, v1
	v_xor_b32_e32 v1, vcc_lo, v1
	v_and_b32_e32 v41, v41, v1
	v_lshlrev_b32_e32 v1, 28, v40
	v_cmp_gt_i64_e32 vcc, 0, v[0:1]
	v_not_b32_e32 v1, v1
	v_ashrrev_i32_e32 v1, 31, v1
	v_and_b32_e32 v79, v79, v81
	;; [unrolled: 8-line block ×5, first 2 shown]
	v_xor_b32_e32 v81, vcc_hi, v1
	v_xor_b32_e32 v1, vcc_lo, v1
	v_and_b32_e32 v79, v79, v81
	v_and_b32_e32 v81, v41, v1
	v_lshlrev_b32_e32 v1, 24, v40
	v_cmp_gt_i64_e32 vcc, 0, v[0:1]
	v_not_b32_e32 v1, v1
	v_ashrrev_i32_e32 v1, 31, v1
	v_xor_b32_e32 v40, vcc_hi, v1
	v_xor_b32_e32 v1, vcc_lo, v1
	v_and_b32_e32 v41, v79, v40
	v_and_b32_e32 v40, v81, v1
	v_mbcnt_lo_u32_b32 v1, v40, 0
	v_mbcnt_hi_u32_b32 v79, v41, v1
	v_cmp_eq_u32_e32 vcc, 0, v79
	v_cmp_ne_u64_e64 s[4:5], 0, v[40:41]
	s_and_b64 s[30:31], s[4:5], vcc
	ds_write2_b32 v60, v0, v0 offset0:4 offset1:5
	ds_write2_b32 v60, v0, v0 offset0:6 offset1:7
	s_waitcnt lgkmcnt(0)
	s_barrier
	s_waitcnt lgkmcnt(0)
	; wave barrier
	s_and_saveexec_b64 s[4:5], s[30:31]
	s_cbranch_execz .LBB116_46
; %bb.45:
	v_bcnt_u32_b32 v1, v40, 0
	v_bcnt_u32_b32 v1, v41, v1
	ds_write_b32 v78, v1 offset:16
.LBB116_46:
	s_or_b64 exec, exec, s[4:5]
	v_and_b32_e32 v40, s26, v71
	v_lshlrev_b32_sdwa v1, v80, v40 dst_sel:DWORD dst_unused:UNUSED_PAD src0_sel:DWORD src1_sel:BYTE_0
	v_add_lshl_u32 v81, v84, v1, 2
	v_and_b32_e32 v1, 1, v40
	v_add_co_u32_e32 v41, vcc, -1, v1
	v_addc_co_u32_e64 v82, s[4:5], 0, -1, vcc
	v_cmp_ne_u32_e32 vcc, 0, v1
	v_xor_b32_e32 v1, vcc_hi, v82
	v_and_b32_e32 v82, exec_hi, v1
	v_lshlrev_b32_e32 v1, 30, v40
	v_xor_b32_e32 v41, vcc_lo, v41
	v_cmp_gt_i64_e32 vcc, 0, v[0:1]
	v_not_b32_e32 v1, v1
	v_ashrrev_i32_e32 v1, 31, v1
	v_and_b32_e32 v41, exec_lo, v41
	v_xor_b32_e32 v83, vcc_hi, v1
	v_xor_b32_e32 v1, vcc_lo, v1
	v_and_b32_e32 v41, v41, v1
	v_lshlrev_b32_e32 v1, 29, v40
	v_cmp_gt_i64_e32 vcc, 0, v[0:1]
	v_not_b32_e32 v1, v1
	v_ashrrev_i32_e32 v1, 31, v1
	v_and_b32_e32 v82, v82, v83
	v_xor_b32_e32 v83, vcc_hi, v1
	v_xor_b32_e32 v1, vcc_lo, v1
	v_and_b32_e32 v41, v41, v1
	v_lshlrev_b32_e32 v1, 28, v40
	v_cmp_gt_i64_e32 vcc, 0, v[0:1]
	v_not_b32_e32 v1, v1
	v_ashrrev_i32_e32 v1, 31, v1
	v_and_b32_e32 v82, v82, v83
	;; [unrolled: 8-line block ×5, first 2 shown]
	v_xor_b32_e32 v83, vcc_hi, v1
	v_xor_b32_e32 v1, vcc_lo, v1
	v_and_b32_e32 v41, v41, v1
	v_lshlrev_b32_e32 v1, 24, v40
	v_cmp_gt_i64_e32 vcc, 0, v[0:1]
	v_not_b32_e32 v0, v1
	v_ashrrev_i32_e32 v0, 31, v0
	v_xor_b32_e32 v1, vcc_hi, v0
	v_xor_b32_e32 v0, vcc_lo, v0
	; wave barrier
	ds_read_b32 v80, v81 offset:16
	v_and_b32_e32 v82, v82, v83
	v_and_b32_e32 v0, v41, v0
	;; [unrolled: 1-line block ×3, first 2 shown]
	v_mbcnt_lo_u32_b32 v40, v0, 0
	v_mbcnt_hi_u32_b32 v82, v1, v40
	v_cmp_eq_u32_e32 vcc, 0, v82
	v_cmp_ne_u64_e64 s[4:5], 0, v[0:1]
	s_and_b64 s[30:31], s[4:5], vcc
	; wave barrier
	s_and_saveexec_b64 s[4:5], s[30:31]
	s_cbranch_execz .LBB116_48
; %bb.47:
	v_bcnt_u32_b32 v0, v0, 0
	v_bcnt_u32_b32 v0, v1, v0
	s_waitcnt lgkmcnt(0)
	v_add_u32_e32 v0, v80, v0
	ds_write_b32 v81, v0 offset:16
.LBB116_48:
	s_or_b64 exec, exec, s[4:5]
	v_and_b32_e32 v40, s26, v72
	v_and_b32_e32 v1, 1, v40
	v_add_co_u32_e32 v41, vcc, -1, v1
	v_mov_b32_e32 v87, 2
	v_addc_co_u32_e64 v86, s[4:5], 0, -1, vcc
	v_cmp_ne_u32_e32 vcc, 0, v1
	v_lshlrev_b32_sdwa v0, v87, v40 dst_sel:DWORD dst_unused:UNUSED_PAD src0_sel:DWORD src1_sel:BYTE_0
	v_xor_b32_e32 v1, vcc_hi, v86
	v_add_lshl_u32 v85, v84, v0, 2
	v_mov_b32_e32 v0, 0
	v_and_b32_e32 v86, exec_hi, v1
	v_lshlrev_b32_e32 v1, 30, v40
	v_xor_b32_e32 v41, vcc_lo, v41
	v_cmp_gt_i64_e32 vcc, 0, v[0:1]
	v_not_b32_e32 v1, v1
	v_ashrrev_i32_e32 v1, 31, v1
	v_and_b32_e32 v41, exec_lo, v41
	v_xor_b32_e32 v88, vcc_hi, v1
	v_xor_b32_e32 v1, vcc_lo, v1
	v_and_b32_e32 v41, v41, v1
	v_lshlrev_b32_e32 v1, 29, v40
	v_cmp_gt_i64_e32 vcc, 0, v[0:1]
	v_not_b32_e32 v1, v1
	v_ashrrev_i32_e32 v1, 31, v1
	v_and_b32_e32 v86, v86, v88
	v_xor_b32_e32 v88, vcc_hi, v1
	v_xor_b32_e32 v1, vcc_lo, v1
	v_and_b32_e32 v41, v41, v1
	v_lshlrev_b32_e32 v1, 28, v40
	v_cmp_gt_i64_e32 vcc, 0, v[0:1]
	v_not_b32_e32 v1, v1
	v_ashrrev_i32_e32 v1, 31, v1
	v_and_b32_e32 v86, v86, v88
	;; [unrolled: 8-line block ×5, first 2 shown]
	v_xor_b32_e32 v88, vcc_hi, v1
	v_xor_b32_e32 v1, vcc_lo, v1
	v_and_b32_e32 v86, v86, v88
	v_and_b32_e32 v88, v41, v1
	v_lshlrev_b32_e32 v1, 24, v40
	v_cmp_gt_i64_e32 vcc, 0, v[0:1]
	v_not_b32_e32 v1, v1
	v_ashrrev_i32_e32 v1, 31, v1
	v_xor_b32_e32 v40, vcc_hi, v1
	v_xor_b32_e32 v1, vcc_lo, v1
	; wave barrier
	ds_read_b32 v83, v85 offset:16
	v_and_b32_e32 v41, v86, v40
	v_and_b32_e32 v40, v88, v1
	v_mbcnt_lo_u32_b32 v1, v40, 0
	v_mbcnt_hi_u32_b32 v86, v41, v1
	v_cmp_eq_u32_e32 vcc, 0, v86
	v_cmp_ne_u64_e64 s[4:5], 0, v[40:41]
	s_and_b64 s[30:31], s[4:5], vcc
	; wave barrier
	s_and_saveexec_b64 s[4:5], s[30:31]
	s_cbranch_execz .LBB116_50
; %bb.49:
	v_bcnt_u32_b32 v1, v40, 0
	v_bcnt_u32_b32 v1, v41, v1
	s_waitcnt lgkmcnt(0)
	v_add_u32_e32 v1, v83, v1
	ds_write_b32 v85, v1 offset:16
.LBB116_50:
	s_or_b64 exec, exec, s[4:5]
	v_and_b32_e32 v40, s26, v73
	v_lshlrev_b32_sdwa v1, v87, v40 dst_sel:DWORD dst_unused:UNUSED_PAD src0_sel:DWORD src1_sel:BYTE_0
	v_add_lshl_u32 v88, v84, v1, 2
	v_and_b32_e32 v1, 1, v40
	v_add_co_u32_e32 v41, vcc, -1, v1
	v_addc_co_u32_e64 v89, s[4:5], 0, -1, vcc
	v_cmp_ne_u32_e32 vcc, 0, v1
	v_xor_b32_e32 v1, vcc_hi, v89
	v_and_b32_e32 v89, exec_hi, v1
	v_lshlrev_b32_e32 v1, 30, v40
	v_xor_b32_e32 v41, vcc_lo, v41
	v_cmp_gt_i64_e32 vcc, 0, v[0:1]
	v_not_b32_e32 v1, v1
	v_ashrrev_i32_e32 v1, 31, v1
	v_and_b32_e32 v41, exec_lo, v41
	v_xor_b32_e32 v90, vcc_hi, v1
	v_xor_b32_e32 v1, vcc_lo, v1
	v_and_b32_e32 v41, v41, v1
	v_lshlrev_b32_e32 v1, 29, v40
	v_cmp_gt_i64_e32 vcc, 0, v[0:1]
	v_not_b32_e32 v1, v1
	v_ashrrev_i32_e32 v1, 31, v1
	v_and_b32_e32 v89, v89, v90
	v_xor_b32_e32 v90, vcc_hi, v1
	v_xor_b32_e32 v1, vcc_lo, v1
	v_and_b32_e32 v41, v41, v1
	v_lshlrev_b32_e32 v1, 28, v40
	v_cmp_gt_i64_e32 vcc, 0, v[0:1]
	v_not_b32_e32 v1, v1
	v_ashrrev_i32_e32 v1, 31, v1
	v_and_b32_e32 v89, v89, v90
	v_xor_b32_e32 v90, vcc_hi, v1
	v_xor_b32_e32 v1, vcc_lo, v1
	v_and_b32_e32 v41, v41, v1
	v_lshlrev_b32_e32 v1, 27, v40
	v_cmp_gt_i64_e32 vcc, 0, v[0:1]
	v_not_b32_e32 v1, v1
	v_ashrrev_i32_e32 v1, 31, v1
	v_and_b32_e32 v89, v89, v90
	v_xor_b32_e32 v90, vcc_hi, v1
	v_xor_b32_e32 v1, vcc_lo, v1
	v_and_b32_e32 v41, v41, v1
	v_lshlrev_b32_e32 v1, 26, v40
	v_cmp_gt_i64_e32 vcc, 0, v[0:1]
	v_not_b32_e32 v1, v1
	v_ashrrev_i32_e32 v1, 31, v1
	v_and_b32_e32 v89, v89, v90
	v_xor_b32_e32 v90, vcc_hi, v1
	v_xor_b32_e32 v1, vcc_lo, v1
	v_and_b32_e32 v41, v41, v1
	v_lshlrev_b32_e32 v1, 25, v40
	v_cmp_gt_i64_e32 vcc, 0, v[0:1]
	v_not_b32_e32 v1, v1
	v_ashrrev_i32_e32 v1, 31, v1
	v_and_b32_e32 v89, v89, v90
	v_xor_b32_e32 v90, vcc_hi, v1
	v_xor_b32_e32 v1, vcc_lo, v1
	v_and_b32_e32 v41, v41, v1
	v_lshlrev_b32_e32 v1, 24, v40
	v_cmp_gt_i64_e32 vcc, 0, v[0:1]
	v_not_b32_e32 v0, v1
	v_ashrrev_i32_e32 v0, 31, v0
	v_xor_b32_e32 v1, vcc_hi, v0
	v_xor_b32_e32 v0, vcc_lo, v0
	; wave barrier
	ds_read_b32 v87, v88 offset:16
	v_and_b32_e32 v89, v89, v90
	v_and_b32_e32 v0, v41, v0
	;; [unrolled: 1-line block ×3, first 2 shown]
	v_mbcnt_lo_u32_b32 v40, v0, 0
	v_mbcnt_hi_u32_b32 v89, v1, v40
	v_cmp_eq_u32_e32 vcc, 0, v89
	v_cmp_ne_u64_e64 s[4:5], 0, v[0:1]
	s_and_b64 s[30:31], s[4:5], vcc
	; wave barrier
	s_and_saveexec_b64 s[4:5], s[30:31]
	s_cbranch_execz .LBB116_52
; %bb.51:
	v_bcnt_u32_b32 v0, v0, 0
	v_bcnt_u32_b32 v0, v1, v0
	s_waitcnt lgkmcnt(0)
	v_add_u32_e32 v0, v87, v0
	ds_write_b32 v88, v0 offset:16
.LBB116_52:
	s_or_b64 exec, exec, s[4:5]
	v_and_b32_e32 v40, s26, v74
	v_and_b32_e32 v1, 1, v40
	v_add_co_u32_e32 v41, vcc, -1, v1
	v_mov_b32_e32 v93, 2
	v_addc_co_u32_e64 v92, s[4:5], 0, -1, vcc
	v_cmp_ne_u32_e32 vcc, 0, v1
	v_lshlrev_b32_sdwa v0, v93, v40 dst_sel:DWORD dst_unused:UNUSED_PAD src0_sel:DWORD src1_sel:BYTE_0
	v_xor_b32_e32 v1, vcc_hi, v92
	v_add_lshl_u32 v91, v84, v0, 2
	v_mov_b32_e32 v0, 0
	v_and_b32_e32 v92, exec_hi, v1
	v_lshlrev_b32_e32 v1, 30, v40
	v_xor_b32_e32 v41, vcc_lo, v41
	v_cmp_gt_i64_e32 vcc, 0, v[0:1]
	v_not_b32_e32 v1, v1
	v_ashrrev_i32_e32 v1, 31, v1
	v_and_b32_e32 v41, exec_lo, v41
	v_xor_b32_e32 v94, vcc_hi, v1
	v_xor_b32_e32 v1, vcc_lo, v1
	v_and_b32_e32 v41, v41, v1
	v_lshlrev_b32_e32 v1, 29, v40
	v_cmp_gt_i64_e32 vcc, 0, v[0:1]
	v_not_b32_e32 v1, v1
	v_ashrrev_i32_e32 v1, 31, v1
	v_and_b32_e32 v92, v92, v94
	v_xor_b32_e32 v94, vcc_hi, v1
	v_xor_b32_e32 v1, vcc_lo, v1
	v_and_b32_e32 v41, v41, v1
	v_lshlrev_b32_e32 v1, 28, v40
	v_cmp_gt_i64_e32 vcc, 0, v[0:1]
	v_not_b32_e32 v1, v1
	v_ashrrev_i32_e32 v1, 31, v1
	v_and_b32_e32 v92, v92, v94
	;; [unrolled: 8-line block ×5, first 2 shown]
	v_xor_b32_e32 v94, vcc_hi, v1
	v_xor_b32_e32 v1, vcc_lo, v1
	v_and_b32_e32 v92, v92, v94
	v_and_b32_e32 v94, v41, v1
	v_lshlrev_b32_e32 v1, 24, v40
	v_cmp_gt_i64_e32 vcc, 0, v[0:1]
	v_not_b32_e32 v1, v1
	v_ashrrev_i32_e32 v1, 31, v1
	v_xor_b32_e32 v40, vcc_hi, v1
	v_xor_b32_e32 v1, vcc_lo, v1
	; wave barrier
	ds_read_b32 v90, v91 offset:16
	v_and_b32_e32 v41, v92, v40
	v_and_b32_e32 v40, v94, v1
	v_mbcnt_lo_u32_b32 v1, v40, 0
	v_mbcnt_hi_u32_b32 v92, v41, v1
	v_cmp_eq_u32_e32 vcc, 0, v92
	v_cmp_ne_u64_e64 s[4:5], 0, v[40:41]
	s_and_b64 s[30:31], s[4:5], vcc
	; wave barrier
	s_and_saveexec_b64 s[4:5], s[30:31]
	s_cbranch_execz .LBB116_54
; %bb.53:
	v_bcnt_u32_b32 v1, v40, 0
	v_bcnt_u32_b32 v1, v41, v1
	s_waitcnt lgkmcnt(0)
	v_add_u32_e32 v1, v90, v1
	ds_write_b32 v91, v1 offset:16
.LBB116_54:
	s_or_b64 exec, exec, s[4:5]
	v_and_b32_e32 v40, s26, v75
	v_lshlrev_b32_sdwa v1, v93, v40 dst_sel:DWORD dst_unused:UNUSED_PAD src0_sel:DWORD src1_sel:BYTE_0
	v_add_lshl_u32 v94, v84, v1, 2
	v_and_b32_e32 v1, 1, v40
	v_add_co_u32_e32 v41, vcc, -1, v1
	v_addc_co_u32_e64 v95, s[4:5], 0, -1, vcc
	v_cmp_ne_u32_e32 vcc, 0, v1
	v_xor_b32_e32 v1, vcc_hi, v95
	v_and_b32_e32 v95, exec_hi, v1
	v_lshlrev_b32_e32 v1, 30, v40
	v_xor_b32_e32 v41, vcc_lo, v41
	v_cmp_gt_i64_e32 vcc, 0, v[0:1]
	v_not_b32_e32 v1, v1
	v_ashrrev_i32_e32 v1, 31, v1
	v_and_b32_e32 v41, exec_lo, v41
	v_xor_b32_e32 v96, vcc_hi, v1
	v_xor_b32_e32 v1, vcc_lo, v1
	v_and_b32_e32 v41, v41, v1
	v_lshlrev_b32_e32 v1, 29, v40
	v_cmp_gt_i64_e32 vcc, 0, v[0:1]
	v_not_b32_e32 v1, v1
	v_ashrrev_i32_e32 v1, 31, v1
	v_and_b32_e32 v95, v95, v96
	v_xor_b32_e32 v96, vcc_hi, v1
	v_xor_b32_e32 v1, vcc_lo, v1
	v_and_b32_e32 v41, v41, v1
	v_lshlrev_b32_e32 v1, 28, v40
	v_cmp_gt_i64_e32 vcc, 0, v[0:1]
	v_not_b32_e32 v1, v1
	v_ashrrev_i32_e32 v1, 31, v1
	v_and_b32_e32 v95, v95, v96
	;; [unrolled: 8-line block ×5, first 2 shown]
	v_xor_b32_e32 v96, vcc_hi, v1
	v_xor_b32_e32 v1, vcc_lo, v1
	v_and_b32_e32 v41, v41, v1
	v_lshlrev_b32_e32 v1, 24, v40
	v_cmp_gt_i64_e32 vcc, 0, v[0:1]
	v_not_b32_e32 v0, v1
	v_ashrrev_i32_e32 v0, 31, v0
	v_xor_b32_e32 v1, vcc_hi, v0
	v_xor_b32_e32 v0, vcc_lo, v0
	; wave barrier
	ds_read_b32 v93, v94 offset:16
	v_and_b32_e32 v95, v95, v96
	v_and_b32_e32 v0, v41, v0
	;; [unrolled: 1-line block ×3, first 2 shown]
	v_mbcnt_lo_u32_b32 v40, v0, 0
	v_mbcnt_hi_u32_b32 v95, v1, v40
	v_cmp_eq_u32_e32 vcc, 0, v95
	v_cmp_ne_u64_e64 s[4:5], 0, v[0:1]
	s_and_b64 s[30:31], s[4:5], vcc
	; wave barrier
	s_and_saveexec_b64 s[4:5], s[30:31]
	s_cbranch_execz .LBB116_56
; %bb.55:
	v_bcnt_u32_b32 v0, v0, 0
	v_bcnt_u32_b32 v0, v1, v0
	s_waitcnt lgkmcnt(0)
	v_add_u32_e32 v0, v93, v0
	ds_write_b32 v94, v0 offset:16
.LBB116_56:
	s_or_b64 exec, exec, s[4:5]
	v_and_b32_e32 v40, s26, v76
	v_and_b32_e32 v1, 1, v40
	v_add_co_u32_e32 v41, vcc, -1, v1
	v_mov_b32_e32 v99, 2
	v_addc_co_u32_e64 v98, s[4:5], 0, -1, vcc
	v_cmp_ne_u32_e32 vcc, 0, v1
	v_lshlrev_b32_sdwa v0, v99, v40 dst_sel:DWORD dst_unused:UNUSED_PAD src0_sel:DWORD src1_sel:BYTE_0
	v_xor_b32_e32 v1, vcc_hi, v98
	v_add_lshl_u32 v97, v84, v0, 2
	v_mov_b32_e32 v0, 0
	v_and_b32_e32 v98, exec_hi, v1
	v_lshlrev_b32_e32 v1, 30, v40
	v_xor_b32_e32 v41, vcc_lo, v41
	v_cmp_gt_i64_e32 vcc, 0, v[0:1]
	v_not_b32_e32 v1, v1
	v_ashrrev_i32_e32 v1, 31, v1
	v_and_b32_e32 v41, exec_lo, v41
	v_xor_b32_e32 v100, vcc_hi, v1
	v_xor_b32_e32 v1, vcc_lo, v1
	v_and_b32_e32 v41, v41, v1
	v_lshlrev_b32_e32 v1, 29, v40
	v_cmp_gt_i64_e32 vcc, 0, v[0:1]
	v_not_b32_e32 v1, v1
	v_ashrrev_i32_e32 v1, 31, v1
	v_and_b32_e32 v98, v98, v100
	v_xor_b32_e32 v100, vcc_hi, v1
	v_xor_b32_e32 v1, vcc_lo, v1
	v_and_b32_e32 v41, v41, v1
	v_lshlrev_b32_e32 v1, 28, v40
	v_cmp_gt_i64_e32 vcc, 0, v[0:1]
	v_not_b32_e32 v1, v1
	v_ashrrev_i32_e32 v1, 31, v1
	v_and_b32_e32 v98, v98, v100
	;; [unrolled: 8-line block ×5, first 2 shown]
	v_xor_b32_e32 v100, vcc_hi, v1
	v_xor_b32_e32 v1, vcc_lo, v1
	v_and_b32_e32 v98, v98, v100
	v_and_b32_e32 v100, v41, v1
	v_lshlrev_b32_e32 v1, 24, v40
	v_cmp_gt_i64_e32 vcc, 0, v[0:1]
	v_not_b32_e32 v1, v1
	v_ashrrev_i32_e32 v1, 31, v1
	v_xor_b32_e32 v40, vcc_hi, v1
	v_xor_b32_e32 v1, vcc_lo, v1
	; wave barrier
	ds_read_b32 v96, v97 offset:16
	v_and_b32_e32 v41, v98, v40
	v_and_b32_e32 v40, v100, v1
	v_mbcnt_lo_u32_b32 v1, v40, 0
	v_mbcnt_hi_u32_b32 v98, v41, v1
	v_cmp_eq_u32_e32 vcc, 0, v98
	v_cmp_ne_u64_e64 s[4:5], 0, v[40:41]
	s_and_b64 s[30:31], s[4:5], vcc
	; wave barrier
	s_and_saveexec_b64 s[4:5], s[30:31]
	s_cbranch_execz .LBB116_58
; %bb.57:
	v_bcnt_u32_b32 v1, v40, 0
	v_bcnt_u32_b32 v1, v41, v1
	s_waitcnt lgkmcnt(0)
	v_add_u32_e32 v1, v96, v1
	ds_write_b32 v97, v1 offset:16
.LBB116_58:
	s_or_b64 exec, exec, s[4:5]
	v_and_b32_e32 v40, s26, v77
	v_lshlrev_b32_sdwa v1, v99, v40 dst_sel:DWORD dst_unused:UNUSED_PAD src0_sel:DWORD src1_sel:BYTE_0
	v_add_lshl_u32 v99, v84, v1, 2
	v_and_b32_e32 v1, 1, v40
	v_add_co_u32_e32 v41, vcc, -1, v1
	v_addc_co_u32_e64 v101, s[4:5], 0, -1, vcc
	v_cmp_ne_u32_e32 vcc, 0, v1
	v_xor_b32_e32 v1, vcc_hi, v101
	v_and_b32_e32 v101, exec_hi, v1
	v_lshlrev_b32_e32 v1, 30, v40
	v_xor_b32_e32 v41, vcc_lo, v41
	v_cmp_gt_i64_e32 vcc, 0, v[0:1]
	v_not_b32_e32 v1, v1
	v_ashrrev_i32_e32 v1, 31, v1
	v_and_b32_e32 v41, exec_lo, v41
	v_xor_b32_e32 v102, vcc_hi, v1
	v_xor_b32_e32 v1, vcc_lo, v1
	v_and_b32_e32 v41, v41, v1
	v_lshlrev_b32_e32 v1, 29, v40
	v_cmp_gt_i64_e32 vcc, 0, v[0:1]
	v_not_b32_e32 v1, v1
	v_ashrrev_i32_e32 v1, 31, v1
	v_and_b32_e32 v101, v101, v102
	v_xor_b32_e32 v102, vcc_hi, v1
	v_xor_b32_e32 v1, vcc_lo, v1
	v_and_b32_e32 v41, v41, v1
	v_lshlrev_b32_e32 v1, 28, v40
	v_cmp_gt_i64_e32 vcc, 0, v[0:1]
	v_not_b32_e32 v1, v1
	v_ashrrev_i32_e32 v1, 31, v1
	v_and_b32_e32 v101, v101, v102
	;; [unrolled: 8-line block ×5, first 2 shown]
	v_xor_b32_e32 v102, vcc_hi, v1
	v_xor_b32_e32 v1, vcc_lo, v1
	v_and_b32_e32 v41, v41, v1
	v_lshlrev_b32_e32 v1, 24, v40
	v_cmp_gt_i64_e32 vcc, 0, v[0:1]
	v_not_b32_e32 v0, v1
	v_ashrrev_i32_e32 v0, 31, v0
	v_xor_b32_e32 v1, vcc_hi, v0
	v_xor_b32_e32 v0, vcc_lo, v0
	; wave barrier
	ds_read_b32 v84, v99 offset:16
	v_and_b32_e32 v101, v101, v102
	v_and_b32_e32 v0, v41, v0
	;; [unrolled: 1-line block ×3, first 2 shown]
	v_mbcnt_lo_u32_b32 v40, v0, 0
	v_mbcnt_hi_u32_b32 v101, v1, v40
	v_cmp_eq_u32_e32 vcc, 0, v101
	v_cmp_ne_u64_e64 s[4:5], 0, v[0:1]
	v_add_u32_e32 v100, 16, v60
	s_and_b64 s[26:27], s[4:5], vcc
	; wave barrier
	s_and_saveexec_b64 s[4:5], s[26:27]
	s_cbranch_execz .LBB116_60
; %bb.59:
	v_bcnt_u32_b32 v0, v0, 0
	v_bcnt_u32_b32 v0, v1, v0
	s_waitcnt lgkmcnt(0)
	v_add_u32_e32 v0, v84, v0
	ds_write_b32 v99, v0 offset:16
.LBB116_60:
	s_or_b64 exec, exec, s[4:5]
	; wave barrier
	s_waitcnt lgkmcnt(0)
	s_barrier
	ds_read2_b32 v[0:1], v60 offset0:4 offset1:5
	ds_read2_b32 v[40:41], v100 offset0:2 offset1:3
	s_waitcnt lgkmcnt(1)
	v_add_u32_e32 v102, v1, v0
	s_waitcnt lgkmcnt(0)
	v_add3_u32 v41, v102, v40, v41
	v_and_b32_e32 v102, 15, v59
	v_cmp_ne_u32_e32 vcc, 0, v102
	v_mov_b32_dpp v103, v41 row_shr:1 row_mask:0xf bank_mask:0xf
	v_cndmask_b32_e32 v103, 0, v103, vcc
	v_add_u32_e32 v41, v103, v41
	v_cmp_lt_u32_e32 vcc, 1, v102
	s_nop 0
	v_mov_b32_dpp v103, v41 row_shr:2 row_mask:0xf bank_mask:0xf
	v_cndmask_b32_e32 v103, 0, v103, vcc
	v_add_u32_e32 v41, v41, v103
	v_cmp_lt_u32_e32 vcc, 3, v102
	s_nop 0
	;; [unrolled: 5-line block ×3, first 2 shown]
	v_mov_b32_dpp v103, v41 row_shr:8 row_mask:0xf bank_mask:0xf
	v_cndmask_b32_e32 v102, 0, v103, vcc
	v_add_u32_e32 v41, v41, v102
	v_bfe_i32 v103, v59, 4, 1
	v_cmp_lt_u32_e32 vcc, 31, v59
	v_mov_b32_dpp v102, v41 row_bcast:15 row_mask:0xf bank_mask:0xf
	v_and_b32_e32 v102, v103, v102
	v_add_u32_e32 v41, v41, v102
	v_min_u32_e32 v103, 0xc0, v61
	v_or_b32_e32 v103, 63, v103
	v_mov_b32_dpp v102, v41 row_bcast:31 row_mask:0xf bank_mask:0xf
	v_cndmask_b32_e32 v102, 0, v102, vcc
	v_add_u32_e32 v41, v41, v102
	v_lshrrev_b32_e32 v102, 6, v34
	v_cmp_eq_u32_e32 vcc, v103, v34
	s_and_saveexec_b64 s[4:5], vcc
	s_cbranch_execz .LBB116_62
; %bb.61:
	v_lshlrev_b32_e32 v103, 2, v102
	ds_write_b32 v103, v41
.LBB116_62:
	s_or_b64 exec, exec, s[4:5]
	v_cmp_gt_u32_e32 vcc, 4, v34
	s_waitcnt lgkmcnt(0)
	s_barrier
	s_and_saveexec_b64 s[4:5], vcc
	s_cbranch_execz .LBB116_64
; %bb.63:
	v_lshlrev_b32_e32 v103, 2, v34
	ds_read_b32 v104, v103
	v_and_b32_e32 v105, 3, v59
	v_cmp_ne_u32_e32 vcc, 0, v105
	s_waitcnt lgkmcnt(0)
	v_mov_b32_dpp v106, v104 row_shr:1 row_mask:0xf bank_mask:0xf
	v_cndmask_b32_e32 v106, 0, v106, vcc
	v_add_u32_e32 v104, v106, v104
	v_cmp_lt_u32_e32 vcc, 1, v105
	s_nop 0
	v_mov_b32_dpp v106, v104 row_shr:2 row_mask:0xf bank_mask:0xf
	v_cndmask_b32_e32 v105, 0, v106, vcc
	v_add_u32_e32 v104, v104, v105
	ds_write_b32 v103, v104
.LBB116_64:
	s_or_b64 exec, exec, s[4:5]
	v_cmp_lt_u32_e32 vcc, 63, v34
	v_mov_b32_e32 v103, 0
	s_waitcnt lgkmcnt(0)
	s_barrier
	s_and_saveexec_b64 s[4:5], vcc
	s_cbranch_execz .LBB116_66
; %bb.65:
	v_lshl_add_u32 v102, v102, 2, -4
	ds_read_b32 v103, v102
.LBB116_66:
	s_or_b64 exec, exec, s[4:5]
	v_add_u32_e32 v102, -1, v59
	v_and_b32_e32 v104, 64, v59
	v_cmp_lt_i32_e32 vcc, v102, v104
	v_cndmask_b32_e32 v102, v102, v59, vcc
	s_waitcnt lgkmcnt(0)
	v_add_u32_e32 v41, v103, v41
	v_lshlrev_b32_e32 v102, 2, v102
	ds_bpermute_b32 v41, v102, v41
	v_cmp_eq_u32_e32 vcc, 0, v59
	s_movk_i32 s4, 0x80
	s_waitcnt lgkmcnt(0)
	v_cndmask_b32_e32 v41, v41, v103, vcc
	v_cmp_ne_u32_e32 vcc, 0, v34
	v_cndmask_b32_e32 v41, 0, v41, vcc
	v_add_u32_e32 v0, v41, v0
	v_add_u32_e32 v1, v0, v1
	;; [unrolled: 1-line block ×3, first 2 shown]
	ds_write2_b32 v60, v41, v0 offset0:4 offset1:5
	ds_write2_b32 v100, v1, v40 offset0:2 offset1:3
	s_waitcnt lgkmcnt(0)
	s_barrier
	ds_read_b32 v0, v78 offset:16
	ds_read_b32 v1, v81 offset:16
	;; [unrolled: 1-line block ×8, first 2 shown]
	s_waitcnt lgkmcnt(7)
	v_add_u32_e32 v79, v0, v79
	s_waitcnt lgkmcnt(6)
	v_add3_u32 v80, v82, v80, v1
	s_waitcnt lgkmcnt(5)
	v_add3_u32 v40, v86, v83, v40
	s_waitcnt lgkmcnt(4)
	v_add3_u32 v41, v89, v87, v41
	s_waitcnt lgkmcnt(3)
	v_add3_u32 v78, v92, v90, v78
	s_waitcnt lgkmcnt(2)
	v_add3_u32 v81, v95, v93, v81
	s_waitcnt lgkmcnt(1)
	v_add3_u32 v82, v98, v96, v85
	s_waitcnt lgkmcnt(0)
	v_add3_u32 v83, v101, v84, v88
	s_barrier
	ds_write_b8 v79, v70
	ds_write_b8 v80, v71
	;; [unrolled: 1-line block ×8, first 2 shown]
	v_lshlrev_b32_e32 v72, 3, v79
	s_waitcnt lgkmcnt(0)
	s_barrier
	ds_read_b64 v[0:1], v50
	s_waitcnt lgkmcnt(0)
	s_barrier
	ds_write_b64 v72, v[30:31]
	v_lshlrev_b32_e32 v30, 3, v80
	ds_write_b64 v30, v[32:33]
	v_lshlrev_b32_e32 v30, 3, v40
	;; [unrolled: 2-line block ×7, first 2 shown]
	v_lshlrev_b32_e32 v30, 3, v50
	ds_write_b64 v18, v[20:21]
	s_waitcnt lgkmcnt(0)
	s_barrier
	ds_read2_b64 v[18:21], v30 offset1:1
	ds_read2_b64 v[22:25], v30 offset0:2 offset1:3
	ds_read2_b64 v[26:29], v30 offset0:4 offset1:5
	;; [unrolled: 1-line block ×3, first 2 shown]
	v_lshrrev_b32_e32 v70, 8, v0
	v_lshrrev_b32_e32 v71, 8, v1
	v_xor_b32_e32 v40, 0x80, v0
	v_xor_b32_sdwa v41, v70, s4 dst_sel:BYTE_1 dst_unused:UNUSED_PAD src0_sel:DWORD src1_sel:DWORD
	v_xor_b32_sdwa v70, v0, s4 dst_sel:DWORD dst_unused:UNUSED_PAD src0_sel:WORD_1 src1_sel:DWORD
	v_xor_b32_sdwa v0, v0, s4 dst_sel:BYTE_1 dst_unused:UNUSED_PAD src0_sel:BYTE_3 src1_sel:DWORD
	v_xor_b32_e32 v72, 0x80, v1
	v_xor_b32_sdwa v71, v71, s4 dst_sel:BYTE_1 dst_unused:UNUSED_PAD src0_sel:DWORD src1_sel:DWORD
	v_xor_b32_sdwa v73, v1, s4 dst_sel:DWORD dst_unused:UNUSED_PAD src0_sel:WORD_1 src1_sel:DWORD
	v_xor_b32_sdwa v1, v1, s4 dst_sel:BYTE_1 dst_unused:UNUSED_PAD src0_sel:BYTE_3 src1_sel:DWORD
	v_or_b32_sdwa v40, v40, v41 dst_sel:DWORD dst_unused:UNUSED_PAD src0_sel:BYTE_0 src1_sel:DWORD
	v_or_b32_sdwa v0, v70, v0 dst_sel:WORD_1 dst_unused:UNUSED_PAD src0_sel:BYTE_0 src1_sel:DWORD
	v_or_b32_sdwa v0, v40, v0 dst_sel:DWORD dst_unused:UNUSED_PAD src0_sel:WORD_0 src1_sel:DWORD
	v_or_b32_sdwa v40, v72, v71 dst_sel:DWORD dst_unused:UNUSED_PAD src0_sel:BYTE_0 src1_sel:DWORD
	v_or_b32_sdwa v1, v73, v1 dst_sel:WORD_1 dst_unused:UNUSED_PAD src0_sel:BYTE_0 src1_sel:DWORD
	v_or_b32_sdwa v1, v40, v1 dst_sel:DWORD dst_unused:UNUSED_PAD src0_sel:WORD_0 src1_sel:DWORD
	s_branch .LBB116_98
.LBB116_67:
	v_mad_u64_u32 v[2:3], s[30:31], v34, s20, 0
	v_mov_b32_e32 v4, v3
	v_mad_u64_u32 v[4:5], s[30:31], v34, s21, v[4:5]
	v_mov_b32_e32 v3, v4
	v_lshlrev_b64 v[2:3], 3, v[2:3]
	v_mov_b32_e32 v4, s29
	v_add_co_u32_e32 v2, vcc, s28, v2
	v_addc_co_u32_e32 v3, vcc, v4, v3, vcc
	global_load_dwordx2 v[2:3], v[2:3], off
	v_mov_b32_e32 v4, 0
	v_mov_b32_e32 v5, v4
	;; [unrolled: 1-line block ×14, first 2 shown]
	s_or_b64 exec, exec, s[4:5]
	s_and_saveexec_b64 s[4:5], s[2:3]
	s_cbranch_execz .LBB116_36
.LBB116_68:
	v_mad_u64_u32 v[4:5], s[30:31], v27, s20, 0
	v_mov_b32_e32 v38, v5
	v_mad_u64_u32 v[38:39], s[30:31], v27, s21, v[38:39]
	v_mov_b32_e32 v5, v38
	v_lshlrev_b64 v[4:5], 3, v[4:5]
	v_mov_b32_e32 v27, s29
	v_add_co_u32_e32 v4, vcc, s28, v4
	v_addc_co_u32_e32 v5, vcc, v27, v5, vcc
	global_load_dwordx2 v[4:5], v[4:5], off
	s_or_b64 exec, exec, s[4:5]
	s_and_saveexec_b64 s[4:5], s[16:17]
	s_cbranch_execz .LBB116_37
.LBB116_69:
	v_mad_u64_u32 v[6:7], s[30:31], v20, s20, 0
	v_mov_b32_e32 v38, v7
	v_mad_u64_u32 v[38:39], s[30:31], v20, s21, v[38:39]
	v_mov_b32_e32 v7, v38
	v_lshlrev_b64 v[6:7], 3, v[6:7]
	v_mov_b32_e32 v20, s29
	v_add_co_u32_e32 v6, vcc, s28, v6
	v_addc_co_u32_e32 v7, vcc, v20, v7, vcc
	global_load_dwordx2 v[6:7], v[6:7], off
	s_or_b64 exec, exec, s[4:5]
	s_and_saveexec_b64 s[4:5], s[6:7]
	s_cbranch_execz .LBB116_38
.LBB116_70:
	v_mad_u64_u32 v[8:9], s[30:31], v21, s20, 0
	v_mov_b32_e32 v20, v9
	v_mad_u64_u32 v[20:21], s[30:31], v21, s21, v[20:21]
	v_mov_b32_e32 v9, v20
	v_lshlrev_b64 v[8:9], 3, v[8:9]
	v_mov_b32_e32 v20, s29
	v_add_co_u32_e32 v8, vcc, s28, v8
	v_addc_co_u32_e32 v9, vcc, v20, v9, vcc
	global_load_dwordx2 v[8:9], v[8:9], off
	s_or_b64 exec, exec, s[4:5]
	s_and_saveexec_b64 s[4:5], s[8:9]
	s_cbranch_execz .LBB116_39
.LBB116_71:
	v_mad_u64_u32 v[10:11], s[30:31], v23, s20, 0
	v_mov_b32_e32 v20, v11
	v_mad_u64_u32 v[20:21], s[30:31], v23, s21, v[20:21]
	v_mov_b32_e32 v11, v20
	v_lshlrev_b64 v[10:11], 3, v[10:11]
	v_mov_b32_e32 v20, s29
	v_add_co_u32_e32 v10, vcc, s28, v10
	v_addc_co_u32_e32 v11, vcc, v20, v11, vcc
	global_load_dwordx2 v[10:11], v[10:11], off
	s_or_b64 exec, exec, s[4:5]
	s_and_saveexec_b64 s[4:5], s[10:11]
	s_cbranch_execz .LBB116_40
.LBB116_72:
	v_mad_u64_u32 v[12:13], s[30:31], v19, s20, 0
	v_mov_b32_e32 v20, v13
	v_mad_u64_u32 v[20:21], s[30:31], v19, s21, v[20:21]
	v_mov_b32_e32 v13, v20
	v_lshlrev_b64 v[12:13], 3, v[12:13]
	v_mov_b32_e32 v19, s29
	v_add_co_u32_e32 v12, vcc, s28, v12
	v_addc_co_u32_e32 v13, vcc, v19, v13, vcc
	global_load_dwordx2 v[12:13], v[12:13], off
	s_or_b64 exec, exec, s[4:5]
	s_and_saveexec_b64 s[4:5], s[12:13]
	s_cbranch_execz .LBB116_41
.LBB116_73:
	v_mad_u64_u32 v[14:15], s[30:31], v18, s20, 0
	v_mov_b32_e32 v20, v15
	v_mad_u64_u32 v[18:19], s[30:31], v18, s21, v[20:21]
	v_mov_b32_e32 v15, v18
	v_lshlrev_b64 v[14:15], 3, v[14:15]
	v_mov_b32_e32 v18, s29
	v_add_co_u32_e32 v14, vcc, s28, v14
	v_addc_co_u32_e32 v15, vcc, v18, v15, vcc
	global_load_dwordx2 v[14:15], v[14:15], off
	s_or_b64 exec, exec, s[4:5]
	s_xor_b64 s[4:5], s[26:27], -1
	s_and_saveexec_b64 s[26:27], s[14:15]
	s_cbranch_execnz .LBB116_42
	s_branch .LBB116_43
.LBB116_74:
                                        ; implicit-def: $vgpr1
                                        ; implicit-def: $vgpr32_vgpr33
                                        ; implicit-def: $vgpr28_vgpr29
                                        ; implicit-def: $vgpr24_vgpr25
                                        ; implicit-def: $vgpr20_vgpr21
	s_cbranch_execz .LBB116_98
; %bb.75:
	s_movk_i32 s4, 0x7f
	v_xor_b32_sdwa v0, v65, s4 dst_sel:BYTE_1 dst_unused:UNUSED_PAD src0_sel:DWORD src1_sel:DWORD
	v_xor_b32_e32 v1, 0x7f, v37
	v_or_b32_sdwa v0, v1, v0 dst_sel:DWORD dst_unused:UNUSED_PAD src0_sel:BYTE_0 src1_sel:DWORD
	v_xor_b32_sdwa v1, v37, s4 dst_sel:DWORD dst_unused:UNUSED_PAD src0_sel:BYTE_3 src1_sel:DWORD
	v_lshlrev_b16_e32 v1, 8, v1
	s_waitcnt lgkmcnt(3)
	v_xor_b32_sdwa v18, v37, s4 dst_sel:DWORD dst_unused:UNUSED_PAD src0_sel:WORD_1 src1_sel:DWORD
	v_or_b32_sdwa v1, v18, v1 dst_sel:WORD_1 dst_unused:UNUSED_PAD src0_sel:BYTE_0 src1_sel:DWORD
	v_or_b32_sdwa v1, v0, v1 dst_sel:DWORD dst_unused:UNUSED_PAD src0_sel:WORD_0 src1_sel:DWORD
	v_xor_b32_sdwa v0, v62, s4 dst_sel:BYTE_1 dst_unused:UNUSED_PAD src0_sel:DWORD src1_sel:DWORD
	v_xor_b32_e32 v18, 0x7f, v36
	v_or_b32_sdwa v0, v18, v0 dst_sel:DWORD dst_unused:UNUSED_PAD src0_sel:BYTE_0 src1_sel:DWORD
	v_xor_b32_sdwa v18, v38, s4 dst_sel:BYTE_1 dst_unused:UNUSED_PAD src0_sel:DWORD src1_sel:DWORD
	v_xor_b32_sdwa v19, v36, s4 dst_sel:DWORD dst_unused:UNUSED_PAD src0_sel:WORD_1 src1_sel:DWORD
	v_or_b32_sdwa v18, v19, v18 dst_sel:WORD_1 dst_unused:UNUSED_PAD src0_sel:BYTE_0 src1_sel:DWORD
	v_or_b32_sdwa v0, v0, v18 dst_sel:DWORD dst_unused:UNUSED_PAD src0_sel:WORD_0 src1_sel:DWORD
	s_getpc_b64 s[4:5]
	s_add_u32 s4, s4, _ZN7rocprim17ROCPRIM_400000_NS16block_radix_sortIaLj256ELj8ElLj1ELj1ELj0ELNS0_26block_radix_rank_algorithmE1ELNS0_18block_padding_hintE2ELNS0_4arch9wavefront6targetE1EE19radix_bits_per_passE@rel32@lo+4
	s_addc_u32 s5, s5, _ZN7rocprim17ROCPRIM_400000_NS16block_radix_sortIaLj256ELj8ElLj1ELj1ELj0ELNS0_26block_radix_rank_algorithmE1ELNS0_18block_padding_hintE2ELNS0_4arch9wavefront6targetE1EE19radix_bits_per_passE@rel32@hi+12
	ds_write_b64 v69, v[0:1]
	; wave barrier
	ds_read_u8 v20, v68
	ds_read_u8 v21, v68 offset:64
	s_waitcnt lgkmcnt(5)
	ds_read_u8 v22, v68 offset:128
	ds_read_u8 v23, v68 offset:192
	;; [unrolled: 1-line block ×4, first 2 shown]
	s_waitcnt lgkmcnt(8)
	ds_read_u8 v26, v68 offset:384
	ds_read_u8 v27, v68 offset:448
	s_waitcnt lgkmcnt(0)
	s_barrier
	ds_write2_b64 v67, v[14:15], v[16:17] offset1:1
	ds_write2_b64 v67, v[10:11], v[12:13] offset0:2 offset1:3
	ds_write2_b64 v67, v[6:7], v[8:9] offset0:4 offset1:5
	;; [unrolled: 1-line block ×3, first 2 shown]
	; wave barrier
	ds_read2st64_b64 v[12:15], v66 offset1:1
	ds_read2st64_b64 v[8:11], v66 offset0:2 offset1:3
	ds_read2st64_b64 v[4:7], v66 offset0:4 offset1:5
	;; [unrolled: 1-line block ×3, first 2 shown]
	s_waitcnt lgkmcnt(0)
	s_barrier
	s_load_dword s26, s[4:5], 0x0
	s_load_dword s27, s[24:25], 0xc
	v_mov_b32_e32 v30, 2
	s_waitcnt lgkmcnt(0)
	s_min_u32 s24, s26, 8
	s_lshr_b32 s4, s27, 16
	s_and_b32 s5, s27, 0xffff
	v_mad_u32_u24 v16, v64, s4, v63
	v_mad_u64_u32 v[18:19], s[4:5], v16, s5, v[34:35]
	s_lshl_b32 s4, -1, s24
	s_not_b32 s24, s4
	v_lshrrev_b32_e32 v36, 6, v18
	v_and_b32_e32 v18, s24, v20
	v_lshlrev_b32_sdwa v17, v30, v18 dst_sel:DWORD dst_unused:UNUSED_PAD src0_sel:DWORD src1_sel:BYTE_0
	v_add_lshl_u32 v28, v36, v17, 2
	v_and_b32_e32 v17, 1, v18
	v_add_co_u32_e32 v19, vcc, -1, v17
	v_addc_co_u32_e64 v29, s[4:5], 0, -1, vcc
	v_cmp_ne_u32_e32 vcc, 0, v17
	v_xor_b32_e32 v17, vcc_hi, v29
	v_mov_b32_e32 v16, 0
	v_and_b32_e32 v29, exec_hi, v17
	v_lshlrev_b32_e32 v17, 30, v18
	v_xor_b32_e32 v19, vcc_lo, v19
	v_cmp_gt_i64_e32 vcc, 0, v[16:17]
	v_not_b32_e32 v17, v17
	v_ashrrev_i32_e32 v17, 31, v17
	v_and_b32_e32 v19, exec_lo, v19
	v_xor_b32_e32 v31, vcc_hi, v17
	v_xor_b32_e32 v17, vcc_lo, v17
	v_and_b32_e32 v19, v19, v17
	v_lshlrev_b32_e32 v17, 29, v18
	v_cmp_gt_i64_e32 vcc, 0, v[16:17]
	v_not_b32_e32 v17, v17
	v_ashrrev_i32_e32 v17, 31, v17
	v_and_b32_e32 v29, v29, v31
	v_xor_b32_e32 v31, vcc_hi, v17
	v_xor_b32_e32 v17, vcc_lo, v17
	v_and_b32_e32 v19, v19, v17
	v_lshlrev_b32_e32 v17, 28, v18
	v_cmp_gt_i64_e32 vcc, 0, v[16:17]
	v_not_b32_e32 v17, v17
	v_ashrrev_i32_e32 v17, 31, v17
	v_and_b32_e32 v29, v29, v31
	;; [unrolled: 8-line block ×5, first 2 shown]
	v_xor_b32_e32 v31, vcc_hi, v17
	v_xor_b32_e32 v17, vcc_lo, v17
	v_and_b32_e32 v29, v29, v31
	v_and_b32_e32 v31, v19, v17
	v_lshlrev_b32_e32 v17, 24, v18
	v_cmp_gt_i64_e32 vcc, 0, v[16:17]
	v_not_b32_e32 v17, v17
	v_ashrrev_i32_e32 v17, 31, v17
	v_xor_b32_e32 v18, vcc_hi, v17
	v_xor_b32_e32 v17, vcc_lo, v17
	v_and_b32_e32 v19, v29, v18
	v_and_b32_e32 v18, v31, v17
	v_mbcnt_lo_u32_b32 v17, v18, 0
	v_mbcnt_hi_u32_b32 v29, v19, v17
	v_cmp_eq_u32_e32 vcc, 0, v29
	v_cmp_ne_u64_e64 s[4:5], 0, v[18:19]
	s_and_b64 s[26:27], s[4:5], vcc
	ds_write2_b32 v60, v16, v16 offset0:4 offset1:5
	ds_write2_b32 v60, v16, v16 offset0:6 offset1:7
	s_waitcnt lgkmcnt(0)
	s_barrier
	s_waitcnt lgkmcnt(0)
	; wave barrier
	s_and_saveexec_b64 s[4:5], s[26:27]
	s_cbranch_execz .LBB116_77
; %bb.76:
	v_bcnt_u32_b32 v17, v18, 0
	v_bcnt_u32_b32 v17, v19, v17
	ds_write_b32 v28, v17 offset:16
.LBB116_77:
	s_or_b64 exec, exec, s[4:5]
	v_and_b32_e32 v18, s24, v21
	v_lshlrev_b32_sdwa v17, v30, v18 dst_sel:DWORD dst_unused:UNUSED_PAD src0_sel:DWORD src1_sel:BYTE_0
	v_add_lshl_u32 v31, v36, v17, 2
	v_and_b32_e32 v17, 1, v18
	v_add_co_u32_e32 v19, vcc, -1, v17
	v_addc_co_u32_e64 v32, s[4:5], 0, -1, vcc
	v_cmp_ne_u32_e32 vcc, 0, v17
	v_xor_b32_e32 v17, vcc_hi, v32
	v_and_b32_e32 v32, exec_hi, v17
	v_lshlrev_b32_e32 v17, 30, v18
	v_xor_b32_e32 v19, vcc_lo, v19
	v_cmp_gt_i64_e32 vcc, 0, v[16:17]
	v_not_b32_e32 v17, v17
	v_ashrrev_i32_e32 v17, 31, v17
	v_and_b32_e32 v19, exec_lo, v19
	v_xor_b32_e32 v33, vcc_hi, v17
	v_xor_b32_e32 v17, vcc_lo, v17
	v_and_b32_e32 v19, v19, v17
	v_lshlrev_b32_e32 v17, 29, v18
	v_cmp_gt_i64_e32 vcc, 0, v[16:17]
	v_not_b32_e32 v17, v17
	v_ashrrev_i32_e32 v17, 31, v17
	v_and_b32_e32 v32, v32, v33
	v_xor_b32_e32 v33, vcc_hi, v17
	v_xor_b32_e32 v17, vcc_lo, v17
	v_and_b32_e32 v19, v19, v17
	v_lshlrev_b32_e32 v17, 28, v18
	v_cmp_gt_i64_e32 vcc, 0, v[16:17]
	v_not_b32_e32 v17, v17
	v_ashrrev_i32_e32 v17, 31, v17
	v_and_b32_e32 v32, v32, v33
	;; [unrolled: 8-line block ×5, first 2 shown]
	v_xor_b32_e32 v33, vcc_hi, v17
	v_xor_b32_e32 v17, vcc_lo, v17
	v_and_b32_e32 v19, v19, v17
	v_lshlrev_b32_e32 v17, 24, v18
	v_cmp_gt_i64_e32 vcc, 0, v[16:17]
	v_not_b32_e32 v16, v17
	v_ashrrev_i32_e32 v16, 31, v16
	v_xor_b32_e32 v17, vcc_hi, v16
	v_xor_b32_e32 v16, vcc_lo, v16
	; wave barrier
	ds_read_b32 v30, v31 offset:16
	v_and_b32_e32 v32, v32, v33
	v_and_b32_e32 v16, v19, v16
	;; [unrolled: 1-line block ×3, first 2 shown]
	v_mbcnt_lo_u32_b32 v18, v16, 0
	v_mbcnt_hi_u32_b32 v32, v17, v18
	v_cmp_eq_u32_e32 vcc, 0, v32
	v_cmp_ne_u64_e64 s[4:5], 0, v[16:17]
	s_and_b64 s[26:27], s[4:5], vcc
	; wave barrier
	s_and_saveexec_b64 s[4:5], s[26:27]
	s_cbranch_execz .LBB116_79
; %bb.78:
	v_bcnt_u32_b32 v16, v16, 0
	v_bcnt_u32_b32 v16, v17, v16
	s_waitcnt lgkmcnt(0)
	v_add_u32_e32 v16, v30, v16
	ds_write_b32 v31, v16 offset:16
.LBB116_79:
	s_or_b64 exec, exec, s[4:5]
	v_and_b32_e32 v18, s24, v22
	v_and_b32_e32 v17, 1, v18
	v_add_co_u32_e32 v19, vcc, -1, v17
	v_mov_b32_e32 v40, 2
	v_addc_co_u32_e64 v38, s[4:5], 0, -1, vcc
	v_cmp_ne_u32_e32 vcc, 0, v17
	v_lshlrev_b32_sdwa v16, v40, v18 dst_sel:DWORD dst_unused:UNUSED_PAD src0_sel:DWORD src1_sel:BYTE_0
	v_xor_b32_e32 v17, vcc_hi, v38
	v_add_lshl_u32 v37, v36, v16, 2
	v_mov_b32_e32 v16, 0
	v_and_b32_e32 v38, exec_hi, v17
	v_lshlrev_b32_e32 v17, 30, v18
	v_xor_b32_e32 v19, vcc_lo, v19
	v_cmp_gt_i64_e32 vcc, 0, v[16:17]
	v_not_b32_e32 v17, v17
	v_ashrrev_i32_e32 v17, 31, v17
	v_and_b32_e32 v19, exec_lo, v19
	v_xor_b32_e32 v41, vcc_hi, v17
	v_xor_b32_e32 v17, vcc_lo, v17
	v_and_b32_e32 v19, v19, v17
	v_lshlrev_b32_e32 v17, 29, v18
	v_cmp_gt_i64_e32 vcc, 0, v[16:17]
	v_not_b32_e32 v17, v17
	v_ashrrev_i32_e32 v17, 31, v17
	v_and_b32_e32 v38, v38, v41
	v_xor_b32_e32 v41, vcc_hi, v17
	v_xor_b32_e32 v17, vcc_lo, v17
	v_and_b32_e32 v19, v19, v17
	v_lshlrev_b32_e32 v17, 28, v18
	v_cmp_gt_i64_e32 vcc, 0, v[16:17]
	v_not_b32_e32 v17, v17
	v_ashrrev_i32_e32 v17, 31, v17
	v_and_b32_e32 v38, v38, v41
	v_xor_b32_e32 v41, vcc_hi, v17
	v_xor_b32_e32 v17, vcc_lo, v17
	v_and_b32_e32 v19, v19, v17
	v_lshlrev_b32_e32 v17, 27, v18
	v_cmp_gt_i64_e32 vcc, 0, v[16:17]
	v_not_b32_e32 v17, v17
	v_ashrrev_i32_e32 v17, 31, v17
	v_and_b32_e32 v38, v38, v41
	v_xor_b32_e32 v41, vcc_hi, v17
	v_xor_b32_e32 v17, vcc_lo, v17
	v_and_b32_e32 v19, v19, v17
	v_lshlrev_b32_e32 v17, 26, v18
	v_cmp_gt_i64_e32 vcc, 0, v[16:17]
	v_not_b32_e32 v17, v17
	v_ashrrev_i32_e32 v17, 31, v17
	v_and_b32_e32 v38, v38, v41
	v_xor_b32_e32 v41, vcc_hi, v17
	v_xor_b32_e32 v17, vcc_lo, v17
	v_and_b32_e32 v19, v19, v17
	v_lshlrev_b32_e32 v17, 25, v18
	v_cmp_gt_i64_e32 vcc, 0, v[16:17]
	v_not_b32_e32 v17, v17
	v_ashrrev_i32_e32 v17, 31, v17
	v_and_b32_e32 v38, v38, v41
	v_xor_b32_e32 v41, vcc_hi, v17
	v_xor_b32_e32 v17, vcc_lo, v17
	v_and_b32_e32 v38, v38, v41
	v_and_b32_e32 v41, v19, v17
	v_lshlrev_b32_e32 v17, 24, v18
	v_cmp_gt_i64_e32 vcc, 0, v[16:17]
	v_not_b32_e32 v17, v17
	v_ashrrev_i32_e32 v17, 31, v17
	v_xor_b32_e32 v18, vcc_hi, v17
	v_xor_b32_e32 v17, vcc_lo, v17
	; wave barrier
	ds_read_b32 v33, v37 offset:16
	v_and_b32_e32 v19, v38, v18
	v_and_b32_e32 v18, v41, v17
	v_mbcnt_lo_u32_b32 v17, v18, 0
	v_mbcnt_hi_u32_b32 v38, v19, v17
	v_cmp_eq_u32_e32 vcc, 0, v38
	v_cmp_ne_u64_e64 s[4:5], 0, v[18:19]
	s_and_b64 s[26:27], s[4:5], vcc
	; wave barrier
	s_and_saveexec_b64 s[4:5], s[26:27]
	s_cbranch_execz .LBB116_81
; %bb.80:
	v_bcnt_u32_b32 v17, v18, 0
	v_bcnt_u32_b32 v17, v19, v17
	s_waitcnt lgkmcnt(0)
	v_add_u32_e32 v17, v33, v17
	ds_write_b32 v37, v17 offset:16
.LBB116_81:
	s_or_b64 exec, exec, s[4:5]
	v_and_b32_e32 v18, s24, v23
	v_lshlrev_b32_sdwa v17, v40, v18 dst_sel:DWORD dst_unused:UNUSED_PAD src0_sel:DWORD src1_sel:BYTE_0
	v_add_lshl_u32 v41, v36, v17, 2
	v_and_b32_e32 v17, 1, v18
	v_add_co_u32_e32 v19, vcc, -1, v17
	v_addc_co_u32_e64 v62, s[4:5], 0, -1, vcc
	v_cmp_ne_u32_e32 vcc, 0, v17
	v_xor_b32_e32 v17, vcc_hi, v62
	v_and_b32_e32 v62, exec_hi, v17
	v_lshlrev_b32_e32 v17, 30, v18
	v_xor_b32_e32 v19, vcc_lo, v19
	v_cmp_gt_i64_e32 vcc, 0, v[16:17]
	v_not_b32_e32 v17, v17
	v_ashrrev_i32_e32 v17, 31, v17
	v_and_b32_e32 v19, exec_lo, v19
	v_xor_b32_e32 v63, vcc_hi, v17
	v_xor_b32_e32 v17, vcc_lo, v17
	v_and_b32_e32 v19, v19, v17
	v_lshlrev_b32_e32 v17, 29, v18
	v_cmp_gt_i64_e32 vcc, 0, v[16:17]
	v_not_b32_e32 v17, v17
	v_ashrrev_i32_e32 v17, 31, v17
	v_and_b32_e32 v62, v62, v63
	v_xor_b32_e32 v63, vcc_hi, v17
	v_xor_b32_e32 v17, vcc_lo, v17
	v_and_b32_e32 v19, v19, v17
	v_lshlrev_b32_e32 v17, 28, v18
	v_cmp_gt_i64_e32 vcc, 0, v[16:17]
	v_not_b32_e32 v17, v17
	v_ashrrev_i32_e32 v17, 31, v17
	v_and_b32_e32 v62, v62, v63
	;; [unrolled: 8-line block ×5, first 2 shown]
	v_xor_b32_e32 v63, vcc_hi, v17
	v_xor_b32_e32 v17, vcc_lo, v17
	v_and_b32_e32 v19, v19, v17
	v_lshlrev_b32_e32 v17, 24, v18
	v_cmp_gt_i64_e32 vcc, 0, v[16:17]
	v_not_b32_e32 v16, v17
	v_ashrrev_i32_e32 v16, 31, v16
	v_xor_b32_e32 v17, vcc_hi, v16
	v_xor_b32_e32 v16, vcc_lo, v16
	; wave barrier
	ds_read_b32 v40, v41 offset:16
	v_and_b32_e32 v62, v62, v63
	v_and_b32_e32 v16, v19, v16
	;; [unrolled: 1-line block ×3, first 2 shown]
	v_mbcnt_lo_u32_b32 v18, v16, 0
	v_mbcnt_hi_u32_b32 v62, v17, v18
	v_cmp_eq_u32_e32 vcc, 0, v62
	v_cmp_ne_u64_e64 s[4:5], 0, v[16:17]
	s_and_b64 s[26:27], s[4:5], vcc
	; wave barrier
	s_and_saveexec_b64 s[4:5], s[26:27]
	s_cbranch_execz .LBB116_83
; %bb.82:
	v_bcnt_u32_b32 v16, v16, 0
	v_bcnt_u32_b32 v16, v17, v16
	s_waitcnt lgkmcnt(0)
	v_add_u32_e32 v16, v40, v16
	ds_write_b32 v41, v16 offset:16
.LBB116_83:
	s_or_b64 exec, exec, s[4:5]
	v_and_b32_e32 v18, s24, v24
	v_and_b32_e32 v17, 1, v18
	v_add_co_u32_e32 v19, vcc, -1, v17
	v_mov_b32_e32 v66, 2
	v_addc_co_u32_e64 v65, s[4:5], 0, -1, vcc
	v_cmp_ne_u32_e32 vcc, 0, v17
	v_lshlrev_b32_sdwa v16, v66, v18 dst_sel:DWORD dst_unused:UNUSED_PAD src0_sel:DWORD src1_sel:BYTE_0
	v_xor_b32_e32 v17, vcc_hi, v65
	v_add_lshl_u32 v64, v36, v16, 2
	v_mov_b32_e32 v16, 0
	v_and_b32_e32 v65, exec_hi, v17
	v_lshlrev_b32_e32 v17, 30, v18
	v_xor_b32_e32 v19, vcc_lo, v19
	v_cmp_gt_i64_e32 vcc, 0, v[16:17]
	v_not_b32_e32 v17, v17
	v_ashrrev_i32_e32 v17, 31, v17
	v_and_b32_e32 v19, exec_lo, v19
	v_xor_b32_e32 v67, vcc_hi, v17
	v_xor_b32_e32 v17, vcc_lo, v17
	v_and_b32_e32 v19, v19, v17
	v_lshlrev_b32_e32 v17, 29, v18
	v_cmp_gt_i64_e32 vcc, 0, v[16:17]
	v_not_b32_e32 v17, v17
	v_ashrrev_i32_e32 v17, 31, v17
	v_and_b32_e32 v65, v65, v67
	v_xor_b32_e32 v67, vcc_hi, v17
	v_xor_b32_e32 v17, vcc_lo, v17
	v_and_b32_e32 v19, v19, v17
	v_lshlrev_b32_e32 v17, 28, v18
	v_cmp_gt_i64_e32 vcc, 0, v[16:17]
	v_not_b32_e32 v17, v17
	v_ashrrev_i32_e32 v17, 31, v17
	v_and_b32_e32 v65, v65, v67
	v_xor_b32_e32 v67, vcc_hi, v17
	v_xor_b32_e32 v17, vcc_lo, v17
	v_and_b32_e32 v19, v19, v17
	v_lshlrev_b32_e32 v17, 27, v18
	v_cmp_gt_i64_e32 vcc, 0, v[16:17]
	v_not_b32_e32 v17, v17
	v_ashrrev_i32_e32 v17, 31, v17
	v_and_b32_e32 v65, v65, v67
	v_xor_b32_e32 v67, vcc_hi, v17
	v_xor_b32_e32 v17, vcc_lo, v17
	v_and_b32_e32 v19, v19, v17
	v_lshlrev_b32_e32 v17, 26, v18
	v_cmp_gt_i64_e32 vcc, 0, v[16:17]
	v_not_b32_e32 v17, v17
	v_ashrrev_i32_e32 v17, 31, v17
	v_and_b32_e32 v65, v65, v67
	v_xor_b32_e32 v67, vcc_hi, v17
	v_xor_b32_e32 v17, vcc_lo, v17
	v_and_b32_e32 v19, v19, v17
	v_lshlrev_b32_e32 v17, 25, v18
	v_cmp_gt_i64_e32 vcc, 0, v[16:17]
	v_not_b32_e32 v17, v17
	v_ashrrev_i32_e32 v17, 31, v17
	v_and_b32_e32 v65, v65, v67
	v_xor_b32_e32 v67, vcc_hi, v17
	v_xor_b32_e32 v17, vcc_lo, v17
	v_and_b32_e32 v65, v65, v67
	v_and_b32_e32 v67, v19, v17
	v_lshlrev_b32_e32 v17, 24, v18
	v_cmp_gt_i64_e32 vcc, 0, v[16:17]
	v_not_b32_e32 v17, v17
	v_ashrrev_i32_e32 v17, 31, v17
	v_xor_b32_e32 v18, vcc_hi, v17
	v_xor_b32_e32 v17, vcc_lo, v17
	; wave barrier
	ds_read_b32 v63, v64 offset:16
	v_and_b32_e32 v19, v65, v18
	v_and_b32_e32 v18, v67, v17
	v_mbcnt_lo_u32_b32 v17, v18, 0
	v_mbcnt_hi_u32_b32 v65, v19, v17
	v_cmp_eq_u32_e32 vcc, 0, v65
	v_cmp_ne_u64_e64 s[4:5], 0, v[18:19]
	s_and_b64 s[26:27], s[4:5], vcc
	; wave barrier
	s_and_saveexec_b64 s[4:5], s[26:27]
	s_cbranch_execz .LBB116_85
; %bb.84:
	v_bcnt_u32_b32 v17, v18, 0
	v_bcnt_u32_b32 v17, v19, v17
	s_waitcnt lgkmcnt(0)
	v_add_u32_e32 v17, v63, v17
	ds_write_b32 v64, v17 offset:16
.LBB116_85:
	s_or_b64 exec, exec, s[4:5]
	v_and_b32_e32 v18, s24, v25
	v_lshlrev_b32_sdwa v17, v66, v18 dst_sel:DWORD dst_unused:UNUSED_PAD src0_sel:DWORD src1_sel:BYTE_0
	v_add_lshl_u32 v67, v36, v17, 2
	v_and_b32_e32 v17, 1, v18
	v_add_co_u32_e32 v19, vcc, -1, v17
	v_addc_co_u32_e64 v68, s[4:5], 0, -1, vcc
	v_cmp_ne_u32_e32 vcc, 0, v17
	v_xor_b32_e32 v17, vcc_hi, v68
	v_and_b32_e32 v68, exec_hi, v17
	v_lshlrev_b32_e32 v17, 30, v18
	v_xor_b32_e32 v19, vcc_lo, v19
	v_cmp_gt_i64_e32 vcc, 0, v[16:17]
	v_not_b32_e32 v17, v17
	v_ashrrev_i32_e32 v17, 31, v17
	v_and_b32_e32 v19, exec_lo, v19
	v_xor_b32_e32 v69, vcc_hi, v17
	v_xor_b32_e32 v17, vcc_lo, v17
	v_and_b32_e32 v19, v19, v17
	v_lshlrev_b32_e32 v17, 29, v18
	v_cmp_gt_i64_e32 vcc, 0, v[16:17]
	v_not_b32_e32 v17, v17
	v_ashrrev_i32_e32 v17, 31, v17
	v_and_b32_e32 v68, v68, v69
	v_xor_b32_e32 v69, vcc_hi, v17
	v_xor_b32_e32 v17, vcc_lo, v17
	v_and_b32_e32 v19, v19, v17
	v_lshlrev_b32_e32 v17, 28, v18
	v_cmp_gt_i64_e32 vcc, 0, v[16:17]
	v_not_b32_e32 v17, v17
	v_ashrrev_i32_e32 v17, 31, v17
	v_and_b32_e32 v68, v68, v69
	;; [unrolled: 8-line block ×5, first 2 shown]
	v_xor_b32_e32 v69, vcc_hi, v17
	v_xor_b32_e32 v17, vcc_lo, v17
	v_and_b32_e32 v19, v19, v17
	v_lshlrev_b32_e32 v17, 24, v18
	v_cmp_gt_i64_e32 vcc, 0, v[16:17]
	v_not_b32_e32 v16, v17
	v_ashrrev_i32_e32 v16, 31, v16
	v_xor_b32_e32 v17, vcc_hi, v16
	v_xor_b32_e32 v16, vcc_lo, v16
	; wave barrier
	ds_read_b32 v66, v67 offset:16
	v_and_b32_e32 v68, v68, v69
	v_and_b32_e32 v16, v19, v16
	;; [unrolled: 1-line block ×3, first 2 shown]
	v_mbcnt_lo_u32_b32 v18, v16, 0
	v_mbcnt_hi_u32_b32 v68, v17, v18
	v_cmp_eq_u32_e32 vcc, 0, v68
	v_cmp_ne_u64_e64 s[4:5], 0, v[16:17]
	s_and_b64 s[26:27], s[4:5], vcc
	; wave barrier
	s_and_saveexec_b64 s[4:5], s[26:27]
	s_cbranch_execz .LBB116_87
; %bb.86:
	v_bcnt_u32_b32 v16, v16, 0
	v_bcnt_u32_b32 v16, v17, v16
	s_waitcnt lgkmcnt(0)
	v_add_u32_e32 v16, v66, v16
	ds_write_b32 v67, v16 offset:16
.LBB116_87:
	s_or_b64 exec, exec, s[4:5]
	v_and_b32_e32 v18, s24, v26
	v_and_b32_e32 v17, 1, v18
	v_add_co_u32_e32 v19, vcc, -1, v17
	v_mov_b32_e32 v72, 2
	v_addc_co_u32_e64 v71, s[4:5], 0, -1, vcc
	v_cmp_ne_u32_e32 vcc, 0, v17
	v_lshlrev_b32_sdwa v16, v72, v18 dst_sel:DWORD dst_unused:UNUSED_PAD src0_sel:DWORD src1_sel:BYTE_0
	v_xor_b32_e32 v17, vcc_hi, v71
	v_add_lshl_u32 v70, v36, v16, 2
	v_mov_b32_e32 v16, 0
	v_and_b32_e32 v71, exec_hi, v17
	v_lshlrev_b32_e32 v17, 30, v18
	v_xor_b32_e32 v19, vcc_lo, v19
	v_cmp_gt_i64_e32 vcc, 0, v[16:17]
	v_not_b32_e32 v17, v17
	v_ashrrev_i32_e32 v17, 31, v17
	v_and_b32_e32 v19, exec_lo, v19
	v_xor_b32_e32 v73, vcc_hi, v17
	v_xor_b32_e32 v17, vcc_lo, v17
	v_and_b32_e32 v19, v19, v17
	v_lshlrev_b32_e32 v17, 29, v18
	v_cmp_gt_i64_e32 vcc, 0, v[16:17]
	v_not_b32_e32 v17, v17
	v_ashrrev_i32_e32 v17, 31, v17
	v_and_b32_e32 v71, v71, v73
	v_xor_b32_e32 v73, vcc_hi, v17
	v_xor_b32_e32 v17, vcc_lo, v17
	v_and_b32_e32 v19, v19, v17
	v_lshlrev_b32_e32 v17, 28, v18
	v_cmp_gt_i64_e32 vcc, 0, v[16:17]
	v_not_b32_e32 v17, v17
	v_ashrrev_i32_e32 v17, 31, v17
	v_and_b32_e32 v71, v71, v73
	;; [unrolled: 8-line block ×5, first 2 shown]
	v_xor_b32_e32 v73, vcc_hi, v17
	v_xor_b32_e32 v17, vcc_lo, v17
	v_and_b32_e32 v71, v71, v73
	v_and_b32_e32 v73, v19, v17
	v_lshlrev_b32_e32 v17, 24, v18
	v_cmp_gt_i64_e32 vcc, 0, v[16:17]
	v_not_b32_e32 v17, v17
	v_ashrrev_i32_e32 v17, 31, v17
	v_xor_b32_e32 v18, vcc_hi, v17
	v_xor_b32_e32 v17, vcc_lo, v17
	; wave barrier
	ds_read_b32 v69, v70 offset:16
	v_and_b32_e32 v19, v71, v18
	v_and_b32_e32 v18, v73, v17
	v_mbcnt_lo_u32_b32 v17, v18, 0
	v_mbcnt_hi_u32_b32 v71, v19, v17
	v_cmp_eq_u32_e32 vcc, 0, v71
	v_cmp_ne_u64_e64 s[4:5], 0, v[18:19]
	s_and_b64 s[26:27], s[4:5], vcc
	; wave barrier
	s_and_saveexec_b64 s[4:5], s[26:27]
	s_cbranch_execz .LBB116_89
; %bb.88:
	v_bcnt_u32_b32 v17, v18, 0
	v_bcnt_u32_b32 v17, v19, v17
	s_waitcnt lgkmcnt(0)
	v_add_u32_e32 v17, v69, v17
	ds_write_b32 v70, v17 offset:16
.LBB116_89:
	s_or_b64 exec, exec, s[4:5]
	v_and_b32_e32 v18, s24, v27
	v_lshlrev_b32_sdwa v17, v72, v18 dst_sel:DWORD dst_unused:UNUSED_PAD src0_sel:DWORD src1_sel:BYTE_0
	v_add_lshl_u32 v72, v36, v17, 2
	v_and_b32_e32 v17, 1, v18
	v_add_co_u32_e32 v19, vcc, -1, v17
	v_addc_co_u32_e64 v74, s[4:5], 0, -1, vcc
	v_cmp_ne_u32_e32 vcc, 0, v17
	v_xor_b32_e32 v17, vcc_hi, v74
	v_and_b32_e32 v74, exec_hi, v17
	v_lshlrev_b32_e32 v17, 30, v18
	v_xor_b32_e32 v19, vcc_lo, v19
	v_cmp_gt_i64_e32 vcc, 0, v[16:17]
	v_not_b32_e32 v17, v17
	v_ashrrev_i32_e32 v17, 31, v17
	v_and_b32_e32 v19, exec_lo, v19
	v_xor_b32_e32 v75, vcc_hi, v17
	v_xor_b32_e32 v17, vcc_lo, v17
	v_and_b32_e32 v19, v19, v17
	v_lshlrev_b32_e32 v17, 29, v18
	v_cmp_gt_i64_e32 vcc, 0, v[16:17]
	v_not_b32_e32 v17, v17
	v_ashrrev_i32_e32 v17, 31, v17
	v_and_b32_e32 v74, v74, v75
	v_xor_b32_e32 v75, vcc_hi, v17
	v_xor_b32_e32 v17, vcc_lo, v17
	v_and_b32_e32 v19, v19, v17
	v_lshlrev_b32_e32 v17, 28, v18
	v_cmp_gt_i64_e32 vcc, 0, v[16:17]
	v_not_b32_e32 v17, v17
	v_ashrrev_i32_e32 v17, 31, v17
	v_and_b32_e32 v74, v74, v75
	v_xor_b32_e32 v75, vcc_hi, v17
	v_xor_b32_e32 v17, vcc_lo, v17
	v_and_b32_e32 v19, v19, v17
	v_lshlrev_b32_e32 v17, 27, v18
	v_cmp_gt_i64_e32 vcc, 0, v[16:17]
	v_not_b32_e32 v17, v17
	v_ashrrev_i32_e32 v17, 31, v17
	v_and_b32_e32 v74, v74, v75
	v_xor_b32_e32 v75, vcc_hi, v17
	v_xor_b32_e32 v17, vcc_lo, v17
	v_and_b32_e32 v19, v19, v17
	v_lshlrev_b32_e32 v17, 26, v18
	v_cmp_gt_i64_e32 vcc, 0, v[16:17]
	v_not_b32_e32 v17, v17
	v_ashrrev_i32_e32 v17, 31, v17
	v_and_b32_e32 v74, v74, v75
	v_xor_b32_e32 v75, vcc_hi, v17
	v_xor_b32_e32 v17, vcc_lo, v17
	v_and_b32_e32 v19, v19, v17
	v_lshlrev_b32_e32 v17, 25, v18
	v_cmp_gt_i64_e32 vcc, 0, v[16:17]
	v_not_b32_e32 v17, v17
	v_ashrrev_i32_e32 v17, 31, v17
	v_and_b32_e32 v74, v74, v75
	v_xor_b32_e32 v75, vcc_hi, v17
	v_xor_b32_e32 v17, vcc_lo, v17
	v_and_b32_e32 v19, v19, v17
	v_lshlrev_b32_e32 v17, 24, v18
	v_cmp_gt_i64_e32 vcc, 0, v[16:17]
	v_not_b32_e32 v16, v17
	v_ashrrev_i32_e32 v16, 31, v16
	v_xor_b32_e32 v17, vcc_hi, v16
	v_xor_b32_e32 v16, vcc_lo, v16
	; wave barrier
	ds_read_b32 v36, v72 offset:16
	v_and_b32_e32 v74, v74, v75
	v_and_b32_e32 v16, v19, v16
	;; [unrolled: 1-line block ×3, first 2 shown]
	v_mbcnt_lo_u32_b32 v18, v16, 0
	v_mbcnt_hi_u32_b32 v74, v17, v18
	v_cmp_eq_u32_e32 vcc, 0, v74
	v_cmp_ne_u64_e64 s[4:5], 0, v[16:17]
	v_add_u32_e32 v73, 16, v60
	s_and_b64 s[24:25], s[4:5], vcc
	; wave barrier
	s_and_saveexec_b64 s[4:5], s[24:25]
	s_cbranch_execz .LBB116_91
; %bb.90:
	v_bcnt_u32_b32 v16, v16, 0
	v_bcnt_u32_b32 v16, v17, v16
	s_waitcnt lgkmcnt(0)
	v_add_u32_e32 v16, v36, v16
	ds_write_b32 v72, v16 offset:16
.LBB116_91:
	s_or_b64 exec, exec, s[4:5]
	; wave barrier
	s_waitcnt lgkmcnt(0)
	s_barrier
	ds_read2_b32 v[16:17], v60 offset0:4 offset1:5
	ds_read2_b32 v[18:19], v73 offset0:2 offset1:3
	v_min_u32_e32 v61, 0xc0, v61
	v_or_b32_e32 v61, 63, v61
	s_waitcnt lgkmcnt(1)
	v_add_u32_e32 v75, v17, v16
	s_waitcnt lgkmcnt(0)
	v_add3_u32 v19, v75, v18, v19
	v_and_b32_e32 v75, 15, v59
	v_cmp_ne_u32_e32 vcc, 0, v75
	v_mov_b32_dpp v76, v19 row_shr:1 row_mask:0xf bank_mask:0xf
	v_cndmask_b32_e32 v76, 0, v76, vcc
	v_add_u32_e32 v19, v76, v19
	v_cmp_lt_u32_e32 vcc, 1, v75
	s_nop 0
	v_mov_b32_dpp v76, v19 row_shr:2 row_mask:0xf bank_mask:0xf
	v_cndmask_b32_e32 v76, 0, v76, vcc
	v_add_u32_e32 v19, v19, v76
	v_cmp_lt_u32_e32 vcc, 3, v75
	s_nop 0
	;; [unrolled: 5-line block ×3, first 2 shown]
	v_mov_b32_dpp v76, v19 row_shr:8 row_mask:0xf bank_mask:0xf
	v_cndmask_b32_e32 v75, 0, v76, vcc
	v_add_u32_e32 v19, v19, v75
	v_bfe_i32 v76, v59, 4, 1
	v_cmp_lt_u32_e32 vcc, 31, v59
	v_mov_b32_dpp v75, v19 row_bcast:15 row_mask:0xf bank_mask:0xf
	v_and_b32_e32 v75, v76, v75
	v_add_u32_e32 v19, v19, v75
	s_nop 1
	v_mov_b32_dpp v75, v19 row_bcast:31 row_mask:0xf bank_mask:0xf
	v_cndmask_b32_e32 v75, 0, v75, vcc
	v_add_u32_e32 v19, v19, v75
	v_lshrrev_b32_e32 v75, 6, v34
	v_cmp_eq_u32_e32 vcc, v61, v34
	s_and_saveexec_b64 s[4:5], vcc
	s_cbranch_execz .LBB116_93
; %bb.92:
	v_lshlrev_b32_e32 v61, 2, v75
	ds_write_b32 v61, v19
.LBB116_93:
	s_or_b64 exec, exec, s[4:5]
	v_cmp_gt_u32_e32 vcc, 4, v34
	s_waitcnt lgkmcnt(0)
	s_barrier
	s_and_saveexec_b64 s[4:5], vcc
	s_cbranch_execz .LBB116_95
; %bb.94:
	v_lshlrev_b32_e32 v61, 2, v34
	ds_read_b32 v76, v61
	v_and_b32_e32 v77, 3, v59
	v_cmp_ne_u32_e32 vcc, 0, v77
	s_waitcnt lgkmcnt(0)
	v_mov_b32_dpp v78, v76 row_shr:1 row_mask:0xf bank_mask:0xf
	v_cndmask_b32_e32 v78, 0, v78, vcc
	v_add_u32_e32 v76, v78, v76
	v_cmp_lt_u32_e32 vcc, 1, v77
	s_nop 0
	v_mov_b32_dpp v78, v76 row_shr:2 row_mask:0xf bank_mask:0xf
	v_cndmask_b32_e32 v77, 0, v78, vcc
	v_add_u32_e32 v76, v76, v77
	ds_write_b32 v61, v76
.LBB116_95:
	s_or_b64 exec, exec, s[4:5]
	v_cmp_lt_u32_e32 vcc, 63, v34
	v_mov_b32_e32 v61, 0
	s_waitcnt lgkmcnt(0)
	s_barrier
	s_and_saveexec_b64 s[4:5], vcc
	s_cbranch_execz .LBB116_97
; %bb.96:
	v_lshl_add_u32 v61, v75, 2, -4
	ds_read_b32 v61, v61
.LBB116_97:
	s_or_b64 exec, exec, s[4:5]
	v_add_u32_e32 v75, -1, v59
	v_and_b32_e32 v76, 64, v59
	v_cmp_lt_i32_e32 vcc, v75, v76
	v_cndmask_b32_e32 v75, v75, v59, vcc
	s_waitcnt lgkmcnt(0)
	v_add_u32_e32 v19, v61, v19
	v_lshlrev_b32_e32 v75, 2, v75
	ds_bpermute_b32 v19, v75, v19
	v_cmp_eq_u32_e32 vcc, 0, v59
	s_movk_i32 s4, 0x7f
	s_waitcnt lgkmcnt(0)
	v_cndmask_b32_e32 v19, v19, v61, vcc
	v_cmp_ne_u32_e32 vcc, 0, v34
	v_cndmask_b32_e32 v19, 0, v19, vcc
	v_add_u32_e32 v16, v19, v16
	v_add_u32_e32 v17, v16, v17
	;; [unrolled: 1-line block ×3, first 2 shown]
	ds_write2_b32 v60, v19, v16 offset0:4 offset1:5
	ds_write2_b32 v73, v17, v18 offset0:2 offset1:3
	s_waitcnt lgkmcnt(0)
	s_barrier
	ds_read_b32 v16, v28 offset:16
	ds_read_b32 v17, v31 offset:16
	;; [unrolled: 1-line block ×8, first 2 shown]
	s_waitcnt lgkmcnt(7)
	v_add_u32_e32 v29, v16, v29
	s_waitcnt lgkmcnt(6)
	v_add3_u32 v30, v32, v30, v17
	s_waitcnt lgkmcnt(5)
	v_add3_u32 v18, v38, v33, v18
	;; [unrolled: 2-line block ×7, first 2 shown]
	s_barrier
	ds_write_b8 v29, v20
	ds_write_b8 v30, v21
	;; [unrolled: 1-line block ×8, first 2 shown]
	v_lshlrev_b32_e32 v20, 3, v29
	s_waitcnt lgkmcnt(0)
	s_barrier
	ds_read_b64 v[16:17], v50
	s_waitcnt lgkmcnt(0)
	s_barrier
	ds_write_b64 v20, v[12:13]
	v_lshlrev_b32_e32 v12, 3, v30
	ds_write_b64 v12, v[14:15]
	v_lshlrev_b32_e32 v12, 3, v18
	;; [unrolled: 2-line block ×8, first 2 shown]
	s_waitcnt lgkmcnt(0)
	s_barrier
	ds_read2_b64 v[18:21], v0 offset1:1
	ds_read2_b64 v[22:25], v0 offset0:2 offset1:3
	ds_read2_b64 v[26:29], v0 offset0:4 offset1:5
	;; [unrolled: 1-line block ×3, first 2 shown]
	v_lshrrev_b32_e32 v36, 8, v16
	v_lshrrev_b32_e32 v37, 8, v17
	v_xor_b32_e32 v0, 0x7f, v16
	v_xor_b32_sdwa v1, v36, s4 dst_sel:BYTE_1 dst_unused:UNUSED_PAD src0_sel:DWORD src1_sel:DWORD
	v_xor_b32_sdwa v2, v16, s4 dst_sel:DWORD dst_unused:UNUSED_PAD src0_sel:WORD_1 src1_sel:DWORD
	v_xor_b32_sdwa v3, v16, s4 dst_sel:BYTE_1 dst_unused:UNUSED_PAD src0_sel:BYTE_3 src1_sel:DWORD
	v_xor_b32_e32 v4, 0x7f, v17
	v_xor_b32_sdwa v5, v37, s4 dst_sel:BYTE_1 dst_unused:UNUSED_PAD src0_sel:DWORD src1_sel:DWORD
	v_xor_b32_sdwa v6, v17, s4 dst_sel:DWORD dst_unused:UNUSED_PAD src0_sel:WORD_1 src1_sel:DWORD
	v_xor_b32_sdwa v7, v17, s4 dst_sel:BYTE_1 dst_unused:UNUSED_PAD src0_sel:BYTE_3 src1_sel:DWORD
	v_or_b32_sdwa v0, v0, v1 dst_sel:DWORD dst_unused:UNUSED_PAD src0_sel:BYTE_0 src1_sel:DWORD
	v_or_b32_sdwa v1, v2, v3 dst_sel:WORD_1 dst_unused:UNUSED_PAD src0_sel:BYTE_0 src1_sel:DWORD
	v_or_b32_sdwa v0, v0, v1 dst_sel:DWORD dst_unused:UNUSED_PAD src0_sel:WORD_0 src1_sel:DWORD
	v_or_b32_sdwa v1, v4, v5 dst_sel:DWORD dst_unused:UNUSED_PAD src0_sel:BYTE_0 src1_sel:DWORD
	v_or_b32_sdwa v2, v6, v7 dst_sel:WORD_1 dst_unused:UNUSED_PAD src0_sel:BYTE_0 src1_sel:DWORD
	v_or_b32_sdwa v1, v1, v2 dst_sel:DWORD dst_unused:UNUSED_PAD src0_sel:WORD_0 src1_sel:DWORD
.LBB116_98:
	s_waitcnt lgkmcnt(0)
	s_barrier
	ds_write_b64 v49, v[0:1]
	s_waitcnt lgkmcnt(0)
	s_barrier
	ds_read_u8 v8, v42 offset:256
	ds_read_u8 v7, v43 offset:512
	ds_read_u8 v6, v44 offset:768
	ds_read_u8 v5, v45 offset:1024
	ds_read_u8 v4, v46 offset:1280
	ds_read_u8 v3, v47 offset:1536
	ds_read_u8 v2, v48 offset:1792
	v_pk_mov_b32 v[0:1], s[22:23], s[22:23] op_sel:[0,1]
	v_mad_u64_u32 v[0:1], s[4:5], v34, s18, v[0:1]
	v_mov_b32_e32 v10, v1
	v_mad_u64_u32 v[10:11], s[4:5], v34, s19, v[10:11]
	v_mov_b32_e32 v1, v10
	s_and_saveexec_b64 s[4:5], s[0:1]
	s_cbranch_execnz .LBB116_117
; %bb.99:
	s_or_b64 exec, exec, s[4:5]
	s_and_saveexec_b64 s[4:5], s[2:3]
	s_cbranch_execnz .LBB116_118
.LBB116_100:
	s_or_b64 exec, exec, s[4:5]
	s_and_saveexec_b64 s[4:5], s[16:17]
	s_cbranch_execnz .LBB116_119
.LBB116_101:
	s_or_b64 exec, exec, s[4:5]
	s_and_saveexec_b64 s[4:5], s[6:7]
	s_cbranch_execnz .LBB116_120
.LBB116_102:
	s_or_b64 exec, exec, s[4:5]
	s_and_saveexec_b64 s[4:5], s[8:9]
	s_cbranch_execnz .LBB116_121
.LBB116_103:
	s_or_b64 exec, exec, s[4:5]
	s_and_saveexec_b64 s[4:5], s[10:11]
	s_cbranch_execnz .LBB116_122
.LBB116_104:
	s_or_b64 exec, exec, s[4:5]
	s_and_saveexec_b64 s[4:5], s[12:13]
	s_cbranch_execnz .LBB116_123
.LBB116_105:
	s_or_b64 exec, exec, s[4:5]
	s_and_saveexec_b64 s[4:5], s[14:15]
	s_cbranch_execz .LBB116_107
.LBB116_106:
	s_waitcnt lgkmcnt(1)
	v_mov_b32_e32 v3, 0x700
	v_mad_u64_u32 v[0:1], s[22:23], s18, v3, v[0:1]
	s_mul_i32 s18, s19, 0x700
	v_add_u32_e32 v1, s18, v1
	s_waitcnt lgkmcnt(0)
	global_store_byte v[0:1], v2, off
.LBB116_107:
	s_or_b64 exec, exec, s[4:5]
	s_waitcnt lgkmcnt(0)
	s_barrier
	ds_write2_b64 v58, v[18:19], v[20:21] offset1:1
	ds_write2_b64 v58, v[22:23], v[24:25] offset0:2 offset1:3
	ds_write2_b64 v58, v[26:27], v[28:29] offset0:4 offset1:5
	;; [unrolled: 1-line block ×3, first 2 shown]
	s_waitcnt lgkmcnt(0)
	s_barrier
	ds_read_b64 v[14:15], v51 offset:2048
	ds_read_b64 v[12:13], v52 offset:4096
	;; [unrolled: 1-line block ×7, first 2 shown]
	v_mad_u64_u32 v[4:5], s[4:5], v34, s20, 0
	v_mov_b32_e32 v16, v5
	v_mad_u64_u32 v[16:17], s[4:5], v34, s21, v[16:17]
	v_mov_b32_e32 v5, v16
	v_lshlrev_b64 v[4:5], 3, v[4:5]
	v_mov_b32_e32 v16, s29
	v_add_co_u32_e32 v4, vcc, s28, v4
	v_addc_co_u32_e32 v5, vcc, v16, v5, vcc
	s_and_saveexec_b64 s[4:5], s[0:1]
	s_cbranch_execnz .LBB116_124
; %bb.108:
	s_or_b64 exec, exec, s[4:5]
	s_and_saveexec_b64 s[0:1], s[2:3]
	s_cbranch_execnz .LBB116_125
.LBB116_109:
	s_or_b64 exec, exec, s[0:1]
	s_and_saveexec_b64 s[0:1], s[16:17]
	s_cbranch_execnz .LBB116_126
.LBB116_110:
	s_or_b64 exec, exec, s[0:1]
	s_and_saveexec_b64 s[0:1], s[6:7]
	s_cbranch_execnz .LBB116_127
.LBB116_111:
	s_or_b64 exec, exec, s[0:1]
	s_and_saveexec_b64 s[0:1], s[8:9]
	s_cbranch_execnz .LBB116_128
.LBB116_112:
	s_or_b64 exec, exec, s[0:1]
	s_and_saveexec_b64 s[0:1], s[10:11]
	s_cbranch_execnz .LBB116_129
.LBB116_113:
	s_or_b64 exec, exec, s[0:1]
	s_and_saveexec_b64 s[0:1], s[12:13]
	s_cbranch_execnz .LBB116_130
.LBB116_114:
	s_or_b64 exec, exec, s[0:1]
	s_and_saveexec_b64 s[0:1], s[14:15]
	s_cbranch_execz .LBB116_116
.LBB116_115:
	s_waitcnt lgkmcnt(1)
	v_mov_b32_e32 v2, 0x3800
	v_mad_u64_u32 v[2:3], s[0:1], s20, v2, v[4:5]
	s_mul_i32 s0, s21, 0x3800
	v_add_u32_e32 v3, s0, v3
	s_waitcnt lgkmcnt(0)
	global_store_dwordx2 v[2:3], v[0:1], off
.LBB116_116:
	s_endpgm
.LBB116_117:
	ds_read_u8 v9, v35
	s_waitcnt lgkmcnt(0)
	global_store_byte v[0:1], v9, off
	s_or_b64 exec, exec, s[4:5]
	s_and_saveexec_b64 s[4:5], s[2:3]
	s_cbranch_execz .LBB116_100
.LBB116_118:
	s_lshl_b64 s[22:23], s[18:19], 8
	v_mov_b32_e32 v9, s23
	v_add_co_u32_e32 v10, vcc, s22, v0
	v_addc_co_u32_e32 v11, vcc, v1, v9, vcc
	s_waitcnt lgkmcnt(6)
	global_store_byte v[10:11], v8, off
	s_or_b64 exec, exec, s[4:5]
	s_and_saveexec_b64 s[4:5], s[16:17]
	s_cbranch_execz .LBB116_101
.LBB116_119:
	s_lshl_b64 s[22:23], s[18:19], 9
	v_mov_b32_e32 v9, s23
	s_waitcnt lgkmcnt(6)
	v_add_co_u32_e32 v8, vcc, s22, v0
	v_addc_co_u32_e32 v9, vcc, v1, v9, vcc
	s_waitcnt lgkmcnt(5)
	global_store_byte v[8:9], v7, off
	s_or_b64 exec, exec, s[4:5]
	s_and_saveexec_b64 s[4:5], s[6:7]
	s_cbranch_execz .LBB116_102
.LBB116_120:
	s_waitcnt lgkmcnt(5)
	v_mov_b32_e32 v7, 0x300
	v_mad_u64_u32 v[8:9], s[22:23], s18, v7, v[0:1]
	s_mul_i32 s22, s19, 0x300
	v_add_u32_e32 v9, s22, v9
	s_waitcnt lgkmcnt(4)
	global_store_byte v[8:9], v6, off
	s_or_b64 exec, exec, s[4:5]
	s_and_saveexec_b64 s[4:5], s[8:9]
	s_cbranch_execz .LBB116_103
.LBB116_121:
	s_lshl_b64 s[22:23], s[18:19], 10
	s_waitcnt lgkmcnt(5)
	v_mov_b32_e32 v7, s23
	s_waitcnt lgkmcnt(4)
	v_add_co_u32_e32 v6, vcc, s22, v0
	v_addc_co_u32_e32 v7, vcc, v1, v7, vcc
	s_waitcnt lgkmcnt(3)
	global_store_byte v[6:7], v5, off
	s_or_b64 exec, exec, s[4:5]
	s_and_saveexec_b64 s[4:5], s[10:11]
	s_cbranch_execz .LBB116_104
.LBB116_122:
	s_waitcnt lgkmcnt(3)
	v_mov_b32_e32 v5, 0x500
	v_mad_u64_u32 v[6:7], s[22:23], s18, v5, v[0:1]
	s_mul_i32 s22, s19, 0x500
	v_add_u32_e32 v7, s22, v7
	s_waitcnt lgkmcnt(2)
	global_store_byte v[6:7], v4, off
	s_or_b64 exec, exec, s[4:5]
	s_and_saveexec_b64 s[4:5], s[12:13]
	s_cbranch_execz .LBB116_105
.LBB116_123:
	s_waitcnt lgkmcnt(2)
	v_mov_b32_e32 v4, 0x600
	v_mad_u64_u32 v[4:5], s[22:23], s18, v4, v[0:1]
	s_mul_i32 s22, s19, 0x600
	v_add_u32_e32 v5, s22, v5
	s_waitcnt lgkmcnt(1)
	global_store_byte v[4:5], v3, off
	s_or_b64 exec, exec, s[4:5]
	s_and_saveexec_b64 s[4:5], s[14:15]
	s_cbranch_execnz .LBB116_106
	s_branch .LBB116_107
.LBB116_124:
	ds_read_b64 v[16:17], v39
	s_waitcnt lgkmcnt(0)
	global_store_dwordx2 v[4:5], v[16:17], off
	s_or_b64 exec, exec, s[4:5]
	s_and_saveexec_b64 s[0:1], s[2:3]
	s_cbranch_execz .LBB116_109
.LBB116_125:
	s_lshl_b64 s[2:3], s[20:21], 11
	v_mov_b32_e32 v17, s3
	v_add_co_u32_e32 v16, vcc, s2, v4
	v_addc_co_u32_e32 v17, vcc, v5, v17, vcc
	s_waitcnt lgkmcnt(6)
	global_store_dwordx2 v[16:17], v[14:15], off
	s_or_b64 exec, exec, s[0:1]
	s_and_saveexec_b64 s[0:1], s[16:17]
	s_cbranch_execz .LBB116_110
.LBB116_126:
	s_lshl_b64 s[2:3], s[20:21], 12
	s_waitcnt lgkmcnt(6)
	v_mov_b32_e32 v15, s3
	v_add_co_u32_e32 v14, vcc, s2, v4
	v_addc_co_u32_e32 v15, vcc, v5, v15, vcc
	s_waitcnt lgkmcnt(5)
	global_store_dwordx2 v[14:15], v[12:13], off
	s_or_b64 exec, exec, s[0:1]
	s_and_saveexec_b64 s[0:1], s[6:7]
	s_cbranch_execz .LBB116_111
.LBB116_127:
	s_waitcnt lgkmcnt(5)
	v_mov_b32_e32 v12, 0x1800
	v_mad_u64_u32 v[12:13], s[2:3], s20, v12, v[4:5]
	s_mul_i32 s2, s21, 0x1800
	v_add_u32_e32 v13, s2, v13
	s_waitcnt lgkmcnt(4)
	global_store_dwordx2 v[12:13], v[10:11], off
	s_or_b64 exec, exec, s[0:1]
	s_and_saveexec_b64 s[0:1], s[8:9]
	s_cbranch_execz .LBB116_112
.LBB116_128:
	s_lshl_b64 s[2:3], s[20:21], 13
	s_waitcnt lgkmcnt(4)
	v_mov_b32_e32 v11, s3
	v_add_co_u32_e32 v10, vcc, s2, v4
	v_addc_co_u32_e32 v11, vcc, v5, v11, vcc
	s_waitcnt lgkmcnt(3)
	global_store_dwordx2 v[10:11], v[8:9], off
	s_or_b64 exec, exec, s[0:1]
	s_and_saveexec_b64 s[0:1], s[10:11]
	s_cbranch_execz .LBB116_113
.LBB116_129:
	s_waitcnt lgkmcnt(3)
	v_mov_b32_e32 v8, 0x2800
	v_mad_u64_u32 v[8:9], s[2:3], s20, v8, v[4:5]
	s_mul_i32 s2, s21, 0x2800
	v_add_u32_e32 v9, s2, v9
	s_waitcnt lgkmcnt(2)
	global_store_dwordx2 v[8:9], v[6:7], off
	s_or_b64 exec, exec, s[0:1]
	s_and_saveexec_b64 s[0:1], s[12:13]
	s_cbranch_execz .LBB116_114
.LBB116_130:
	s_waitcnt lgkmcnt(2)
	v_mov_b32_e32 v6, 0x3000
	v_mad_u64_u32 v[6:7], s[2:3], s20, v6, v[4:5]
	s_mul_i32 s2, s21, 0x3000
	v_add_u32_e32 v7, s2, v7
	s_waitcnt lgkmcnt(1)
	global_store_dwordx2 v[6:7], v[2:3], off
	s_or_b64 exec, exec, s[0:1]
	s_and_saveexec_b64 s[0:1], s[14:15]
	s_cbranch_execnz .LBB116_115
	s_branch .LBB116_116
	.section	.rodata,"a",@progbits
	.p2align	6, 0x0
	.amdhsa_kernel _ZN2at6native18radixSortKVInPlaceILin1ELin1ELi256ELi8EalmEEvNS_4cuda6detail10TensorInfoIT3_T5_EES6_S6_S6_NS4_IT4_S6_EES6_b
		.amdhsa_group_segment_fixed_size 16896
		.amdhsa_private_segment_fixed_size 0
		.amdhsa_kernarg_size 1128
		.amdhsa_user_sgpr_count 6
		.amdhsa_user_sgpr_private_segment_buffer 1
		.amdhsa_user_sgpr_dispatch_ptr 0
		.amdhsa_user_sgpr_queue_ptr 0
		.amdhsa_user_sgpr_kernarg_segment_ptr 1
		.amdhsa_user_sgpr_dispatch_id 0
		.amdhsa_user_sgpr_flat_scratch_init 0
		.amdhsa_user_sgpr_kernarg_preload_length 0
		.amdhsa_user_sgpr_kernarg_preload_offset 0
		.amdhsa_user_sgpr_private_segment_size 0
		.amdhsa_uses_dynamic_stack 0
		.amdhsa_system_sgpr_private_segment_wavefront_offset 0
		.amdhsa_system_sgpr_workgroup_id_x 1
		.amdhsa_system_sgpr_workgroup_id_y 1
		.amdhsa_system_sgpr_workgroup_id_z 1
		.amdhsa_system_sgpr_workgroup_info 0
		.amdhsa_system_vgpr_workitem_id 2
		.amdhsa_next_free_vgpr 107
		.amdhsa_next_free_sgpr 52
		.amdhsa_accum_offset 108
		.amdhsa_reserve_vcc 1
		.amdhsa_reserve_flat_scratch 0
		.amdhsa_float_round_mode_32 0
		.amdhsa_float_round_mode_16_64 0
		.amdhsa_float_denorm_mode_32 3
		.amdhsa_float_denorm_mode_16_64 3
		.amdhsa_dx10_clamp 1
		.amdhsa_ieee_mode 1
		.amdhsa_fp16_overflow 0
		.amdhsa_tg_split 0
		.amdhsa_exception_fp_ieee_invalid_op 0
		.amdhsa_exception_fp_denorm_src 0
		.amdhsa_exception_fp_ieee_div_zero 0
		.amdhsa_exception_fp_ieee_overflow 0
		.amdhsa_exception_fp_ieee_underflow 0
		.amdhsa_exception_fp_ieee_inexact 0
		.amdhsa_exception_int_div_zero 0
	.end_amdhsa_kernel
	.section	.text._ZN2at6native18radixSortKVInPlaceILin1ELin1ELi256ELi8EalmEEvNS_4cuda6detail10TensorInfoIT3_T5_EES6_S6_S6_NS4_IT4_S6_EES6_b,"axG",@progbits,_ZN2at6native18radixSortKVInPlaceILin1ELin1ELi256ELi8EalmEEvNS_4cuda6detail10TensorInfoIT3_T5_EES6_S6_S6_NS4_IT4_S6_EES6_b,comdat
.Lfunc_end116:
	.size	_ZN2at6native18radixSortKVInPlaceILin1ELin1ELi256ELi8EalmEEvNS_4cuda6detail10TensorInfoIT3_T5_EES6_S6_S6_NS4_IT4_S6_EES6_b, .Lfunc_end116-_ZN2at6native18radixSortKVInPlaceILin1ELin1ELi256ELi8EalmEEvNS_4cuda6detail10TensorInfoIT3_T5_EES6_S6_S6_NS4_IT4_S6_EES6_b
                                        ; -- End function
	.section	.AMDGPU.csdata,"",@progbits
; Kernel info:
; codeLenInByte = 13720
; NumSgprs: 56
; NumVgprs: 107
; NumAgprs: 0
; TotalNumVgprs: 107
; ScratchSize: 0
; MemoryBound: 0
; FloatMode: 240
; IeeeMode: 1
; LDSByteSize: 16896 bytes/workgroup (compile time only)
; SGPRBlocks: 6
; VGPRBlocks: 13
; NumSGPRsForWavesPerEU: 56
; NumVGPRsForWavesPerEU: 107
; AccumOffset: 108
; Occupancy: 3
; WaveLimiterHint : 1
; COMPUTE_PGM_RSRC2:SCRATCH_EN: 0
; COMPUTE_PGM_RSRC2:USER_SGPR: 6
; COMPUTE_PGM_RSRC2:TRAP_HANDLER: 0
; COMPUTE_PGM_RSRC2:TGID_X_EN: 1
; COMPUTE_PGM_RSRC2:TGID_Y_EN: 1
; COMPUTE_PGM_RSRC2:TGID_Z_EN: 1
; COMPUTE_PGM_RSRC2:TIDIG_COMP_CNT: 2
; COMPUTE_PGM_RSRC3_GFX90A:ACCUM_OFFSET: 26
; COMPUTE_PGM_RSRC3_GFX90A:TG_SPLIT: 0
	.section	.text._ZN2at6native18radixSortKVInPlaceILin1ELin1ELi128ELi8EalmEEvNS_4cuda6detail10TensorInfoIT3_T5_EES6_S6_S6_NS4_IT4_S6_EES6_b,"axG",@progbits,_ZN2at6native18radixSortKVInPlaceILin1ELin1ELi128ELi8EalmEEvNS_4cuda6detail10TensorInfoIT3_T5_EES6_S6_S6_NS4_IT4_S6_EES6_b,comdat
	.protected	_ZN2at6native18radixSortKVInPlaceILin1ELin1ELi128ELi8EalmEEvNS_4cuda6detail10TensorInfoIT3_T5_EES6_S6_S6_NS4_IT4_S6_EES6_b ; -- Begin function _ZN2at6native18radixSortKVInPlaceILin1ELin1ELi128ELi8EalmEEvNS_4cuda6detail10TensorInfoIT3_T5_EES6_S6_S6_NS4_IT4_S6_EES6_b
	.globl	_ZN2at6native18radixSortKVInPlaceILin1ELin1ELi128ELi8EalmEEvNS_4cuda6detail10TensorInfoIT3_T5_EES6_S6_S6_NS4_IT4_S6_EES6_b
	.p2align	8
	.type	_ZN2at6native18radixSortKVInPlaceILin1ELin1ELi128ELi8EalmEEvNS_4cuda6detail10TensorInfoIT3_T5_EES6_S6_S6_NS4_IT4_S6_EES6_b,@function
_ZN2at6native18radixSortKVInPlaceILin1ELin1ELi128ELi8EalmEEvNS_4cuda6detail10TensorInfoIT3_T5_EES6_S6_S6_NS4_IT4_S6_EES6_b: ; @_ZN2at6native18radixSortKVInPlaceILin1ELin1ELi128ELi8EalmEEvNS_4cuda6detail10TensorInfoIT3_T5_EES6_S6_S6_NS4_IT4_S6_EES6_b
; %bb.0:
	s_load_dwordx4 s[12:15], s[4:5], 0x1a0
	s_load_dwordx2 s[0:1], s[4:5], 0x368
	s_add_u32 s24, s4, 0x368
	s_addc_u32 s25, s5, 0
	s_waitcnt lgkmcnt(0)
	v_mov_b32_e32 v2, s12
	s_mul_i32 s1, s1, s8
	s_add_i32 s1, s1, s7
	s_mul_i32 s0, s1, s0
	v_mov_b32_e32 v3, s13
	s_add_i32 s6, s0, s6
	s_mov_b32 s7, 0
	v_cmp_ge_u64_e32 vcc, s[6:7], v[2:3]
	s_cbranch_vccnz .LBB117_116
; %bb.1:
	s_load_dword s0, s[4:5], 0x198
	s_load_dwordx2 s[18:19], s[4:5], 0x1b0
	s_mov_b64 s[2:3], 0
	s_mov_b64 s[8:9], s[6:7]
	s_waitcnt lgkmcnt(0)
	s_cmp_lt_i32 s0, 2
	s_cbranch_scc1 .LBB117_9
; %bb.2:
	s_mov_b32 s10, 0
	s_add_i32 s15, s0, 1
	s_add_i32 s0, s0, -1
	s_mov_b32 s1, s10
	s_lshl_b64 s[0:1], s[0:1], 3
	s_add_u32 s0, s0, s4
	s_addc_u32 s1, s1, s5
	s_add_u32 s12, s0, 8
	s_addc_u32 s13, s1, 0
	s_mov_b64 s[16:17], s[6:7]
.LBB117_3:                              ; =>This Inner Loop Header: Depth=1
	s_load_dwordx2 s[20:21], s[12:13], 0x0
	s_waitcnt lgkmcnt(0)
	s_or_b64 s[0:1], s[16:17], s[20:21]
	s_mov_b32 s11, s1
	s_cmp_lg_u64 s[10:11], 0
	s_cbranch_scc0 .LBB117_8
; %bb.4:                                ;   in Loop: Header=BB117_3 Depth=1
	v_cvt_f32_u32_e32 v1, s20
	v_cvt_f32_u32_e32 v2, s21
	s_sub_u32 s0, 0, s20
	s_subb_u32 s1, 0, s21
	v_mac_f32_e32 v1, 0x4f800000, v2
	v_rcp_f32_e32 v1, v1
	v_mul_f32_e32 v1, 0x5f7ffffc, v1
	v_mul_f32_e32 v2, 0x2f800000, v1
	v_trunc_f32_e32 v2, v2
	v_mac_f32_e32 v1, 0xcf800000, v2
	v_cvt_u32_f32_e32 v2, v2
	v_cvt_u32_f32_e32 v1, v1
	v_readfirstlane_b32 s8, v2
	v_readfirstlane_b32 s9, v1
	s_mul_i32 s11, s0, s8
	s_mul_hi_u32 s23, s0, s9
	s_mul_i32 s22, s1, s9
	s_add_i32 s11, s23, s11
	s_mul_i32 s26, s0, s9
	s_add_i32 s11, s11, s22
	s_mul_hi_u32 s22, s9, s11
	s_mul_i32 s23, s9, s11
	s_mul_hi_u32 s9, s9, s26
	s_add_u32 s9, s9, s23
	s_addc_u32 s22, 0, s22
	s_mul_hi_u32 s27, s8, s26
	s_mul_i32 s26, s8, s26
	s_add_u32 s9, s9, s26
	s_mul_hi_u32 s23, s8, s11
	s_addc_u32 s9, s22, s27
	s_addc_u32 s22, s23, 0
	s_mul_i32 s11, s8, s11
	s_add_u32 s9, s9, s11
	s_addc_u32 s11, 0, s22
	v_add_co_u32_e32 v1, vcc, s9, v1
	s_cmp_lg_u64 vcc, 0
	s_addc_u32 s8, s8, s11
	v_readfirstlane_b32 s11, v1
	s_mul_i32 s9, s0, s8
	s_mul_hi_u32 s22, s0, s11
	s_add_i32 s9, s22, s9
	s_mul_i32 s1, s1, s11
	s_add_i32 s9, s9, s1
	s_mul_i32 s0, s0, s11
	s_mul_hi_u32 s22, s8, s0
	s_mul_i32 s23, s8, s0
	s_mul_i32 s27, s11, s9
	s_mul_hi_u32 s0, s11, s0
	s_mul_hi_u32 s26, s11, s9
	s_add_u32 s0, s0, s27
	s_addc_u32 s11, 0, s26
	s_add_u32 s0, s0, s23
	s_mul_hi_u32 s1, s8, s9
	s_addc_u32 s0, s11, s22
	s_addc_u32 s1, s1, 0
	s_mul_i32 s9, s8, s9
	s_add_u32 s0, s0, s9
	s_addc_u32 s1, 0, s1
	v_add_co_u32_e32 v1, vcc, s0, v1
	s_cmp_lg_u64 vcc, 0
	s_addc_u32 s0, s8, s1
	v_readfirstlane_b32 s9, v1
	s_mul_i32 s8, s16, s0
	s_mul_hi_u32 s11, s16, s9
	s_mul_hi_u32 s1, s16, s0
	s_add_u32 s8, s11, s8
	s_addc_u32 s1, 0, s1
	s_mul_hi_u32 s22, s17, s9
	s_mul_i32 s9, s17, s9
	s_add_u32 s8, s8, s9
	s_mul_hi_u32 s11, s17, s0
	s_addc_u32 s1, s1, s22
	s_addc_u32 s8, s11, 0
	s_mul_i32 s0, s17, s0
	s_add_u32 s11, s1, s0
	s_addc_u32 s8, 0, s8
	s_mul_i32 s0, s20, s8
	s_mul_hi_u32 s1, s20, s11
	s_add_i32 s0, s1, s0
	s_mul_i32 s1, s21, s11
	s_add_i32 s9, s0, s1
	s_mul_i32 s1, s20, s11
	v_mov_b32_e32 v1, s1
	s_sub_i32 s0, s17, s9
	v_sub_co_u32_e32 v1, vcc, s16, v1
	s_cmp_lg_u64 vcc, 0
	s_subb_u32 s22, s0, s21
	v_subrev_co_u32_e64 v2, s[0:1], s20, v1
	s_cmp_lg_u64 s[0:1], 0
	s_subb_u32 s0, s22, 0
	s_cmp_ge_u32 s0, s21
	v_readfirstlane_b32 s22, v2
	s_cselect_b32 s1, -1, 0
	s_cmp_ge_u32 s22, s20
	s_cselect_b32 s22, -1, 0
	s_cmp_eq_u32 s0, s21
	s_cselect_b32 s0, s22, s1
	s_add_u32 s1, s11, 1
	s_addc_u32 s22, s8, 0
	s_add_u32 s23, s11, 2
	s_addc_u32 s26, s8, 0
	s_cmp_lg_u32 s0, 0
	s_cselect_b32 s0, s23, s1
	s_cselect_b32 s1, s26, s22
	s_cmp_lg_u64 vcc, 0
	s_subb_u32 s9, s17, s9
	s_cmp_ge_u32 s9, s21
	v_readfirstlane_b32 s23, v1
	s_cselect_b32 s22, -1, 0
	s_cmp_ge_u32 s23, s20
	s_cselect_b32 s23, -1, 0
	s_cmp_eq_u32 s9, s21
	s_cselect_b32 s9, s23, s22
	s_cmp_lg_u32 s9, 0
	s_cselect_b32 s9, s1, s8
	s_cselect_b32 s8, s0, s11
	s_cbranch_execnz .LBB117_6
.LBB117_5:                              ;   in Loop: Header=BB117_3 Depth=1
	v_cvt_f32_u32_e32 v1, s20
	s_sub_i32 s0, 0, s20
	v_rcp_iflag_f32_e32 v1, v1
	v_mul_f32_e32 v1, 0x4f7ffffe, v1
	v_cvt_u32_f32_e32 v1, v1
	v_readfirstlane_b32 s1, v1
	s_mul_i32 s0, s0, s1
	s_mul_hi_u32 s0, s1, s0
	s_add_i32 s1, s1, s0
	s_mul_hi_u32 s0, s16, s1
	s_mul_i32 s8, s0, s20
	s_sub_i32 s8, s16, s8
	s_add_i32 s1, s0, 1
	s_sub_i32 s9, s8, s20
	s_cmp_ge_u32 s8, s20
	s_cselect_b32 s0, s1, s0
	s_cselect_b32 s8, s9, s8
	s_add_i32 s1, s0, 1
	s_cmp_ge_u32 s8, s20
	s_cselect_b32 s8, s1, s0
	s_mov_b32 s9, s10
.LBB117_6:                              ;   in Loop: Header=BB117_3 Depth=1
	s_mul_i32 s0, s8, s21
	s_mul_hi_u32 s1, s8, s20
	s_add_i32 s11, s1, s0
	s_load_dwordx2 s[0:1], s[12:13], 0xc8
	s_mul_i32 s21, s9, s20
	s_add_i32 s11, s11, s21
	s_mul_i32 s20, s8, s20
	s_sub_u32 s16, s16, s20
	s_subb_u32 s11, s17, s11
	s_waitcnt lgkmcnt(0)
	s_mul_i32 s11, s0, s11
	s_mul_hi_u32 s17, s0, s16
	s_add_i32 s11, s17, s11
	s_mul_i32 s1, s1, s16
	s_add_i32 s11, s11, s1
	s_mul_i32 s0, s0, s16
	s_add_u32 s2, s0, s2
	s_addc_u32 s3, s11, s3
	s_add_i32 s15, s15, -1
	s_add_u32 s12, s12, -8
	s_addc_u32 s13, s13, -1
	s_cmp_gt_u32 s15, 2
	s_cbranch_scc0 .LBB117_9
; %bb.7:                                ;   in Loop: Header=BB117_3 Depth=1
	s_mov_b64 s[16:17], s[8:9]
	s_branch .LBB117_3
.LBB117_8:                              ;   in Loop: Header=BB117_3 Depth=1
                                        ; implicit-def: $sgpr8_sgpr9
	s_branch .LBB117_5
.LBB117_9:
	s_load_dword s0, s[4:5], 0x350
	s_load_dwordx2 s[10:11], s[4:5], 0xd0
	s_mov_b64 s[20:21], 0
	s_waitcnt lgkmcnt(0)
	s_cmp_lt_i32 s0, 2
	s_cbranch_scc1 .LBB117_17
; %bb.10:
	s_mov_b32 s12, 0
	s_add_i32 s15, s0, 1
	s_add_i32 s0, s0, -1
	s_mov_b32 s1, s12
	s_lshl_b64 s[0:1], s[0:1], 3
	s_add_u32 s0, s0, s4
	s_addc_u32 s1, s1, s5
	s_add_u32 s16, s0, 0x1c0
	s_addc_u32 s17, s1, 0
.LBB117_11:                             ; =>This Inner Loop Header: Depth=1
	s_load_dwordx2 s[22:23], s[16:17], 0x0
	s_waitcnt lgkmcnt(0)
	s_or_b64 s[0:1], s[6:7], s[22:23]
	s_mov_b32 s13, s1
	s_cmp_lg_u64 s[12:13], 0
	s_cbranch_scc0 .LBB117_16
; %bb.12:                               ;   in Loop: Header=BB117_11 Depth=1
	v_cvt_f32_u32_e32 v1, s22
	v_cvt_f32_u32_e32 v2, s23
	s_sub_u32 s0, 0, s22
	s_subb_u32 s1, 0, s23
	v_mac_f32_e32 v1, 0x4f800000, v2
	v_rcp_f32_e32 v1, v1
	v_mul_f32_e32 v1, 0x5f7ffffc, v1
	v_mul_f32_e32 v2, 0x2f800000, v1
	v_trunc_f32_e32 v2, v2
	v_mac_f32_e32 v1, 0xcf800000, v2
	v_cvt_u32_f32_e32 v2, v2
	v_cvt_u32_f32_e32 v1, v1
	v_readfirstlane_b32 s13, v2
	v_readfirstlane_b32 s26, v1
	s_mul_i32 s27, s0, s13
	s_mul_hi_u32 s29, s0, s26
	s_mul_i32 s28, s1, s26
	s_add_i32 s27, s29, s27
	s_mul_i32 s30, s0, s26
	s_add_i32 s27, s27, s28
	s_mul_hi_u32 s28, s26, s27
	s_mul_i32 s29, s26, s27
	s_mul_hi_u32 s26, s26, s30
	s_add_u32 s26, s26, s29
	s_addc_u32 s28, 0, s28
	s_mul_hi_u32 s31, s13, s30
	s_mul_i32 s30, s13, s30
	s_add_u32 s26, s26, s30
	s_mul_hi_u32 s29, s13, s27
	s_addc_u32 s26, s28, s31
	s_addc_u32 s28, s29, 0
	s_mul_i32 s27, s13, s27
	s_add_u32 s26, s26, s27
	s_addc_u32 s27, 0, s28
	v_add_co_u32_e32 v1, vcc, s26, v1
	s_cmp_lg_u64 vcc, 0
	s_addc_u32 s13, s13, s27
	v_readfirstlane_b32 s27, v1
	s_mul_i32 s26, s0, s13
	s_mul_hi_u32 s28, s0, s27
	s_add_i32 s26, s28, s26
	s_mul_i32 s1, s1, s27
	s_add_i32 s26, s26, s1
	s_mul_i32 s0, s0, s27
	s_mul_hi_u32 s28, s13, s0
	s_mul_i32 s29, s13, s0
	s_mul_i32 s31, s27, s26
	s_mul_hi_u32 s0, s27, s0
	s_mul_hi_u32 s30, s27, s26
	s_add_u32 s0, s0, s31
	s_addc_u32 s27, 0, s30
	s_add_u32 s0, s0, s29
	s_mul_hi_u32 s1, s13, s26
	s_addc_u32 s0, s27, s28
	s_addc_u32 s1, s1, 0
	s_mul_i32 s26, s13, s26
	s_add_u32 s0, s0, s26
	s_addc_u32 s1, 0, s1
	v_add_co_u32_e32 v1, vcc, s0, v1
	s_cmp_lg_u64 vcc, 0
	s_addc_u32 s0, s13, s1
	v_readfirstlane_b32 s26, v1
	s_mul_i32 s13, s6, s0
	s_mul_hi_u32 s27, s6, s26
	s_mul_hi_u32 s1, s6, s0
	s_add_u32 s13, s27, s13
	s_addc_u32 s1, 0, s1
	s_mul_hi_u32 s28, s7, s26
	s_mul_i32 s26, s7, s26
	s_add_u32 s13, s13, s26
	s_mul_hi_u32 s27, s7, s0
	s_addc_u32 s1, s1, s28
	s_addc_u32 s13, s27, 0
	s_mul_i32 s0, s7, s0
	s_add_u32 s26, s1, s0
	s_addc_u32 s13, 0, s13
	s_mul_i32 s0, s22, s13
	s_mul_hi_u32 s1, s22, s26
	s_add_i32 s0, s1, s0
	s_mul_i32 s1, s23, s26
	s_add_i32 s27, s0, s1
	s_mul_i32 s1, s22, s26
	v_mov_b32_e32 v1, s1
	s_sub_i32 s0, s7, s27
	v_sub_co_u32_e32 v1, vcc, s6, v1
	s_cmp_lg_u64 vcc, 0
	s_subb_u32 s28, s0, s23
	v_subrev_co_u32_e64 v2, s[0:1], s22, v1
	s_cmp_lg_u64 s[0:1], 0
	s_subb_u32 s0, s28, 0
	s_cmp_ge_u32 s0, s23
	v_readfirstlane_b32 s28, v2
	s_cselect_b32 s1, -1, 0
	s_cmp_ge_u32 s28, s22
	s_cselect_b32 s28, -1, 0
	s_cmp_eq_u32 s0, s23
	s_cselect_b32 s0, s28, s1
	s_add_u32 s1, s26, 1
	s_addc_u32 s28, s13, 0
	s_add_u32 s29, s26, 2
	s_addc_u32 s30, s13, 0
	s_cmp_lg_u32 s0, 0
	s_cselect_b32 s0, s29, s1
	s_cselect_b32 s1, s30, s28
	s_cmp_lg_u64 vcc, 0
	s_subb_u32 s27, s7, s27
	s_cmp_ge_u32 s27, s23
	v_readfirstlane_b32 s29, v1
	s_cselect_b32 s28, -1, 0
	s_cmp_ge_u32 s29, s22
	s_cselect_b32 s29, -1, 0
	s_cmp_eq_u32 s27, s23
	s_cselect_b32 s27, s29, s28
	s_cmp_lg_u32 s27, 0
	s_cselect_b32 s29, s1, s13
	s_cselect_b32 s28, s0, s26
	s_cbranch_execnz .LBB117_14
.LBB117_13:                             ;   in Loop: Header=BB117_11 Depth=1
	v_cvt_f32_u32_e32 v1, s22
	s_sub_i32 s0, 0, s22
	s_mov_b32 s29, s12
	v_rcp_iflag_f32_e32 v1, v1
	v_mul_f32_e32 v1, 0x4f7ffffe, v1
	v_cvt_u32_f32_e32 v1, v1
	v_readfirstlane_b32 s1, v1
	s_mul_i32 s0, s0, s1
	s_mul_hi_u32 s0, s1, s0
	s_add_i32 s1, s1, s0
	s_mul_hi_u32 s0, s6, s1
	s_mul_i32 s13, s0, s22
	s_sub_i32 s13, s6, s13
	s_add_i32 s1, s0, 1
	s_sub_i32 s26, s13, s22
	s_cmp_ge_u32 s13, s22
	s_cselect_b32 s0, s1, s0
	s_cselect_b32 s13, s26, s13
	s_add_i32 s1, s0, 1
	s_cmp_ge_u32 s13, s22
	s_cselect_b32 s28, s1, s0
.LBB117_14:                             ;   in Loop: Header=BB117_11 Depth=1
	s_mul_i32 s0, s28, s23
	s_mul_hi_u32 s1, s28, s22
	s_add_i32 s13, s1, s0
	s_load_dwordx2 s[0:1], s[16:17], 0xc8
	s_mul_i32 s23, s29, s22
	s_add_i32 s13, s13, s23
	s_mul_i32 s22, s28, s22
	s_sub_u32 s6, s6, s22
	s_subb_u32 s7, s7, s13
	s_waitcnt lgkmcnt(0)
	s_mul_i32 s7, s0, s7
	s_mul_hi_u32 s13, s0, s6
	s_add_i32 s7, s13, s7
	s_mul_i32 s1, s1, s6
	s_add_i32 s7, s7, s1
	s_mul_i32 s0, s0, s6
	s_add_u32 s20, s0, s20
	s_addc_u32 s21, s7, s21
	s_add_i32 s15, s15, -1
	s_add_u32 s16, s16, -8
	s_addc_u32 s17, s17, -1
	s_cmp_gt_u32 s15, 2
	s_cbranch_scc0 .LBB117_18
; %bb.15:                               ;   in Loop: Header=BB117_11 Depth=1
	s_mov_b64 s[6:7], s[28:29]
	s_branch .LBB117_11
.LBB117_16:                             ;   in Loop: Header=BB117_11 Depth=1
                                        ; implicit-def: $sgpr28_sgpr29
	s_branch .LBB117_13
.LBB117_17:
	s_mov_b64 s[28:29], s[6:7]
.LBB117_18:
	s_load_dword s6, s[4:5], 0x360
	s_mul_i32 s0, s10, s9
	s_mul_hi_u32 s1, s10, s8
	s_add_i32 s0, s1, s0
	s_mul_i32 s1, s11, s8
	s_add_i32 s9, s0, s1
	s_load_dwordx2 s[0:1], s[4:5], 0x0
	s_waitcnt lgkmcnt(0)
	s_bitcmp1_b32 s6, 0
	s_cselect_b64 s[26:27], -1, 0
	s_mul_i32 s8, s10, s8
	s_movk_i32 s10, 0x80
	s_and_b64 s[6:7], s[26:27], exec
	s_cselect_b32 s6, s10, 0x7f
	v_lshlrev_b16_e64 v1, 8, s6
	s_add_u32 s0, s0, s8
	v_or_b32_e32 v1, s6, v1
	s_addc_u32 s1, s1, s9
	v_lshlrev_b32_e32 v2, 16, v1
	s_add_u32 s22, s0, s2
	v_and_b32_e32 v34, 0x3ff, v0
	v_or_b32_sdwa v2, v1, v2 dst_sel:DWORD dst_unused:UNUSED_PAD src0_sel:WORD_0 src1_sel:DWORD
	s_addc_u32 s23, s1, s3
	v_mov_b32_e32 v4, s6
	v_mov_b32_e32 v3, v2
	v_cmp_gt_u32_e64 s[0:1], s14, v34
	s_and_saveexec_b64 s[2:3], s[0:1]
	s_cbranch_execz .LBB117_20
; %bb.19:
	v_pk_mov_b32 v[4:5], s[22:23], s[22:23] op_sel:[0,1]
	v_mad_u64_u32 v[4:5], s[6:7], v34, s18, v[4:5]
	v_mov_b32_e32 v6, v5
	v_mad_u64_u32 v[6:7], s[6:7], v34, s19, v[6:7]
	v_mov_b32_e32 v5, v6
	global_load_ubyte v4, v[4:5], off
	s_mov_b32 s6, 0x3020104
	v_mov_b32_e32 v7, v2
	s_waitcnt vmcnt(0)
	v_perm_b32 v6, v4, v2, s6
	v_pk_mov_b32 v[2:3], v[6:7], v[6:7] op_sel:[0,1]
.LBB117_20:
	s_or_b64 exec, exec, s[2:3]
	v_add_u32_e32 v27, 0x80, v34
	v_cmp_gt_u32_e64 s[2:3], s14, v27
	s_and_saveexec_b64 s[6:7], s[2:3]
	s_cbranch_execz .LBB117_22
; %bb.21:
	v_pk_mov_b32 v[6:7], s[22:23], s[22:23] op_sel:[0,1]
	v_mad_u64_u32 v[6:7], s[8:9], v27, s18, v[6:7]
	v_mov_b32_e32 v8, v7
	v_mad_u64_u32 v[8:9], s[8:9], v27, s19, v[8:9]
	v_mov_b32_e32 v7, v8
	global_load_ubyte v1, v[6:7], off
	s_mov_b32 s8, 0x7060004
	s_waitcnt vmcnt(0)
	v_perm_b32 v2, v2, v1, s8
.LBB117_22:
	s_or_b64 exec, exec, s[6:7]
	v_add_u32_e32 v20, 0x100, v34
	v_cmp_gt_u32_e64 s[16:17], s14, v20
	s_and_saveexec_b64 s[6:7], s[16:17]
	s_cbranch_execz .LBB117_24
; %bb.23:
	v_pk_mov_b32 v[6:7], s[22:23], s[22:23] op_sel:[0,1]
	v_mad_u64_u32 v[6:7], s[8:9], v20, s18, v[6:7]
	v_mov_b32_e32 v8, v7
	v_mad_u64_u32 v[8:9], s[8:9], v20, s19, v[8:9]
	v_mov_b32_e32 v7, v8
	global_load_ubyte v1, v[6:7], off
	s_movk_i32 s8, 0xff00
	v_and_b32_sdwa v5, v2, s8 dst_sel:DWORD dst_unused:UNUSED_PAD src0_sel:WORD_1 src1_sel:DWORD
	s_mov_b32 s8, 0xffff
	s_waitcnt vmcnt(0)
	v_or_b32_sdwa v1, v1, v5 dst_sel:WORD_1 dst_unused:UNUSED_PAD src0_sel:DWORD src1_sel:DWORD
	v_and_or_b32 v2, v2, s8, v1
.LBB117_24:
	s_or_b64 exec, exec, s[6:7]
	v_add_u32_e32 v21, 0x180, v34
	v_cmp_gt_u32_e64 s[6:7], s14, v21
	s_and_saveexec_b64 s[8:9], s[6:7]
	s_cbranch_execz .LBB117_26
; %bb.25:
	v_pk_mov_b32 v[6:7], s[22:23], s[22:23] op_sel:[0,1]
	v_mad_u64_u32 v[6:7], s[10:11], v21, s18, v[6:7]
	v_mov_b32_e32 v8, v7
	v_mad_u64_u32 v[8:9], s[10:11], v21, s19, v[8:9]
	v_mov_b32_e32 v7, v8
	global_load_ubyte v1, v[6:7], off
	s_movk_i32 s10, 0xff
	v_and_b32_sdwa v5, v2, s10 dst_sel:DWORD dst_unused:UNUSED_PAD src0_sel:WORD_1 src1_sel:DWORD
	s_mov_b32 s10, 0xffff
	s_waitcnt vmcnt(0)
	v_lshlrev_b16_e32 v1, 8, v1
	v_or_b32_sdwa v1, v5, v1 dst_sel:WORD_1 dst_unused:UNUSED_PAD src0_sel:DWORD src1_sel:DWORD
	v_and_or_b32 v2, v2, s10, v1
.LBB117_26:
	s_or_b64 exec, exec, s[8:9]
	v_add_u32_e32 v23, 0x200, v34
	v_cmp_gt_u32_e64 s[8:9], s14, v23
	s_and_saveexec_b64 s[10:11], s[8:9]
	s_cbranch_execz .LBB117_28
; %bb.27:
	v_pk_mov_b32 v[6:7], s[22:23], s[22:23] op_sel:[0,1]
	v_mad_u64_u32 v[6:7], s[12:13], v23, s18, v[6:7]
	v_mov_b32_e32 v8, v7
	v_mad_u64_u32 v[8:9], s[12:13], v23, s19, v[8:9]
	v_mov_b32_e32 v7, v8
	global_load_ubyte v1, v[6:7], off
	s_mov_b32 s12, 0x3020104
	s_waitcnt vmcnt(0)
	v_perm_b32 v3, v1, v3, s12
.LBB117_28:
	s_or_b64 exec, exec, s[10:11]
	v_add_u32_e32 v19, 0x280, v34
	v_cmp_gt_u32_e64 s[10:11], s14, v19
	s_and_saveexec_b64 s[12:13], s[10:11]
	s_cbranch_execz .LBB117_30
; %bb.29:
	v_pk_mov_b32 v[6:7], s[22:23], s[22:23] op_sel:[0,1]
	v_mad_u64_u32 v[6:7], s[30:31], v19, s18, v[6:7]
	v_mov_b32_e32 v8, v7
	v_mad_u64_u32 v[8:9], s[30:31], v19, s19, v[8:9]
	v_mov_b32_e32 v7, v8
	global_load_ubyte v1, v[6:7], off
	s_mov_b32 s15, 0x7060004
	s_waitcnt vmcnt(0)
	v_perm_b32 v3, v3, v1, s15
.LBB117_30:
	s_or_b64 exec, exec, s[12:13]
	s_load_dwordx2 s[34:35], s[4:5], 0x288
	s_load_dwordx2 s[30:31], s[4:5], 0x1b8
	v_add_u32_e32 v18, 0x300, v34
	v_cmp_gt_u32_e64 s[12:13], s14, v18
	s_and_saveexec_b64 s[36:37], s[12:13]
	s_cbranch_execz .LBB117_32
; %bb.31:
	v_pk_mov_b32 v[6:7], s[22:23], s[22:23] op_sel:[0,1]
	v_mad_u64_u32 v[6:7], s[38:39], v18, s18, v[6:7]
	v_mov_b32_e32 v8, v7
	v_mad_u64_u32 v[8:9], s[38:39], v18, s19, v[8:9]
	v_mov_b32_e32 v7, v8
	global_load_ubyte v1, v[6:7], off
	s_mov_b32 s15, 0x7000504
	s_waitcnt vmcnt(0)
	v_perm_b32 v3, v3, v1, s15
.LBB117_32:
	s_or_b64 exec, exec, s[36:37]
	v_add_u32_e32 v1, 0x380, v34
	v_cmp_gt_u32_e64 s[14:15], s14, v1
	s_and_saveexec_b64 s[36:37], s[14:15]
	s_cbranch_execz .LBB117_34
; %bb.33:
	v_pk_mov_b32 v[6:7], s[22:23], s[22:23] op_sel:[0,1]
	v_mad_u64_u32 v[6:7], s[38:39], v1, s18, v[6:7]
	v_mov_b32_e32 v8, v7
	v_mad_u64_u32 v[8:9], s[38:39], v1, s19, v[8:9]
	v_mov_b32_e32 v7, v8
	global_load_ubyte v5, v[6:7], off
	s_mov_b32 s33, 0x60504
	s_waitcnt vmcnt(0)
	v_perm_b32 v3, v3, v5, s33
.LBB117_34:
	s_or_b64 exec, exec, s[36:37]
	v_lshrrev_b32_e32 v32, 5, v34
	v_and_b32_e32 v5, 28, v32
	v_add_u32_e32 v35, v5, v34
	v_lshrrev_b32_e32 v31, 5, v27
	ds_write_b8 v35, v4
	v_and_b32_e32 v4, 60, v31
	v_lshrrev_b32_e32 v30, 5, v20
	v_add_u32_e32 v42, v4, v34
	v_and_b32_e32 v4, 60, v30
	v_lshrrev_b32_e32 v29, 5, v21
	v_lshrrev_b32_e32 v5, 8, v2
	v_add_u32_e32 v43, v4, v34
	v_and_b32_e32 v4, 60, v29
	s_waitcnt lgkmcnt(0)
	s_mul_i32 s29, s34, s29
	s_mul_hi_u32 s33, s34, s28
	ds_write_b8 v42, v5 offset:128
	ds_write_b8_d16_hi v43, v2 offset:256
	v_lshrrev_b32_e32 v2, 24, v2
	v_add_u32_e32 v44, v4, v34
	v_lshrrev_b32_e32 v28, 5, v23
	s_add_i32 s29, s33, s29
	s_mul_i32 s33, s35, s28
	ds_write_b8 v44, v2 offset:384
	v_and_b32_e32 v2, 60, v28
	v_lshrrev_b32_e32 v25, 5, v19
	s_add_i32 s29, s29, s33
	s_mul_i32 s28, s34, s28
	v_add_u32_e32 v45, v2, v34
	v_and_b32_e32 v2, 60, v25
	v_lshrrev_b32_e32 v24, 5, v18
	s_lshl_b64 s[28:29], s[28:29], 3
	v_add_u32_e32 v46, v2, v34
	v_and_b32_e32 v2, 60, v24
	v_lshrrev_b32_e32 v22, 5, v1
	s_add_u32 s28, s30, s28
	v_add_u32_e32 v47, v2, v34
	v_and_b32_e32 v2, 60, v22
	v_lshrrev_b32_e32 v26, 2, v34
	s_addc_u32 s29, s31, s29
	s_lshl_b64 s[20:21], s[20:21], 3
	v_lshrrev_b32_e32 v4, 8, v3
	v_add_u32_e32 v48, v2, v34
	v_lshlrev_b32_e32 v50, 3, v34
	v_and_b32_e32 v2, 0xfc, v26
	s_add_u32 s28, s28, s20
	ds_write_b8 v45, v3 offset:512
	ds_write_b8 v46, v4 offset:640
	ds_write_b8_d16_hi v47, v3 offset:768
	v_lshrrev_b32_e32 v3, 24, v3
	v_add_u32_e32 v49, v2, v50
	s_addc_u32 s29, s29, s21
	s_load_dwordx2 s[20:21], s[4:5], 0x358
	ds_write_b8 v48, v3 offset:896
	s_waitcnt lgkmcnt(0)
	s_barrier
	ds_read_b64 v[36:37], v49
	s_mov_b32 s36, 0
	s_mov_b32 s37, s36
	;; [unrolled: 1-line block ×16, first 2 shown]
	v_pk_mov_b32 v[2:3], s[36:37], s[36:37] op_sel:[0,1]
	v_pk_mov_b32 v[4:5], s[38:39], s[38:39] op_sel:[0,1]
	;; [unrolled: 1-line block ×8, first 2 shown]
	v_pk_mov_b32 v[2:3], 0, 0
	s_waitcnt lgkmcnt(0)
	s_barrier
	s_and_saveexec_b64 s[4:5], s[0:1]
	s_cbranch_execnz .LBB117_67
; %bb.35:
	s_or_b64 exec, exec, s[4:5]
	s_and_saveexec_b64 s[4:5], s[2:3]
	s_cbranch_execnz .LBB117_68
.LBB117_36:
	s_or_b64 exec, exec, s[4:5]
	s_and_saveexec_b64 s[4:5], s[16:17]
	s_cbranch_execnz .LBB117_69
.LBB117_37:
	s_or_b64 exec, exec, s[4:5]
	s_and_saveexec_b64 s[4:5], s[6:7]
	s_cbranch_execnz .LBB117_70
.LBB117_38:
	s_or_b64 exec, exec, s[4:5]
	s_and_saveexec_b64 s[4:5], s[8:9]
	s_cbranch_execnz .LBB117_71
.LBB117_39:
	s_or_b64 exec, exec, s[4:5]
	s_and_saveexec_b64 s[4:5], s[10:11]
	s_cbranch_execnz .LBB117_72
.LBB117_40:
	s_or_b64 exec, exec, s[4:5]
	s_and_saveexec_b64 s[4:5], s[12:13]
	s_cbranch_execnz .LBB117_73
.LBB117_41:
	s_or_b64 exec, exec, s[4:5]
	s_xor_b64 s[4:5], s[26:27], -1
	s_and_saveexec_b64 s[26:27], s[14:15]
	s_cbranch_execz .LBB117_43
.LBB117_42:
	v_mad_u64_u32 v[16:17], s[30:31], v1, s20, 0
	v_mov_b32_e32 v18, v17
	v_mad_u64_u32 v[18:19], s[30:31], v1, s21, v[18:19]
	v_mov_b32_e32 v17, v18
	v_lshlrev_b64 v[16:17], 3, v[16:17]
	v_mov_b32_e32 v1, s29
	v_add_co_u32_e32 v16, vcc, s28, v16
	v_addc_co_u32_e32 v17, vcc, v1, v17, vcc
	global_load_dwordx2 v[16:17], v[16:17], off
.LBB117_43:
	s_or_b64 exec, exec, s[26:27]
	v_lshrrev_b64 v[38:39], 24, v[36:37]
	v_add_lshl_u32 v39, v32, v34, 3
	v_add_lshl_u32 v51, v31, v34, 3
	;; [unrolled: 1-line block ×9, first 2 shown]
	s_waitcnt vmcnt(0)
	ds_write_b64 v39, v[2:3]
	ds_write_b64 v51, v[4:5] offset:1024
	ds_write_b64 v52, v[6:7] offset:2048
	;; [unrolled: 1-line block ×7, first 2 shown]
	s_waitcnt lgkmcnt(0)
	s_barrier
	ds_read2_b64 v[14:17], v58 offset1:1
	ds_read2_b64 v[10:13], v58 offset0:2 offset1:3
	ds_read2_b64 v[6:9], v58 offset0:4 offset1:5
	;; [unrolled: 1-line block ×3, first 2 shown]
	v_mbcnt_lo_u32_b32 v1, -1, 0
	v_mbcnt_hi_u32_b32 v59, -1, v1
	v_and_b32_e32 v61, 0x3c0, v34
	s_movk_i32 s26, 0x1e00
	v_add_lshl_u32 v69, v59, v61, 3
	v_and_or_b32 v68, v50, s26, v59
	v_lshrrev_b32_e32 v62, 8, v36
	v_lshrrev_b32_e32 v65, 8, v37
	s_and_b64 vcc, exec, s[4:5]
	v_bfe_u32 v63, v0, 10, 10
	v_bfe_u32 v64, v0, 20, 10
	v_lshlrev_b32_e32 v67, 3, v69
	v_lshlrev_b32_e32 v66, 3, v68
	;; [unrolled: 1-line block ×3, first 2 shown]
	s_waitcnt lgkmcnt(0)
	s_barrier
	s_cbranch_vccz .LBB117_74
; %bb.44:
	s_movk_i32 s4, 0x80
	v_xor_b32_sdwa v0, v65, s4 dst_sel:BYTE_1 dst_unused:UNUSED_PAD src0_sel:DWORD src1_sel:DWORD
	v_xor_b32_e32 v1, 0x80, v37
	v_or_b32_sdwa v0, v1, v0 dst_sel:DWORD dst_unused:UNUSED_PAD src0_sel:BYTE_0 src1_sel:DWORD
	v_xor_b32_sdwa v1, v37, s4 dst_sel:DWORD dst_unused:UNUSED_PAD src0_sel:BYTE_3 src1_sel:DWORD
	v_lshlrev_b16_e32 v1, 8, v1
	v_xor_b32_sdwa v18, v37, s4 dst_sel:DWORD dst_unused:UNUSED_PAD src0_sel:WORD_1 src1_sel:DWORD
	v_or_b32_sdwa v1, v18, v1 dst_sel:WORD_1 dst_unused:UNUSED_PAD src0_sel:BYTE_0 src1_sel:DWORD
	v_or_b32_sdwa v1, v0, v1 dst_sel:DWORD dst_unused:UNUSED_PAD src0_sel:WORD_0 src1_sel:DWORD
	v_xor_b32_sdwa v0, v62, s4 dst_sel:BYTE_1 dst_unused:UNUSED_PAD src0_sel:DWORD src1_sel:DWORD
	v_xor_b32_e32 v18, 0x80, v36
	v_or_b32_sdwa v0, v18, v0 dst_sel:DWORD dst_unused:UNUSED_PAD src0_sel:BYTE_0 src1_sel:DWORD
	v_xor_b32_sdwa v18, v38, s4 dst_sel:BYTE_1 dst_unused:UNUSED_PAD src0_sel:DWORD src1_sel:DWORD
	v_xor_b32_sdwa v19, v36, s4 dst_sel:DWORD dst_unused:UNUSED_PAD src0_sel:WORD_1 src1_sel:DWORD
	v_or_b32_sdwa v18, v19, v18 dst_sel:WORD_1 dst_unused:UNUSED_PAD src0_sel:BYTE_0 src1_sel:DWORD
	v_or_b32_sdwa v0, v0, v18 dst_sel:DWORD dst_unused:UNUSED_PAD src0_sel:WORD_0 src1_sel:DWORD
	s_getpc_b64 s[4:5]
	s_add_u32 s4, s4, _ZN7rocprim17ROCPRIM_400000_NS16block_radix_sortIaLj128ELj8ElLj1ELj1ELj0ELNS0_26block_radix_rank_algorithmE1ELNS0_18block_padding_hintE2ELNS0_4arch9wavefront6targetE1EE19radix_bits_per_passE@rel32@lo+4
	s_addc_u32 s5, s5, _ZN7rocprim17ROCPRIM_400000_NS16block_radix_sortIaLj128ELj8ElLj1ELj1ELj0ELNS0_26block_radix_rank_algorithmE1ELNS0_18block_padding_hintE2ELNS0_4arch9wavefront6targetE1EE19radix_bits_per_passE@rel32@hi+12
	ds_write_b64 v69, v[0:1]
	; wave barrier
	ds_read_u8 v70, v68
	ds_read_u8 v71, v68 offset:64
	ds_read_u8 v72, v68 offset:128
	;; [unrolled: 1-line block ×7, first 2 shown]
	s_waitcnt lgkmcnt(0)
	s_barrier
	ds_write2_b64 v67, v[14:15], v[16:17] offset1:1
	ds_write2_b64 v67, v[10:11], v[12:13] offset0:2 offset1:3
	ds_write2_b64 v67, v[6:7], v[8:9] offset0:4 offset1:5
	;; [unrolled: 1-line block ×3, first 2 shown]
	; wave barrier
	ds_read2st64_b64 v[30:33], v66 offset1:1
	ds_read2st64_b64 v[26:29], v66 offset0:2 offset1:3
	ds_read2st64_b64 v[22:25], v66 offset0:4 offset1:5
	;; [unrolled: 1-line block ×3, first 2 shown]
	s_waitcnt lgkmcnt(0)
	s_barrier
	s_load_dword s26, s[4:5], 0x0
	s_load_dword s27, s[24:25], 0xc
	v_mov_b32_e32 v80, 1
	s_waitcnt lgkmcnt(0)
	s_min_u32 s26, s26, 8
	s_lshr_b32 s4, s27, 16
	s_and_b32 s5, s27, 0xffff
	v_mad_u32_u24 v0, v64, s4, v63
	v_mad_u64_u32 v[40:41], s[4:5], v0, s5, v[34:35]
	s_lshl_b32 s4, -1, s26
	s_not_b32 s26, s4
	v_lshrrev_b32_e32 v83, 6, v40
	v_and_b32_e32 v40, s26, v70
	v_lshlrev_b32_sdwa v1, v80, v40 dst_sel:DWORD dst_unused:UNUSED_PAD src0_sel:DWORD src1_sel:BYTE_0
	v_add_lshl_u32 v78, v83, v1, 2
	v_and_b32_e32 v1, 1, v40
	v_add_co_u32_e32 v41, vcc, -1, v1
	v_addc_co_u32_e64 v79, s[4:5], 0, -1, vcc
	v_cmp_ne_u32_e32 vcc, 0, v1
	v_xor_b32_e32 v1, vcc_hi, v79
	v_mov_b32_e32 v0, 0
	v_and_b32_e32 v79, exec_hi, v1
	v_lshlrev_b32_e32 v1, 30, v40
	v_xor_b32_e32 v41, vcc_lo, v41
	v_cmp_gt_i64_e32 vcc, 0, v[0:1]
	v_not_b32_e32 v1, v1
	v_ashrrev_i32_e32 v1, 31, v1
	v_and_b32_e32 v41, exec_lo, v41
	v_xor_b32_e32 v81, vcc_hi, v1
	v_xor_b32_e32 v1, vcc_lo, v1
	v_and_b32_e32 v41, v41, v1
	v_lshlrev_b32_e32 v1, 29, v40
	v_cmp_gt_i64_e32 vcc, 0, v[0:1]
	v_not_b32_e32 v1, v1
	v_ashrrev_i32_e32 v1, 31, v1
	v_and_b32_e32 v79, v79, v81
	v_xor_b32_e32 v81, vcc_hi, v1
	v_xor_b32_e32 v1, vcc_lo, v1
	v_and_b32_e32 v41, v41, v1
	v_lshlrev_b32_e32 v1, 28, v40
	v_cmp_gt_i64_e32 vcc, 0, v[0:1]
	v_not_b32_e32 v1, v1
	v_ashrrev_i32_e32 v1, 31, v1
	v_and_b32_e32 v79, v79, v81
	;; [unrolled: 8-line block ×5, first 2 shown]
	v_xor_b32_e32 v81, vcc_hi, v1
	v_xor_b32_e32 v1, vcc_lo, v1
	v_and_b32_e32 v79, v79, v81
	v_and_b32_e32 v81, v41, v1
	v_lshlrev_b32_e32 v1, 24, v40
	v_cmp_gt_i64_e32 vcc, 0, v[0:1]
	v_not_b32_e32 v1, v1
	v_ashrrev_i32_e32 v1, 31, v1
	v_xor_b32_e32 v40, vcc_hi, v1
	v_xor_b32_e32 v1, vcc_lo, v1
	v_and_b32_e32 v41, v79, v40
	v_and_b32_e32 v40, v81, v1
	v_mbcnt_lo_u32_b32 v1, v40, 0
	v_mbcnt_hi_u32_b32 v79, v41, v1
	v_cmp_eq_u32_e32 vcc, 0, v79
	v_cmp_ne_u64_e64 s[4:5], 0, v[40:41]
	s_and_b64 s[30:31], s[4:5], vcc
	ds_write2_b32 v60, v0, v0 offset0:2 offset1:3
	ds_write2_b32 v60, v0, v0 offset0:4 offset1:5
	s_waitcnt lgkmcnt(0)
	s_barrier
	s_waitcnt lgkmcnt(0)
	; wave barrier
	s_and_saveexec_b64 s[4:5], s[30:31]
	s_cbranch_execz .LBB117_46
; %bb.45:
	v_bcnt_u32_b32 v1, v40, 0
	v_bcnt_u32_b32 v1, v41, v1
	ds_write_b32 v78, v1 offset:8
.LBB117_46:
	s_or_b64 exec, exec, s[4:5]
	v_and_b32_e32 v40, s26, v71
	v_lshlrev_b32_sdwa v1, v80, v40 dst_sel:DWORD dst_unused:UNUSED_PAD src0_sel:DWORD src1_sel:BYTE_0
	v_add_lshl_u32 v81, v83, v1, 2
	v_and_b32_e32 v1, 1, v40
	v_add_co_u32_e32 v41, vcc, -1, v1
	v_addc_co_u32_e64 v82, s[4:5], 0, -1, vcc
	v_cmp_ne_u32_e32 vcc, 0, v1
	v_xor_b32_e32 v1, vcc_hi, v82
	v_and_b32_e32 v82, exec_hi, v1
	v_lshlrev_b32_e32 v1, 30, v40
	v_xor_b32_e32 v41, vcc_lo, v41
	v_cmp_gt_i64_e32 vcc, 0, v[0:1]
	v_not_b32_e32 v1, v1
	v_ashrrev_i32_e32 v1, 31, v1
	v_and_b32_e32 v41, exec_lo, v41
	v_xor_b32_e32 v84, vcc_hi, v1
	v_xor_b32_e32 v1, vcc_lo, v1
	v_and_b32_e32 v41, v41, v1
	v_lshlrev_b32_e32 v1, 29, v40
	v_cmp_gt_i64_e32 vcc, 0, v[0:1]
	v_not_b32_e32 v1, v1
	v_ashrrev_i32_e32 v1, 31, v1
	v_and_b32_e32 v82, v82, v84
	v_xor_b32_e32 v84, vcc_hi, v1
	v_xor_b32_e32 v1, vcc_lo, v1
	v_and_b32_e32 v41, v41, v1
	v_lshlrev_b32_e32 v1, 28, v40
	v_cmp_gt_i64_e32 vcc, 0, v[0:1]
	v_not_b32_e32 v1, v1
	v_ashrrev_i32_e32 v1, 31, v1
	v_and_b32_e32 v82, v82, v84
	;; [unrolled: 8-line block ×5, first 2 shown]
	v_xor_b32_e32 v84, vcc_hi, v1
	v_xor_b32_e32 v1, vcc_lo, v1
	v_and_b32_e32 v41, v41, v1
	v_lshlrev_b32_e32 v1, 24, v40
	v_cmp_gt_i64_e32 vcc, 0, v[0:1]
	v_not_b32_e32 v0, v1
	v_ashrrev_i32_e32 v0, 31, v0
	v_xor_b32_e32 v1, vcc_hi, v0
	v_xor_b32_e32 v0, vcc_lo, v0
	; wave barrier
	ds_read_b32 v80, v81 offset:8
	v_and_b32_e32 v82, v82, v84
	v_and_b32_e32 v0, v41, v0
	;; [unrolled: 1-line block ×3, first 2 shown]
	v_mbcnt_lo_u32_b32 v40, v0, 0
	v_mbcnt_hi_u32_b32 v82, v1, v40
	v_cmp_eq_u32_e32 vcc, 0, v82
	v_cmp_ne_u64_e64 s[4:5], 0, v[0:1]
	s_and_b64 s[30:31], s[4:5], vcc
	; wave barrier
	s_and_saveexec_b64 s[4:5], s[30:31]
	s_cbranch_execz .LBB117_48
; %bb.47:
	v_bcnt_u32_b32 v0, v0, 0
	v_bcnt_u32_b32 v0, v1, v0
	s_waitcnt lgkmcnt(0)
	v_add_u32_e32 v0, v80, v0
	ds_write_b32 v81, v0 offset:8
.LBB117_48:
	s_or_b64 exec, exec, s[4:5]
	v_and_b32_e32 v40, s26, v72
	v_and_b32_e32 v1, 1, v40
	v_add_co_u32_e32 v41, vcc, -1, v1
	v_mov_b32_e32 v87, 1
	v_addc_co_u32_e64 v86, s[4:5], 0, -1, vcc
	v_cmp_ne_u32_e32 vcc, 0, v1
	v_lshlrev_b32_sdwa v0, v87, v40 dst_sel:DWORD dst_unused:UNUSED_PAD src0_sel:DWORD src1_sel:BYTE_0
	v_xor_b32_e32 v1, vcc_hi, v86
	v_add_lshl_u32 v85, v83, v0, 2
	v_mov_b32_e32 v0, 0
	v_and_b32_e32 v86, exec_hi, v1
	v_lshlrev_b32_e32 v1, 30, v40
	v_xor_b32_e32 v41, vcc_lo, v41
	v_cmp_gt_i64_e32 vcc, 0, v[0:1]
	v_not_b32_e32 v1, v1
	v_ashrrev_i32_e32 v1, 31, v1
	v_and_b32_e32 v41, exec_lo, v41
	v_xor_b32_e32 v88, vcc_hi, v1
	v_xor_b32_e32 v1, vcc_lo, v1
	v_and_b32_e32 v41, v41, v1
	v_lshlrev_b32_e32 v1, 29, v40
	v_cmp_gt_i64_e32 vcc, 0, v[0:1]
	v_not_b32_e32 v1, v1
	v_ashrrev_i32_e32 v1, 31, v1
	v_and_b32_e32 v86, v86, v88
	v_xor_b32_e32 v88, vcc_hi, v1
	v_xor_b32_e32 v1, vcc_lo, v1
	v_and_b32_e32 v41, v41, v1
	v_lshlrev_b32_e32 v1, 28, v40
	v_cmp_gt_i64_e32 vcc, 0, v[0:1]
	v_not_b32_e32 v1, v1
	v_ashrrev_i32_e32 v1, 31, v1
	v_and_b32_e32 v86, v86, v88
	;; [unrolled: 8-line block ×5, first 2 shown]
	v_xor_b32_e32 v88, vcc_hi, v1
	v_xor_b32_e32 v1, vcc_lo, v1
	v_and_b32_e32 v86, v86, v88
	v_and_b32_e32 v88, v41, v1
	v_lshlrev_b32_e32 v1, 24, v40
	v_cmp_gt_i64_e32 vcc, 0, v[0:1]
	v_not_b32_e32 v1, v1
	v_ashrrev_i32_e32 v1, 31, v1
	v_xor_b32_e32 v40, vcc_hi, v1
	v_xor_b32_e32 v1, vcc_lo, v1
	; wave barrier
	ds_read_b32 v84, v85 offset:8
	v_and_b32_e32 v41, v86, v40
	v_and_b32_e32 v40, v88, v1
	v_mbcnt_lo_u32_b32 v1, v40, 0
	v_mbcnt_hi_u32_b32 v86, v41, v1
	v_cmp_eq_u32_e32 vcc, 0, v86
	v_cmp_ne_u64_e64 s[4:5], 0, v[40:41]
	s_and_b64 s[30:31], s[4:5], vcc
	; wave barrier
	s_and_saveexec_b64 s[4:5], s[30:31]
	s_cbranch_execz .LBB117_50
; %bb.49:
	v_bcnt_u32_b32 v1, v40, 0
	v_bcnt_u32_b32 v1, v41, v1
	s_waitcnt lgkmcnt(0)
	v_add_u32_e32 v1, v84, v1
	ds_write_b32 v85, v1 offset:8
.LBB117_50:
	s_or_b64 exec, exec, s[4:5]
	v_and_b32_e32 v40, s26, v73
	v_lshlrev_b32_sdwa v1, v87, v40 dst_sel:DWORD dst_unused:UNUSED_PAD src0_sel:DWORD src1_sel:BYTE_0
	v_add_lshl_u32 v88, v83, v1, 2
	v_and_b32_e32 v1, 1, v40
	v_add_co_u32_e32 v41, vcc, -1, v1
	v_addc_co_u32_e64 v89, s[4:5], 0, -1, vcc
	v_cmp_ne_u32_e32 vcc, 0, v1
	v_xor_b32_e32 v1, vcc_hi, v89
	v_and_b32_e32 v89, exec_hi, v1
	v_lshlrev_b32_e32 v1, 30, v40
	v_xor_b32_e32 v41, vcc_lo, v41
	v_cmp_gt_i64_e32 vcc, 0, v[0:1]
	v_not_b32_e32 v1, v1
	v_ashrrev_i32_e32 v1, 31, v1
	v_and_b32_e32 v41, exec_lo, v41
	v_xor_b32_e32 v90, vcc_hi, v1
	v_xor_b32_e32 v1, vcc_lo, v1
	v_and_b32_e32 v41, v41, v1
	v_lshlrev_b32_e32 v1, 29, v40
	v_cmp_gt_i64_e32 vcc, 0, v[0:1]
	v_not_b32_e32 v1, v1
	v_ashrrev_i32_e32 v1, 31, v1
	v_and_b32_e32 v89, v89, v90
	v_xor_b32_e32 v90, vcc_hi, v1
	v_xor_b32_e32 v1, vcc_lo, v1
	v_and_b32_e32 v41, v41, v1
	v_lshlrev_b32_e32 v1, 28, v40
	v_cmp_gt_i64_e32 vcc, 0, v[0:1]
	v_not_b32_e32 v1, v1
	v_ashrrev_i32_e32 v1, 31, v1
	v_and_b32_e32 v89, v89, v90
	;; [unrolled: 8-line block ×5, first 2 shown]
	v_xor_b32_e32 v90, vcc_hi, v1
	v_xor_b32_e32 v1, vcc_lo, v1
	v_and_b32_e32 v41, v41, v1
	v_lshlrev_b32_e32 v1, 24, v40
	v_cmp_gt_i64_e32 vcc, 0, v[0:1]
	v_not_b32_e32 v0, v1
	v_ashrrev_i32_e32 v0, 31, v0
	v_xor_b32_e32 v1, vcc_hi, v0
	v_xor_b32_e32 v0, vcc_lo, v0
	; wave barrier
	ds_read_b32 v87, v88 offset:8
	v_and_b32_e32 v89, v89, v90
	v_and_b32_e32 v0, v41, v0
	;; [unrolled: 1-line block ×3, first 2 shown]
	v_mbcnt_lo_u32_b32 v40, v0, 0
	v_mbcnt_hi_u32_b32 v89, v1, v40
	v_cmp_eq_u32_e32 vcc, 0, v89
	v_cmp_ne_u64_e64 s[4:5], 0, v[0:1]
	s_and_b64 s[30:31], s[4:5], vcc
	; wave barrier
	s_and_saveexec_b64 s[4:5], s[30:31]
	s_cbranch_execz .LBB117_52
; %bb.51:
	v_bcnt_u32_b32 v0, v0, 0
	v_bcnt_u32_b32 v0, v1, v0
	s_waitcnt lgkmcnt(0)
	v_add_u32_e32 v0, v87, v0
	ds_write_b32 v88, v0 offset:8
.LBB117_52:
	s_or_b64 exec, exec, s[4:5]
	v_and_b32_e32 v40, s26, v74
	v_and_b32_e32 v1, 1, v40
	v_add_co_u32_e32 v41, vcc, -1, v1
	v_mov_b32_e32 v93, 1
	v_addc_co_u32_e64 v92, s[4:5], 0, -1, vcc
	v_cmp_ne_u32_e32 vcc, 0, v1
	v_lshlrev_b32_sdwa v0, v93, v40 dst_sel:DWORD dst_unused:UNUSED_PAD src0_sel:DWORD src1_sel:BYTE_0
	v_xor_b32_e32 v1, vcc_hi, v92
	v_add_lshl_u32 v91, v83, v0, 2
	v_mov_b32_e32 v0, 0
	v_and_b32_e32 v92, exec_hi, v1
	v_lshlrev_b32_e32 v1, 30, v40
	v_xor_b32_e32 v41, vcc_lo, v41
	v_cmp_gt_i64_e32 vcc, 0, v[0:1]
	v_not_b32_e32 v1, v1
	v_ashrrev_i32_e32 v1, 31, v1
	v_and_b32_e32 v41, exec_lo, v41
	v_xor_b32_e32 v94, vcc_hi, v1
	v_xor_b32_e32 v1, vcc_lo, v1
	v_and_b32_e32 v41, v41, v1
	v_lshlrev_b32_e32 v1, 29, v40
	v_cmp_gt_i64_e32 vcc, 0, v[0:1]
	v_not_b32_e32 v1, v1
	v_ashrrev_i32_e32 v1, 31, v1
	v_and_b32_e32 v92, v92, v94
	v_xor_b32_e32 v94, vcc_hi, v1
	v_xor_b32_e32 v1, vcc_lo, v1
	v_and_b32_e32 v41, v41, v1
	v_lshlrev_b32_e32 v1, 28, v40
	v_cmp_gt_i64_e32 vcc, 0, v[0:1]
	v_not_b32_e32 v1, v1
	v_ashrrev_i32_e32 v1, 31, v1
	v_and_b32_e32 v92, v92, v94
	;; [unrolled: 8-line block ×5, first 2 shown]
	v_xor_b32_e32 v94, vcc_hi, v1
	v_xor_b32_e32 v1, vcc_lo, v1
	v_and_b32_e32 v92, v92, v94
	v_and_b32_e32 v94, v41, v1
	v_lshlrev_b32_e32 v1, 24, v40
	v_cmp_gt_i64_e32 vcc, 0, v[0:1]
	v_not_b32_e32 v1, v1
	v_ashrrev_i32_e32 v1, 31, v1
	v_xor_b32_e32 v40, vcc_hi, v1
	v_xor_b32_e32 v1, vcc_lo, v1
	; wave barrier
	ds_read_b32 v90, v91 offset:8
	v_and_b32_e32 v41, v92, v40
	v_and_b32_e32 v40, v94, v1
	v_mbcnt_lo_u32_b32 v1, v40, 0
	v_mbcnt_hi_u32_b32 v92, v41, v1
	v_cmp_eq_u32_e32 vcc, 0, v92
	v_cmp_ne_u64_e64 s[4:5], 0, v[40:41]
	s_and_b64 s[30:31], s[4:5], vcc
	; wave barrier
	s_and_saveexec_b64 s[4:5], s[30:31]
	s_cbranch_execz .LBB117_54
; %bb.53:
	v_bcnt_u32_b32 v1, v40, 0
	v_bcnt_u32_b32 v1, v41, v1
	s_waitcnt lgkmcnt(0)
	v_add_u32_e32 v1, v90, v1
	ds_write_b32 v91, v1 offset:8
.LBB117_54:
	s_or_b64 exec, exec, s[4:5]
	v_and_b32_e32 v40, s26, v75
	v_lshlrev_b32_sdwa v1, v93, v40 dst_sel:DWORD dst_unused:UNUSED_PAD src0_sel:DWORD src1_sel:BYTE_0
	v_add_lshl_u32 v94, v83, v1, 2
	v_and_b32_e32 v1, 1, v40
	v_add_co_u32_e32 v41, vcc, -1, v1
	v_addc_co_u32_e64 v95, s[4:5], 0, -1, vcc
	v_cmp_ne_u32_e32 vcc, 0, v1
	v_xor_b32_e32 v1, vcc_hi, v95
	v_and_b32_e32 v95, exec_hi, v1
	v_lshlrev_b32_e32 v1, 30, v40
	v_xor_b32_e32 v41, vcc_lo, v41
	v_cmp_gt_i64_e32 vcc, 0, v[0:1]
	v_not_b32_e32 v1, v1
	v_ashrrev_i32_e32 v1, 31, v1
	v_and_b32_e32 v41, exec_lo, v41
	v_xor_b32_e32 v96, vcc_hi, v1
	v_xor_b32_e32 v1, vcc_lo, v1
	v_and_b32_e32 v41, v41, v1
	v_lshlrev_b32_e32 v1, 29, v40
	v_cmp_gt_i64_e32 vcc, 0, v[0:1]
	v_not_b32_e32 v1, v1
	v_ashrrev_i32_e32 v1, 31, v1
	v_and_b32_e32 v95, v95, v96
	v_xor_b32_e32 v96, vcc_hi, v1
	v_xor_b32_e32 v1, vcc_lo, v1
	v_and_b32_e32 v41, v41, v1
	v_lshlrev_b32_e32 v1, 28, v40
	v_cmp_gt_i64_e32 vcc, 0, v[0:1]
	v_not_b32_e32 v1, v1
	v_ashrrev_i32_e32 v1, 31, v1
	v_and_b32_e32 v95, v95, v96
	;; [unrolled: 8-line block ×5, first 2 shown]
	v_xor_b32_e32 v96, vcc_hi, v1
	v_xor_b32_e32 v1, vcc_lo, v1
	v_and_b32_e32 v41, v41, v1
	v_lshlrev_b32_e32 v1, 24, v40
	v_cmp_gt_i64_e32 vcc, 0, v[0:1]
	v_not_b32_e32 v0, v1
	v_ashrrev_i32_e32 v0, 31, v0
	v_xor_b32_e32 v1, vcc_hi, v0
	v_xor_b32_e32 v0, vcc_lo, v0
	; wave barrier
	ds_read_b32 v93, v94 offset:8
	v_and_b32_e32 v95, v95, v96
	v_and_b32_e32 v0, v41, v0
	v_and_b32_e32 v1, v95, v1
	v_mbcnt_lo_u32_b32 v40, v0, 0
	v_mbcnt_hi_u32_b32 v95, v1, v40
	v_cmp_eq_u32_e32 vcc, 0, v95
	v_cmp_ne_u64_e64 s[4:5], 0, v[0:1]
	s_and_b64 s[30:31], s[4:5], vcc
	; wave barrier
	s_and_saveexec_b64 s[4:5], s[30:31]
	s_cbranch_execz .LBB117_56
; %bb.55:
	v_bcnt_u32_b32 v0, v0, 0
	v_bcnt_u32_b32 v0, v1, v0
	s_waitcnt lgkmcnt(0)
	v_add_u32_e32 v0, v93, v0
	ds_write_b32 v94, v0 offset:8
.LBB117_56:
	s_or_b64 exec, exec, s[4:5]
	v_and_b32_e32 v40, s26, v76
	v_and_b32_e32 v1, 1, v40
	v_add_co_u32_e32 v41, vcc, -1, v1
	v_mov_b32_e32 v99, 1
	v_addc_co_u32_e64 v98, s[4:5], 0, -1, vcc
	v_cmp_ne_u32_e32 vcc, 0, v1
	v_lshlrev_b32_sdwa v0, v99, v40 dst_sel:DWORD dst_unused:UNUSED_PAD src0_sel:DWORD src1_sel:BYTE_0
	v_xor_b32_e32 v1, vcc_hi, v98
	v_add_lshl_u32 v97, v83, v0, 2
	v_mov_b32_e32 v0, 0
	v_and_b32_e32 v98, exec_hi, v1
	v_lshlrev_b32_e32 v1, 30, v40
	v_xor_b32_e32 v41, vcc_lo, v41
	v_cmp_gt_i64_e32 vcc, 0, v[0:1]
	v_not_b32_e32 v1, v1
	v_ashrrev_i32_e32 v1, 31, v1
	v_and_b32_e32 v41, exec_lo, v41
	v_xor_b32_e32 v100, vcc_hi, v1
	v_xor_b32_e32 v1, vcc_lo, v1
	v_and_b32_e32 v41, v41, v1
	v_lshlrev_b32_e32 v1, 29, v40
	v_cmp_gt_i64_e32 vcc, 0, v[0:1]
	v_not_b32_e32 v1, v1
	v_ashrrev_i32_e32 v1, 31, v1
	v_and_b32_e32 v98, v98, v100
	v_xor_b32_e32 v100, vcc_hi, v1
	v_xor_b32_e32 v1, vcc_lo, v1
	v_and_b32_e32 v41, v41, v1
	v_lshlrev_b32_e32 v1, 28, v40
	v_cmp_gt_i64_e32 vcc, 0, v[0:1]
	v_not_b32_e32 v1, v1
	v_ashrrev_i32_e32 v1, 31, v1
	v_and_b32_e32 v98, v98, v100
	;; [unrolled: 8-line block ×5, first 2 shown]
	v_xor_b32_e32 v100, vcc_hi, v1
	v_xor_b32_e32 v1, vcc_lo, v1
	v_and_b32_e32 v98, v98, v100
	v_and_b32_e32 v100, v41, v1
	v_lshlrev_b32_e32 v1, 24, v40
	v_cmp_gt_i64_e32 vcc, 0, v[0:1]
	v_not_b32_e32 v1, v1
	v_ashrrev_i32_e32 v1, 31, v1
	v_xor_b32_e32 v40, vcc_hi, v1
	v_xor_b32_e32 v1, vcc_lo, v1
	; wave barrier
	ds_read_b32 v96, v97 offset:8
	v_and_b32_e32 v41, v98, v40
	v_and_b32_e32 v40, v100, v1
	v_mbcnt_lo_u32_b32 v1, v40, 0
	v_mbcnt_hi_u32_b32 v98, v41, v1
	v_cmp_eq_u32_e32 vcc, 0, v98
	v_cmp_ne_u64_e64 s[4:5], 0, v[40:41]
	s_and_b64 s[30:31], s[4:5], vcc
	; wave barrier
	s_and_saveexec_b64 s[4:5], s[30:31]
	s_cbranch_execz .LBB117_58
; %bb.57:
	v_bcnt_u32_b32 v1, v40, 0
	v_bcnt_u32_b32 v1, v41, v1
	s_waitcnt lgkmcnt(0)
	v_add_u32_e32 v1, v96, v1
	ds_write_b32 v97, v1 offset:8
.LBB117_58:
	s_or_b64 exec, exec, s[4:5]
	v_and_b32_e32 v40, s26, v77
	v_lshlrev_b32_sdwa v1, v99, v40 dst_sel:DWORD dst_unused:UNUSED_PAD src0_sel:DWORD src1_sel:BYTE_0
	v_add_lshl_u32 v99, v83, v1, 2
	v_and_b32_e32 v1, 1, v40
	v_add_co_u32_e32 v41, vcc, -1, v1
	v_addc_co_u32_e64 v101, s[4:5], 0, -1, vcc
	v_cmp_ne_u32_e32 vcc, 0, v1
	v_xor_b32_e32 v1, vcc_hi, v101
	v_and_b32_e32 v101, exec_hi, v1
	v_lshlrev_b32_e32 v1, 30, v40
	v_xor_b32_e32 v41, vcc_lo, v41
	v_cmp_gt_i64_e32 vcc, 0, v[0:1]
	v_not_b32_e32 v1, v1
	v_ashrrev_i32_e32 v1, 31, v1
	v_and_b32_e32 v41, exec_lo, v41
	v_xor_b32_e32 v102, vcc_hi, v1
	v_xor_b32_e32 v1, vcc_lo, v1
	v_and_b32_e32 v41, v41, v1
	v_lshlrev_b32_e32 v1, 29, v40
	v_cmp_gt_i64_e32 vcc, 0, v[0:1]
	v_not_b32_e32 v1, v1
	v_ashrrev_i32_e32 v1, 31, v1
	v_and_b32_e32 v101, v101, v102
	v_xor_b32_e32 v102, vcc_hi, v1
	v_xor_b32_e32 v1, vcc_lo, v1
	v_and_b32_e32 v41, v41, v1
	v_lshlrev_b32_e32 v1, 28, v40
	v_cmp_gt_i64_e32 vcc, 0, v[0:1]
	v_not_b32_e32 v1, v1
	v_ashrrev_i32_e32 v1, 31, v1
	v_and_b32_e32 v101, v101, v102
	v_xor_b32_e32 v102, vcc_hi, v1
	v_xor_b32_e32 v1, vcc_lo, v1
	v_and_b32_e32 v41, v41, v1
	v_lshlrev_b32_e32 v1, 27, v40
	v_cmp_gt_i64_e32 vcc, 0, v[0:1]
	v_not_b32_e32 v1, v1
	v_ashrrev_i32_e32 v1, 31, v1
	v_and_b32_e32 v101, v101, v102
	v_xor_b32_e32 v102, vcc_hi, v1
	v_xor_b32_e32 v1, vcc_lo, v1
	v_and_b32_e32 v41, v41, v1
	v_lshlrev_b32_e32 v1, 26, v40
	v_cmp_gt_i64_e32 vcc, 0, v[0:1]
	v_not_b32_e32 v1, v1
	v_ashrrev_i32_e32 v1, 31, v1
	v_and_b32_e32 v101, v101, v102
	v_xor_b32_e32 v102, vcc_hi, v1
	v_xor_b32_e32 v1, vcc_lo, v1
	v_and_b32_e32 v41, v41, v1
	v_lshlrev_b32_e32 v1, 25, v40
	v_cmp_gt_i64_e32 vcc, 0, v[0:1]
	v_not_b32_e32 v1, v1
	v_ashrrev_i32_e32 v1, 31, v1
	v_and_b32_e32 v101, v101, v102
	v_xor_b32_e32 v102, vcc_hi, v1
	v_xor_b32_e32 v1, vcc_lo, v1
	v_and_b32_e32 v41, v41, v1
	v_lshlrev_b32_e32 v1, 24, v40
	v_cmp_gt_i64_e32 vcc, 0, v[0:1]
	v_not_b32_e32 v0, v1
	v_ashrrev_i32_e32 v0, 31, v0
	v_xor_b32_e32 v1, vcc_hi, v0
	v_xor_b32_e32 v0, vcc_lo, v0
	; wave barrier
	ds_read_b32 v83, v99 offset:8
	v_and_b32_e32 v101, v101, v102
	v_and_b32_e32 v0, v41, v0
	;; [unrolled: 1-line block ×3, first 2 shown]
	v_mbcnt_lo_u32_b32 v40, v0, 0
	v_mbcnt_hi_u32_b32 v101, v1, v40
	v_cmp_eq_u32_e32 vcc, 0, v101
	v_cmp_ne_u64_e64 s[4:5], 0, v[0:1]
	v_or_b32_e32 v100, 8, v60
	s_and_b64 s[26:27], s[4:5], vcc
	; wave barrier
	s_and_saveexec_b64 s[4:5], s[26:27]
	s_cbranch_execz .LBB117_60
; %bb.59:
	v_bcnt_u32_b32 v0, v0, 0
	v_bcnt_u32_b32 v0, v1, v0
	s_waitcnt lgkmcnt(0)
	v_add_u32_e32 v0, v83, v0
	ds_write_b32 v99, v0 offset:8
.LBB117_60:
	s_or_b64 exec, exec, s[4:5]
	; wave barrier
	s_waitcnt lgkmcnt(0)
	s_barrier
	ds_read2_b32 v[0:1], v60 offset0:2 offset1:3
	ds_read2_b32 v[40:41], v100 offset0:2 offset1:3
	s_waitcnt lgkmcnt(1)
	v_add_u32_e32 v102, v1, v0
	s_waitcnt lgkmcnt(0)
	v_add3_u32 v41, v102, v40, v41
	v_and_b32_e32 v102, 15, v59
	v_cmp_ne_u32_e32 vcc, 0, v102
	v_mov_b32_dpp v103, v41 row_shr:1 row_mask:0xf bank_mask:0xf
	v_cndmask_b32_e32 v103, 0, v103, vcc
	v_add_u32_e32 v41, v103, v41
	v_cmp_lt_u32_e32 vcc, 1, v102
	s_nop 0
	v_mov_b32_dpp v103, v41 row_shr:2 row_mask:0xf bank_mask:0xf
	v_cndmask_b32_e32 v103, 0, v103, vcc
	v_add_u32_e32 v41, v41, v103
	v_cmp_lt_u32_e32 vcc, 3, v102
	s_nop 0
	;; [unrolled: 5-line block ×3, first 2 shown]
	v_mov_b32_dpp v103, v41 row_shr:8 row_mask:0xf bank_mask:0xf
	v_cndmask_b32_e32 v102, 0, v103, vcc
	v_add_u32_e32 v41, v41, v102
	v_bfe_i32 v103, v59, 4, 1
	v_cmp_lt_u32_e32 vcc, 31, v59
	v_mov_b32_dpp v102, v41 row_bcast:15 row_mask:0xf bank_mask:0xf
	v_and_b32_e32 v102, v103, v102
	v_add_u32_e32 v41, v41, v102
	v_min_u32_e32 v103, 64, v61
	v_or_b32_e32 v103, 63, v103
	v_mov_b32_dpp v102, v41 row_bcast:31 row_mask:0xf bank_mask:0xf
	v_cndmask_b32_e32 v102, 0, v102, vcc
	v_add_u32_e32 v41, v41, v102
	v_lshrrev_b32_e32 v102, 6, v34
	v_cmp_eq_u32_e32 vcc, v103, v34
	s_and_saveexec_b64 s[4:5], vcc
	s_cbranch_execz .LBB117_62
; %bb.61:
	v_lshlrev_b32_e32 v103, 2, v102
	ds_write_b32 v103, v41
.LBB117_62:
	s_or_b64 exec, exec, s[4:5]
	v_cmp_gt_u32_e32 vcc, 2, v34
	s_waitcnt lgkmcnt(0)
	s_barrier
	s_and_saveexec_b64 s[4:5], vcc
	s_cbranch_execz .LBB117_64
; %bb.63:
	v_lshlrev_b32_e32 v103, 2, v34
	ds_read_b32 v104, v103
	v_bfe_i32 v105, v59, 0, 1
	s_waitcnt lgkmcnt(0)
	v_mov_b32_dpp v106, v104 row_shr:1 row_mask:0xf bank_mask:0xf
	v_and_b32_e32 v105, v105, v106
	v_add_u32_e32 v104, v105, v104
	ds_write_b32 v103, v104
.LBB117_64:
	s_or_b64 exec, exec, s[4:5]
	v_cmp_lt_u32_e32 vcc, 63, v34
	v_mov_b32_e32 v103, 0
	s_waitcnt lgkmcnt(0)
	s_barrier
	s_and_saveexec_b64 s[4:5], vcc
	s_cbranch_execz .LBB117_66
; %bb.65:
	v_lshl_add_u32 v102, v102, 2, -4
	ds_read_b32 v103, v102
.LBB117_66:
	s_or_b64 exec, exec, s[4:5]
	v_add_u32_e32 v102, -1, v59
	v_and_b32_e32 v104, 64, v59
	v_cmp_lt_i32_e32 vcc, v102, v104
	v_cndmask_b32_e32 v102, v102, v59, vcc
	s_waitcnt lgkmcnt(0)
	v_add_u32_e32 v41, v103, v41
	v_lshlrev_b32_e32 v102, 2, v102
	ds_bpermute_b32 v41, v102, v41
	v_cmp_eq_u32_e32 vcc, 0, v59
	s_movk_i32 s4, 0x80
	s_waitcnt lgkmcnt(0)
	v_cndmask_b32_e32 v41, v41, v103, vcc
	v_cmp_ne_u32_e32 vcc, 0, v34
	v_cndmask_b32_e32 v41, 0, v41, vcc
	v_add_u32_e32 v0, v41, v0
	v_add_u32_e32 v1, v0, v1
	;; [unrolled: 1-line block ×3, first 2 shown]
	ds_write2_b32 v60, v41, v0 offset0:2 offset1:3
	ds_write2_b32 v100, v1, v40 offset0:2 offset1:3
	s_waitcnt lgkmcnt(0)
	s_barrier
	ds_read_b32 v0, v78 offset:8
	ds_read_b32 v1, v81 offset:8
	;; [unrolled: 1-line block ×8, first 2 shown]
	s_waitcnt lgkmcnt(7)
	v_add_u32_e32 v79, v0, v79
	s_waitcnt lgkmcnt(6)
	v_add3_u32 v80, v82, v80, v1
	s_waitcnt lgkmcnt(5)
	v_add3_u32 v40, v86, v84, v40
	;; [unrolled: 2-line block ×7, first 2 shown]
	s_barrier
	ds_write_b8 v79, v70
	ds_write_b8 v80, v71
	;; [unrolled: 1-line block ×8, first 2 shown]
	v_lshlrev_b32_e32 v72, 3, v79
	s_waitcnt lgkmcnt(0)
	s_barrier
	ds_read_b64 v[0:1], v50
	s_waitcnt lgkmcnt(0)
	s_barrier
	ds_write_b64 v72, v[30:31]
	v_lshlrev_b32_e32 v30, 3, v80
	ds_write_b64 v30, v[32:33]
	v_lshlrev_b32_e32 v30, 3, v40
	;; [unrolled: 2-line block ×7, first 2 shown]
	v_lshlrev_b32_e32 v30, 3, v50
	ds_write_b64 v18, v[20:21]
	s_waitcnt lgkmcnt(0)
	s_barrier
	ds_read2_b64 v[18:21], v30 offset1:1
	ds_read2_b64 v[22:25], v30 offset0:2 offset1:3
	ds_read2_b64 v[26:29], v30 offset0:4 offset1:5
	;; [unrolled: 1-line block ×3, first 2 shown]
	v_lshrrev_b32_e32 v70, 8, v0
	v_lshrrev_b32_e32 v71, 8, v1
	v_xor_b32_e32 v40, 0x80, v0
	v_xor_b32_sdwa v41, v70, s4 dst_sel:BYTE_1 dst_unused:UNUSED_PAD src0_sel:DWORD src1_sel:DWORD
	v_xor_b32_sdwa v70, v0, s4 dst_sel:DWORD dst_unused:UNUSED_PAD src0_sel:WORD_1 src1_sel:DWORD
	v_xor_b32_sdwa v0, v0, s4 dst_sel:BYTE_1 dst_unused:UNUSED_PAD src0_sel:BYTE_3 src1_sel:DWORD
	v_xor_b32_e32 v72, 0x80, v1
	v_xor_b32_sdwa v71, v71, s4 dst_sel:BYTE_1 dst_unused:UNUSED_PAD src0_sel:DWORD src1_sel:DWORD
	v_xor_b32_sdwa v73, v1, s4 dst_sel:DWORD dst_unused:UNUSED_PAD src0_sel:WORD_1 src1_sel:DWORD
	v_xor_b32_sdwa v1, v1, s4 dst_sel:BYTE_1 dst_unused:UNUSED_PAD src0_sel:BYTE_3 src1_sel:DWORD
	v_or_b32_sdwa v40, v40, v41 dst_sel:DWORD dst_unused:UNUSED_PAD src0_sel:BYTE_0 src1_sel:DWORD
	v_or_b32_sdwa v0, v70, v0 dst_sel:WORD_1 dst_unused:UNUSED_PAD src0_sel:BYTE_0 src1_sel:DWORD
	v_or_b32_sdwa v0, v40, v0 dst_sel:DWORD dst_unused:UNUSED_PAD src0_sel:WORD_0 src1_sel:DWORD
	v_or_b32_sdwa v40, v72, v71 dst_sel:DWORD dst_unused:UNUSED_PAD src0_sel:BYTE_0 src1_sel:DWORD
	v_or_b32_sdwa v1, v73, v1 dst_sel:WORD_1 dst_unused:UNUSED_PAD src0_sel:BYTE_0 src1_sel:DWORD
	v_or_b32_sdwa v1, v40, v1 dst_sel:DWORD dst_unused:UNUSED_PAD src0_sel:WORD_0 src1_sel:DWORD
	s_branch .LBB117_98
.LBB117_67:
	v_mad_u64_u32 v[2:3], s[30:31], v34, s20, 0
	v_mov_b32_e32 v4, v3
	v_mad_u64_u32 v[4:5], s[30:31], v34, s21, v[4:5]
	v_mov_b32_e32 v3, v4
	v_lshlrev_b64 v[2:3], 3, v[2:3]
	v_mov_b32_e32 v4, s29
	v_add_co_u32_e32 v2, vcc, s28, v2
	v_addc_co_u32_e32 v3, vcc, v4, v3, vcc
	global_load_dwordx2 v[2:3], v[2:3], off
	v_mov_b32_e32 v4, 0
	v_mov_b32_e32 v5, v4
	;; [unrolled: 1-line block ×14, first 2 shown]
	s_or_b64 exec, exec, s[4:5]
	s_and_saveexec_b64 s[4:5], s[2:3]
	s_cbranch_execz .LBB117_36
.LBB117_68:
	v_mad_u64_u32 v[4:5], s[30:31], v27, s20, 0
	v_mov_b32_e32 v38, v5
	v_mad_u64_u32 v[38:39], s[30:31], v27, s21, v[38:39]
	v_mov_b32_e32 v5, v38
	v_lshlrev_b64 v[4:5], 3, v[4:5]
	v_mov_b32_e32 v27, s29
	v_add_co_u32_e32 v4, vcc, s28, v4
	v_addc_co_u32_e32 v5, vcc, v27, v5, vcc
	global_load_dwordx2 v[4:5], v[4:5], off
	s_or_b64 exec, exec, s[4:5]
	s_and_saveexec_b64 s[4:5], s[16:17]
	s_cbranch_execz .LBB117_37
.LBB117_69:
	v_mad_u64_u32 v[6:7], s[30:31], v20, s20, 0
	v_mov_b32_e32 v38, v7
	v_mad_u64_u32 v[38:39], s[30:31], v20, s21, v[38:39]
	v_mov_b32_e32 v7, v38
	v_lshlrev_b64 v[6:7], 3, v[6:7]
	v_mov_b32_e32 v20, s29
	v_add_co_u32_e32 v6, vcc, s28, v6
	v_addc_co_u32_e32 v7, vcc, v20, v7, vcc
	global_load_dwordx2 v[6:7], v[6:7], off
	s_or_b64 exec, exec, s[4:5]
	s_and_saveexec_b64 s[4:5], s[6:7]
	s_cbranch_execz .LBB117_38
.LBB117_70:
	v_mad_u64_u32 v[8:9], s[30:31], v21, s20, 0
	v_mov_b32_e32 v20, v9
	v_mad_u64_u32 v[20:21], s[30:31], v21, s21, v[20:21]
	v_mov_b32_e32 v9, v20
	v_lshlrev_b64 v[8:9], 3, v[8:9]
	v_mov_b32_e32 v20, s29
	v_add_co_u32_e32 v8, vcc, s28, v8
	v_addc_co_u32_e32 v9, vcc, v20, v9, vcc
	global_load_dwordx2 v[8:9], v[8:9], off
	s_or_b64 exec, exec, s[4:5]
	s_and_saveexec_b64 s[4:5], s[8:9]
	s_cbranch_execz .LBB117_39
.LBB117_71:
	v_mad_u64_u32 v[10:11], s[30:31], v23, s20, 0
	v_mov_b32_e32 v20, v11
	v_mad_u64_u32 v[20:21], s[30:31], v23, s21, v[20:21]
	v_mov_b32_e32 v11, v20
	v_lshlrev_b64 v[10:11], 3, v[10:11]
	v_mov_b32_e32 v20, s29
	v_add_co_u32_e32 v10, vcc, s28, v10
	v_addc_co_u32_e32 v11, vcc, v20, v11, vcc
	global_load_dwordx2 v[10:11], v[10:11], off
	s_or_b64 exec, exec, s[4:5]
	s_and_saveexec_b64 s[4:5], s[10:11]
	s_cbranch_execz .LBB117_40
.LBB117_72:
	v_mad_u64_u32 v[12:13], s[30:31], v19, s20, 0
	v_mov_b32_e32 v20, v13
	v_mad_u64_u32 v[20:21], s[30:31], v19, s21, v[20:21]
	v_mov_b32_e32 v13, v20
	v_lshlrev_b64 v[12:13], 3, v[12:13]
	v_mov_b32_e32 v19, s29
	v_add_co_u32_e32 v12, vcc, s28, v12
	v_addc_co_u32_e32 v13, vcc, v19, v13, vcc
	global_load_dwordx2 v[12:13], v[12:13], off
	s_or_b64 exec, exec, s[4:5]
	s_and_saveexec_b64 s[4:5], s[12:13]
	s_cbranch_execz .LBB117_41
.LBB117_73:
	v_mad_u64_u32 v[14:15], s[30:31], v18, s20, 0
	v_mov_b32_e32 v20, v15
	v_mad_u64_u32 v[18:19], s[30:31], v18, s21, v[20:21]
	v_mov_b32_e32 v15, v18
	v_lshlrev_b64 v[14:15], 3, v[14:15]
	v_mov_b32_e32 v18, s29
	v_add_co_u32_e32 v14, vcc, s28, v14
	v_addc_co_u32_e32 v15, vcc, v18, v15, vcc
	global_load_dwordx2 v[14:15], v[14:15], off
	s_or_b64 exec, exec, s[4:5]
	s_xor_b64 s[4:5], s[26:27], -1
	s_and_saveexec_b64 s[26:27], s[14:15]
	s_cbranch_execnz .LBB117_42
	s_branch .LBB117_43
.LBB117_74:
                                        ; implicit-def: $vgpr1
                                        ; implicit-def: $vgpr32_vgpr33
                                        ; implicit-def: $vgpr28_vgpr29
                                        ; implicit-def: $vgpr24_vgpr25
                                        ; implicit-def: $vgpr20_vgpr21
	s_cbranch_execz .LBB117_98
; %bb.75:
	s_movk_i32 s4, 0x7f
	v_xor_b32_sdwa v0, v65, s4 dst_sel:BYTE_1 dst_unused:UNUSED_PAD src0_sel:DWORD src1_sel:DWORD
	v_xor_b32_e32 v1, 0x7f, v37
	v_or_b32_sdwa v0, v1, v0 dst_sel:DWORD dst_unused:UNUSED_PAD src0_sel:BYTE_0 src1_sel:DWORD
	v_xor_b32_sdwa v1, v37, s4 dst_sel:DWORD dst_unused:UNUSED_PAD src0_sel:BYTE_3 src1_sel:DWORD
	v_lshlrev_b16_e32 v1, 8, v1
	s_waitcnt lgkmcnt(3)
	v_xor_b32_sdwa v18, v37, s4 dst_sel:DWORD dst_unused:UNUSED_PAD src0_sel:WORD_1 src1_sel:DWORD
	v_or_b32_sdwa v1, v18, v1 dst_sel:WORD_1 dst_unused:UNUSED_PAD src0_sel:BYTE_0 src1_sel:DWORD
	v_or_b32_sdwa v1, v0, v1 dst_sel:DWORD dst_unused:UNUSED_PAD src0_sel:WORD_0 src1_sel:DWORD
	v_xor_b32_sdwa v0, v62, s4 dst_sel:BYTE_1 dst_unused:UNUSED_PAD src0_sel:DWORD src1_sel:DWORD
	v_xor_b32_e32 v18, 0x7f, v36
	v_or_b32_sdwa v0, v18, v0 dst_sel:DWORD dst_unused:UNUSED_PAD src0_sel:BYTE_0 src1_sel:DWORD
	v_xor_b32_sdwa v18, v38, s4 dst_sel:BYTE_1 dst_unused:UNUSED_PAD src0_sel:DWORD src1_sel:DWORD
	v_xor_b32_sdwa v19, v36, s4 dst_sel:DWORD dst_unused:UNUSED_PAD src0_sel:WORD_1 src1_sel:DWORD
	v_or_b32_sdwa v18, v19, v18 dst_sel:WORD_1 dst_unused:UNUSED_PAD src0_sel:BYTE_0 src1_sel:DWORD
	v_or_b32_sdwa v0, v0, v18 dst_sel:DWORD dst_unused:UNUSED_PAD src0_sel:WORD_0 src1_sel:DWORD
	s_getpc_b64 s[4:5]
	s_add_u32 s4, s4, _ZN7rocprim17ROCPRIM_400000_NS16block_radix_sortIaLj128ELj8ElLj1ELj1ELj0ELNS0_26block_radix_rank_algorithmE1ELNS0_18block_padding_hintE2ELNS0_4arch9wavefront6targetE1EE19radix_bits_per_passE@rel32@lo+4
	s_addc_u32 s5, s5, _ZN7rocprim17ROCPRIM_400000_NS16block_radix_sortIaLj128ELj8ElLj1ELj1ELj0ELNS0_26block_radix_rank_algorithmE1ELNS0_18block_padding_hintE2ELNS0_4arch9wavefront6targetE1EE19radix_bits_per_passE@rel32@hi+12
	ds_write_b64 v69, v[0:1]
	; wave barrier
	ds_read_u8 v20, v68
	ds_read_u8 v21, v68 offset:64
	s_waitcnt lgkmcnt(5)
	ds_read_u8 v22, v68 offset:128
	ds_read_u8 v23, v68 offset:192
	;; [unrolled: 1-line block ×4, first 2 shown]
	s_waitcnt lgkmcnt(8)
	ds_read_u8 v26, v68 offset:384
	ds_read_u8 v27, v68 offset:448
	s_waitcnt lgkmcnt(0)
	s_barrier
	ds_write2_b64 v67, v[14:15], v[16:17] offset1:1
	ds_write2_b64 v67, v[10:11], v[12:13] offset0:2 offset1:3
	ds_write2_b64 v67, v[6:7], v[8:9] offset0:4 offset1:5
	ds_write2_b64 v67, v[2:3], v[4:5] offset0:6 offset1:7
	; wave barrier
	ds_read2st64_b64 v[12:15], v66 offset1:1
	ds_read2st64_b64 v[8:11], v66 offset0:2 offset1:3
	ds_read2st64_b64 v[4:7], v66 offset0:4 offset1:5
	;; [unrolled: 1-line block ×3, first 2 shown]
	s_waitcnt lgkmcnt(0)
	s_barrier
	s_load_dword s26, s[4:5], 0x0
	s_load_dword s27, s[24:25], 0xc
	v_mov_b32_e32 v30, 1
	s_waitcnt lgkmcnt(0)
	s_min_u32 s24, s26, 8
	s_lshr_b32 s4, s27, 16
	s_and_b32 s5, s27, 0xffff
	v_mad_u32_u24 v16, v64, s4, v63
	v_mad_u64_u32 v[18:19], s[4:5], v16, s5, v[34:35]
	s_lshl_b32 s4, -1, s24
	s_not_b32 s24, s4
	v_lshrrev_b32_e32 v33, 6, v18
	v_and_b32_e32 v18, s24, v20
	v_lshlrev_b32_sdwa v17, v30, v18 dst_sel:DWORD dst_unused:UNUSED_PAD src0_sel:DWORD src1_sel:BYTE_0
	v_add_lshl_u32 v28, v33, v17, 2
	v_and_b32_e32 v17, 1, v18
	v_add_co_u32_e32 v19, vcc, -1, v17
	v_addc_co_u32_e64 v29, s[4:5], 0, -1, vcc
	v_cmp_ne_u32_e32 vcc, 0, v17
	v_xor_b32_e32 v17, vcc_hi, v29
	v_mov_b32_e32 v16, 0
	v_and_b32_e32 v29, exec_hi, v17
	v_lshlrev_b32_e32 v17, 30, v18
	v_xor_b32_e32 v19, vcc_lo, v19
	v_cmp_gt_i64_e32 vcc, 0, v[16:17]
	v_not_b32_e32 v17, v17
	v_ashrrev_i32_e32 v17, 31, v17
	v_and_b32_e32 v19, exec_lo, v19
	v_xor_b32_e32 v31, vcc_hi, v17
	v_xor_b32_e32 v17, vcc_lo, v17
	v_and_b32_e32 v19, v19, v17
	v_lshlrev_b32_e32 v17, 29, v18
	v_cmp_gt_i64_e32 vcc, 0, v[16:17]
	v_not_b32_e32 v17, v17
	v_ashrrev_i32_e32 v17, 31, v17
	v_and_b32_e32 v29, v29, v31
	v_xor_b32_e32 v31, vcc_hi, v17
	v_xor_b32_e32 v17, vcc_lo, v17
	v_and_b32_e32 v19, v19, v17
	v_lshlrev_b32_e32 v17, 28, v18
	v_cmp_gt_i64_e32 vcc, 0, v[16:17]
	v_not_b32_e32 v17, v17
	v_ashrrev_i32_e32 v17, 31, v17
	v_and_b32_e32 v29, v29, v31
	;; [unrolled: 8-line block ×5, first 2 shown]
	v_xor_b32_e32 v31, vcc_hi, v17
	v_xor_b32_e32 v17, vcc_lo, v17
	v_and_b32_e32 v29, v29, v31
	v_and_b32_e32 v31, v19, v17
	v_lshlrev_b32_e32 v17, 24, v18
	v_cmp_gt_i64_e32 vcc, 0, v[16:17]
	v_not_b32_e32 v17, v17
	v_ashrrev_i32_e32 v17, 31, v17
	v_xor_b32_e32 v18, vcc_hi, v17
	v_xor_b32_e32 v17, vcc_lo, v17
	v_and_b32_e32 v19, v29, v18
	v_and_b32_e32 v18, v31, v17
	v_mbcnt_lo_u32_b32 v17, v18, 0
	v_mbcnt_hi_u32_b32 v29, v19, v17
	v_cmp_eq_u32_e32 vcc, 0, v29
	v_cmp_ne_u64_e64 s[4:5], 0, v[18:19]
	s_and_b64 s[26:27], s[4:5], vcc
	ds_write2_b32 v60, v16, v16 offset0:2 offset1:3
	ds_write2_b32 v60, v16, v16 offset0:4 offset1:5
	s_waitcnt lgkmcnt(0)
	s_barrier
	s_waitcnt lgkmcnt(0)
	; wave barrier
	s_and_saveexec_b64 s[4:5], s[26:27]
	s_cbranch_execz .LBB117_77
; %bb.76:
	v_bcnt_u32_b32 v17, v18, 0
	v_bcnt_u32_b32 v17, v19, v17
	ds_write_b32 v28, v17 offset:8
.LBB117_77:
	s_or_b64 exec, exec, s[4:5]
	v_and_b32_e32 v18, s24, v21
	v_lshlrev_b32_sdwa v17, v30, v18 dst_sel:DWORD dst_unused:UNUSED_PAD src0_sel:DWORD src1_sel:BYTE_0
	v_add_lshl_u32 v31, v33, v17, 2
	v_and_b32_e32 v17, 1, v18
	v_add_co_u32_e32 v19, vcc, -1, v17
	v_addc_co_u32_e64 v32, s[4:5], 0, -1, vcc
	v_cmp_ne_u32_e32 vcc, 0, v17
	v_xor_b32_e32 v17, vcc_hi, v32
	v_and_b32_e32 v32, exec_hi, v17
	v_lshlrev_b32_e32 v17, 30, v18
	v_xor_b32_e32 v19, vcc_lo, v19
	v_cmp_gt_i64_e32 vcc, 0, v[16:17]
	v_not_b32_e32 v17, v17
	v_ashrrev_i32_e32 v17, 31, v17
	v_and_b32_e32 v19, exec_lo, v19
	v_xor_b32_e32 v36, vcc_hi, v17
	v_xor_b32_e32 v17, vcc_lo, v17
	v_and_b32_e32 v19, v19, v17
	v_lshlrev_b32_e32 v17, 29, v18
	v_cmp_gt_i64_e32 vcc, 0, v[16:17]
	v_not_b32_e32 v17, v17
	v_ashrrev_i32_e32 v17, 31, v17
	v_and_b32_e32 v32, v32, v36
	v_xor_b32_e32 v36, vcc_hi, v17
	v_xor_b32_e32 v17, vcc_lo, v17
	v_and_b32_e32 v19, v19, v17
	v_lshlrev_b32_e32 v17, 28, v18
	v_cmp_gt_i64_e32 vcc, 0, v[16:17]
	v_not_b32_e32 v17, v17
	v_ashrrev_i32_e32 v17, 31, v17
	v_and_b32_e32 v32, v32, v36
	;; [unrolled: 8-line block ×5, first 2 shown]
	v_xor_b32_e32 v36, vcc_hi, v17
	v_xor_b32_e32 v17, vcc_lo, v17
	v_and_b32_e32 v19, v19, v17
	v_lshlrev_b32_e32 v17, 24, v18
	v_cmp_gt_i64_e32 vcc, 0, v[16:17]
	v_not_b32_e32 v16, v17
	v_ashrrev_i32_e32 v16, 31, v16
	v_xor_b32_e32 v17, vcc_hi, v16
	v_xor_b32_e32 v16, vcc_lo, v16
	; wave barrier
	ds_read_b32 v30, v31 offset:8
	v_and_b32_e32 v32, v32, v36
	v_and_b32_e32 v16, v19, v16
	;; [unrolled: 1-line block ×3, first 2 shown]
	v_mbcnt_lo_u32_b32 v18, v16, 0
	v_mbcnt_hi_u32_b32 v32, v17, v18
	v_cmp_eq_u32_e32 vcc, 0, v32
	v_cmp_ne_u64_e64 s[4:5], 0, v[16:17]
	s_and_b64 s[26:27], s[4:5], vcc
	; wave barrier
	s_and_saveexec_b64 s[4:5], s[26:27]
	s_cbranch_execz .LBB117_79
; %bb.78:
	v_bcnt_u32_b32 v16, v16, 0
	v_bcnt_u32_b32 v16, v17, v16
	s_waitcnt lgkmcnt(0)
	v_add_u32_e32 v16, v30, v16
	ds_write_b32 v31, v16 offset:8
.LBB117_79:
	s_or_b64 exec, exec, s[4:5]
	v_and_b32_e32 v18, s24, v22
	v_and_b32_e32 v17, 1, v18
	v_add_co_u32_e32 v19, vcc, -1, v17
	v_mov_b32_e32 v40, 1
	v_addc_co_u32_e64 v38, s[4:5], 0, -1, vcc
	v_cmp_ne_u32_e32 vcc, 0, v17
	v_lshlrev_b32_sdwa v16, v40, v18 dst_sel:DWORD dst_unused:UNUSED_PAD src0_sel:DWORD src1_sel:BYTE_0
	v_xor_b32_e32 v17, vcc_hi, v38
	v_add_lshl_u32 v37, v33, v16, 2
	v_mov_b32_e32 v16, 0
	v_and_b32_e32 v38, exec_hi, v17
	v_lshlrev_b32_e32 v17, 30, v18
	v_xor_b32_e32 v19, vcc_lo, v19
	v_cmp_gt_i64_e32 vcc, 0, v[16:17]
	v_not_b32_e32 v17, v17
	v_ashrrev_i32_e32 v17, 31, v17
	v_and_b32_e32 v19, exec_lo, v19
	v_xor_b32_e32 v41, vcc_hi, v17
	v_xor_b32_e32 v17, vcc_lo, v17
	v_and_b32_e32 v19, v19, v17
	v_lshlrev_b32_e32 v17, 29, v18
	v_cmp_gt_i64_e32 vcc, 0, v[16:17]
	v_not_b32_e32 v17, v17
	v_ashrrev_i32_e32 v17, 31, v17
	v_and_b32_e32 v38, v38, v41
	v_xor_b32_e32 v41, vcc_hi, v17
	v_xor_b32_e32 v17, vcc_lo, v17
	v_and_b32_e32 v19, v19, v17
	v_lshlrev_b32_e32 v17, 28, v18
	v_cmp_gt_i64_e32 vcc, 0, v[16:17]
	v_not_b32_e32 v17, v17
	v_ashrrev_i32_e32 v17, 31, v17
	v_and_b32_e32 v38, v38, v41
	;; [unrolled: 8-line block ×5, first 2 shown]
	v_xor_b32_e32 v41, vcc_hi, v17
	v_xor_b32_e32 v17, vcc_lo, v17
	v_and_b32_e32 v38, v38, v41
	v_and_b32_e32 v41, v19, v17
	v_lshlrev_b32_e32 v17, 24, v18
	v_cmp_gt_i64_e32 vcc, 0, v[16:17]
	v_not_b32_e32 v17, v17
	v_ashrrev_i32_e32 v17, 31, v17
	v_xor_b32_e32 v18, vcc_hi, v17
	v_xor_b32_e32 v17, vcc_lo, v17
	; wave barrier
	ds_read_b32 v36, v37 offset:8
	v_and_b32_e32 v19, v38, v18
	v_and_b32_e32 v18, v41, v17
	v_mbcnt_lo_u32_b32 v17, v18, 0
	v_mbcnt_hi_u32_b32 v38, v19, v17
	v_cmp_eq_u32_e32 vcc, 0, v38
	v_cmp_ne_u64_e64 s[4:5], 0, v[18:19]
	s_and_b64 s[26:27], s[4:5], vcc
	; wave barrier
	s_and_saveexec_b64 s[4:5], s[26:27]
	s_cbranch_execz .LBB117_81
; %bb.80:
	v_bcnt_u32_b32 v17, v18, 0
	v_bcnt_u32_b32 v17, v19, v17
	s_waitcnt lgkmcnt(0)
	v_add_u32_e32 v17, v36, v17
	ds_write_b32 v37, v17 offset:8
.LBB117_81:
	s_or_b64 exec, exec, s[4:5]
	v_and_b32_e32 v18, s24, v23
	v_lshlrev_b32_sdwa v17, v40, v18 dst_sel:DWORD dst_unused:UNUSED_PAD src0_sel:DWORD src1_sel:BYTE_0
	v_add_lshl_u32 v41, v33, v17, 2
	v_and_b32_e32 v17, 1, v18
	v_add_co_u32_e32 v19, vcc, -1, v17
	v_addc_co_u32_e64 v62, s[4:5], 0, -1, vcc
	v_cmp_ne_u32_e32 vcc, 0, v17
	v_xor_b32_e32 v17, vcc_hi, v62
	v_and_b32_e32 v62, exec_hi, v17
	v_lshlrev_b32_e32 v17, 30, v18
	v_xor_b32_e32 v19, vcc_lo, v19
	v_cmp_gt_i64_e32 vcc, 0, v[16:17]
	v_not_b32_e32 v17, v17
	v_ashrrev_i32_e32 v17, 31, v17
	v_and_b32_e32 v19, exec_lo, v19
	v_xor_b32_e32 v63, vcc_hi, v17
	v_xor_b32_e32 v17, vcc_lo, v17
	v_and_b32_e32 v19, v19, v17
	v_lshlrev_b32_e32 v17, 29, v18
	v_cmp_gt_i64_e32 vcc, 0, v[16:17]
	v_not_b32_e32 v17, v17
	v_ashrrev_i32_e32 v17, 31, v17
	v_and_b32_e32 v62, v62, v63
	v_xor_b32_e32 v63, vcc_hi, v17
	v_xor_b32_e32 v17, vcc_lo, v17
	v_and_b32_e32 v19, v19, v17
	v_lshlrev_b32_e32 v17, 28, v18
	v_cmp_gt_i64_e32 vcc, 0, v[16:17]
	v_not_b32_e32 v17, v17
	v_ashrrev_i32_e32 v17, 31, v17
	v_and_b32_e32 v62, v62, v63
	;; [unrolled: 8-line block ×5, first 2 shown]
	v_xor_b32_e32 v63, vcc_hi, v17
	v_xor_b32_e32 v17, vcc_lo, v17
	v_and_b32_e32 v19, v19, v17
	v_lshlrev_b32_e32 v17, 24, v18
	v_cmp_gt_i64_e32 vcc, 0, v[16:17]
	v_not_b32_e32 v16, v17
	v_ashrrev_i32_e32 v16, 31, v16
	v_xor_b32_e32 v17, vcc_hi, v16
	v_xor_b32_e32 v16, vcc_lo, v16
	; wave barrier
	ds_read_b32 v40, v41 offset:8
	v_and_b32_e32 v62, v62, v63
	v_and_b32_e32 v16, v19, v16
	;; [unrolled: 1-line block ×3, first 2 shown]
	v_mbcnt_lo_u32_b32 v18, v16, 0
	v_mbcnt_hi_u32_b32 v62, v17, v18
	v_cmp_eq_u32_e32 vcc, 0, v62
	v_cmp_ne_u64_e64 s[4:5], 0, v[16:17]
	s_and_b64 s[26:27], s[4:5], vcc
	; wave barrier
	s_and_saveexec_b64 s[4:5], s[26:27]
	s_cbranch_execz .LBB117_83
; %bb.82:
	v_bcnt_u32_b32 v16, v16, 0
	v_bcnt_u32_b32 v16, v17, v16
	s_waitcnt lgkmcnt(0)
	v_add_u32_e32 v16, v40, v16
	ds_write_b32 v41, v16 offset:8
.LBB117_83:
	s_or_b64 exec, exec, s[4:5]
	v_and_b32_e32 v18, s24, v24
	v_and_b32_e32 v17, 1, v18
	v_add_co_u32_e32 v19, vcc, -1, v17
	v_mov_b32_e32 v66, 1
	v_addc_co_u32_e64 v65, s[4:5], 0, -1, vcc
	v_cmp_ne_u32_e32 vcc, 0, v17
	v_lshlrev_b32_sdwa v16, v66, v18 dst_sel:DWORD dst_unused:UNUSED_PAD src0_sel:DWORD src1_sel:BYTE_0
	v_xor_b32_e32 v17, vcc_hi, v65
	v_add_lshl_u32 v64, v33, v16, 2
	v_mov_b32_e32 v16, 0
	v_and_b32_e32 v65, exec_hi, v17
	v_lshlrev_b32_e32 v17, 30, v18
	v_xor_b32_e32 v19, vcc_lo, v19
	v_cmp_gt_i64_e32 vcc, 0, v[16:17]
	v_not_b32_e32 v17, v17
	v_ashrrev_i32_e32 v17, 31, v17
	v_and_b32_e32 v19, exec_lo, v19
	v_xor_b32_e32 v67, vcc_hi, v17
	v_xor_b32_e32 v17, vcc_lo, v17
	v_and_b32_e32 v19, v19, v17
	v_lshlrev_b32_e32 v17, 29, v18
	v_cmp_gt_i64_e32 vcc, 0, v[16:17]
	v_not_b32_e32 v17, v17
	v_ashrrev_i32_e32 v17, 31, v17
	v_and_b32_e32 v65, v65, v67
	v_xor_b32_e32 v67, vcc_hi, v17
	v_xor_b32_e32 v17, vcc_lo, v17
	v_and_b32_e32 v19, v19, v17
	v_lshlrev_b32_e32 v17, 28, v18
	v_cmp_gt_i64_e32 vcc, 0, v[16:17]
	v_not_b32_e32 v17, v17
	v_ashrrev_i32_e32 v17, 31, v17
	v_and_b32_e32 v65, v65, v67
	;; [unrolled: 8-line block ×5, first 2 shown]
	v_xor_b32_e32 v67, vcc_hi, v17
	v_xor_b32_e32 v17, vcc_lo, v17
	v_and_b32_e32 v65, v65, v67
	v_and_b32_e32 v67, v19, v17
	v_lshlrev_b32_e32 v17, 24, v18
	v_cmp_gt_i64_e32 vcc, 0, v[16:17]
	v_not_b32_e32 v17, v17
	v_ashrrev_i32_e32 v17, 31, v17
	v_xor_b32_e32 v18, vcc_hi, v17
	v_xor_b32_e32 v17, vcc_lo, v17
	; wave barrier
	ds_read_b32 v63, v64 offset:8
	v_and_b32_e32 v19, v65, v18
	v_and_b32_e32 v18, v67, v17
	v_mbcnt_lo_u32_b32 v17, v18, 0
	v_mbcnt_hi_u32_b32 v65, v19, v17
	v_cmp_eq_u32_e32 vcc, 0, v65
	v_cmp_ne_u64_e64 s[4:5], 0, v[18:19]
	s_and_b64 s[26:27], s[4:5], vcc
	; wave barrier
	s_and_saveexec_b64 s[4:5], s[26:27]
	s_cbranch_execz .LBB117_85
; %bb.84:
	v_bcnt_u32_b32 v17, v18, 0
	v_bcnt_u32_b32 v17, v19, v17
	s_waitcnt lgkmcnt(0)
	v_add_u32_e32 v17, v63, v17
	ds_write_b32 v64, v17 offset:8
.LBB117_85:
	s_or_b64 exec, exec, s[4:5]
	v_and_b32_e32 v18, s24, v25
	v_lshlrev_b32_sdwa v17, v66, v18 dst_sel:DWORD dst_unused:UNUSED_PAD src0_sel:DWORD src1_sel:BYTE_0
	v_add_lshl_u32 v67, v33, v17, 2
	v_and_b32_e32 v17, 1, v18
	v_add_co_u32_e32 v19, vcc, -1, v17
	v_addc_co_u32_e64 v68, s[4:5], 0, -1, vcc
	v_cmp_ne_u32_e32 vcc, 0, v17
	v_xor_b32_e32 v17, vcc_hi, v68
	v_and_b32_e32 v68, exec_hi, v17
	v_lshlrev_b32_e32 v17, 30, v18
	v_xor_b32_e32 v19, vcc_lo, v19
	v_cmp_gt_i64_e32 vcc, 0, v[16:17]
	v_not_b32_e32 v17, v17
	v_ashrrev_i32_e32 v17, 31, v17
	v_and_b32_e32 v19, exec_lo, v19
	v_xor_b32_e32 v69, vcc_hi, v17
	v_xor_b32_e32 v17, vcc_lo, v17
	v_and_b32_e32 v19, v19, v17
	v_lshlrev_b32_e32 v17, 29, v18
	v_cmp_gt_i64_e32 vcc, 0, v[16:17]
	v_not_b32_e32 v17, v17
	v_ashrrev_i32_e32 v17, 31, v17
	v_and_b32_e32 v68, v68, v69
	v_xor_b32_e32 v69, vcc_hi, v17
	v_xor_b32_e32 v17, vcc_lo, v17
	v_and_b32_e32 v19, v19, v17
	v_lshlrev_b32_e32 v17, 28, v18
	v_cmp_gt_i64_e32 vcc, 0, v[16:17]
	v_not_b32_e32 v17, v17
	v_ashrrev_i32_e32 v17, 31, v17
	v_and_b32_e32 v68, v68, v69
	v_xor_b32_e32 v69, vcc_hi, v17
	v_xor_b32_e32 v17, vcc_lo, v17
	v_and_b32_e32 v19, v19, v17
	v_lshlrev_b32_e32 v17, 27, v18
	v_cmp_gt_i64_e32 vcc, 0, v[16:17]
	v_not_b32_e32 v17, v17
	v_ashrrev_i32_e32 v17, 31, v17
	v_and_b32_e32 v68, v68, v69
	v_xor_b32_e32 v69, vcc_hi, v17
	v_xor_b32_e32 v17, vcc_lo, v17
	v_and_b32_e32 v19, v19, v17
	v_lshlrev_b32_e32 v17, 26, v18
	v_cmp_gt_i64_e32 vcc, 0, v[16:17]
	v_not_b32_e32 v17, v17
	v_ashrrev_i32_e32 v17, 31, v17
	v_and_b32_e32 v68, v68, v69
	v_xor_b32_e32 v69, vcc_hi, v17
	v_xor_b32_e32 v17, vcc_lo, v17
	v_and_b32_e32 v19, v19, v17
	v_lshlrev_b32_e32 v17, 25, v18
	v_cmp_gt_i64_e32 vcc, 0, v[16:17]
	v_not_b32_e32 v17, v17
	v_ashrrev_i32_e32 v17, 31, v17
	v_and_b32_e32 v68, v68, v69
	v_xor_b32_e32 v69, vcc_hi, v17
	v_xor_b32_e32 v17, vcc_lo, v17
	v_and_b32_e32 v19, v19, v17
	v_lshlrev_b32_e32 v17, 24, v18
	v_cmp_gt_i64_e32 vcc, 0, v[16:17]
	v_not_b32_e32 v16, v17
	v_ashrrev_i32_e32 v16, 31, v16
	v_xor_b32_e32 v17, vcc_hi, v16
	v_xor_b32_e32 v16, vcc_lo, v16
	; wave barrier
	ds_read_b32 v66, v67 offset:8
	v_and_b32_e32 v68, v68, v69
	v_and_b32_e32 v16, v19, v16
	;; [unrolled: 1-line block ×3, first 2 shown]
	v_mbcnt_lo_u32_b32 v18, v16, 0
	v_mbcnt_hi_u32_b32 v68, v17, v18
	v_cmp_eq_u32_e32 vcc, 0, v68
	v_cmp_ne_u64_e64 s[4:5], 0, v[16:17]
	s_and_b64 s[26:27], s[4:5], vcc
	; wave barrier
	s_and_saveexec_b64 s[4:5], s[26:27]
	s_cbranch_execz .LBB117_87
; %bb.86:
	v_bcnt_u32_b32 v16, v16, 0
	v_bcnt_u32_b32 v16, v17, v16
	s_waitcnt lgkmcnt(0)
	v_add_u32_e32 v16, v66, v16
	ds_write_b32 v67, v16 offset:8
.LBB117_87:
	s_or_b64 exec, exec, s[4:5]
	v_and_b32_e32 v18, s24, v26
	v_and_b32_e32 v17, 1, v18
	v_add_co_u32_e32 v19, vcc, -1, v17
	v_mov_b32_e32 v72, 1
	v_addc_co_u32_e64 v71, s[4:5], 0, -1, vcc
	v_cmp_ne_u32_e32 vcc, 0, v17
	v_lshlrev_b32_sdwa v16, v72, v18 dst_sel:DWORD dst_unused:UNUSED_PAD src0_sel:DWORD src1_sel:BYTE_0
	v_xor_b32_e32 v17, vcc_hi, v71
	v_add_lshl_u32 v70, v33, v16, 2
	v_mov_b32_e32 v16, 0
	v_and_b32_e32 v71, exec_hi, v17
	v_lshlrev_b32_e32 v17, 30, v18
	v_xor_b32_e32 v19, vcc_lo, v19
	v_cmp_gt_i64_e32 vcc, 0, v[16:17]
	v_not_b32_e32 v17, v17
	v_ashrrev_i32_e32 v17, 31, v17
	v_and_b32_e32 v19, exec_lo, v19
	v_xor_b32_e32 v73, vcc_hi, v17
	v_xor_b32_e32 v17, vcc_lo, v17
	v_and_b32_e32 v19, v19, v17
	v_lshlrev_b32_e32 v17, 29, v18
	v_cmp_gt_i64_e32 vcc, 0, v[16:17]
	v_not_b32_e32 v17, v17
	v_ashrrev_i32_e32 v17, 31, v17
	v_and_b32_e32 v71, v71, v73
	v_xor_b32_e32 v73, vcc_hi, v17
	v_xor_b32_e32 v17, vcc_lo, v17
	v_and_b32_e32 v19, v19, v17
	v_lshlrev_b32_e32 v17, 28, v18
	v_cmp_gt_i64_e32 vcc, 0, v[16:17]
	v_not_b32_e32 v17, v17
	v_ashrrev_i32_e32 v17, 31, v17
	v_and_b32_e32 v71, v71, v73
	;; [unrolled: 8-line block ×5, first 2 shown]
	v_xor_b32_e32 v73, vcc_hi, v17
	v_xor_b32_e32 v17, vcc_lo, v17
	v_and_b32_e32 v71, v71, v73
	v_and_b32_e32 v73, v19, v17
	v_lshlrev_b32_e32 v17, 24, v18
	v_cmp_gt_i64_e32 vcc, 0, v[16:17]
	v_not_b32_e32 v17, v17
	v_ashrrev_i32_e32 v17, 31, v17
	v_xor_b32_e32 v18, vcc_hi, v17
	v_xor_b32_e32 v17, vcc_lo, v17
	; wave barrier
	ds_read_b32 v69, v70 offset:8
	v_and_b32_e32 v19, v71, v18
	v_and_b32_e32 v18, v73, v17
	v_mbcnt_lo_u32_b32 v17, v18, 0
	v_mbcnt_hi_u32_b32 v71, v19, v17
	v_cmp_eq_u32_e32 vcc, 0, v71
	v_cmp_ne_u64_e64 s[4:5], 0, v[18:19]
	s_and_b64 s[26:27], s[4:5], vcc
	; wave barrier
	s_and_saveexec_b64 s[4:5], s[26:27]
	s_cbranch_execz .LBB117_89
; %bb.88:
	v_bcnt_u32_b32 v17, v18, 0
	v_bcnt_u32_b32 v17, v19, v17
	s_waitcnt lgkmcnt(0)
	v_add_u32_e32 v17, v69, v17
	ds_write_b32 v70, v17 offset:8
.LBB117_89:
	s_or_b64 exec, exec, s[4:5]
	v_and_b32_e32 v18, s24, v27
	v_lshlrev_b32_sdwa v17, v72, v18 dst_sel:DWORD dst_unused:UNUSED_PAD src0_sel:DWORD src1_sel:BYTE_0
	v_add_lshl_u32 v72, v33, v17, 2
	v_and_b32_e32 v17, 1, v18
	v_add_co_u32_e32 v19, vcc, -1, v17
	v_addc_co_u32_e64 v74, s[4:5], 0, -1, vcc
	v_cmp_ne_u32_e32 vcc, 0, v17
	v_xor_b32_e32 v17, vcc_hi, v74
	v_and_b32_e32 v74, exec_hi, v17
	v_lshlrev_b32_e32 v17, 30, v18
	v_xor_b32_e32 v19, vcc_lo, v19
	v_cmp_gt_i64_e32 vcc, 0, v[16:17]
	v_not_b32_e32 v17, v17
	v_ashrrev_i32_e32 v17, 31, v17
	v_and_b32_e32 v19, exec_lo, v19
	v_xor_b32_e32 v75, vcc_hi, v17
	v_xor_b32_e32 v17, vcc_lo, v17
	v_and_b32_e32 v19, v19, v17
	v_lshlrev_b32_e32 v17, 29, v18
	v_cmp_gt_i64_e32 vcc, 0, v[16:17]
	v_not_b32_e32 v17, v17
	v_ashrrev_i32_e32 v17, 31, v17
	v_and_b32_e32 v74, v74, v75
	v_xor_b32_e32 v75, vcc_hi, v17
	v_xor_b32_e32 v17, vcc_lo, v17
	v_and_b32_e32 v19, v19, v17
	v_lshlrev_b32_e32 v17, 28, v18
	v_cmp_gt_i64_e32 vcc, 0, v[16:17]
	v_not_b32_e32 v17, v17
	v_ashrrev_i32_e32 v17, 31, v17
	v_and_b32_e32 v74, v74, v75
	;; [unrolled: 8-line block ×5, first 2 shown]
	v_xor_b32_e32 v75, vcc_hi, v17
	v_xor_b32_e32 v17, vcc_lo, v17
	v_and_b32_e32 v19, v19, v17
	v_lshlrev_b32_e32 v17, 24, v18
	v_cmp_gt_i64_e32 vcc, 0, v[16:17]
	v_not_b32_e32 v16, v17
	v_ashrrev_i32_e32 v16, 31, v16
	v_xor_b32_e32 v17, vcc_hi, v16
	v_xor_b32_e32 v16, vcc_lo, v16
	; wave barrier
	ds_read_b32 v33, v72 offset:8
	v_and_b32_e32 v74, v74, v75
	v_and_b32_e32 v16, v19, v16
	;; [unrolled: 1-line block ×3, first 2 shown]
	v_mbcnt_lo_u32_b32 v18, v16, 0
	v_mbcnt_hi_u32_b32 v74, v17, v18
	v_cmp_eq_u32_e32 vcc, 0, v74
	v_cmp_ne_u64_e64 s[4:5], 0, v[16:17]
	v_or_b32_e32 v73, 8, v60
	s_and_b64 s[24:25], s[4:5], vcc
	; wave barrier
	s_and_saveexec_b64 s[4:5], s[24:25]
	s_cbranch_execz .LBB117_91
; %bb.90:
	v_bcnt_u32_b32 v16, v16, 0
	v_bcnt_u32_b32 v16, v17, v16
	s_waitcnt lgkmcnt(0)
	v_add_u32_e32 v16, v33, v16
	ds_write_b32 v72, v16 offset:8
.LBB117_91:
	s_or_b64 exec, exec, s[4:5]
	; wave barrier
	s_waitcnt lgkmcnt(0)
	s_barrier
	ds_read2_b32 v[16:17], v60 offset0:2 offset1:3
	ds_read2_b32 v[18:19], v73 offset0:2 offset1:3
	v_min_u32_e32 v61, 64, v61
	v_or_b32_e32 v61, 63, v61
	s_waitcnt lgkmcnt(1)
	v_add_u32_e32 v75, v17, v16
	s_waitcnt lgkmcnt(0)
	v_add3_u32 v19, v75, v18, v19
	v_and_b32_e32 v75, 15, v59
	v_cmp_ne_u32_e32 vcc, 0, v75
	v_mov_b32_dpp v76, v19 row_shr:1 row_mask:0xf bank_mask:0xf
	v_cndmask_b32_e32 v76, 0, v76, vcc
	v_add_u32_e32 v19, v76, v19
	v_cmp_lt_u32_e32 vcc, 1, v75
	s_nop 0
	v_mov_b32_dpp v76, v19 row_shr:2 row_mask:0xf bank_mask:0xf
	v_cndmask_b32_e32 v76, 0, v76, vcc
	v_add_u32_e32 v19, v19, v76
	v_cmp_lt_u32_e32 vcc, 3, v75
	s_nop 0
	;; [unrolled: 5-line block ×3, first 2 shown]
	v_mov_b32_dpp v76, v19 row_shr:8 row_mask:0xf bank_mask:0xf
	v_cndmask_b32_e32 v75, 0, v76, vcc
	v_add_u32_e32 v19, v19, v75
	v_bfe_i32 v76, v59, 4, 1
	v_cmp_lt_u32_e32 vcc, 31, v59
	v_mov_b32_dpp v75, v19 row_bcast:15 row_mask:0xf bank_mask:0xf
	v_and_b32_e32 v75, v76, v75
	v_add_u32_e32 v19, v19, v75
	s_nop 1
	v_mov_b32_dpp v75, v19 row_bcast:31 row_mask:0xf bank_mask:0xf
	v_cndmask_b32_e32 v75, 0, v75, vcc
	v_add_u32_e32 v19, v19, v75
	v_lshrrev_b32_e32 v75, 6, v34
	v_cmp_eq_u32_e32 vcc, v61, v34
	s_and_saveexec_b64 s[4:5], vcc
	s_cbranch_execz .LBB117_93
; %bb.92:
	v_lshlrev_b32_e32 v61, 2, v75
	ds_write_b32 v61, v19
.LBB117_93:
	s_or_b64 exec, exec, s[4:5]
	v_cmp_gt_u32_e32 vcc, 2, v34
	s_waitcnt lgkmcnt(0)
	s_barrier
	s_and_saveexec_b64 s[4:5], vcc
	s_cbranch_execz .LBB117_95
; %bb.94:
	v_lshlrev_b32_e32 v61, 2, v34
	ds_read_b32 v76, v61
	v_bfe_i32 v77, v59, 0, 1
	s_waitcnt lgkmcnt(0)
	v_mov_b32_dpp v78, v76 row_shr:1 row_mask:0xf bank_mask:0xf
	v_and_b32_e32 v77, v77, v78
	v_add_u32_e32 v76, v77, v76
	ds_write_b32 v61, v76
.LBB117_95:
	s_or_b64 exec, exec, s[4:5]
	v_cmp_lt_u32_e32 vcc, 63, v34
	v_mov_b32_e32 v61, 0
	s_waitcnt lgkmcnt(0)
	s_barrier
	s_and_saveexec_b64 s[4:5], vcc
	s_cbranch_execz .LBB117_97
; %bb.96:
	v_lshl_add_u32 v61, v75, 2, -4
	ds_read_b32 v61, v61
.LBB117_97:
	s_or_b64 exec, exec, s[4:5]
	v_add_u32_e32 v75, -1, v59
	v_and_b32_e32 v76, 64, v59
	v_cmp_lt_i32_e32 vcc, v75, v76
	v_cndmask_b32_e32 v75, v75, v59, vcc
	s_waitcnt lgkmcnt(0)
	v_add_u32_e32 v19, v61, v19
	v_lshlrev_b32_e32 v75, 2, v75
	ds_bpermute_b32 v19, v75, v19
	v_cmp_eq_u32_e32 vcc, 0, v59
	s_movk_i32 s4, 0x7f
	s_waitcnt lgkmcnt(0)
	v_cndmask_b32_e32 v19, v19, v61, vcc
	v_cmp_ne_u32_e32 vcc, 0, v34
	v_cndmask_b32_e32 v19, 0, v19, vcc
	v_add_u32_e32 v16, v19, v16
	v_add_u32_e32 v17, v16, v17
	;; [unrolled: 1-line block ×3, first 2 shown]
	ds_write2_b32 v60, v19, v16 offset0:2 offset1:3
	ds_write2_b32 v73, v17, v18 offset0:2 offset1:3
	s_waitcnt lgkmcnt(0)
	s_barrier
	ds_read_b32 v16, v28 offset:8
	ds_read_b32 v17, v31 offset:8
	;; [unrolled: 1-line block ×8, first 2 shown]
	s_waitcnt lgkmcnt(7)
	v_add_u32_e32 v29, v16, v29
	s_waitcnt lgkmcnt(6)
	v_add3_u32 v30, v32, v30, v17
	s_waitcnt lgkmcnt(5)
	v_add3_u32 v18, v38, v36, v18
	s_waitcnt lgkmcnt(4)
	v_add3_u32 v19, v62, v40, v19
	s_waitcnt lgkmcnt(3)
	v_add3_u32 v28, v65, v63, v28
	s_waitcnt lgkmcnt(2)
	v_add3_u32 v31, v68, v66, v31
	s_waitcnt lgkmcnt(1)
	v_add3_u32 v32, v71, v69, v37
	s_waitcnt lgkmcnt(0)
	v_add3_u32 v33, v74, v33, v41
	s_barrier
	ds_write_b8 v29, v20
	ds_write_b8 v30, v21
	;; [unrolled: 1-line block ×8, first 2 shown]
	v_lshlrev_b32_e32 v20, 3, v29
	s_waitcnt lgkmcnt(0)
	s_barrier
	ds_read_b64 v[16:17], v50
	s_waitcnt lgkmcnt(0)
	s_barrier
	ds_write_b64 v20, v[12:13]
	v_lshlrev_b32_e32 v12, 3, v30
	ds_write_b64 v12, v[14:15]
	v_lshlrev_b32_e32 v12, 3, v18
	;; [unrolled: 2-line block ×8, first 2 shown]
	s_waitcnt lgkmcnt(0)
	s_barrier
	ds_read2_b64 v[18:21], v0 offset1:1
	ds_read2_b64 v[22:25], v0 offset0:2 offset1:3
	ds_read2_b64 v[26:29], v0 offset0:4 offset1:5
	;; [unrolled: 1-line block ×3, first 2 shown]
	v_lshrrev_b32_e32 v36, 8, v16
	v_lshrrev_b32_e32 v37, 8, v17
	v_xor_b32_e32 v0, 0x7f, v16
	v_xor_b32_sdwa v1, v36, s4 dst_sel:BYTE_1 dst_unused:UNUSED_PAD src0_sel:DWORD src1_sel:DWORD
	v_xor_b32_sdwa v2, v16, s4 dst_sel:DWORD dst_unused:UNUSED_PAD src0_sel:WORD_1 src1_sel:DWORD
	v_xor_b32_sdwa v3, v16, s4 dst_sel:BYTE_1 dst_unused:UNUSED_PAD src0_sel:BYTE_3 src1_sel:DWORD
	v_xor_b32_e32 v4, 0x7f, v17
	v_xor_b32_sdwa v5, v37, s4 dst_sel:BYTE_1 dst_unused:UNUSED_PAD src0_sel:DWORD src1_sel:DWORD
	v_xor_b32_sdwa v6, v17, s4 dst_sel:DWORD dst_unused:UNUSED_PAD src0_sel:WORD_1 src1_sel:DWORD
	v_xor_b32_sdwa v7, v17, s4 dst_sel:BYTE_1 dst_unused:UNUSED_PAD src0_sel:BYTE_3 src1_sel:DWORD
	v_or_b32_sdwa v0, v0, v1 dst_sel:DWORD dst_unused:UNUSED_PAD src0_sel:BYTE_0 src1_sel:DWORD
	v_or_b32_sdwa v1, v2, v3 dst_sel:WORD_1 dst_unused:UNUSED_PAD src0_sel:BYTE_0 src1_sel:DWORD
	v_or_b32_sdwa v0, v0, v1 dst_sel:DWORD dst_unused:UNUSED_PAD src0_sel:WORD_0 src1_sel:DWORD
	v_or_b32_sdwa v1, v4, v5 dst_sel:DWORD dst_unused:UNUSED_PAD src0_sel:BYTE_0 src1_sel:DWORD
	v_or_b32_sdwa v2, v6, v7 dst_sel:WORD_1 dst_unused:UNUSED_PAD src0_sel:BYTE_0 src1_sel:DWORD
	v_or_b32_sdwa v1, v1, v2 dst_sel:DWORD dst_unused:UNUSED_PAD src0_sel:WORD_0 src1_sel:DWORD
.LBB117_98:
	s_waitcnt lgkmcnt(0)
	s_barrier
	ds_write_b64 v49, v[0:1]
	s_waitcnt lgkmcnt(0)
	s_barrier
	ds_read_u8 v8, v42 offset:128
	ds_read_u8 v7, v43 offset:256
	ds_read_u8 v6, v44 offset:384
	ds_read_u8 v5, v45 offset:512
	ds_read_u8 v4, v46 offset:640
	ds_read_u8 v3, v47 offset:768
	ds_read_u8 v2, v48 offset:896
	v_pk_mov_b32 v[0:1], s[22:23], s[22:23] op_sel:[0,1]
	v_mad_u64_u32 v[0:1], s[4:5], v34, s18, v[0:1]
	v_mov_b32_e32 v10, v1
	v_mad_u64_u32 v[10:11], s[4:5], v34, s19, v[10:11]
	v_mov_b32_e32 v1, v10
	s_and_saveexec_b64 s[4:5], s[0:1]
	s_cbranch_execnz .LBB117_117
; %bb.99:
	s_or_b64 exec, exec, s[4:5]
	s_and_saveexec_b64 s[4:5], s[2:3]
	s_cbranch_execnz .LBB117_118
.LBB117_100:
	s_or_b64 exec, exec, s[4:5]
	s_and_saveexec_b64 s[4:5], s[16:17]
	s_cbranch_execnz .LBB117_119
.LBB117_101:
	s_or_b64 exec, exec, s[4:5]
	s_and_saveexec_b64 s[4:5], s[6:7]
	s_cbranch_execnz .LBB117_120
.LBB117_102:
	s_or_b64 exec, exec, s[4:5]
	s_and_saveexec_b64 s[4:5], s[8:9]
	s_cbranch_execnz .LBB117_121
.LBB117_103:
	s_or_b64 exec, exec, s[4:5]
	s_and_saveexec_b64 s[4:5], s[10:11]
	s_cbranch_execnz .LBB117_122
.LBB117_104:
	s_or_b64 exec, exec, s[4:5]
	s_and_saveexec_b64 s[4:5], s[12:13]
	s_cbranch_execnz .LBB117_123
.LBB117_105:
	s_or_b64 exec, exec, s[4:5]
	s_and_saveexec_b64 s[4:5], s[14:15]
	s_cbranch_execz .LBB117_107
.LBB117_106:
	s_waitcnt lgkmcnt(1)
	v_mov_b32_e32 v3, 0x380
	v_mad_u64_u32 v[0:1], s[22:23], s18, v3, v[0:1]
	s_mul_i32 s18, s19, 0x380
	v_add_u32_e32 v1, s18, v1
	s_waitcnt lgkmcnt(0)
	global_store_byte v[0:1], v2, off
.LBB117_107:
	s_or_b64 exec, exec, s[4:5]
	s_waitcnt lgkmcnt(0)
	s_barrier
	ds_write2_b64 v58, v[18:19], v[20:21] offset1:1
	ds_write2_b64 v58, v[22:23], v[24:25] offset0:2 offset1:3
	ds_write2_b64 v58, v[26:27], v[28:29] offset0:4 offset1:5
	;; [unrolled: 1-line block ×3, first 2 shown]
	s_waitcnt lgkmcnt(0)
	s_barrier
	ds_read_b64 v[14:15], v51 offset:1024
	ds_read_b64 v[12:13], v52 offset:2048
	;; [unrolled: 1-line block ×7, first 2 shown]
	v_mad_u64_u32 v[4:5], s[4:5], v34, s20, 0
	v_mov_b32_e32 v16, v5
	v_mad_u64_u32 v[16:17], s[4:5], v34, s21, v[16:17]
	v_mov_b32_e32 v5, v16
	v_lshlrev_b64 v[4:5], 3, v[4:5]
	v_mov_b32_e32 v16, s29
	v_add_co_u32_e32 v4, vcc, s28, v4
	v_addc_co_u32_e32 v5, vcc, v16, v5, vcc
	s_and_saveexec_b64 s[4:5], s[0:1]
	s_cbranch_execnz .LBB117_124
; %bb.108:
	s_or_b64 exec, exec, s[4:5]
	s_and_saveexec_b64 s[0:1], s[2:3]
	s_cbranch_execnz .LBB117_125
.LBB117_109:
	s_or_b64 exec, exec, s[0:1]
	s_and_saveexec_b64 s[0:1], s[16:17]
	s_cbranch_execnz .LBB117_126
.LBB117_110:
	s_or_b64 exec, exec, s[0:1]
	s_and_saveexec_b64 s[0:1], s[6:7]
	s_cbranch_execnz .LBB117_127
.LBB117_111:
	s_or_b64 exec, exec, s[0:1]
	s_and_saveexec_b64 s[0:1], s[8:9]
	s_cbranch_execnz .LBB117_128
.LBB117_112:
	s_or_b64 exec, exec, s[0:1]
	s_and_saveexec_b64 s[0:1], s[10:11]
	s_cbranch_execnz .LBB117_129
.LBB117_113:
	s_or_b64 exec, exec, s[0:1]
	s_and_saveexec_b64 s[0:1], s[12:13]
	s_cbranch_execnz .LBB117_130
.LBB117_114:
	s_or_b64 exec, exec, s[0:1]
	s_and_saveexec_b64 s[0:1], s[14:15]
	s_cbranch_execz .LBB117_116
.LBB117_115:
	s_waitcnt lgkmcnt(1)
	v_mov_b32_e32 v2, 0x1c00
	v_mad_u64_u32 v[2:3], s[0:1], s20, v2, v[4:5]
	s_mul_i32 s0, s21, 0x1c00
	v_add_u32_e32 v3, s0, v3
	s_waitcnt lgkmcnt(0)
	global_store_dwordx2 v[2:3], v[0:1], off
.LBB117_116:
	s_endpgm
.LBB117_117:
	ds_read_u8 v9, v35
	s_waitcnt lgkmcnt(0)
	global_store_byte v[0:1], v9, off
	s_or_b64 exec, exec, s[4:5]
	s_and_saveexec_b64 s[4:5], s[2:3]
	s_cbranch_execz .LBB117_100
.LBB117_118:
	s_lshl_b64 s[22:23], s[18:19], 7
	v_mov_b32_e32 v9, s23
	v_add_co_u32_e32 v10, vcc, s22, v0
	v_addc_co_u32_e32 v11, vcc, v1, v9, vcc
	s_waitcnt lgkmcnt(6)
	global_store_byte v[10:11], v8, off
	s_or_b64 exec, exec, s[4:5]
	s_and_saveexec_b64 s[4:5], s[16:17]
	s_cbranch_execz .LBB117_101
.LBB117_119:
	s_lshl_b64 s[22:23], s[18:19], 8
	v_mov_b32_e32 v9, s23
	s_waitcnt lgkmcnt(6)
	v_add_co_u32_e32 v8, vcc, s22, v0
	v_addc_co_u32_e32 v9, vcc, v1, v9, vcc
	s_waitcnt lgkmcnt(5)
	global_store_byte v[8:9], v7, off
	s_or_b64 exec, exec, s[4:5]
	s_and_saveexec_b64 s[4:5], s[6:7]
	s_cbranch_execz .LBB117_102
.LBB117_120:
	s_waitcnt lgkmcnt(5)
	v_mov_b32_e32 v7, 0x180
	v_mad_u64_u32 v[8:9], s[22:23], s18, v7, v[0:1]
	s_mul_i32 s22, s19, 0x180
	v_add_u32_e32 v9, s22, v9
	s_waitcnt lgkmcnt(4)
	global_store_byte v[8:9], v6, off
	s_or_b64 exec, exec, s[4:5]
	s_and_saveexec_b64 s[4:5], s[8:9]
	s_cbranch_execz .LBB117_103
.LBB117_121:
	s_lshl_b64 s[22:23], s[18:19], 9
	s_waitcnt lgkmcnt(5)
	v_mov_b32_e32 v7, s23
	s_waitcnt lgkmcnt(4)
	v_add_co_u32_e32 v6, vcc, s22, v0
	v_addc_co_u32_e32 v7, vcc, v1, v7, vcc
	s_waitcnt lgkmcnt(3)
	global_store_byte v[6:7], v5, off
	s_or_b64 exec, exec, s[4:5]
	s_and_saveexec_b64 s[4:5], s[10:11]
	s_cbranch_execz .LBB117_104
.LBB117_122:
	s_waitcnt lgkmcnt(3)
	v_mov_b32_e32 v5, 0x280
	v_mad_u64_u32 v[6:7], s[22:23], s18, v5, v[0:1]
	s_mul_i32 s22, s19, 0x280
	v_add_u32_e32 v7, s22, v7
	s_waitcnt lgkmcnt(2)
	global_store_byte v[6:7], v4, off
	s_or_b64 exec, exec, s[4:5]
	s_and_saveexec_b64 s[4:5], s[12:13]
	s_cbranch_execz .LBB117_105
.LBB117_123:
	s_waitcnt lgkmcnt(2)
	v_mov_b32_e32 v4, 0x300
	v_mad_u64_u32 v[4:5], s[22:23], s18, v4, v[0:1]
	s_mul_i32 s22, s19, 0x300
	v_add_u32_e32 v5, s22, v5
	s_waitcnt lgkmcnt(1)
	global_store_byte v[4:5], v3, off
	s_or_b64 exec, exec, s[4:5]
	s_and_saveexec_b64 s[4:5], s[14:15]
	s_cbranch_execnz .LBB117_106
	s_branch .LBB117_107
.LBB117_124:
	ds_read_b64 v[16:17], v39
	s_waitcnt lgkmcnt(0)
	global_store_dwordx2 v[4:5], v[16:17], off
	s_or_b64 exec, exec, s[4:5]
	s_and_saveexec_b64 s[0:1], s[2:3]
	s_cbranch_execz .LBB117_109
.LBB117_125:
	s_lshl_b64 s[2:3], s[20:21], 10
	v_mov_b32_e32 v17, s3
	v_add_co_u32_e32 v16, vcc, s2, v4
	v_addc_co_u32_e32 v17, vcc, v5, v17, vcc
	s_waitcnt lgkmcnt(6)
	global_store_dwordx2 v[16:17], v[14:15], off
	s_or_b64 exec, exec, s[0:1]
	s_and_saveexec_b64 s[0:1], s[16:17]
	s_cbranch_execz .LBB117_110
.LBB117_126:
	s_lshl_b64 s[2:3], s[20:21], 11
	s_waitcnt lgkmcnt(6)
	v_mov_b32_e32 v15, s3
	v_add_co_u32_e32 v14, vcc, s2, v4
	v_addc_co_u32_e32 v15, vcc, v5, v15, vcc
	s_waitcnt lgkmcnt(5)
	global_store_dwordx2 v[14:15], v[12:13], off
	s_or_b64 exec, exec, s[0:1]
	s_and_saveexec_b64 s[0:1], s[6:7]
	s_cbranch_execz .LBB117_111
.LBB117_127:
	s_waitcnt lgkmcnt(5)
	v_mov_b32_e32 v12, 0xc00
	v_mad_u64_u32 v[12:13], s[2:3], s20, v12, v[4:5]
	s_mul_i32 s2, s21, 0xc00
	v_add_u32_e32 v13, s2, v13
	s_waitcnt lgkmcnt(4)
	global_store_dwordx2 v[12:13], v[10:11], off
	s_or_b64 exec, exec, s[0:1]
	s_and_saveexec_b64 s[0:1], s[8:9]
	s_cbranch_execz .LBB117_112
.LBB117_128:
	s_lshl_b64 s[2:3], s[20:21], 12
	s_waitcnt lgkmcnt(4)
	v_mov_b32_e32 v11, s3
	v_add_co_u32_e32 v10, vcc, s2, v4
	v_addc_co_u32_e32 v11, vcc, v5, v11, vcc
	s_waitcnt lgkmcnt(3)
	global_store_dwordx2 v[10:11], v[8:9], off
	s_or_b64 exec, exec, s[0:1]
	s_and_saveexec_b64 s[0:1], s[10:11]
	s_cbranch_execz .LBB117_113
.LBB117_129:
	s_waitcnt lgkmcnt(3)
	v_mov_b32_e32 v8, 0x1400
	v_mad_u64_u32 v[8:9], s[2:3], s20, v8, v[4:5]
	s_mul_i32 s2, s21, 0x1400
	v_add_u32_e32 v9, s2, v9
	s_waitcnt lgkmcnt(2)
	global_store_dwordx2 v[8:9], v[6:7], off
	s_or_b64 exec, exec, s[0:1]
	s_and_saveexec_b64 s[0:1], s[12:13]
	s_cbranch_execz .LBB117_114
.LBB117_130:
	s_waitcnt lgkmcnt(2)
	v_mov_b32_e32 v6, 0x1800
	v_mad_u64_u32 v[6:7], s[2:3], s20, v6, v[4:5]
	s_mul_i32 s2, s21, 0x1800
	v_add_u32_e32 v7, s2, v7
	s_waitcnt lgkmcnt(1)
	global_store_dwordx2 v[6:7], v[2:3], off
	s_or_b64 exec, exec, s[0:1]
	s_and_saveexec_b64 s[0:1], s[14:15]
	s_cbranch_execnz .LBB117_115
	s_branch .LBB117_116
	.section	.rodata,"a",@progbits
	.p2align	6, 0x0
	.amdhsa_kernel _ZN2at6native18radixSortKVInPlaceILin1ELin1ELi128ELi8EalmEEvNS_4cuda6detail10TensorInfoIT3_T5_EES6_S6_S6_NS4_IT4_S6_EES6_b
		.amdhsa_group_segment_fixed_size 8448
		.amdhsa_private_segment_fixed_size 0
		.amdhsa_kernarg_size 1128
		.amdhsa_user_sgpr_count 6
		.amdhsa_user_sgpr_private_segment_buffer 1
		.amdhsa_user_sgpr_dispatch_ptr 0
		.amdhsa_user_sgpr_queue_ptr 0
		.amdhsa_user_sgpr_kernarg_segment_ptr 1
		.amdhsa_user_sgpr_dispatch_id 0
		.amdhsa_user_sgpr_flat_scratch_init 0
		.amdhsa_user_sgpr_kernarg_preload_length 0
		.amdhsa_user_sgpr_kernarg_preload_offset 0
		.amdhsa_user_sgpr_private_segment_size 0
		.amdhsa_uses_dynamic_stack 0
		.amdhsa_system_sgpr_private_segment_wavefront_offset 0
		.amdhsa_system_sgpr_workgroup_id_x 1
		.amdhsa_system_sgpr_workgroup_id_y 1
		.amdhsa_system_sgpr_workgroup_id_z 1
		.amdhsa_system_sgpr_workgroup_info 0
		.amdhsa_system_vgpr_workitem_id 2
		.amdhsa_next_free_vgpr 107
		.amdhsa_next_free_sgpr 52
		.amdhsa_accum_offset 108
		.amdhsa_reserve_vcc 1
		.amdhsa_reserve_flat_scratch 0
		.amdhsa_float_round_mode_32 0
		.amdhsa_float_round_mode_16_64 0
		.amdhsa_float_denorm_mode_32 3
		.amdhsa_float_denorm_mode_16_64 3
		.amdhsa_dx10_clamp 1
		.amdhsa_ieee_mode 1
		.amdhsa_fp16_overflow 0
		.amdhsa_tg_split 0
		.amdhsa_exception_fp_ieee_invalid_op 0
		.amdhsa_exception_fp_denorm_src 0
		.amdhsa_exception_fp_ieee_div_zero 0
		.amdhsa_exception_fp_ieee_overflow 0
		.amdhsa_exception_fp_ieee_underflow 0
		.amdhsa_exception_fp_ieee_inexact 0
		.amdhsa_exception_int_div_zero 0
	.end_amdhsa_kernel
	.section	.text._ZN2at6native18radixSortKVInPlaceILin1ELin1ELi128ELi8EalmEEvNS_4cuda6detail10TensorInfoIT3_T5_EES6_S6_S6_NS4_IT4_S6_EES6_b,"axG",@progbits,_ZN2at6native18radixSortKVInPlaceILin1ELin1ELi128ELi8EalmEEvNS_4cuda6detail10TensorInfoIT3_T5_EES6_S6_S6_NS4_IT4_S6_EES6_b,comdat
.Lfunc_end117:
	.size	_ZN2at6native18radixSortKVInPlaceILin1ELin1ELi128ELi8EalmEEvNS_4cuda6detail10TensorInfoIT3_T5_EES6_S6_S6_NS4_IT4_S6_EES6_b, .Lfunc_end117-_ZN2at6native18radixSortKVInPlaceILin1ELin1ELi128ELi8EalmEEvNS_4cuda6detail10TensorInfoIT3_T5_EES6_S6_S6_NS4_IT4_S6_EES6_b
                                        ; -- End function
	.section	.AMDGPU.csdata,"",@progbits
; Kernel info:
; codeLenInByte = 13652
; NumSgprs: 56
; NumVgprs: 107
; NumAgprs: 0
; TotalNumVgprs: 107
; ScratchSize: 0
; MemoryBound: 0
; FloatMode: 240
; IeeeMode: 1
; LDSByteSize: 8448 bytes/workgroup (compile time only)
; SGPRBlocks: 6
; VGPRBlocks: 13
; NumSGPRsForWavesPerEU: 56
; NumVGPRsForWavesPerEU: 107
; AccumOffset: 108
; Occupancy: 4
; WaveLimiterHint : 1
; COMPUTE_PGM_RSRC2:SCRATCH_EN: 0
; COMPUTE_PGM_RSRC2:USER_SGPR: 6
; COMPUTE_PGM_RSRC2:TRAP_HANDLER: 0
; COMPUTE_PGM_RSRC2:TGID_X_EN: 1
; COMPUTE_PGM_RSRC2:TGID_Y_EN: 1
; COMPUTE_PGM_RSRC2:TGID_Z_EN: 1
; COMPUTE_PGM_RSRC2:TIDIG_COMP_CNT: 2
; COMPUTE_PGM_RSRC3_GFX90A:ACCUM_OFFSET: 26
; COMPUTE_PGM_RSRC3_GFX90A:TG_SPLIT: 0
	.section	.text._ZN2at6native18radixSortKVInPlaceILin1ELin1ELi32ELi4EalmEEvNS_4cuda6detail10TensorInfoIT3_T5_EES6_S6_S6_NS4_IT4_S6_EES6_b,"axG",@progbits,_ZN2at6native18radixSortKVInPlaceILin1ELin1ELi32ELi4EalmEEvNS_4cuda6detail10TensorInfoIT3_T5_EES6_S6_S6_NS4_IT4_S6_EES6_b,comdat
	.protected	_ZN2at6native18radixSortKVInPlaceILin1ELin1ELi32ELi4EalmEEvNS_4cuda6detail10TensorInfoIT3_T5_EES6_S6_S6_NS4_IT4_S6_EES6_b ; -- Begin function _ZN2at6native18radixSortKVInPlaceILin1ELin1ELi32ELi4EalmEEvNS_4cuda6detail10TensorInfoIT3_T5_EES6_S6_S6_NS4_IT4_S6_EES6_b
	.globl	_ZN2at6native18radixSortKVInPlaceILin1ELin1ELi32ELi4EalmEEvNS_4cuda6detail10TensorInfoIT3_T5_EES6_S6_S6_NS4_IT4_S6_EES6_b
	.p2align	8
	.type	_ZN2at6native18radixSortKVInPlaceILin1ELin1ELi32ELi4EalmEEvNS_4cuda6detail10TensorInfoIT3_T5_EES6_S6_S6_NS4_IT4_S6_EES6_b,@function
_ZN2at6native18radixSortKVInPlaceILin1ELin1ELi32ELi4EalmEEvNS_4cuda6detail10TensorInfoIT3_T5_EES6_S6_S6_NS4_IT4_S6_EES6_b: ; @_ZN2at6native18radixSortKVInPlaceILin1ELin1ELi32ELi4EalmEEvNS_4cuda6detail10TensorInfoIT3_T5_EES6_S6_S6_NS4_IT4_S6_EES6_b
; %bb.0:
	s_load_dwordx4 s[12:15], s[4:5], 0x1a0
	s_load_dwordx2 s[0:1], s[4:5], 0x368
	s_waitcnt lgkmcnt(0)
	v_mov_b32_e32 v2, s12
	s_mul_i32 s1, s1, s8
	s_add_i32 s1, s1, s7
	s_mul_i32 s0, s1, s0
	v_mov_b32_e32 v3, s13
	s_add_i32 s6, s0, s6
	s_mov_b32 s7, 0
	v_cmp_ge_u64_e32 vcc, s[6:7], v[2:3]
	s_cbranch_vccnz .LBB118_84
; %bb.1:
	s_load_dword s0, s[4:5], 0x198
	s_load_dwordx2 s[26:27], s[4:5], 0x1b0
	s_mov_b64 s[2:3], 0
	s_mov_b64 s[10:11], s[6:7]
	s_waitcnt lgkmcnt(0)
	s_cmp_lt_i32 s0, 2
	s_cbranch_scc1 .LBB118_9
; %bb.2:
	s_mov_b32 s8, 0
	s_add_i32 s15, s0, 1
	s_add_i32 s0, s0, -1
	s_mov_b32 s1, s8
	s_lshl_b64 s[0:1], s[0:1], 3
	s_add_u32 s0, s0, s4
	s_addc_u32 s1, s1, s5
	s_add_u32 s12, s0, 8
	s_addc_u32 s13, s1, 0
	s_mov_b64 s[16:17], s[6:7]
.LBB118_3:                              ; =>This Inner Loop Header: Depth=1
	s_load_dwordx2 s[18:19], s[12:13], 0x0
	s_waitcnt lgkmcnt(0)
	s_or_b64 s[0:1], s[16:17], s[18:19]
	s_mov_b32 s9, s1
	s_cmp_lg_u64 s[8:9], 0
	s_cbranch_scc0 .LBB118_8
; %bb.4:                                ;   in Loop: Header=BB118_3 Depth=1
	v_cvt_f32_u32_e32 v1, s18
	v_cvt_f32_u32_e32 v2, s19
	s_sub_u32 s0, 0, s18
	s_subb_u32 s1, 0, s19
	v_mac_f32_e32 v1, 0x4f800000, v2
	v_rcp_f32_e32 v1, v1
	v_mul_f32_e32 v1, 0x5f7ffffc, v1
	v_mul_f32_e32 v2, 0x2f800000, v1
	v_trunc_f32_e32 v2, v2
	v_mac_f32_e32 v1, 0xcf800000, v2
	v_cvt_u32_f32_e32 v2, v2
	v_cvt_u32_f32_e32 v1, v1
	v_readfirstlane_b32 s9, v2
	v_readfirstlane_b32 s10, v1
	s_mul_i32 s11, s0, s9
	s_mul_hi_u32 s21, s0, s10
	s_mul_i32 s20, s1, s10
	s_add_i32 s11, s21, s11
	s_mul_i32 s22, s0, s10
	s_add_i32 s11, s11, s20
	s_mul_hi_u32 s20, s10, s11
	s_mul_i32 s21, s10, s11
	s_mul_hi_u32 s10, s10, s22
	s_add_u32 s10, s10, s21
	s_addc_u32 s20, 0, s20
	s_mul_hi_u32 s23, s9, s22
	s_mul_i32 s22, s9, s22
	s_add_u32 s10, s10, s22
	s_mul_hi_u32 s21, s9, s11
	s_addc_u32 s10, s20, s23
	s_addc_u32 s20, s21, 0
	s_mul_i32 s11, s9, s11
	s_add_u32 s10, s10, s11
	s_addc_u32 s11, 0, s20
	v_add_co_u32_e32 v1, vcc, s10, v1
	s_cmp_lg_u64 vcc, 0
	s_addc_u32 s9, s9, s11
	v_readfirstlane_b32 s11, v1
	s_mul_i32 s10, s0, s9
	s_mul_hi_u32 s20, s0, s11
	s_add_i32 s10, s20, s10
	s_mul_i32 s1, s1, s11
	s_add_i32 s10, s10, s1
	s_mul_i32 s0, s0, s11
	s_mul_hi_u32 s20, s9, s0
	s_mul_i32 s21, s9, s0
	s_mul_i32 s23, s11, s10
	s_mul_hi_u32 s0, s11, s0
	s_mul_hi_u32 s22, s11, s10
	s_add_u32 s0, s0, s23
	s_addc_u32 s11, 0, s22
	s_add_u32 s0, s0, s21
	s_mul_hi_u32 s1, s9, s10
	s_addc_u32 s0, s11, s20
	s_addc_u32 s1, s1, 0
	s_mul_i32 s10, s9, s10
	s_add_u32 s0, s0, s10
	s_addc_u32 s1, 0, s1
	v_add_co_u32_e32 v1, vcc, s0, v1
	s_cmp_lg_u64 vcc, 0
	s_addc_u32 s0, s9, s1
	v_readfirstlane_b32 s10, v1
	s_mul_i32 s9, s16, s0
	s_mul_hi_u32 s11, s16, s10
	s_mul_hi_u32 s1, s16, s0
	s_add_u32 s9, s11, s9
	s_addc_u32 s1, 0, s1
	s_mul_hi_u32 s20, s17, s10
	s_mul_i32 s10, s17, s10
	s_add_u32 s9, s9, s10
	s_mul_hi_u32 s11, s17, s0
	s_addc_u32 s1, s1, s20
	s_addc_u32 s9, s11, 0
	s_mul_i32 s0, s17, s0
	s_add_u32 s10, s1, s0
	s_addc_u32 s9, 0, s9
	s_mul_i32 s0, s18, s9
	s_mul_hi_u32 s1, s18, s10
	s_add_i32 s0, s1, s0
	s_mul_i32 s1, s19, s10
	s_add_i32 s11, s0, s1
	s_mul_i32 s1, s18, s10
	v_mov_b32_e32 v1, s1
	s_sub_i32 s0, s17, s11
	v_sub_co_u32_e32 v1, vcc, s16, v1
	s_cmp_lg_u64 vcc, 0
	s_subb_u32 s20, s0, s19
	v_subrev_co_u32_e64 v2, s[0:1], s18, v1
	s_cmp_lg_u64 s[0:1], 0
	s_subb_u32 s0, s20, 0
	s_cmp_ge_u32 s0, s19
	v_readfirstlane_b32 s20, v2
	s_cselect_b32 s1, -1, 0
	s_cmp_ge_u32 s20, s18
	s_cselect_b32 s20, -1, 0
	s_cmp_eq_u32 s0, s19
	s_cselect_b32 s0, s20, s1
	s_add_u32 s1, s10, 1
	s_addc_u32 s20, s9, 0
	s_add_u32 s21, s10, 2
	s_addc_u32 s22, s9, 0
	s_cmp_lg_u32 s0, 0
	s_cselect_b32 s0, s21, s1
	s_cselect_b32 s1, s22, s20
	s_cmp_lg_u64 vcc, 0
	s_subb_u32 s11, s17, s11
	s_cmp_ge_u32 s11, s19
	v_readfirstlane_b32 s21, v1
	s_cselect_b32 s20, -1, 0
	s_cmp_ge_u32 s21, s18
	s_cselect_b32 s21, -1, 0
	s_cmp_eq_u32 s11, s19
	s_cselect_b32 s11, s21, s20
	s_cmp_lg_u32 s11, 0
	s_cselect_b32 s11, s1, s9
	s_cselect_b32 s10, s0, s10
	s_cbranch_execnz .LBB118_6
.LBB118_5:                              ;   in Loop: Header=BB118_3 Depth=1
	v_cvt_f32_u32_e32 v1, s18
	s_sub_i32 s0, 0, s18
	s_mov_b32 s11, s8
	v_rcp_iflag_f32_e32 v1, v1
	v_mul_f32_e32 v1, 0x4f7ffffe, v1
	v_cvt_u32_f32_e32 v1, v1
	v_readfirstlane_b32 s1, v1
	s_mul_i32 s0, s0, s1
	s_mul_hi_u32 s0, s1, s0
	s_add_i32 s1, s1, s0
	s_mul_hi_u32 s0, s16, s1
	s_mul_i32 s9, s0, s18
	s_sub_i32 s9, s16, s9
	s_add_i32 s1, s0, 1
	s_sub_i32 s10, s9, s18
	s_cmp_ge_u32 s9, s18
	s_cselect_b32 s0, s1, s0
	s_cselect_b32 s9, s10, s9
	s_add_i32 s1, s0, 1
	s_cmp_ge_u32 s9, s18
	s_cselect_b32 s10, s1, s0
.LBB118_6:                              ;   in Loop: Header=BB118_3 Depth=1
	s_mul_i32 s0, s10, s19
	s_mul_hi_u32 s1, s10, s18
	s_add_i32 s9, s1, s0
	s_load_dwordx2 s[0:1], s[12:13], 0xc8
	s_mul_i32 s19, s11, s18
	s_add_i32 s9, s9, s19
	s_mul_i32 s18, s10, s18
	s_sub_u32 s16, s16, s18
	s_subb_u32 s9, s17, s9
	s_waitcnt lgkmcnt(0)
	s_mul_i32 s9, s0, s9
	s_mul_hi_u32 s17, s0, s16
	s_add_i32 s9, s17, s9
	s_mul_i32 s1, s1, s16
	s_add_i32 s9, s9, s1
	s_mul_i32 s0, s0, s16
	s_add_u32 s2, s0, s2
	s_addc_u32 s3, s9, s3
	s_add_i32 s15, s15, -1
	s_add_u32 s12, s12, -8
	s_addc_u32 s13, s13, -1
	s_cmp_gt_u32 s15, 2
	s_cbranch_scc0 .LBB118_9
; %bb.7:                                ;   in Loop: Header=BB118_3 Depth=1
	s_mov_b64 s[16:17], s[10:11]
	s_branch .LBB118_3
.LBB118_8:                              ;   in Loop: Header=BB118_3 Depth=1
                                        ; implicit-def: $sgpr10_sgpr11
	s_branch .LBB118_5
.LBB118_9:
	s_load_dword s0, s[4:5], 0x350
	s_load_dwordx2 s[12:13], s[4:5], 0xd0
	s_mov_b64 s[8:9], 0
	s_waitcnt lgkmcnt(0)
	s_cmp_lt_i32 s0, 2
	s_cbranch_scc1 .LBB118_17
; %bb.10:
	s_mov_b32 s16, 0
	s_add_i32 s15, s0, 1
	s_add_i32 s0, s0, -1
	s_mov_b32 s1, s16
	s_lshl_b64 s[0:1], s[0:1], 3
	s_add_u32 s0, s0, s4
	s_addc_u32 s1, s1, s5
	s_add_u32 s18, s0, 0x1c0
	s_addc_u32 s19, s1, 0
.LBB118_11:                             ; =>This Inner Loop Header: Depth=1
	s_load_dwordx2 s[22:23], s[18:19], 0x0
	s_waitcnt lgkmcnt(0)
	s_or_b64 s[0:1], s[6:7], s[22:23]
	s_mov_b32 s17, s1
	s_cmp_lg_u64 s[16:17], 0
	s_cbranch_scc0 .LBB118_16
; %bb.12:                               ;   in Loop: Header=BB118_11 Depth=1
	v_cvt_f32_u32_e32 v1, s22
	v_cvt_f32_u32_e32 v2, s23
	s_sub_u32 s0, 0, s22
	s_subb_u32 s1, 0, s23
	v_mac_f32_e32 v1, 0x4f800000, v2
	v_rcp_f32_e32 v1, v1
	v_mul_f32_e32 v1, 0x5f7ffffc, v1
	v_mul_f32_e32 v2, 0x2f800000, v1
	v_trunc_f32_e32 v2, v2
	v_mac_f32_e32 v1, 0xcf800000, v2
	v_cvt_u32_f32_e32 v2, v2
	v_cvt_u32_f32_e32 v1, v1
	v_readfirstlane_b32 s17, v2
	v_readfirstlane_b32 s20, v1
	s_mul_i32 s21, s0, s17
	s_mul_hi_u32 s25, s0, s20
	s_mul_i32 s24, s1, s20
	s_add_i32 s21, s25, s21
	s_mul_i32 s28, s0, s20
	s_add_i32 s21, s21, s24
	s_mul_hi_u32 s24, s20, s21
	s_mul_i32 s25, s20, s21
	s_mul_hi_u32 s20, s20, s28
	s_add_u32 s20, s20, s25
	s_addc_u32 s24, 0, s24
	s_mul_hi_u32 s29, s17, s28
	s_mul_i32 s28, s17, s28
	s_add_u32 s20, s20, s28
	s_mul_hi_u32 s25, s17, s21
	s_addc_u32 s20, s24, s29
	s_addc_u32 s24, s25, 0
	s_mul_i32 s21, s17, s21
	s_add_u32 s20, s20, s21
	s_addc_u32 s21, 0, s24
	v_add_co_u32_e32 v1, vcc, s20, v1
	s_cmp_lg_u64 vcc, 0
	s_addc_u32 s17, s17, s21
	v_readfirstlane_b32 s21, v1
	s_mul_i32 s20, s0, s17
	s_mul_hi_u32 s24, s0, s21
	s_add_i32 s20, s24, s20
	s_mul_i32 s1, s1, s21
	s_add_i32 s20, s20, s1
	s_mul_i32 s0, s0, s21
	s_mul_hi_u32 s24, s17, s0
	s_mul_i32 s25, s17, s0
	s_mul_i32 s29, s21, s20
	s_mul_hi_u32 s0, s21, s0
	s_mul_hi_u32 s28, s21, s20
	s_add_u32 s0, s0, s29
	s_addc_u32 s21, 0, s28
	s_add_u32 s0, s0, s25
	s_mul_hi_u32 s1, s17, s20
	s_addc_u32 s0, s21, s24
	s_addc_u32 s1, s1, 0
	s_mul_i32 s20, s17, s20
	s_add_u32 s0, s0, s20
	s_addc_u32 s1, 0, s1
	v_add_co_u32_e32 v1, vcc, s0, v1
	s_cmp_lg_u64 vcc, 0
	s_addc_u32 s0, s17, s1
	v_readfirstlane_b32 s20, v1
	s_mul_i32 s17, s6, s0
	s_mul_hi_u32 s21, s6, s20
	s_mul_hi_u32 s1, s6, s0
	s_add_u32 s17, s21, s17
	s_addc_u32 s1, 0, s1
	s_mul_hi_u32 s24, s7, s20
	s_mul_i32 s20, s7, s20
	s_add_u32 s17, s17, s20
	s_mul_hi_u32 s21, s7, s0
	s_addc_u32 s1, s1, s24
	s_addc_u32 s17, s21, 0
	s_mul_i32 s0, s7, s0
	s_add_u32 s20, s1, s0
	s_addc_u32 s17, 0, s17
	s_mul_i32 s0, s22, s17
	s_mul_hi_u32 s1, s22, s20
	s_add_i32 s0, s1, s0
	s_mul_i32 s1, s23, s20
	s_add_i32 s21, s0, s1
	s_mul_i32 s1, s22, s20
	v_mov_b32_e32 v1, s1
	s_sub_i32 s0, s7, s21
	v_sub_co_u32_e32 v1, vcc, s6, v1
	s_cmp_lg_u64 vcc, 0
	s_subb_u32 s24, s0, s23
	v_subrev_co_u32_e64 v2, s[0:1], s22, v1
	s_cmp_lg_u64 s[0:1], 0
	s_subb_u32 s0, s24, 0
	s_cmp_ge_u32 s0, s23
	v_readfirstlane_b32 s24, v2
	s_cselect_b32 s1, -1, 0
	s_cmp_ge_u32 s24, s22
	s_cselect_b32 s24, -1, 0
	s_cmp_eq_u32 s0, s23
	s_cselect_b32 s0, s24, s1
	s_add_u32 s1, s20, 1
	s_addc_u32 s24, s17, 0
	s_add_u32 s25, s20, 2
	s_addc_u32 s28, s17, 0
	s_cmp_lg_u32 s0, 0
	s_cselect_b32 s0, s25, s1
	s_cselect_b32 s1, s28, s24
	s_cmp_lg_u64 vcc, 0
	s_subb_u32 s21, s7, s21
	s_cmp_ge_u32 s21, s23
	v_readfirstlane_b32 s25, v1
	s_cselect_b32 s24, -1, 0
	s_cmp_ge_u32 s25, s22
	s_cselect_b32 s25, -1, 0
	s_cmp_eq_u32 s21, s23
	s_cselect_b32 s21, s25, s24
	s_cmp_lg_u32 s21, 0
	s_cselect_b32 s21, s1, s17
	s_cselect_b32 s20, s0, s20
	s_cbranch_execnz .LBB118_14
.LBB118_13:                             ;   in Loop: Header=BB118_11 Depth=1
	v_cvt_f32_u32_e32 v1, s22
	s_sub_i32 s0, 0, s22
	s_mov_b32 s21, s16
	v_rcp_iflag_f32_e32 v1, v1
	v_mul_f32_e32 v1, 0x4f7ffffe, v1
	v_cvt_u32_f32_e32 v1, v1
	v_readfirstlane_b32 s1, v1
	s_mul_i32 s0, s0, s1
	s_mul_hi_u32 s0, s1, s0
	s_add_i32 s1, s1, s0
	s_mul_hi_u32 s0, s6, s1
	s_mul_i32 s17, s0, s22
	s_sub_i32 s17, s6, s17
	s_add_i32 s1, s0, 1
	s_sub_i32 s20, s17, s22
	s_cmp_ge_u32 s17, s22
	s_cselect_b32 s0, s1, s0
	s_cselect_b32 s17, s20, s17
	s_add_i32 s1, s0, 1
	s_cmp_ge_u32 s17, s22
	s_cselect_b32 s20, s1, s0
.LBB118_14:                             ;   in Loop: Header=BB118_11 Depth=1
	s_mul_i32 s0, s20, s23
	s_mul_hi_u32 s1, s20, s22
	s_add_i32 s17, s1, s0
	s_load_dwordx2 s[0:1], s[18:19], 0xc8
	s_mul_i32 s23, s21, s22
	s_add_i32 s17, s17, s23
	s_mul_i32 s22, s20, s22
	s_sub_u32 s6, s6, s22
	s_subb_u32 s7, s7, s17
	s_waitcnt lgkmcnt(0)
	s_mul_i32 s7, s0, s7
	s_mul_hi_u32 s17, s0, s6
	s_add_i32 s7, s17, s7
	s_mul_i32 s1, s1, s6
	s_add_i32 s7, s7, s1
	s_mul_i32 s0, s0, s6
	s_add_u32 s8, s0, s8
	s_addc_u32 s9, s7, s9
	s_add_i32 s15, s15, -1
	s_add_u32 s18, s18, -8
	s_addc_u32 s19, s19, -1
	s_cmp_gt_u32 s15, 2
	s_cbranch_scc0 .LBB118_18
; %bb.15:                               ;   in Loop: Header=BB118_11 Depth=1
	s_mov_b64 s[6:7], s[20:21]
	s_branch .LBB118_11
.LBB118_16:                             ;   in Loop: Header=BB118_11 Depth=1
                                        ; implicit-def: $sgpr20_sgpr21
	s_branch .LBB118_13
.LBB118_17:
	s_mov_b64 s[20:21], s[6:7]
.LBB118_18:
	s_load_dword s6, s[4:5], 0x360
	s_mul_i32 s0, s12, s11
	s_mul_hi_u32 s1, s12, s10
	s_add_i32 s0, s1, s0
	s_mul_i32 s1, s13, s10
	s_add_i32 s13, s0, s1
	s_load_dwordx2 s[0:1], s[4:5], 0x0
	s_waitcnt lgkmcnt(0)
	s_bitcmp1_b32 s6, 0
	s_mul_i32 s12, s12, s10
	s_cselect_b64 s[10:11], -1, 0
	s_movk_i32 s15, 0x80
	s_and_b64 s[6:7], s[10:11], exec
	s_cselect_b32 s6, s15, 0x7f
	s_add_u32 s0, s0, s12
	v_lshlrev_b16_e64 v1, 8, s6
	s_addc_u32 s1, s1, s13
	v_or_b32_e32 v1, s6, v1
	s_add_u32 s28, s0, s2
	v_lshlrev_b32_e32 v2, 16, v1
	s_addc_u32 s29, s1, s3
	v_mov_b32_e32 v3, s6
	v_or_b32_sdwa v2, v1, v2 dst_sel:DWORD dst_unused:UNUSED_PAD src0_sel:WORD_0 src1_sel:DWORD
	v_cmp_gt_u32_e64 s[0:1], s14, v0
	s_and_saveexec_b64 s[2:3], s[0:1]
	s_cbranch_execz .LBB118_20
; %bb.19:
	v_pk_mov_b32 v[4:5], s[28:29], s[28:29] op_sel:[0,1]
	v_mad_u64_u32 v[4:5], s[6:7], v0, s26, v[4:5]
	v_mov_b32_e32 v6, v5
	v_mad_u64_u32 v[6:7], s[6:7], v0, s27, v[6:7]
	v_mov_b32_e32 v5, v6
	global_load_ubyte v3, v[4:5], off
	s_mov_b32 s6, 0x3020104
	s_waitcnt vmcnt(0)
	v_perm_b32 v2, v3, v2, s6
.LBB118_20:
	s_or_b64 exec, exec, s[2:3]
	v_or_b32_e32 v1, 32, v0
	v_cmp_gt_u32_e64 s[2:3], s14, v1
	s_and_saveexec_b64 s[6:7], s[2:3]
	s_cbranch_execz .LBB118_22
; %bb.21:
	v_pk_mov_b32 v[4:5], s[28:29], s[28:29] op_sel:[0,1]
	v_mad_u64_u32 v[4:5], s[12:13], v1, s26, v[4:5]
	v_mov_b32_e32 v6, v5
	v_mad_u64_u32 v[6:7], s[12:13], v1, s27, v[6:7]
	v_mov_b32_e32 v5, v6
	global_load_ubyte v4, v[4:5], off
	s_mov_b32 s12, 0x7060004
	s_waitcnt vmcnt(0)
	v_perm_b32 v2, v2, v4, s12
.LBB118_22:
	s_or_b64 exec, exec, s[6:7]
	s_load_dwordx2 s[16:17], s[4:5], 0x288
	s_load_dwordx2 s[12:13], s[4:5], 0x1b8
	v_or_b32_e32 v10, 64, v0
	v_cmp_gt_u32_e64 s[24:25], s14, v10
	s_and_saveexec_b64 s[6:7], s[24:25]
	s_cbranch_execz .LBB118_24
; %bb.23:
	v_pk_mov_b32 v[4:5], s[28:29], s[28:29] op_sel:[0,1]
	v_mad_u64_u32 v[4:5], s[18:19], v10, s26, v[4:5]
	v_mov_b32_e32 v6, v5
	v_mad_u64_u32 v[6:7], s[18:19], v10, s27, v[6:7]
	v_mov_b32_e32 v5, v6
	global_load_ubyte v4, v[4:5], off
	s_mov_b32 s15, 0x7000504
	s_waitcnt vmcnt(0)
	v_perm_b32 v2, v2, v4, s15
.LBB118_24:
	s_or_b64 exec, exec, s[6:7]
	v_or_b32_e32 v11, 0x60, v0
	v_cmp_gt_u32_e64 s[6:7], s14, v11
	s_and_saveexec_b64 s[14:15], s[6:7]
	s_cbranch_execz .LBB118_26
; %bb.25:
	v_pk_mov_b32 v[4:5], s[28:29], s[28:29] op_sel:[0,1]
	v_mad_u64_u32 v[4:5], s[18:19], v11, s26, v[4:5]
	v_mov_b32_e32 v6, v5
	v_mad_u64_u32 v[6:7], s[18:19], v11, s27, v[6:7]
	v_mov_b32_e32 v5, v6
	global_load_ubyte v4, v[4:5], off
	s_mov_b32 s18, 0x60504
	s_waitcnt vmcnt(0)
	v_perm_b32 v2, v2, v4, s18
.LBB118_26:
	s_or_b64 exec, exec, s[14:15]
	s_waitcnt lgkmcnt(0)
	s_mul_i32 s14, s16, s21
	s_mul_hi_u32 s15, s16, s20
	s_add_i32 s14, s15, s14
	s_mul_i32 s15, s17, s20
	ds_write_b8 v0, v3
	v_lshrrev_b32_e32 v3, 8, v2
	s_add_i32 s15, s14, s15
	s_mul_i32 s14, s16, s20
	ds_write_b8 v0, v3 offset:32
	ds_write_b8_d16_hi v0, v2 offset:64
	v_lshrrev_b32_e32 v2, 24, v2
	v_lshlrev_b32_e32 v26, 2, v0
	s_lshl_b64 s[14:15], s[14:15], 3
	ds_write_b8 v0, v2 offset:96
	s_waitcnt lgkmcnt(0)
	; wave barrier
	s_waitcnt lgkmcnt(0)
	ds_read_u8 v38, v26
	ds_read_u8 v37, v26 offset:1
	ds_read_u8 v36, v26 offset:2
	;; [unrolled: 1-line block ×3, first 2 shown]
	s_add_u32 s12, s12, s14
	s_addc_u32 s13, s13, s15
	s_lshl_b64 s[8:9], s[8:9], 3
	s_load_dwordx2 s[4:5], s[4:5], 0x358
	s_add_u32 s33, s12, s8
	s_mov_b32 s12, 0
	s_addc_u32 s40, s13, s9
	s_mov_b32 s13, s12
	s_mov_b32 s14, s12
	;; [unrolled: 1-line block ×7, first 2 shown]
	v_pk_mov_b32 v[2:3], s[12:13], s[12:13] op_sel:[0,1]
	v_pk_mov_b32 v[4:5], s[14:15], s[14:15] op_sel:[0,1]
	;; [unrolled: 1-line block ×4, first 2 shown]
	v_pk_mov_b32 v[2:3], 0, 0
	s_waitcnt lgkmcnt(0)
	; wave barrier
	s_waitcnt lgkmcnt(0)
	s_and_saveexec_b64 s[8:9], s[0:1]
	s_cbranch_execnz .LBB118_40
; %bb.27:
	s_or_b64 exec, exec, s[8:9]
	s_and_saveexec_b64 s[8:9], s[2:3]
	s_cbranch_execnz .LBB118_41
.LBB118_28:
	s_or_b64 exec, exec, s[8:9]
	s_and_saveexec_b64 s[8:9], s[24:25]
	s_cbranch_execz .LBB118_30
.LBB118_29:
	v_mad_u64_u32 v[6:7], s[12:13], v10, s4, 0
	v_mov_b32_e32 v12, v7
	v_mad_u64_u32 v[12:13], s[12:13], v10, s5, v[12:13]
	v_mov_b32_e32 v7, v12
	v_lshlrev_b64 v[6:7], 3, v[6:7]
	v_mov_b32_e32 v12, s40
	v_add_co_u32_e32 v6, vcc, s33, v6
	v_addc_co_u32_e32 v7, vcc, v12, v7, vcc
	global_load_dwordx2 v[6:7], v[6:7], off
.LBB118_30:
	s_or_b64 exec, exec, s[8:9]
	s_xor_b64 s[30:31], s[10:11], -1
	v_lshrrev_b32_e32 v14, 5, v1
	v_lshrrev_b32_e32 v13, 5, v10
	;; [unrolled: 1-line block ×4, first 2 shown]
	s_and_saveexec_b64 s[8:9], s[6:7]
	s_cbranch_execz .LBB118_32
; %bb.31:
	v_mad_u64_u32 v[8:9], s[10:11], v11, s4, 0
	v_mov_b32_e32 v16, v9
	v_mad_u64_u32 v[16:17], s[10:11], v11, s5, v[16:17]
	v_mov_b32_e32 v9, v16
	v_lshlrev_b64 v[8:9], 3, v[8:9]
	v_mov_b32_e32 v11, s40
	v_add_co_u32_e32 v8, vcc, s33, v8
	v_addc_co_u32_e32 v9, vcc, v11, v9, vcc
	global_load_dwordx2 v[8:9], v[8:9], off
.LBB118_32:
	s_or_b64 exec, exec, s[8:9]
	v_add_lshl_u32 v31, v10, v26, 3
	v_mbcnt_lo_u32_b32 v10, -1, 0
	s_getpc_b64 s[8:9]
	s_add_u32 s8, s8, _ZN7rocprim17ROCPRIM_400000_NS16block_radix_sortIaLj32ELj4ElLj1ELj1ELj0ELNS0_26block_radix_rank_algorithmE1ELNS0_18block_padding_hintE2ELNS0_4arch9wavefront6targetE1EE19radix_bits_per_passE@rel32@lo+4
	s_addc_u32 s9, s9, _ZN7rocprim17ROCPRIM_400000_NS16block_radix_sortIaLj32ELj4ElLj1ELj1ELj0ELNS0_26block_radix_rank_algorithmE1ELNS0_18block_padding_hintE2ELNS0_4arch9wavefront6targetE1EE19radix_bits_per_passE@rel32@hi+12
	v_mbcnt_hi_u32_b32 v10, -1, v10
	v_lshlrev_b32_e32 v27, 3, v0
	v_add_lshl_u32 v28, v14, v0, 3
	v_add_lshl_u32 v29, v13, v0, 3
	;; [unrolled: 1-line block ×3, first 2 shown]
	s_load_dword s41, s[8:9], 0x0
	v_and_b32_e32 v11, 15, v10
	s_waitcnt vmcnt(0)
	ds_write_b64 v27, v[2:3]
	ds_write_b64 v28, v[4:5] offset:256
	ds_write_b64 v29, v[6:7] offset:512
	;; [unrolled: 1-line block ×3, first 2 shown]
	s_waitcnt lgkmcnt(0)
	; wave barrier
	s_waitcnt lgkmcnt(0)
	ds_read2_b64 v[2:5], v31 offset1:1
	ds_read2_b64 v[6:9], v31 offset0:2 offset1:3
	v_cmp_eq_u32_e64 s[20:21], 0, v11
	v_cmp_lt_u32_e64 s[18:19], 1, v11
	v_cmp_lt_u32_e64 s[16:17], 3, v11
	;; [unrolled: 1-line block ×3, first 2 shown]
	v_and_b32_e32 v11, 16, v10
	v_cmp_eq_u32_e64 s[12:13], 0, v11
	v_add_u32_e32 v11, -1, v10
	v_and_b32_e32 v12, 0x60, v10
	v_cmp_lt_i32_e32 vcc, v11, v12
	s_movk_i32 s8, 0x100
	v_cndmask_b32_e32 v11, v11, v10, vcc
	v_cmp_gt_u32_e64 s[22:23], s8, v0
	v_lshlrev_b32_e32 v33, 5, v0
	v_cmp_eq_u32_e64 s[10:11], 31, v0
	v_lshlrev_b32_e32 v34, 2, v11
	v_cmp_eq_u32_e64 s[8:9], 0, v10
	v_lshlrev_b32_e32 v32, 3, v26
	s_min_u32 s42, s41, 8
	s_and_b64 vcc, exec, s[30:31]
	s_waitcnt lgkmcnt(0)
	; wave barrier
	s_waitcnt lgkmcnt(0)
	s_cbranch_vccz .LBB118_42
; %bb.33:
	s_and_saveexec_b64 s[30:31], s[22:23]
	s_cbranch_execz .LBB118_43
; %bb.34:
	s_mov_b32 s43, 0
	s_mov_b64 s[34:35], 0
	v_mov_b32_e32 v12, 0
	v_pk_mov_b32 v[10:11], v[0:1], v[0:1] op_sel:[0,1]
	s_branch .LBB118_36
.LBB118_35:                             ;   in Loop: Header=BB118_36 Depth=1
	s_or_b64 exec, exec, s[38:39]
	s_add_i32 s43, s43, 2
	v_cmp_eq_u32_e64 s[36:37], 8, s43
	v_add_u32_e32 v11, 64, v11
	s_or_b64 s[34:35], s[36:37], s[34:35]
	v_add_u32_e32 v10, 64, v10
	s_andn2_b64 exec, exec, s[34:35]
	s_cbranch_execz .LBB118_43
.LBB118_36:                             ; =>This Inner Loop Header: Depth=1
	s_or_b32 s36, s43, 1
	v_cmp_le_u32_e64 s[36:37], s36, 7
	v_cmp_le_u32_e64 s[44:45], s43, 7
	s_and_saveexec_b64 s[38:39], s[44:45]
	s_cbranch_execz .LBB118_38
; %bb.37:                               ;   in Loop: Header=BB118_36 Depth=1
	v_lshlrev_b32_e32 v13, 2, v10
	ds_write_b32 v13, v12
.LBB118_38:                             ;   in Loop: Header=BB118_36 Depth=1
	s_or_b64 exec, exec, s[38:39]
	s_and_saveexec_b64 s[38:39], s[36:37]
	s_cbranch_execz .LBB118_35
; %bb.39:                               ;   in Loop: Header=BB118_36 Depth=1
	v_lshlrev_b32_e32 v13, 2, v11
	ds_write_b32 v13, v12
	s_branch .LBB118_35
.LBB118_40:
	v_mad_u64_u32 v[2:3], s[12:13], v0, s4, 0
	v_mov_b32_e32 v4, v3
	v_mad_u64_u32 v[4:5], s[12:13], v0, s5, v[4:5]
	v_mov_b32_e32 v3, v4
	v_lshlrev_b64 v[2:3], 3, v[2:3]
	v_mov_b32_e32 v4, s40
	v_add_co_u32_e32 v2, vcc, s33, v2
	v_addc_co_u32_e32 v3, vcc, v4, v3, vcc
	global_load_dwordx2 v[2:3], v[2:3], off
	v_mov_b32_e32 v4, 0
	v_mov_b32_e32 v5, v4
	v_mov_b32_e32 v6, v4
	v_mov_b32_e32 v7, v4
	v_mov_b32_e32 v8, v4
	v_mov_b32_e32 v9, v4
	s_or_b64 exec, exec, s[8:9]
	s_and_saveexec_b64 s[8:9], s[2:3]
	s_cbranch_execz .LBB118_28
.LBB118_41:
	v_mad_u64_u32 v[4:5], s[12:13], v1, s4, 0
	v_mov_b32_e32 v12, v5
	v_mad_u64_u32 v[12:13], s[12:13], v1, s5, v[12:13]
	v_mov_b32_e32 v5, v12
	v_lshlrev_b64 v[4:5], 3, v[4:5]
	v_mov_b32_e32 v12, s40
	v_add_co_u32_e32 v4, vcc, s33, v4
	v_addc_co_u32_e32 v5, vcc, v12, v5, vcc
	global_load_dwordx2 v[4:5], v[4:5], off
	s_or_b64 exec, exec, s[8:9]
	s_and_saveexec_b64 s[8:9], s[24:25]
	s_cbranch_execnz .LBB118_29
	s_branch .LBB118_30
.LBB118_42:
                                        ; implicit-def: $vgpr16_vgpr17
                                        ; implicit-def: $vgpr12_vgpr13
                                        ; implicit-def: $vgpr18
	s_cbranch_execnz .LBB118_55
	s_branch .LBB118_74
.LBB118_43:
	s_or_b64 exec, exec, s[30:31]
	s_lshl_b32 s30, -1, s42
	v_xor_b32_e32 v18, 0xffffff80, v38
	s_not_b32 s30, s30
	v_and_b32_e32 v10, s30, v18
	v_bfe_u32 v11, v10, 3, 5
	v_lshlrev_b32_e32 v10, 5, v10
	s_movk_i32 s31, 0xe0
	v_and_or_b32 v10, v10, s31, v0
	v_lshlrev_b32_e32 v10, 1, v10
	v_add_lshl_u32 v23, v10, v11, 1
	ds_read_u16 v21, v23
	v_xor_b32_e32 v19, 0xffffff80, v37
	v_xor_b32_e32 v22, 0xffffff80, v36
	;; [unrolled: 1-line block ×3, first 2 shown]
	s_waitcnt lgkmcnt(0)
	v_add_u16_e32 v10, 1, v21
	ds_write_b16 v23, v10
	v_and_b32_e32 v10, s30, v19
	v_bfe_u32 v11, v10, 3, 5
	v_lshlrev_b32_e32 v10, 5, v10
	v_and_or_b32 v10, v10, s31, v0
	v_lshlrev_b32_e32 v10, 1, v10
	v_add_lshl_u32 v39, v10, v11, 1
	ds_read_u16 v24, v39
	s_waitcnt lgkmcnt(0)
	v_add_u16_e32 v10, 1, v24
	ds_write_b16 v39, v10
	v_and_b32_e32 v10, s30, v22
	v_bfe_u32 v11, v10, 3, 5
	v_lshlrev_b32_e32 v10, 5, v10
	v_and_or_b32 v10, v10, s31, v0
	v_lshlrev_b32_e32 v10, 1, v10
	v_add_lshl_u32 v41, v10, v11, 1
	ds_read_u16 v40, v41
	;; [unrolled: 10-line block ×3, first 2 shown]
	s_waitcnt lgkmcnt(0)
	v_add_u16_e32 v10, 1, v42
	ds_write_b16 v43, v10
	s_waitcnt lgkmcnt(0)
	; wave barrier
	s_waitcnt lgkmcnt(0)
	ds_read2_b32 v[16:17], v33 offset1:1
	ds_read2_b32 v[14:15], v33 offset0:2 offset1:3
	ds_read2_b32 v[10:11], v33 offset0:4 offset1:5
	;; [unrolled: 1-line block ×3, first 2 shown]
	s_waitcnt lgkmcnt(3)
	v_add_u32_e32 v20, v17, v16
	s_waitcnt lgkmcnt(2)
	v_add3_u32 v20, v20, v14, v15
	s_waitcnt lgkmcnt(1)
	v_add3_u32 v20, v20, v10, v11
	;; [unrolled: 2-line block ×3, first 2 shown]
	s_nop 1
	v_mov_b32_dpp v20, v13 row_shr:1 row_mask:0xf bank_mask:0xf
	v_cndmask_b32_e64 v20, v20, 0, s[20:21]
	v_add_u32_e32 v13, v20, v13
	s_nop 1
	v_mov_b32_dpp v20, v13 row_shr:2 row_mask:0xf bank_mask:0xf
	v_cndmask_b32_e64 v20, 0, v20, s[18:19]
	v_add_u32_e32 v13, v13, v20
	;; [unrolled: 4-line block ×4, first 2 shown]
	s_nop 1
	v_mov_b32_dpp v20, v13 row_bcast:15 row_mask:0xf bank_mask:0xf
	v_cndmask_b32_e64 v20, v20, 0, s[12:13]
	v_add_u32_e32 v13, v13, v20
	s_and_saveexec_b64 s[30:31], s[10:11]
	s_cbranch_execz .LBB118_45
; %bb.44:
	v_mov_b32_e32 v20, 0
	ds_write_b32 v20, v13 offset:1024
.LBB118_45:
	s_or_b64 exec, exec, s[30:31]
	ds_bpermute_b32 v13, v34, v13
	v_mov_b32_e32 v20, 0
	s_waitcnt lgkmcnt(0)
	; wave barrier
	s_waitcnt lgkmcnt(0)
	ds_read_b32 v44, v20 offset:1024
	v_cndmask_b32_e64 v13, v13, 0, s[8:9]
	s_mov_b32 s43, 0
	s_waitcnt lgkmcnt(0)
	v_lshl_add_u32 v13, v44, 16, v13
	v_add_u32_e32 v16, v13, v16
	v_add_u32_e32 v17, v16, v17
	;; [unrolled: 1-line block ×7, first 2 shown]
	ds_write2_b32 v33, v13, v16 offset1:1
	ds_write2_b32 v33, v17, v14 offset0:2 offset1:3
	ds_write2_b32 v33, v15, v10 offset0:4 offset1:5
	;; [unrolled: 1-line block ×3, first 2 shown]
	s_waitcnt lgkmcnt(0)
	; wave barrier
	s_waitcnt lgkmcnt(0)
	ds_read_u16 v10, v23
	ds_read_u16 v11, v39
	;; [unrolled: 1-line block ×4, first 2 shown]
	s_waitcnt lgkmcnt(0)
	v_add_u32_sdwa v10, v10, v21 dst_sel:DWORD dst_unused:UNUSED_PAD src0_sel:DWORD src1_sel:WORD_0
	v_add_u32_sdwa v11, v11, v24 dst_sel:DWORD dst_unused:UNUSED_PAD src0_sel:DWORD src1_sel:WORD_0
	;; [unrolled: 1-line block ×4, first 2 shown]
	; wave barrier
	ds_write_b8 v10, v18
	ds_write_b8 v11, v19
	;; [unrolled: 1-line block ×4, first 2 shown]
	v_lshlrev_b32_e32 v10, 3, v10
	s_waitcnt lgkmcnt(0)
	; wave barrier
	s_waitcnt lgkmcnt(0)
	ds_read_u8 v39, v26
	ds_read_u8 v40, v26 offset:1
	ds_read_u8 v41, v26 offset:2
	;; [unrolled: 1-line block ×3, first 2 shown]
	s_waitcnt lgkmcnt(0)
	; wave barrier
	s_waitcnt lgkmcnt(0)
	ds_write_b64 v10, v[2:3]
	v_lshlrev_b32_e32 v10, 3, v11
	ds_write_b64 v10, v[4:5]
	v_lshlrev_b32_e32 v10, 3, v12
	;; [unrolled: 2-line block ×3, first 2 shown]
	ds_write_b64 v10, v[8:9]
	s_waitcnt lgkmcnt(0)
	; wave barrier
	s_waitcnt lgkmcnt(0)
	ds_read2_b64 v[14:17], v32 offset1:1
	ds_read2_b64 v[10:13], v32 offset0:2 offset1:3
	s_waitcnt lgkmcnt(0)
	; wave barrier
	s_waitcnt lgkmcnt(0)
	s_and_saveexec_b64 s[30:31], s[22:23]
	s_cbranch_execz .LBB118_52
; %bb.46:
	s_mov_b64 s[34:35], 0
	v_pk_mov_b32 v[18:19], v[0:1], v[0:1] op_sel:[0,1]
	s_branch .LBB118_48
.LBB118_47:                             ;   in Loop: Header=BB118_48 Depth=1
	s_or_b64 exec, exec, s[38:39]
	s_add_i32 s43, s43, 2
	v_cmp_eq_u32_e64 s[36:37], 8, s43
	v_add_u32_e32 v19, 64, v19
	s_or_b64 s[34:35], s[36:37], s[34:35]
	v_add_u32_e32 v18, 64, v18
	s_andn2_b64 exec, exec, s[34:35]
	s_cbranch_execz .LBB118_52
.LBB118_48:                             ; =>This Inner Loop Header: Depth=1
	s_or_b32 s36, s43, 1
	v_cmp_le_u32_e64 s[36:37], s36, 7
	v_cmp_le_u32_e64 s[44:45], s43, 7
	s_and_saveexec_b64 s[38:39], s[44:45]
	s_cbranch_execz .LBB118_50
; %bb.49:                               ;   in Loop: Header=BB118_48 Depth=1
	v_lshlrev_b32_e32 v21, 2, v18
	ds_write_b32 v21, v20
.LBB118_50:                             ;   in Loop: Header=BB118_48 Depth=1
	s_or_b64 exec, exec, s[38:39]
	s_and_saveexec_b64 s[38:39], s[36:37]
	s_cbranch_execz .LBB118_47
; %bb.51:                               ;   in Loop: Header=BB118_48 Depth=1
	v_lshlrev_b32_e32 v21, 2, v19
	ds_write_b32 v21, v20
	s_branch .LBB118_47
.LBB118_52:
	s_or_b64 exec, exec, s[30:31]
	s_min_u32 s30, s41, 4
	s_lshl_b32 s30, -1, s30
	v_lshrrev_b16_e32 v18, 4, v39
	s_not_b32 s30, s30
	v_and_b32_e32 v18, 15, v18
	v_and_b32_sdwa v18, v18, s30 dst_sel:DWORD dst_unused:UNUSED_PAD src0_sel:WORD_0 src1_sel:DWORD
	v_lshlrev_b32_e32 v19, 5, v18
	s_movk_i32 s31, 0xe0
	v_lshrrev_b32_e32 v18, 2, v18
	v_and_or_b32 v19, v19, s31, v0
	v_and_b32_e32 v18, 2, v18
	v_lshl_or_b32 v44, v19, 2, v18
	ds_read_u16 v43, v44
	s_waitcnt lgkmcnt(0)
	v_add_u16_e32 v18, 1, v43
	ds_write_b16 v44, v18
	v_lshrrev_b16_e32 v18, 4, v40
	v_and_b32_e32 v18, 15, v18
	v_and_b32_sdwa v18, v18, s30 dst_sel:DWORD dst_unused:UNUSED_PAD src0_sel:WORD_0 src1_sel:DWORD
	v_lshlrev_b32_e32 v19, 5, v18
	v_lshrrev_b32_e32 v18, 2, v18
	v_and_or_b32 v19, v19, s31, v0
	v_and_b32_e32 v18, 2, v18
	v_lshl_or_b32 v46, v19, 2, v18
	ds_read_u16 v45, v46
	s_waitcnt lgkmcnt(0)
	v_add_u16_e32 v18, 1, v45
	ds_write_b16 v46, v18
	v_lshrrev_b16_e32 v18, 4, v41
	v_and_b32_e32 v18, 15, v18
	v_and_b32_sdwa v18, v18, s30 dst_sel:DWORD dst_unused:UNUSED_PAD src0_sel:WORD_0 src1_sel:DWORD
	v_lshlrev_b32_e32 v19, 5, v18
	;; [unrolled: 12-line block ×3, first 2 shown]
	v_lshrrev_b32_e32 v18, 2, v18
	v_and_or_b32 v19, v19, s31, v0
	v_and_b32_e32 v18, 2, v18
	v_lshl_or_b32 v50, v19, 2, v18
	ds_read_u16 v49, v50
	s_waitcnt lgkmcnt(0)
	v_add_u16_e32 v18, 1, v49
	ds_write_b16 v50, v18
	s_waitcnt lgkmcnt(0)
	; wave barrier
	s_waitcnt lgkmcnt(0)
	ds_read2_b32 v[24:25], v33 offset1:1
	ds_read2_b32 v[22:23], v33 offset0:2 offset1:3
	ds_read2_b32 v[18:19], v33 offset0:4 offset1:5
	;; [unrolled: 1-line block ×3, first 2 shown]
	s_waitcnt lgkmcnt(3)
	v_add_u32_e32 v51, v25, v24
	s_waitcnt lgkmcnt(2)
	v_add3_u32 v51, v51, v22, v23
	s_waitcnt lgkmcnt(1)
	v_add3_u32 v51, v51, v18, v19
	;; [unrolled: 2-line block ×3, first 2 shown]
	s_nop 1
	v_mov_b32_dpp v51, v21 row_shr:1 row_mask:0xf bank_mask:0xf
	v_cndmask_b32_e64 v51, v51, 0, s[20:21]
	v_add_u32_e32 v21, v51, v21
	s_nop 1
	v_mov_b32_dpp v51, v21 row_shr:2 row_mask:0xf bank_mask:0xf
	v_cndmask_b32_e64 v51, 0, v51, s[18:19]
	v_add_u32_e32 v21, v21, v51
	s_nop 1
	v_mov_b32_dpp v51, v21 row_shr:4 row_mask:0xf bank_mask:0xf
	v_cndmask_b32_e64 v51, 0, v51, s[16:17]
	v_add_u32_e32 v21, v21, v51
	s_nop 1
	v_mov_b32_dpp v51, v21 row_shr:8 row_mask:0xf bank_mask:0xf
	v_cndmask_b32_e64 v51, 0, v51, s[14:15]
	v_add_u32_e32 v21, v21, v51
	s_nop 1
	v_mov_b32_dpp v51, v21 row_bcast:15 row_mask:0xf bank_mask:0xf
	v_cndmask_b32_e64 v51, v51, 0, s[12:13]
	v_add_u32_e32 v21, v21, v51
	s_and_saveexec_b64 s[30:31], s[10:11]
	s_cbranch_execz .LBB118_54
; %bb.53:
	v_mov_b32_e32 v51, 0
	ds_write_b32 v51, v21 offset:1024
.LBB118_54:
	s_or_b64 exec, exec, s[30:31]
	ds_bpermute_b32 v21, v34, v21
	v_mov_b32_e32 v51, 0
	s_waitcnt lgkmcnt(0)
	; wave barrier
	s_waitcnt lgkmcnt(0)
	ds_read_b32 v51, v51 offset:1024
	v_cndmask_b32_e64 v21, v21, 0, s[8:9]
	s_movk_i32 s30, 0x80
	s_waitcnt lgkmcnt(0)
	v_lshl_add_u32 v21, v51, 16, v21
	v_add_u32_e32 v24, v21, v24
	v_add_u32_e32 v25, v24, v25
	;; [unrolled: 1-line block ×7, first 2 shown]
	ds_write2_b32 v33, v21, v24 offset1:1
	ds_write2_b32 v33, v25, v22 offset0:2 offset1:3
	ds_write2_b32 v33, v23, v18 offset0:4 offset1:5
	;; [unrolled: 1-line block ×3, first 2 shown]
	s_waitcnt lgkmcnt(0)
	; wave barrier
	s_waitcnt lgkmcnt(0)
	ds_read_u16 v18, v50
	ds_read_u16 v19, v48
	;; [unrolled: 1-line block ×4, first 2 shown]
	s_waitcnt lgkmcnt(0)
	v_add_u32_sdwa v18, v18, v49 dst_sel:DWORD dst_unused:UNUSED_PAD src0_sel:DWORD src1_sel:WORD_0
	v_add_u32_sdwa v19, v19, v47 dst_sel:DWORD dst_unused:UNUSED_PAD src0_sel:DWORD src1_sel:WORD_0
	;; [unrolled: 1-line block ×4, first 2 shown]
	; wave barrier
	ds_write_b8 v21, v39
	ds_write_b8 v20, v40
	;; [unrolled: 1-line block ×4, first 2 shown]
	v_lshlrev_b32_e32 v21, 3, v21
	s_waitcnt lgkmcnt(0)
	; wave barrier
	s_waitcnt lgkmcnt(0)
	ds_read_u8 v22, v26
	ds_read_u8 v23, v26 offset:1
	ds_read_u8 v24, v26 offset:2
	;; [unrolled: 1-line block ×3, first 2 shown]
	s_waitcnt lgkmcnt(0)
	; wave barrier
	s_waitcnt lgkmcnt(0)
	ds_write_b64 v21, v[14:15]
	v_lshlrev_b32_e32 v14, 3, v20
	ds_write_b64 v14, v[16:17]
	v_lshlrev_b32_e32 v14, 3, v19
	;; [unrolled: 2-line block ×3, first 2 shown]
	ds_write_b64 v10, v[12:13]
	s_waitcnt lgkmcnt(0)
	; wave barrier
	s_waitcnt lgkmcnt(0)
	ds_read2_b64 v[10:13], v32 offset1:1
	ds_read2_b64 v[14:17], v32 offset0:2 offset1:3
	v_xor_b32_e32 v18, 0x80, v22
	v_xor_b32_sdwa v19, v23, s30 dst_sel:BYTE_1 dst_unused:UNUSED_PAD src0_sel:DWORD src1_sel:DWORD
	v_xor_b32_e32 v20, 0x80, v24
	v_xor_b32_sdwa v21, v25, s30 dst_sel:BYTE_1 dst_unused:UNUSED_PAD src0_sel:DWORD src1_sel:DWORD
	v_or_b32_e32 v18, v18, v19
	v_or_b32_sdwa v19, v20, v21 dst_sel:WORD_1 dst_unused:UNUSED_PAD src0_sel:DWORD src1_sel:DWORD
	v_or_b32_sdwa v18, v18, v19 dst_sel:DWORD dst_unused:UNUSED_PAD src0_sel:WORD_0 src1_sel:DWORD
	s_branch .LBB118_74
.LBB118_55:
	s_and_saveexec_b64 s[30:31], s[22:23]
	s_cbranch_execz .LBB118_62
; %bb.56:
	s_mov_b32 s43, 0
	s_mov_b64 s[34:35], 0
	s_waitcnt lgkmcnt(1)
	v_mov_b32_e32 v12, 0
	v_pk_mov_b32 v[10:11], v[0:1], v[0:1] op_sel:[0,1]
	s_branch .LBB118_58
.LBB118_57:                             ;   in Loop: Header=BB118_58 Depth=1
	s_or_b64 exec, exec, s[38:39]
	s_add_i32 s43, s43, 2
	v_cmp_eq_u32_e64 s[36:37], 8, s43
	v_add_u32_e32 v11, 64, v11
	s_or_b64 s[34:35], s[36:37], s[34:35]
	v_add_u32_e32 v10, 64, v10
	s_andn2_b64 exec, exec, s[34:35]
	s_cbranch_execz .LBB118_62
.LBB118_58:                             ; =>This Inner Loop Header: Depth=1
	s_or_b32 s36, s43, 1
	v_cmp_le_u32_e64 s[36:37], s36, 7
	v_cmp_le_u32_e64 s[44:45], s43, 7
	s_and_saveexec_b64 s[38:39], s[44:45]
	s_cbranch_execz .LBB118_60
; %bb.59:                               ;   in Loop: Header=BB118_58 Depth=1
	v_lshlrev_b32_e32 v13, 2, v10
	ds_write_b32 v13, v12
.LBB118_60:                             ;   in Loop: Header=BB118_58 Depth=1
	s_or_b64 exec, exec, s[38:39]
	s_and_saveexec_b64 s[38:39], s[36:37]
	s_cbranch_execz .LBB118_57
; %bb.61:                               ;   in Loop: Header=BB118_58 Depth=1
	v_lshlrev_b32_e32 v13, 2, v11
	ds_write_b32 v13, v12
	s_branch .LBB118_57
.LBB118_62:
	s_or_b64 exec, exec, s[30:31]
	s_lshl_b32 s30, -1, s42
	v_xor_b32_e32 v18, 0x7f, v38
	s_not_b32 s30, s30
	s_waitcnt lgkmcnt(1)
	v_and_b32_e32 v10, s30, v18
	v_bfe_u32 v11, v10, 3, 5
	v_lshlrev_b32_e32 v10, 5, v10
	s_movk_i32 s31, 0xe0
	v_and_or_b32 v10, v10, s31, v0
	v_lshlrev_b32_e32 v10, 1, v10
	v_add_lshl_u32 v22, v10, v11, 1
	ds_read_u16 v20, v22
	v_xor_b32_e32 v19, 0x7f, v37
	v_xor_b32_e32 v21, 0x7f, v36
	v_xor_b32_e32 v24, 0x7f, v35
	s_waitcnt lgkmcnt(0)
	v_add_u16_e32 v10, 1, v20
	ds_write_b16 v22, v10
	v_and_b32_e32 v10, s30, v19
	v_bfe_u32 v11, v10, 3, 5
	v_lshlrev_b32_e32 v10, 5, v10
	v_and_or_b32 v10, v10, s31, v0
	v_lshlrev_b32_e32 v10, 1, v10
	v_add_lshl_u32 v25, v10, v11, 1
	ds_read_u16 v23, v25
	s_waitcnt lgkmcnt(0)
	v_add_u16_e32 v10, 1, v23
	ds_write_b16 v25, v10
	v_and_b32_e32 v10, s30, v21
	v_bfe_u32 v11, v10, 3, 5
	v_lshlrev_b32_e32 v10, 5, v10
	v_and_or_b32 v10, v10, s31, v0
	v_lshlrev_b32_e32 v10, 1, v10
	v_add_lshl_u32 v37, v10, v11, 1
	ds_read_u16 v36, v37
	;; [unrolled: 10-line block ×3, first 2 shown]
	s_waitcnt lgkmcnt(0)
	v_add_u16_e32 v10, 1, v35
	ds_write_b16 v38, v10
	s_waitcnt lgkmcnt(0)
	; wave barrier
	s_waitcnt lgkmcnt(0)
	ds_read2_b32 v[16:17], v33 offset1:1
	ds_read2_b32 v[14:15], v33 offset0:2 offset1:3
	ds_read2_b32 v[10:11], v33 offset0:4 offset1:5
	;; [unrolled: 1-line block ×3, first 2 shown]
	s_waitcnt lgkmcnt(3)
	v_add_u32_e32 v39, v17, v16
	s_waitcnt lgkmcnt(2)
	v_add3_u32 v39, v39, v14, v15
	s_waitcnt lgkmcnt(1)
	v_add3_u32 v39, v39, v10, v11
	;; [unrolled: 2-line block ×3, first 2 shown]
	s_nop 1
	v_mov_b32_dpp v39, v13 row_shr:1 row_mask:0xf bank_mask:0xf
	v_cndmask_b32_e64 v39, v39, 0, s[20:21]
	v_add_u32_e32 v13, v39, v13
	s_nop 1
	v_mov_b32_dpp v39, v13 row_shr:2 row_mask:0xf bank_mask:0xf
	v_cndmask_b32_e64 v39, 0, v39, s[18:19]
	v_add_u32_e32 v13, v13, v39
	;; [unrolled: 4-line block ×4, first 2 shown]
	s_nop 1
	v_mov_b32_dpp v39, v13 row_bcast:15 row_mask:0xf bank_mask:0xf
	v_cndmask_b32_e64 v39, v39, 0, s[12:13]
	v_add_u32_e32 v13, v13, v39
	s_and_saveexec_b64 s[30:31], s[10:11]
	s_cbranch_execz .LBB118_64
; %bb.63:
	v_mov_b32_e32 v39, 0
	ds_write_b32 v39, v13 offset:1024
.LBB118_64:
	s_or_b64 exec, exec, s[30:31]
	ds_bpermute_b32 v39, v34, v13
	v_mov_b32_e32 v13, 0
	s_waitcnt lgkmcnt(0)
	; wave barrier
	s_waitcnt lgkmcnt(0)
	ds_read_b32 v40, v13 offset:1024
	v_cndmask_b32_e64 v39, v39, 0, s[8:9]
	s_mov_b32 s38, 0
	s_waitcnt lgkmcnt(0)
	v_lshl_add_u32 v39, v40, 16, v39
	v_add_u32_e32 v16, v39, v16
	v_add_u32_e32 v17, v16, v17
	;; [unrolled: 1-line block ×7, first 2 shown]
	ds_write2_b32 v33, v39, v16 offset1:1
	ds_write2_b32 v33, v17, v14 offset0:2 offset1:3
	ds_write2_b32 v33, v15, v10 offset0:4 offset1:5
	;; [unrolled: 1-line block ×3, first 2 shown]
	s_waitcnt lgkmcnt(0)
	; wave barrier
	s_waitcnt lgkmcnt(0)
	ds_read_u16 v10, v22
	ds_read_u16 v11, v25
	;; [unrolled: 1-line block ×4, first 2 shown]
	s_waitcnt lgkmcnt(0)
	v_add_u32_sdwa v10, v10, v20 dst_sel:DWORD dst_unused:UNUSED_PAD src0_sel:DWORD src1_sel:WORD_0
	v_add_u32_sdwa v11, v11, v23 dst_sel:DWORD dst_unused:UNUSED_PAD src0_sel:DWORD src1_sel:WORD_0
	;; [unrolled: 1-line block ×4, first 2 shown]
	; wave barrier
	ds_write_b8 v10, v18
	ds_write_b8 v11, v19
	;; [unrolled: 1-line block ×4, first 2 shown]
	v_lshlrev_b32_e32 v10, 3, v10
	s_waitcnt lgkmcnt(0)
	; wave barrier
	s_waitcnt lgkmcnt(0)
	ds_read_u8 v18, v26
	ds_read_u8 v19, v26 offset:1
	ds_read_u8 v20, v26 offset:2
	;; [unrolled: 1-line block ×3, first 2 shown]
	s_waitcnt lgkmcnt(0)
	; wave barrier
	s_waitcnt lgkmcnt(0)
	ds_write_b64 v10, v[2:3]
	v_lshlrev_b32_e32 v2, 3, v11
	ds_write_b64 v2, v[4:5]
	v_lshlrev_b32_e32 v2, 3, v12
	;; [unrolled: 2-line block ×3, first 2 shown]
	ds_write_b64 v2, v[8:9]
	s_waitcnt lgkmcnt(0)
	; wave barrier
	s_waitcnt lgkmcnt(0)
	ds_read2_b64 v[6:9], v32 offset1:1
	ds_read2_b64 v[2:5], v32 offset0:2 offset1:3
	s_waitcnt lgkmcnt(0)
	; wave barrier
	s_waitcnt lgkmcnt(0)
	s_and_saveexec_b64 s[30:31], s[22:23]
	s_cbranch_execz .LBB118_71
; %bb.65:
	s_mov_b64 s[22:23], 0
	v_pk_mov_b32 v[10:11], v[0:1], v[0:1] op_sel:[0,1]
	s_branch .LBB118_67
.LBB118_66:                             ;   in Loop: Header=BB118_67 Depth=1
	s_or_b64 exec, exec, s[36:37]
	s_add_i32 s38, s38, 2
	v_cmp_eq_u32_e64 s[34:35], 8, s38
	v_add_u32_e32 v11, 64, v11
	s_or_b64 s[22:23], s[34:35], s[22:23]
	v_add_u32_e32 v10, 64, v10
	s_andn2_b64 exec, exec, s[22:23]
	s_cbranch_execz .LBB118_71
.LBB118_67:                             ; =>This Inner Loop Header: Depth=1
	s_or_b32 s34, s38, 1
	v_cmp_le_u32_e64 s[34:35], s34, 7
	v_cmp_le_u32_e64 s[42:43], s38, 7
	s_and_saveexec_b64 s[36:37], s[42:43]
	s_cbranch_execz .LBB118_69
; %bb.68:                               ;   in Loop: Header=BB118_67 Depth=1
	v_lshlrev_b32_e32 v1, 2, v10
	ds_write_b32 v1, v13
.LBB118_69:                             ;   in Loop: Header=BB118_67 Depth=1
	s_or_b64 exec, exec, s[36:37]
	s_and_saveexec_b64 s[36:37], s[34:35]
	s_cbranch_execz .LBB118_66
; %bb.70:                               ;   in Loop: Header=BB118_67 Depth=1
	v_lshlrev_b32_e32 v1, 2, v11
	ds_write_b32 v1, v13
	s_branch .LBB118_66
.LBB118_71:
	s_or_b64 exec, exec, s[30:31]
	s_min_u32 s22, s41, 4
	s_lshl_b32 s22, -1, s22
	v_lshrrev_b16_e32 v1, 4, v18
	s_not_b32 s22, s22
	v_and_b32_e32 v1, 15, v1
	v_and_b32_sdwa v1, v1, s22 dst_sel:DWORD dst_unused:UNUSED_PAD src0_sel:WORD_0 src1_sel:DWORD
	v_lshlrev_b32_e32 v10, 5, v1
	s_movk_i32 s23, 0xe0
	v_lshrrev_b32_e32 v1, 2, v1
	v_and_or_b32 v10, v10, s23, v0
	v_and_b32_e32 v1, 2, v1
	v_lshl_or_b32 v22, v10, 2, v1
	ds_read_u16 v1, v22
	s_waitcnt lgkmcnt(0)
	v_add_u16_e32 v10, 1, v1
	ds_write_b16 v22, v10
	v_lshrrev_b16_e32 v10, 4, v19
	v_and_b32_e32 v10, 15, v10
	v_and_b32_sdwa v10, v10, s22 dst_sel:DWORD dst_unused:UNUSED_PAD src0_sel:WORD_0 src1_sel:DWORD
	v_lshlrev_b32_e32 v11, 5, v10
	v_lshrrev_b32_e32 v10, 2, v10
	v_and_or_b32 v11, v11, s23, v0
	v_and_b32_e32 v10, 2, v10
	v_lshl_or_b32 v24, v11, 2, v10
	ds_read_u16 v23, v24
	s_waitcnt lgkmcnt(0)
	v_add_u16_e32 v10, 1, v23
	ds_write_b16 v24, v10
	v_lshrrev_b16_e32 v10, 4, v20
	v_and_b32_e32 v10, 15, v10
	v_and_b32_sdwa v10, v10, s22 dst_sel:DWORD dst_unused:UNUSED_PAD src0_sel:WORD_0 src1_sel:DWORD
	v_lshlrev_b32_e32 v11, 5, v10
	;; [unrolled: 12-line block ×3, first 2 shown]
	v_lshrrev_b32_e32 v10, 2, v10
	v_and_or_b32 v11, v11, s23, v0
	v_and_b32_e32 v10, 2, v10
	v_lshl_or_b32 v37, v11, 2, v10
	ds_read_u16 v36, v37
	s_waitcnt lgkmcnt(0)
	v_add_u16_e32 v10, 1, v36
	ds_write_b16 v37, v10
	s_waitcnt lgkmcnt(0)
	; wave barrier
	s_waitcnt lgkmcnt(0)
	ds_read2_b32 v[16:17], v33 offset1:1
	ds_read2_b32 v[14:15], v33 offset0:2 offset1:3
	ds_read2_b32 v[10:11], v33 offset0:4 offset1:5
	;; [unrolled: 1-line block ×3, first 2 shown]
	s_waitcnt lgkmcnt(3)
	v_add_u32_e32 v38, v17, v16
	s_waitcnt lgkmcnt(2)
	v_add3_u32 v38, v38, v14, v15
	s_waitcnt lgkmcnt(1)
	v_add3_u32 v38, v38, v10, v11
	;; [unrolled: 2-line block ×3, first 2 shown]
	s_nop 1
	v_mov_b32_dpp v38, v13 row_shr:1 row_mask:0xf bank_mask:0xf
	v_cndmask_b32_e64 v38, v38, 0, s[20:21]
	v_add_u32_e32 v13, v38, v13
	s_nop 1
	v_mov_b32_dpp v38, v13 row_shr:2 row_mask:0xf bank_mask:0xf
	v_cndmask_b32_e64 v38, 0, v38, s[18:19]
	v_add_u32_e32 v13, v13, v38
	;; [unrolled: 4-line block ×4, first 2 shown]
	s_nop 1
	v_mov_b32_dpp v38, v13 row_bcast:15 row_mask:0xf bank_mask:0xf
	v_cndmask_b32_e64 v38, v38, 0, s[12:13]
	v_add_u32_e32 v13, v13, v38
	s_and_saveexec_b64 s[12:13], s[10:11]
	s_cbranch_execz .LBB118_73
; %bb.72:
	v_mov_b32_e32 v38, 0
	ds_write_b32 v38, v13 offset:1024
.LBB118_73:
	s_or_b64 exec, exec, s[12:13]
	ds_bpermute_b32 v13, v34, v13
	v_mov_b32_e32 v34, 0
	s_waitcnt lgkmcnt(0)
	; wave barrier
	s_waitcnt lgkmcnt(0)
	ds_read_b32 v34, v34 offset:1024
	v_cndmask_b32_e64 v13, v13, 0, s[8:9]
	s_movk_i32 s8, 0x7f
	s_waitcnt lgkmcnt(0)
	v_lshl_add_u32 v13, v34, 16, v13
	v_add_u32_e32 v16, v13, v16
	v_add_u32_e32 v17, v16, v17
	;; [unrolled: 1-line block ×7, first 2 shown]
	ds_write2_b32 v33, v13, v16 offset1:1
	ds_write2_b32 v33, v17, v14 offset0:2 offset1:3
	ds_write2_b32 v33, v15, v10 offset0:4 offset1:5
	;; [unrolled: 1-line block ×3, first 2 shown]
	s_waitcnt lgkmcnt(0)
	; wave barrier
	s_waitcnt lgkmcnt(0)
	ds_read_u16 v10, v37
	ds_read_u16 v11, v35
	;; [unrolled: 1-line block ×4, first 2 shown]
	s_waitcnt lgkmcnt(0)
	v_add_u32_sdwa v10, v10, v36 dst_sel:DWORD dst_unused:UNUSED_PAD src0_sel:DWORD src1_sel:WORD_0
	v_add_u32_sdwa v11, v11, v25 dst_sel:DWORD dst_unused:UNUSED_PAD src0_sel:DWORD src1_sel:WORD_0
	;; [unrolled: 1-line block ×4, first 2 shown]
	; wave barrier
	ds_write_b8 v1, v18
	ds_write_b8 v12, v19
	;; [unrolled: 1-line block ×4, first 2 shown]
	v_lshlrev_b32_e32 v1, 3, v1
	s_waitcnt lgkmcnt(0)
	; wave barrier
	s_waitcnt lgkmcnt(0)
	ds_read_u8 v18, v26
	ds_read_u8 v19, v26 offset:1
	ds_read_u8 v20, v26 offset:2
	;; [unrolled: 1-line block ×3, first 2 shown]
	s_waitcnt lgkmcnt(0)
	; wave barrier
	s_waitcnt lgkmcnt(0)
	ds_write_b64 v1, v[6:7]
	v_lshlrev_b32_e32 v1, 3, v12
	ds_write_b64 v1, v[8:9]
	v_lshlrev_b32_e32 v1, 3, v11
	;; [unrolled: 2-line block ×3, first 2 shown]
	ds_write_b64 v1, v[4:5]
	s_waitcnt lgkmcnt(0)
	; wave barrier
	s_waitcnt lgkmcnt(0)
	ds_read2_b64 v[10:13], v32 offset1:1
	ds_read2_b64 v[14:17], v32 offset0:2 offset1:3
	v_xor_b32_e32 v1, 0x7f, v18
	v_xor_b32_sdwa v2, v19, s8 dst_sel:BYTE_1 dst_unused:UNUSED_PAD src0_sel:DWORD src1_sel:DWORD
	v_xor_b32_e32 v3, 0x7f, v20
	v_xor_b32_sdwa v4, v21, s8 dst_sel:BYTE_1 dst_unused:UNUSED_PAD src0_sel:DWORD src1_sel:DWORD
	v_or_b32_e32 v1, v1, v2
	v_or_b32_sdwa v2, v3, v4 dst_sel:WORD_1 dst_unused:UNUSED_PAD src0_sel:DWORD src1_sel:DWORD
	v_or_b32_sdwa v18, v1, v2 dst_sel:DWORD dst_unused:UNUSED_PAD src0_sel:WORD_0 src1_sel:DWORD
.LBB118_74:
	s_waitcnt lgkmcnt(0)
	; wave barrier
	s_waitcnt lgkmcnt(0)
	ds_write_b32 v26, v18
	s_waitcnt lgkmcnt(0)
	; wave barrier
	s_waitcnt lgkmcnt(0)
	ds_read_u8 v5, v0 offset:32
	ds_read_u8 v4, v0 offset:64
	;; [unrolled: 1-line block ×3, first 2 shown]
	v_pk_mov_b32 v[2:3], s[28:29], s[28:29] op_sel:[0,1]
	v_mad_u64_u32 v[2:3], s[8:9], v0, s26, v[2:3]
	v_mov_b32_e32 v6, v3
	v_mad_u64_u32 v[6:7], s[8:9], v0, s27, v[6:7]
	v_mov_b32_e32 v3, v6
	s_and_saveexec_b64 s[8:9], s[0:1]
	s_cbranch_execnz .LBB118_85
; %bb.75:
	s_or_b64 exec, exec, s[8:9]
	s_and_saveexec_b64 s[8:9], s[2:3]
	s_cbranch_execnz .LBB118_86
.LBB118_76:
	s_or_b64 exec, exec, s[8:9]
	s_and_saveexec_b64 s[8:9], s[24:25]
	s_cbranch_execnz .LBB118_87
.LBB118_77:
	s_or_b64 exec, exec, s[8:9]
	s_and_saveexec_b64 s[8:9], s[6:7]
	s_cbranch_execz .LBB118_79
.LBB118_78:
	s_waitcnt lgkmcnt(1)
	v_mov_b32_e32 v4, 0x60
	v_mad_u64_u32 v[2:3], s[10:11], s26, v4, v[2:3]
	s_mul_i32 s10, s27, 0x60
	v_add_u32_e32 v3, s10, v3
	s_waitcnt lgkmcnt(0)
	global_store_byte v[2:3], v1, off
.LBB118_79:
	s_or_b64 exec, exec, s[8:9]
	v_mad_u64_u32 v[8:9], s[8:9], v0, s4, 0
	s_waitcnt lgkmcnt(0)
	; wave barrier
	s_waitcnt lgkmcnt(0)
	ds_write2_b64 v31, v[10:11], v[12:13] offset1:1
	ds_write2_b64 v31, v[14:15], v[16:17] offset0:2 offset1:3
	s_waitcnt lgkmcnt(0)
	; wave barrier
	s_waitcnt lgkmcnt(0)
	ds_read_b64 v[6:7], v28 offset:256
	ds_read_b64 v[4:5], v29 offset:512
	;; [unrolled: 1-line block ×3, first 2 shown]
	v_mov_b32_e32 v10, v9
	v_mad_u64_u32 v[0:1], s[8:9], v0, s5, v[10:11]
	v_mov_b32_e32 v9, v0
	v_lshlrev_b64 v[0:1], 3, v[8:9]
	v_mov_b32_e32 v8, s40
	v_add_co_u32_e32 v0, vcc, s33, v0
	v_addc_co_u32_e32 v1, vcc, v8, v1, vcc
	s_and_saveexec_b64 s[8:9], s[0:1]
	s_cbranch_execnz .LBB118_88
; %bb.80:
	s_or_b64 exec, exec, s[8:9]
	s_and_saveexec_b64 s[0:1], s[2:3]
	s_cbranch_execnz .LBB118_89
.LBB118_81:
	s_or_b64 exec, exec, s[0:1]
	s_and_saveexec_b64 s[0:1], s[24:25]
	s_cbranch_execnz .LBB118_90
.LBB118_82:
	s_or_b64 exec, exec, s[0:1]
	s_and_saveexec_b64 s[0:1], s[6:7]
	s_cbranch_execz .LBB118_84
.LBB118_83:
	s_waitcnt lgkmcnt(1)
	v_mov_b32_e32 v4, 0x300
	v_mad_u64_u32 v[0:1], s[0:1], s4, v4, v[0:1]
	s_mul_i32 s0, s5, 0x300
	v_add_u32_e32 v1, s0, v1
	s_waitcnt lgkmcnt(0)
	global_store_dwordx2 v[0:1], v[2:3], off
.LBB118_84:
	s_endpgm
.LBB118_85:
	ds_read_u8 v6, v0
	s_waitcnt lgkmcnt(0)
	global_store_byte v[2:3], v6, off
	s_or_b64 exec, exec, s[8:9]
	s_and_saveexec_b64 s[8:9], s[2:3]
	s_cbranch_execz .LBB118_76
.LBB118_86:
	s_lshl_b64 s[10:11], s[26:27], 5
	v_mov_b32_e32 v7, s11
	v_add_co_u32_e32 v6, vcc, s10, v2
	v_addc_co_u32_e32 v7, vcc, v3, v7, vcc
	s_waitcnt lgkmcnt(2)
	global_store_byte v[6:7], v5, off
	s_or_b64 exec, exec, s[8:9]
	s_and_saveexec_b64 s[8:9], s[24:25]
	s_cbranch_execz .LBB118_77
.LBB118_87:
	s_lshl_b64 s[10:11], s[26:27], 6
	s_waitcnt lgkmcnt(2)
	v_mov_b32_e32 v5, s11
	v_add_co_u32_e32 v6, vcc, s10, v2
	v_addc_co_u32_e32 v7, vcc, v3, v5, vcc
	s_waitcnt lgkmcnt(1)
	global_store_byte v[6:7], v4, off
	s_or_b64 exec, exec, s[8:9]
	s_and_saveexec_b64 s[8:9], s[6:7]
	s_cbranch_execnz .LBB118_78
	s_branch .LBB118_79
.LBB118_88:
	ds_read_b64 v[8:9], v27
	s_waitcnt lgkmcnt(0)
	global_store_dwordx2 v[0:1], v[8:9], off
	s_or_b64 exec, exec, s[8:9]
	s_and_saveexec_b64 s[0:1], s[2:3]
	s_cbranch_execz .LBB118_81
.LBB118_89:
	s_lshl_b64 s[2:3], s[4:5], 8
	v_mov_b32_e32 v9, s3
	v_add_co_u32_e32 v8, vcc, s2, v0
	v_addc_co_u32_e32 v9, vcc, v1, v9, vcc
	s_waitcnt lgkmcnt(2)
	global_store_dwordx2 v[8:9], v[6:7], off
	s_or_b64 exec, exec, s[0:1]
	s_and_saveexec_b64 s[0:1], s[24:25]
	s_cbranch_execz .LBB118_82
.LBB118_90:
	s_lshl_b64 s[2:3], s[4:5], 9
	s_waitcnt lgkmcnt(2)
	v_mov_b32_e32 v7, s3
	v_add_co_u32_e32 v6, vcc, s2, v0
	v_addc_co_u32_e32 v7, vcc, v1, v7, vcc
	s_waitcnt lgkmcnt(1)
	global_store_dwordx2 v[6:7], v[4:5], off
	s_or_b64 exec, exec, s[0:1]
	s_and_saveexec_b64 s[0:1], s[6:7]
	s_cbranch_execnz .LBB118_83
	s_branch .LBB118_84
	.section	.rodata,"a",@progbits
	.p2align	6, 0x0
	.amdhsa_kernel _ZN2at6native18radixSortKVInPlaceILin1ELin1ELi32ELi4EalmEEvNS_4cuda6detail10TensorInfoIT3_T5_EES6_S6_S6_NS4_IT4_S6_EES6_b
		.amdhsa_group_segment_fixed_size 1056
		.amdhsa_private_segment_fixed_size 0
		.amdhsa_kernarg_size 1128
		.amdhsa_user_sgpr_count 6
		.amdhsa_user_sgpr_private_segment_buffer 1
		.amdhsa_user_sgpr_dispatch_ptr 0
		.amdhsa_user_sgpr_queue_ptr 0
		.amdhsa_user_sgpr_kernarg_segment_ptr 1
		.amdhsa_user_sgpr_dispatch_id 0
		.amdhsa_user_sgpr_flat_scratch_init 0
		.amdhsa_user_sgpr_kernarg_preload_length 0
		.amdhsa_user_sgpr_kernarg_preload_offset 0
		.amdhsa_user_sgpr_private_segment_size 0
		.amdhsa_uses_dynamic_stack 0
		.amdhsa_system_sgpr_private_segment_wavefront_offset 0
		.amdhsa_system_sgpr_workgroup_id_x 1
		.amdhsa_system_sgpr_workgroup_id_y 1
		.amdhsa_system_sgpr_workgroup_id_z 1
		.amdhsa_system_sgpr_workgroup_info 0
		.amdhsa_system_vgpr_workitem_id 0
		.amdhsa_next_free_vgpr 52
		.amdhsa_next_free_sgpr 46
		.amdhsa_accum_offset 52
		.amdhsa_reserve_vcc 1
		.amdhsa_reserve_flat_scratch 0
		.amdhsa_float_round_mode_32 0
		.amdhsa_float_round_mode_16_64 0
		.amdhsa_float_denorm_mode_32 3
		.amdhsa_float_denorm_mode_16_64 3
		.amdhsa_dx10_clamp 1
		.amdhsa_ieee_mode 1
		.amdhsa_fp16_overflow 0
		.amdhsa_tg_split 0
		.amdhsa_exception_fp_ieee_invalid_op 0
		.amdhsa_exception_fp_denorm_src 0
		.amdhsa_exception_fp_ieee_div_zero 0
		.amdhsa_exception_fp_ieee_overflow 0
		.amdhsa_exception_fp_ieee_underflow 0
		.amdhsa_exception_fp_ieee_inexact 0
		.amdhsa_exception_int_div_zero 0
	.end_amdhsa_kernel
	.section	.text._ZN2at6native18radixSortKVInPlaceILin1ELin1ELi32ELi4EalmEEvNS_4cuda6detail10TensorInfoIT3_T5_EES6_S6_S6_NS4_IT4_S6_EES6_b,"axG",@progbits,_ZN2at6native18radixSortKVInPlaceILin1ELin1ELi32ELi4EalmEEvNS_4cuda6detail10TensorInfoIT3_T5_EES6_S6_S6_NS4_IT4_S6_EES6_b,comdat
.Lfunc_end118:
	.size	_ZN2at6native18radixSortKVInPlaceILin1ELin1ELi32ELi4EalmEEvNS_4cuda6detail10TensorInfoIT3_T5_EES6_S6_S6_NS4_IT4_S6_EES6_b, .Lfunc_end118-_ZN2at6native18radixSortKVInPlaceILin1ELin1ELi32ELi4EalmEEvNS_4cuda6detail10TensorInfoIT3_T5_EES6_S6_S6_NS4_IT4_S6_EES6_b
                                        ; -- End function
	.section	.AMDGPU.csdata,"",@progbits
; Kernel info:
; codeLenInByte = 7620
; NumSgprs: 50
; NumVgprs: 52
; NumAgprs: 0
; TotalNumVgprs: 52
; ScratchSize: 0
; MemoryBound: 0
; FloatMode: 240
; IeeeMode: 1
; LDSByteSize: 1056 bytes/workgroup (compile time only)
; SGPRBlocks: 6
; VGPRBlocks: 6
; NumSGPRsForWavesPerEU: 50
; NumVGPRsForWavesPerEU: 52
; AccumOffset: 52
; Occupancy: 8
; WaveLimiterHint : 1
; COMPUTE_PGM_RSRC2:SCRATCH_EN: 0
; COMPUTE_PGM_RSRC2:USER_SGPR: 6
; COMPUTE_PGM_RSRC2:TRAP_HANDLER: 0
; COMPUTE_PGM_RSRC2:TGID_X_EN: 1
; COMPUTE_PGM_RSRC2:TGID_Y_EN: 1
; COMPUTE_PGM_RSRC2:TGID_Z_EN: 1
; COMPUTE_PGM_RSRC2:TIDIG_COMP_CNT: 0
; COMPUTE_PGM_RSRC3_GFX90A:ACCUM_OFFSET: 12
; COMPUTE_PGM_RSRC3_GFX90A:TG_SPLIT: 0
	.section	.text._ZN2at6native18radixSortKVInPlaceILin1ELin1ELi16ELi2EalmEEvNS_4cuda6detail10TensorInfoIT3_T5_EES6_S6_S6_NS4_IT4_S6_EES6_b,"axG",@progbits,_ZN2at6native18radixSortKVInPlaceILin1ELin1ELi16ELi2EalmEEvNS_4cuda6detail10TensorInfoIT3_T5_EES6_S6_S6_NS4_IT4_S6_EES6_b,comdat
	.protected	_ZN2at6native18radixSortKVInPlaceILin1ELin1ELi16ELi2EalmEEvNS_4cuda6detail10TensorInfoIT3_T5_EES6_S6_S6_NS4_IT4_S6_EES6_b ; -- Begin function _ZN2at6native18radixSortKVInPlaceILin1ELin1ELi16ELi2EalmEEvNS_4cuda6detail10TensorInfoIT3_T5_EES6_S6_S6_NS4_IT4_S6_EES6_b
	.globl	_ZN2at6native18radixSortKVInPlaceILin1ELin1ELi16ELi2EalmEEvNS_4cuda6detail10TensorInfoIT3_T5_EES6_S6_S6_NS4_IT4_S6_EES6_b
	.p2align	8
	.type	_ZN2at6native18radixSortKVInPlaceILin1ELin1ELi16ELi2EalmEEvNS_4cuda6detail10TensorInfoIT3_T5_EES6_S6_S6_NS4_IT4_S6_EES6_b,@function
_ZN2at6native18radixSortKVInPlaceILin1ELin1ELi16ELi2EalmEEvNS_4cuda6detail10TensorInfoIT3_T5_EES6_S6_S6_NS4_IT4_S6_EES6_b: ; @_ZN2at6native18radixSortKVInPlaceILin1ELin1ELi16ELi2EalmEEvNS_4cuda6detail10TensorInfoIT3_T5_EES6_S6_S6_NS4_IT4_S6_EES6_b
; %bb.0:
	s_load_dwordx4 s[0:3], s[4:5], 0x1a0
	s_load_dwordx2 s[10:11], s[4:5], 0x368
	s_mov_b32 s9, 0
	s_waitcnt lgkmcnt(0)
	v_mov_b32_e32 v2, s0
	s_mul_i32 s0, s11, s8
	s_add_i32 s0, s0, s7
	s_mul_i32 s0, s0, s10
	v_mov_b32_e32 v3, s1
	s_add_i32 s8, s0, s6
	v_cmp_ge_u64_e32 vcc, s[8:9], v[2:3]
	s_cbranch_vccnz .LBB119_74
; %bb.1:
	s_load_dword s0, s[4:5], 0x198
	s_load_dwordx2 s[18:19], s[4:5], 0x1b0
	s_mov_b64 s[6:7], 0
	s_mov_b64 s[10:11], s[8:9]
	s_waitcnt lgkmcnt(0)
	s_cmp_lt_i32 s0, 2
	s_cbranch_scc1 .LBB119_9
; %bb.2:
	s_mov_b32 s12, 0
	s_add_i32 s3, s0, 1
	s_add_i32 s0, s0, -1
	s_mov_b32 s1, s12
	s_lshl_b64 s[0:1], s[0:1], 3
	s_add_u32 s0, s0, s4
	s_addc_u32 s1, s1, s5
	s_add_u32 s14, s0, 8
	s_addc_u32 s15, s1, 0
	s_mov_b64 s[16:17], s[8:9]
.LBB119_3:                              ; =>This Inner Loop Header: Depth=1
	s_load_dwordx2 s[20:21], s[14:15], 0x0
	s_waitcnt lgkmcnt(0)
	s_or_b64 s[0:1], s[16:17], s[20:21]
	s_mov_b32 s13, s1
	s_cmp_lg_u64 s[12:13], 0
	s_cbranch_scc0 .LBB119_8
; %bb.4:                                ;   in Loop: Header=BB119_3 Depth=1
	v_cvt_f32_u32_e32 v1, s20
	v_cvt_f32_u32_e32 v2, s21
	s_sub_u32 s0, 0, s20
	s_subb_u32 s1, 0, s21
	v_mac_f32_e32 v1, 0x4f800000, v2
	v_rcp_f32_e32 v1, v1
	v_mul_f32_e32 v1, 0x5f7ffffc, v1
	v_mul_f32_e32 v2, 0x2f800000, v1
	v_trunc_f32_e32 v2, v2
	v_mac_f32_e32 v1, 0xcf800000, v2
	v_cvt_u32_f32_e32 v2, v2
	v_cvt_u32_f32_e32 v1, v1
	v_readfirstlane_b32 s10, v2
	v_readfirstlane_b32 s11, v1
	s_mul_i32 s13, s0, s10
	s_mul_hi_u32 s23, s0, s11
	s_mul_i32 s22, s1, s11
	s_add_i32 s13, s23, s13
	s_mul_i32 s24, s0, s11
	s_add_i32 s13, s13, s22
	s_mul_hi_u32 s22, s11, s13
	s_mul_i32 s23, s11, s13
	s_mul_hi_u32 s11, s11, s24
	s_add_u32 s11, s11, s23
	s_addc_u32 s22, 0, s22
	s_mul_hi_u32 s25, s10, s24
	s_mul_i32 s24, s10, s24
	s_add_u32 s11, s11, s24
	s_mul_hi_u32 s23, s10, s13
	s_addc_u32 s11, s22, s25
	s_addc_u32 s22, s23, 0
	s_mul_i32 s13, s10, s13
	s_add_u32 s11, s11, s13
	s_addc_u32 s13, 0, s22
	v_add_co_u32_e32 v1, vcc, s11, v1
	s_cmp_lg_u64 vcc, 0
	s_addc_u32 s10, s10, s13
	v_readfirstlane_b32 s13, v1
	s_mul_i32 s11, s0, s10
	s_mul_hi_u32 s22, s0, s13
	s_add_i32 s11, s22, s11
	s_mul_i32 s1, s1, s13
	s_add_i32 s11, s11, s1
	s_mul_i32 s0, s0, s13
	s_mul_hi_u32 s22, s10, s0
	s_mul_i32 s23, s10, s0
	s_mul_i32 s25, s13, s11
	s_mul_hi_u32 s0, s13, s0
	s_mul_hi_u32 s24, s13, s11
	s_add_u32 s0, s0, s25
	s_addc_u32 s13, 0, s24
	s_add_u32 s0, s0, s23
	s_mul_hi_u32 s1, s10, s11
	s_addc_u32 s0, s13, s22
	s_addc_u32 s1, s1, 0
	s_mul_i32 s11, s10, s11
	s_add_u32 s0, s0, s11
	s_addc_u32 s1, 0, s1
	v_add_co_u32_e32 v1, vcc, s0, v1
	s_cmp_lg_u64 vcc, 0
	s_addc_u32 s0, s10, s1
	v_readfirstlane_b32 s11, v1
	s_mul_i32 s10, s16, s0
	s_mul_hi_u32 s13, s16, s11
	s_mul_hi_u32 s1, s16, s0
	s_add_u32 s10, s13, s10
	s_addc_u32 s1, 0, s1
	s_mul_hi_u32 s22, s17, s11
	s_mul_i32 s11, s17, s11
	s_add_u32 s10, s10, s11
	s_mul_hi_u32 s13, s17, s0
	s_addc_u32 s1, s1, s22
	s_addc_u32 s10, s13, 0
	s_mul_i32 s0, s17, s0
	s_add_u32 s13, s1, s0
	s_addc_u32 s10, 0, s10
	s_mul_i32 s0, s20, s10
	s_mul_hi_u32 s1, s20, s13
	s_add_i32 s0, s1, s0
	s_mul_i32 s1, s21, s13
	s_add_i32 s11, s0, s1
	s_mul_i32 s1, s20, s13
	v_mov_b32_e32 v1, s1
	s_sub_i32 s0, s17, s11
	v_sub_co_u32_e32 v1, vcc, s16, v1
	s_cmp_lg_u64 vcc, 0
	s_subb_u32 s22, s0, s21
	v_subrev_co_u32_e64 v2, s[0:1], s20, v1
	s_cmp_lg_u64 s[0:1], 0
	s_subb_u32 s0, s22, 0
	s_cmp_ge_u32 s0, s21
	v_readfirstlane_b32 s22, v2
	s_cselect_b32 s1, -1, 0
	s_cmp_ge_u32 s22, s20
	s_cselect_b32 s22, -1, 0
	s_cmp_eq_u32 s0, s21
	s_cselect_b32 s0, s22, s1
	s_add_u32 s1, s13, 1
	s_addc_u32 s22, s10, 0
	s_add_u32 s23, s13, 2
	s_addc_u32 s24, s10, 0
	s_cmp_lg_u32 s0, 0
	s_cselect_b32 s0, s23, s1
	s_cselect_b32 s1, s24, s22
	s_cmp_lg_u64 vcc, 0
	s_subb_u32 s11, s17, s11
	s_cmp_ge_u32 s11, s21
	v_readfirstlane_b32 s23, v1
	s_cselect_b32 s22, -1, 0
	s_cmp_ge_u32 s23, s20
	s_cselect_b32 s23, -1, 0
	s_cmp_eq_u32 s11, s21
	s_cselect_b32 s11, s23, s22
	s_cmp_lg_u32 s11, 0
	s_cselect_b32 s11, s1, s10
	s_cselect_b32 s10, s0, s13
	s_cbranch_execnz .LBB119_6
.LBB119_5:                              ;   in Loop: Header=BB119_3 Depth=1
	v_cvt_f32_u32_e32 v1, s20
	s_sub_i32 s0, 0, s20
	v_rcp_iflag_f32_e32 v1, v1
	v_mul_f32_e32 v1, 0x4f7ffffe, v1
	v_cvt_u32_f32_e32 v1, v1
	v_readfirstlane_b32 s1, v1
	s_mul_i32 s0, s0, s1
	s_mul_hi_u32 s0, s1, s0
	s_add_i32 s1, s1, s0
	s_mul_hi_u32 s0, s16, s1
	s_mul_i32 s10, s0, s20
	s_sub_i32 s10, s16, s10
	s_add_i32 s1, s0, 1
	s_sub_i32 s11, s10, s20
	s_cmp_ge_u32 s10, s20
	s_cselect_b32 s0, s1, s0
	s_cselect_b32 s10, s11, s10
	s_add_i32 s1, s0, 1
	s_cmp_ge_u32 s10, s20
	s_cselect_b32 s10, s1, s0
	s_mov_b32 s11, s12
.LBB119_6:                              ;   in Loop: Header=BB119_3 Depth=1
	s_mul_i32 s0, s10, s21
	s_mul_hi_u32 s1, s10, s20
	s_add_i32 s13, s1, s0
	s_load_dwordx2 s[0:1], s[14:15], 0xc8
	s_mul_i32 s21, s11, s20
	s_add_i32 s13, s13, s21
	s_mul_i32 s20, s10, s20
	s_sub_u32 s16, s16, s20
	s_subb_u32 s13, s17, s13
	s_waitcnt lgkmcnt(0)
	s_mul_i32 s13, s0, s13
	s_mul_hi_u32 s17, s0, s16
	s_add_i32 s13, s17, s13
	s_mul_i32 s1, s1, s16
	s_add_i32 s13, s13, s1
	s_mul_i32 s0, s0, s16
	s_add_u32 s6, s0, s6
	s_addc_u32 s7, s13, s7
	s_add_i32 s3, s3, -1
	s_add_u32 s14, s14, -8
	s_addc_u32 s15, s15, -1
	s_cmp_gt_u32 s3, 2
	s_cbranch_scc0 .LBB119_9
; %bb.7:                                ;   in Loop: Header=BB119_3 Depth=1
	s_mov_b64 s[16:17], s[10:11]
	s_branch .LBB119_3
.LBB119_8:                              ;   in Loop: Header=BB119_3 Depth=1
                                        ; implicit-def: $sgpr10_sgpr11
	s_branch .LBB119_5
.LBB119_9:
	s_load_dword s0, s[4:5], 0x350
	s_load_dwordx2 s[14:15], s[4:5], 0xd0
	s_mov_b64 s[12:13], 0
	s_waitcnt lgkmcnt(0)
	s_cmp_lt_i32 s0, 2
	s_cbranch_scc1 .LBB119_17
; %bb.10:
	s_mov_b32 s16, 0
	s_add_i32 s3, s0, 1
	s_add_i32 s0, s0, -1
	s_mov_b32 s1, s16
	s_lshl_b64 s[0:1], s[0:1], 3
	s_add_u32 s0, s0, s4
	s_addc_u32 s1, s1, s5
	s_add_u32 s20, s0, 0x1c0
	s_addc_u32 s21, s1, 0
.LBB119_11:                             ; =>This Inner Loop Header: Depth=1
	s_load_dwordx2 s[22:23], s[20:21], 0x0
	s_waitcnt lgkmcnt(0)
	s_or_b64 s[0:1], s[8:9], s[22:23]
	s_mov_b32 s17, s1
	s_cmp_lg_u64 s[16:17], 0
	s_cbranch_scc0 .LBB119_16
; %bb.12:                               ;   in Loop: Header=BB119_11 Depth=1
	v_cvt_f32_u32_e32 v1, s22
	v_cvt_f32_u32_e32 v2, s23
	s_sub_u32 s0, 0, s22
	s_subb_u32 s1, 0, s23
	v_mac_f32_e32 v1, 0x4f800000, v2
	v_rcp_f32_e32 v1, v1
	v_mul_f32_e32 v1, 0x5f7ffffc, v1
	v_mul_f32_e32 v2, 0x2f800000, v1
	v_trunc_f32_e32 v2, v2
	v_mac_f32_e32 v1, 0xcf800000, v2
	v_cvt_u32_f32_e32 v2, v2
	v_cvt_u32_f32_e32 v1, v1
	v_readfirstlane_b32 s17, v2
	v_readfirstlane_b32 s24, v1
	s_mul_i32 s25, s0, s17
	s_mul_hi_u32 s27, s0, s24
	s_mul_i32 s26, s1, s24
	s_add_i32 s25, s27, s25
	s_mul_i32 s28, s0, s24
	s_add_i32 s25, s25, s26
	s_mul_hi_u32 s26, s24, s25
	s_mul_i32 s27, s24, s25
	s_mul_hi_u32 s24, s24, s28
	s_add_u32 s24, s24, s27
	s_addc_u32 s26, 0, s26
	s_mul_hi_u32 s29, s17, s28
	s_mul_i32 s28, s17, s28
	s_add_u32 s24, s24, s28
	s_mul_hi_u32 s27, s17, s25
	s_addc_u32 s24, s26, s29
	s_addc_u32 s26, s27, 0
	s_mul_i32 s25, s17, s25
	s_add_u32 s24, s24, s25
	s_addc_u32 s25, 0, s26
	v_add_co_u32_e32 v1, vcc, s24, v1
	s_cmp_lg_u64 vcc, 0
	s_addc_u32 s17, s17, s25
	v_readfirstlane_b32 s25, v1
	s_mul_i32 s24, s0, s17
	s_mul_hi_u32 s26, s0, s25
	s_add_i32 s24, s26, s24
	s_mul_i32 s1, s1, s25
	s_add_i32 s24, s24, s1
	s_mul_i32 s0, s0, s25
	s_mul_hi_u32 s26, s17, s0
	s_mul_i32 s27, s17, s0
	s_mul_i32 s29, s25, s24
	s_mul_hi_u32 s0, s25, s0
	s_mul_hi_u32 s28, s25, s24
	s_add_u32 s0, s0, s29
	s_addc_u32 s25, 0, s28
	s_add_u32 s0, s0, s27
	s_mul_hi_u32 s1, s17, s24
	s_addc_u32 s0, s25, s26
	s_addc_u32 s1, s1, 0
	s_mul_i32 s24, s17, s24
	s_add_u32 s0, s0, s24
	s_addc_u32 s1, 0, s1
	v_add_co_u32_e32 v1, vcc, s0, v1
	s_cmp_lg_u64 vcc, 0
	s_addc_u32 s0, s17, s1
	v_readfirstlane_b32 s24, v1
	s_mul_i32 s17, s8, s0
	s_mul_hi_u32 s25, s8, s24
	s_mul_hi_u32 s1, s8, s0
	s_add_u32 s17, s25, s17
	s_addc_u32 s1, 0, s1
	s_mul_hi_u32 s26, s9, s24
	s_mul_i32 s24, s9, s24
	s_add_u32 s17, s17, s24
	s_mul_hi_u32 s25, s9, s0
	s_addc_u32 s1, s1, s26
	s_addc_u32 s17, s25, 0
	s_mul_i32 s0, s9, s0
	s_add_u32 s24, s1, s0
	s_addc_u32 s17, 0, s17
	s_mul_i32 s0, s22, s17
	s_mul_hi_u32 s1, s22, s24
	s_add_i32 s0, s1, s0
	s_mul_i32 s1, s23, s24
	s_add_i32 s25, s0, s1
	s_mul_i32 s1, s22, s24
	v_mov_b32_e32 v1, s1
	s_sub_i32 s0, s9, s25
	v_sub_co_u32_e32 v1, vcc, s8, v1
	s_cmp_lg_u64 vcc, 0
	s_subb_u32 s26, s0, s23
	v_subrev_co_u32_e64 v2, s[0:1], s22, v1
	s_cmp_lg_u64 s[0:1], 0
	s_subb_u32 s0, s26, 0
	s_cmp_ge_u32 s0, s23
	v_readfirstlane_b32 s26, v2
	s_cselect_b32 s1, -1, 0
	s_cmp_ge_u32 s26, s22
	s_cselect_b32 s26, -1, 0
	s_cmp_eq_u32 s0, s23
	s_cselect_b32 s0, s26, s1
	s_add_u32 s1, s24, 1
	s_addc_u32 s26, s17, 0
	s_add_u32 s27, s24, 2
	s_addc_u32 s28, s17, 0
	s_cmp_lg_u32 s0, 0
	s_cselect_b32 s0, s27, s1
	s_cselect_b32 s1, s28, s26
	s_cmp_lg_u64 vcc, 0
	s_subb_u32 s25, s9, s25
	s_cmp_ge_u32 s25, s23
	v_readfirstlane_b32 s27, v1
	s_cselect_b32 s26, -1, 0
	s_cmp_ge_u32 s27, s22
	s_cselect_b32 s27, -1, 0
	s_cmp_eq_u32 s25, s23
	s_cselect_b32 s25, s27, s26
	s_cmp_lg_u32 s25, 0
	s_cselect_b32 s25, s1, s17
	s_cselect_b32 s24, s0, s24
	s_cbranch_execnz .LBB119_14
.LBB119_13:                             ;   in Loop: Header=BB119_11 Depth=1
	v_cvt_f32_u32_e32 v1, s22
	s_sub_i32 s0, 0, s22
	s_mov_b32 s25, s16
	v_rcp_iflag_f32_e32 v1, v1
	v_mul_f32_e32 v1, 0x4f7ffffe, v1
	v_cvt_u32_f32_e32 v1, v1
	v_readfirstlane_b32 s1, v1
	s_mul_i32 s0, s0, s1
	s_mul_hi_u32 s0, s1, s0
	s_add_i32 s1, s1, s0
	s_mul_hi_u32 s0, s8, s1
	s_mul_i32 s17, s0, s22
	s_sub_i32 s17, s8, s17
	s_add_i32 s1, s0, 1
	s_sub_i32 s24, s17, s22
	s_cmp_ge_u32 s17, s22
	s_cselect_b32 s0, s1, s0
	s_cselect_b32 s17, s24, s17
	s_add_i32 s1, s0, 1
	s_cmp_ge_u32 s17, s22
	s_cselect_b32 s24, s1, s0
.LBB119_14:                             ;   in Loop: Header=BB119_11 Depth=1
	s_mul_i32 s0, s24, s23
	s_mul_hi_u32 s1, s24, s22
	s_add_i32 s17, s1, s0
	s_load_dwordx2 s[0:1], s[20:21], 0xc8
	s_mul_i32 s23, s25, s22
	s_add_i32 s17, s17, s23
	s_mul_i32 s22, s24, s22
	s_sub_u32 s8, s8, s22
	s_subb_u32 s9, s9, s17
	s_waitcnt lgkmcnt(0)
	s_mul_i32 s9, s0, s9
	s_mul_hi_u32 s17, s0, s8
	s_add_i32 s9, s17, s9
	s_mul_i32 s1, s1, s8
	s_add_i32 s9, s9, s1
	s_mul_i32 s0, s0, s8
	s_add_u32 s12, s0, s12
	s_addc_u32 s13, s9, s13
	s_add_i32 s3, s3, -1
	s_add_u32 s20, s20, -8
	s_addc_u32 s21, s21, -1
	s_cmp_gt_u32 s3, 2
	s_cbranch_scc0 .LBB119_18
; %bb.15:                               ;   in Loop: Header=BB119_11 Depth=1
	s_mov_b64 s[8:9], s[24:25]
	s_branch .LBB119_11
.LBB119_16:                             ;   in Loop: Header=BB119_11 Depth=1
                                        ; implicit-def: $sgpr24_sgpr25
	s_branch .LBB119_13
.LBB119_17:
	s_mov_b64 s[24:25], s[8:9]
.LBB119_18:
	s_mul_i32 s0, s14, s11
	s_mul_hi_u32 s1, s14, s10
	s_add_i32 s0, s1, s0
	s_load_dword s1, s[4:5], 0x360
	s_mul_i32 s3, s15, s10
	s_add_i32 s3, s0, s3
	s_mul_i32 s16, s14, s10
	s_load_dwordx2 s[10:11], s[4:5], 0x288
	s_waitcnt lgkmcnt(0)
	s_bitcmp1_b32 s1, 0
	s_load_dwordx2 s[0:1], s[4:5], 0x0
	s_cselect_b64 s[8:9], -1, 0
	s_and_b64 s[14:15], s[8:9], exec
	s_load_dwordx2 s[14:15], s[4:5], 0x1b8
	s_movk_i32 s17, 0x80
	s_cselect_b32 s17, s17, 0x7f
	s_waitcnt lgkmcnt(0)
	s_add_u32 s0, s0, s16
	s_addc_u32 s1, s1, s3
	v_lshlrev_b16_e64 v1, 8, s17
	s_add_u32 s22, s0, s6
	v_or_b32_e32 v1, s17, v1
	s_addc_u32 s23, s1, s7
	v_mov_b32_e32 v3, s17
	v_and_b32_e32 v2, 0xffff, v1
	v_cmp_gt_u32_e64 s[0:1], s2, v0
	s_and_saveexec_b64 s[6:7], s[0:1]
	s_cbranch_execz .LBB119_20
; %bb.19:
	v_pk_mov_b32 v[4:5], s[22:23], s[22:23] op_sel:[0,1]
	v_mad_u64_u32 v[4:5], s[16:17], v0, s18, v[4:5]
	v_mov_b32_e32 v6, v5
	v_mad_u64_u32 v[6:7], s[16:17], v0, s19, v[6:7]
	v_mov_b32_e32 v5, v6
	global_load_ubyte v3, v[4:5], off
	v_and_b32_e32 v1, 0xffffff00, v2
	s_waitcnt vmcnt(0)
	v_or_b32_e32 v1, v3, v1
	v_and_b32_e32 v2, 0xffff, v1
.LBB119_20:
	s_or_b64 exec, exec, s[6:7]
	v_or_b32_e32 v1, 16, v0
	v_cmp_gt_u32_e64 s[2:3], s2, v1
	s_and_saveexec_b64 s[6:7], s[2:3]
	s_cbranch_execz .LBB119_22
; %bb.21:
	v_pk_mov_b32 v[4:5], s[22:23], s[22:23] op_sel:[0,1]
	v_mad_u64_u32 v[4:5], s[16:17], v1, s18, v[4:5]
	v_mov_b32_e32 v6, v5
	v_mad_u64_u32 v[6:7], s[16:17], v1, s19, v[6:7]
	v_mov_b32_e32 v5, v6
	global_load_ubyte v4, v[4:5], off
	s_waitcnt vmcnt(0)
	v_lshlrev_b16_e32 v4, 8, v4
	v_or_b32_sdwa v2, v2, v4 dst_sel:DWORD dst_unused:UNUSED_PAD src0_sel:BYTE_0 src1_sel:DWORD
	v_and_b32_e32 v2, 0xffff, v2
.LBB119_22:
	s_or_b64 exec, exec, s[6:7]
	s_mul_i32 s6, s10, s25
	s_mul_hi_u32 s7, s10, s24
	s_add_i32 s6, s7, s6
	s_mul_i32 s7, s11, s24
	s_add_i32 s7, s6, s7
	s_mul_i32 s6, s10, s24
	s_lshl_b64 s[6:7], s[6:7], 3
	v_lshrrev_b16_e32 v2, 8, v2
	v_lshlrev_b32_e32 v18, 1, v0
	s_add_u32 s10, s14, s6
	s_load_dwordx2 s[20:21], s[4:5], 0x358
	ds_write_b8 v0, v3
	ds_write_b8 v0, v2 offset:16
	s_waitcnt lgkmcnt(0)
	; wave barrier
	s_waitcnt lgkmcnt(0)
	ds_read_u8 v24, v18
	ds_read_u8 v23, v18 offset:1
	s_addc_u32 s11, s15, s7
	s_lshl_b64 s[6:7], s[12:13], 3
	s_mov_b32 s4, 0
	s_add_u32 s33, s10, s6
	s_mov_b32 s5, s4
	s_addc_u32 s34, s11, s7
	s_mov_b32 s6, s4
	s_mov_b32 s7, s4
	v_pk_mov_b32 v[2:3], s[4:5], s[4:5] op_sel:[0,1]
	v_pk_mov_b32 v[4:5], s[6:7], s[6:7] op_sel:[0,1]
	v_pk_mov_b32 v[2:3], 0, 0
	s_waitcnt lgkmcnt(0)
	; wave barrier
	s_waitcnt lgkmcnt(0)
	s_and_saveexec_b64 s[4:5], s[0:1]
	s_cbranch_execz .LBB119_24
; %bb.23:
	v_mad_u64_u32 v[2:3], s[6:7], v0, s20, 0
	v_mov_b32_e32 v4, v3
	v_mad_u64_u32 v[4:5], s[6:7], v0, s21, v[4:5]
	v_mov_b32_e32 v3, v4
	v_lshlrev_b64 v[2:3], 3, v[2:3]
	v_mov_b32_e32 v4, s34
	v_add_co_u32_e32 v2, vcc, s33, v2
	v_addc_co_u32_e32 v3, vcc, v4, v3, vcc
	global_load_dwordx2 v[2:3], v[2:3], off
	v_mov_b32_e32 v4, 0
	v_mov_b32_e32 v5, v4
.LBB119_24:
	s_or_b64 exec, exec, s[4:5]
	s_xor_b64 s[24:25], s[8:9], -1
	s_and_saveexec_b64 s[4:5], s[2:3]
	s_cbranch_execz .LBB119_26
; %bb.25:
	v_mad_u64_u32 v[4:5], s[6:7], v1, s20, 0
	v_mov_b32_e32 v6, v5
	v_mad_u64_u32 v[6:7], s[6:7], v1, s21, v[6:7]
	v_mov_b32_e32 v5, v6
	v_lshlrev_b64 v[4:5], 3, v[4:5]
	v_mov_b32_e32 v6, s34
	v_add_co_u32_e32 v4, vcc, s33, v4
	v_addc_co_u32_e32 v5, vcc, v6, v5, vcc
	global_load_dwordx2 v[4:5], v[4:5], off
.LBB119_26:
	s_or_b64 exec, exec, s[4:5]
	s_getpc_b64 s[4:5]
	s_add_u32 s4, s4, _ZN7rocprim17ROCPRIM_400000_NS16block_radix_sortIaLj16ELj2ElLj1ELj1ELj0ELNS0_26block_radix_rank_algorithmE1ELNS0_18block_padding_hintE2ELNS0_4arch9wavefront6targetE1EE19radix_bits_per_passE@rel32@lo+4
	s_addc_u32 s5, s5, _ZN7rocprim17ROCPRIM_400000_NS16block_radix_sortIaLj16ELj2ElLj1ELj1ELj0ELNS0_26block_radix_rank_algorithmE1ELNS0_18block_padding_hintE2ELNS0_4arch9wavefront6targetE1EE19radix_bits_per_passE@rel32@hi+12
	v_mbcnt_lo_u32_b32 v6, -1, 0
	v_lshlrev_b32_e32 v19, 3, v0
	v_lshlrev_b32_e32 v20, 3, v18
	s_load_dword s35, s[4:5], 0x0
	v_mbcnt_hi_u32_b32 v6, -1, v6
	s_waitcnt vmcnt(0)
	ds_write2_b64 v19, v[2:3], v[4:5] offset1:16
	s_waitcnt lgkmcnt(0)
	; wave barrier
	s_waitcnt lgkmcnt(0)
	ds_read2_b64 v[2:5], v20 offset1:1
	v_and_b32_e32 v7, 15, v6
	v_cmp_eq_u32_e64 s[14:15], 0, v7
	v_cmp_lt_u32_e64 s[12:13], 1, v7
	v_cmp_lt_u32_e64 s[10:11], 3, v7
	;; [unrolled: 1-line block ×3, first 2 shown]
	v_add_u32_e32 v7, -1, v6
	v_and_b32_e32 v8, 0x70, v6
	v_cmp_lt_i32_e32 vcc, v7, v8
	s_movk_i32 s4, 0x80
	v_cndmask_b32_e32 v7, v7, v6, vcc
	v_cmp_gt_u32_e64 s[16:17], s4, v0
	v_lshlrev_b32_e32 v21, 5, v0
	v_cmp_eq_u32_e64 s[6:7], 15, v0
	v_lshlrev_b32_e32 v22, 2, v7
	v_cmp_eq_u32_e64 s[4:5], 0, v6
	s_min_u32 s36, s35, 8
	s_and_b64 vcc, exec, s[24:25]
	s_waitcnt lgkmcnt(0)
	; wave barrier
	s_waitcnt lgkmcnt(0)
	s_cbranch_vccz .LBB119_34
; %bb.27:
	s_and_saveexec_b64 s[24:25], s[16:17]
	s_cbranch_execz .LBB119_35
; %bb.28:
	s_mov_b32 s37, 0
	s_mov_b64 s[26:27], 0
	v_mov_b32_e32 v8, 0
	v_pk_mov_b32 v[6:7], v[0:1], v[0:1] op_sel:[0,1]
	s_branch .LBB119_30
.LBB119_29:                             ;   in Loop: Header=BB119_30 Depth=1
	s_or_b64 exec, exec, s[30:31]
	s_add_i32 s37, s37, 2
	v_cmp_eq_u32_e64 s[28:29], 8, s37
	v_add_u32_e32 v7, 32, v7
	s_or_b64 s[26:27], s[28:29], s[26:27]
	v_add_u32_e32 v6, 32, v6
	s_andn2_b64 exec, exec, s[26:27]
	s_cbranch_execz .LBB119_35
.LBB119_30:                             ; =>This Inner Loop Header: Depth=1
	s_or_b32 s28, s37, 1
	v_cmp_le_u32_e64 s[28:29], s28, 7
	v_cmp_le_u32_e64 s[38:39], s37, 7
	s_and_saveexec_b64 s[30:31], s[38:39]
	s_cbranch_execz .LBB119_32
; %bb.31:                               ;   in Loop: Header=BB119_30 Depth=1
	v_lshlrev_b32_e32 v9, 2, v6
	ds_write_b32 v9, v8
.LBB119_32:                             ;   in Loop: Header=BB119_30 Depth=1
	s_or_b64 exec, exec, s[30:31]
	s_and_saveexec_b64 s[30:31], s[28:29]
	s_cbranch_execz .LBB119_29
; %bb.33:                               ;   in Loop: Header=BB119_30 Depth=1
	v_lshlrev_b32_e32 v9, 2, v7
	ds_write_b32 v9, v8
	s_branch .LBB119_29
.LBB119_34:
                                        ; implicit-def: $vgpr8_vgpr9
                                        ; implicit-def: $vgpr10
	s_cbranch_execnz .LBB119_47
	s_branch .LBB119_66
.LBB119_35:
	s_or_b64 exec, exec, s[24:25]
	s_lshl_b32 s24, -1, s36
	v_xor_b32_e32 v15, 0xffffff80, v24
	s_not_b32 s24, s24
	v_and_b32_e32 v6, s24, v15
	v_bfe_u32 v7, v6, 3, 5
	v_lshlrev_b32_e32 v6, 4, v6
	s_movk_i32 s25, 0x70
	v_and_or_b32 v6, v6, s25, v0
	v_lshlrev_b32_e32 v6, 1, v6
	v_add_lshl_u32 v25, v6, v7, 1
	ds_read_u16 v17, v25
	v_xor_b32_e32 v16, 0xffffff80, v23
	s_waitcnt lgkmcnt(0)
	v_add_u16_e32 v6, 1, v17
	ds_write_b16 v25, v6
	v_and_b32_e32 v6, s24, v16
	v_bfe_u32 v7, v6, 3, 5
	v_lshlrev_b32_e32 v6, 4, v6
	v_and_or_b32 v6, v6, s25, v0
	v_lshlrev_b32_e32 v6, 1, v6
	v_add_lshl_u32 v27, v6, v7, 1
	ds_read_u16 v26, v27
	s_waitcnt lgkmcnt(0)
	v_add_u16_e32 v6, 1, v26
	ds_write_b16 v27, v6
	s_waitcnt lgkmcnt(0)
	; wave barrier
	s_waitcnt lgkmcnt(0)
	ds_read2_b32 v[12:13], v21 offset1:1
	ds_read2_b32 v[10:11], v21 offset0:2 offset1:3
	ds_read2_b32 v[6:7], v21 offset0:4 offset1:5
	;; [unrolled: 1-line block ×3, first 2 shown]
	s_waitcnt lgkmcnt(3)
	v_add_u32_e32 v14, v13, v12
	s_waitcnt lgkmcnt(2)
	v_add3_u32 v14, v14, v10, v11
	s_waitcnt lgkmcnt(1)
	v_add3_u32 v14, v14, v6, v7
	;; [unrolled: 2-line block ×3, first 2 shown]
	s_nop 1
	v_mov_b32_dpp v14, v9 row_shr:1 row_mask:0xf bank_mask:0xf
	v_cndmask_b32_e64 v14, v14, 0, s[14:15]
	v_add_u32_e32 v9, v14, v9
	s_nop 1
	v_mov_b32_dpp v14, v9 row_shr:2 row_mask:0xf bank_mask:0xf
	v_cndmask_b32_e64 v14, 0, v14, s[12:13]
	v_add_u32_e32 v9, v9, v14
	s_nop 1
	v_mov_b32_dpp v14, v9 row_shr:4 row_mask:0xf bank_mask:0xf
	v_cndmask_b32_e64 v14, 0, v14, s[10:11]
	v_add_u32_e32 v9, v9, v14
	s_nop 1
	v_mov_b32_dpp v14, v9 row_shr:8 row_mask:0xf bank_mask:0xf
	v_cndmask_b32_e64 v14, 0, v14, s[8:9]
	v_add_u32_e32 v9, v9, v14
	s_and_saveexec_b64 s[24:25], s[6:7]
	s_cbranch_execz .LBB119_37
; %bb.36:
	v_mov_b32_e32 v14, 0
	ds_write_b32 v14, v9 offset:512
.LBB119_37:
	s_or_b64 exec, exec, s[24:25]
	ds_bpermute_b32 v9, v22, v9
	v_mov_b32_e32 v14, 0
	s_waitcnt lgkmcnt(0)
	; wave barrier
	s_waitcnt lgkmcnt(0)
	ds_read_b32 v28, v14 offset:512
	v_cndmask_b32_e64 v9, v9, 0, s[4:5]
	s_mov_b32 s37, 0
	s_waitcnt lgkmcnt(0)
	v_lshl_add_u32 v9, v28, 16, v9
	v_add_u32_e32 v12, v9, v12
	v_add_u32_e32 v13, v12, v13
	;; [unrolled: 1-line block ×7, first 2 shown]
	ds_write2_b32 v21, v9, v12 offset1:1
	ds_write2_b32 v21, v13, v10 offset0:2 offset1:3
	ds_write2_b32 v21, v11, v6 offset0:4 offset1:5
	;; [unrolled: 1-line block ×3, first 2 shown]
	s_waitcnt lgkmcnt(0)
	; wave barrier
	s_waitcnt lgkmcnt(0)
	ds_read_u16 v6, v25
	ds_read_u16 v7, v27
	s_waitcnt lgkmcnt(0)
	; wave barrier
	s_waitcnt lgkmcnt(0)
	v_add_u32_sdwa v6, v6, v17 dst_sel:DWORD dst_unused:UNUSED_PAD src0_sel:DWORD src1_sel:WORD_0
	v_add_u32_sdwa v7, v7, v26 dst_sel:DWORD dst_unused:UNUSED_PAD src0_sel:DWORD src1_sel:WORD_0
	ds_write_b8 v6, v15
	ds_write_b8 v7, v16
	v_lshlrev_b32_e32 v6, 3, v6
	s_waitcnt lgkmcnt(0)
	; wave barrier
	s_waitcnt lgkmcnt(0)
	ds_read_u8 v25, v18
	ds_read_u8 v26, v18 offset:1
	s_waitcnt lgkmcnt(0)
	; wave barrier
	s_waitcnt lgkmcnt(0)
	ds_write_b64 v6, v[2:3]
	v_lshlrev_b32_e32 v6, 3, v7
	ds_write_b64 v6, v[4:5]
	s_waitcnt lgkmcnt(0)
	; wave barrier
	s_waitcnt lgkmcnt(0)
	ds_read2_b64 v[6:9], v20 offset1:1
	s_waitcnt lgkmcnt(0)
	; wave barrier
	s_waitcnt lgkmcnt(0)
	s_and_saveexec_b64 s[24:25], s[16:17]
	s_cbranch_execz .LBB119_44
; %bb.38:
	s_mov_b64 s[26:27], 0
	v_pk_mov_b32 v[10:11], v[0:1], v[0:1] op_sel:[0,1]
	s_branch .LBB119_40
.LBB119_39:                             ;   in Loop: Header=BB119_40 Depth=1
	s_or_b64 exec, exec, s[30:31]
	s_add_i32 s37, s37, 2
	v_cmp_eq_u32_e64 s[28:29], 8, s37
	v_add_u32_e32 v11, 32, v11
	s_or_b64 s[26:27], s[28:29], s[26:27]
	v_add_u32_e32 v10, 32, v10
	s_andn2_b64 exec, exec, s[26:27]
	s_cbranch_execz .LBB119_44
.LBB119_40:                             ; =>This Inner Loop Header: Depth=1
	s_or_b32 s28, s37, 1
	v_cmp_le_u32_e64 s[28:29], s28, 7
	v_cmp_le_u32_e64 s[38:39], s37, 7
	s_and_saveexec_b64 s[30:31], s[38:39]
	s_cbranch_execz .LBB119_42
; %bb.41:                               ;   in Loop: Header=BB119_40 Depth=1
	v_lshlrev_b32_e32 v12, 2, v10
	ds_write_b32 v12, v14
.LBB119_42:                             ;   in Loop: Header=BB119_40 Depth=1
	s_or_b64 exec, exec, s[30:31]
	s_and_saveexec_b64 s[30:31], s[28:29]
	s_cbranch_execz .LBB119_39
; %bb.43:                               ;   in Loop: Header=BB119_40 Depth=1
	v_lshlrev_b32_e32 v12, 2, v11
	ds_write_b32 v12, v14
	s_branch .LBB119_39
.LBB119_44:
	s_or_b64 exec, exec, s[24:25]
	s_min_u32 s24, s35, 4
	s_lshl_b32 s24, -1, s24
	v_lshrrev_b16_e32 v10, 4, v25
	s_not_b32 s24, s24
	v_and_b32_e32 v10, 15, v10
	v_and_b32_sdwa v10, v10, s24 dst_sel:DWORD dst_unused:UNUSED_PAD src0_sel:WORD_0 src1_sel:DWORD
	v_lshlrev_b32_e32 v11, 4, v10
	s_movk_i32 s25, 0x70
	v_lshrrev_b32_e32 v10, 2, v10
	v_and_or_b32 v11, v11, s25, v0
	v_and_b32_e32 v10, 2, v10
	v_lshl_or_b32 v28, v11, 2, v10
	ds_read_u16 v27, v28
	s_waitcnt lgkmcnt(0)
	v_add_u16_e32 v10, 1, v27
	ds_write_b16 v28, v10
	v_lshrrev_b16_e32 v10, 4, v26
	v_and_b32_e32 v10, 15, v10
	v_and_b32_sdwa v10, v10, s24 dst_sel:DWORD dst_unused:UNUSED_PAD src0_sel:WORD_0 src1_sel:DWORD
	v_lshlrev_b32_e32 v11, 4, v10
	v_lshrrev_b32_e32 v10, 2, v10
	v_and_or_b32 v11, v11, s25, v0
	v_and_b32_e32 v10, 2, v10
	v_lshl_or_b32 v30, v11, 2, v10
	ds_read_u16 v29, v30
	s_waitcnt lgkmcnt(0)
	v_add_u16_e32 v10, 1, v29
	ds_write_b16 v30, v10
	s_waitcnt lgkmcnt(0)
	; wave barrier
	s_waitcnt lgkmcnt(0)
	ds_read2_b32 v[16:17], v21 offset1:1
	ds_read2_b32 v[14:15], v21 offset0:2 offset1:3
	ds_read2_b32 v[10:11], v21 offset0:4 offset1:5
	ds_read2_b32 v[12:13], v21 offset0:6 offset1:7
	s_waitcnt lgkmcnt(3)
	v_add_u32_e32 v31, v17, v16
	s_waitcnt lgkmcnt(2)
	v_add3_u32 v31, v31, v14, v15
	s_waitcnt lgkmcnt(1)
	v_add3_u32 v31, v31, v10, v11
	;; [unrolled: 2-line block ×3, first 2 shown]
	s_nop 1
	v_mov_b32_dpp v31, v13 row_shr:1 row_mask:0xf bank_mask:0xf
	v_cndmask_b32_e64 v31, v31, 0, s[14:15]
	v_add_u32_e32 v13, v31, v13
	s_nop 1
	v_mov_b32_dpp v31, v13 row_shr:2 row_mask:0xf bank_mask:0xf
	v_cndmask_b32_e64 v31, 0, v31, s[12:13]
	v_add_u32_e32 v13, v13, v31
	;; [unrolled: 4-line block ×4, first 2 shown]
	s_and_saveexec_b64 s[24:25], s[6:7]
	s_cbranch_execz .LBB119_46
; %bb.45:
	v_mov_b32_e32 v31, 0
	ds_write_b32 v31, v13 offset:512
.LBB119_46:
	s_or_b64 exec, exec, s[24:25]
	ds_bpermute_b32 v13, v22, v13
	v_mov_b32_e32 v31, 0
	s_waitcnt lgkmcnt(0)
	; wave barrier
	s_waitcnt lgkmcnt(0)
	ds_read_b32 v31, v31 offset:512
	v_cndmask_b32_e64 v13, v13, 0, s[4:5]
	s_movk_i32 s24, 0x80
	s_waitcnt lgkmcnt(0)
	v_lshl_add_u32 v13, v31, 16, v13
	v_add_u32_e32 v16, v13, v16
	v_add_u32_e32 v17, v16, v17
	;; [unrolled: 1-line block ×7, first 2 shown]
	ds_write2_b32 v21, v13, v16 offset1:1
	ds_write2_b32 v21, v17, v14 offset0:2 offset1:3
	ds_write2_b32 v21, v15, v10 offset0:4 offset1:5
	;; [unrolled: 1-line block ×3, first 2 shown]
	s_waitcnt lgkmcnt(0)
	; wave barrier
	s_waitcnt lgkmcnt(0)
	ds_read_u16 v10, v30
	ds_read_u16 v11, v28
	s_waitcnt lgkmcnt(0)
	; wave barrier
	s_waitcnt lgkmcnt(0)
	v_add_u32_sdwa v10, v10, v29 dst_sel:DWORD dst_unused:UNUSED_PAD src0_sel:DWORD src1_sel:WORD_0
	v_add_u32_sdwa v11, v11, v27 dst_sel:DWORD dst_unused:UNUSED_PAD src0_sel:DWORD src1_sel:WORD_0
	ds_write_b8 v11, v25
	ds_write_b8 v10, v26
	s_waitcnt lgkmcnt(0)
	; wave barrier
	s_waitcnt lgkmcnt(0)
	ds_read_u8 v12, v18
	ds_read_u8 v13, v18 offset:1
	v_lshlrev_b32_e32 v11, 3, v11
	s_waitcnt lgkmcnt(0)
	; wave barrier
	s_waitcnt lgkmcnt(0)
	ds_write_b64 v11, v[6:7]
	v_lshlrev_b32_e32 v6, 3, v10
	ds_write_b64 v6, v[8:9]
	s_waitcnt lgkmcnt(0)
	; wave barrier
	s_waitcnt lgkmcnt(0)
	ds_read2_b64 v[6:9], v20 offset1:1
	v_xor_b32_e32 v10, 0x80, v12
	v_xor_b32_sdwa v11, v13, s24 dst_sel:BYTE_1 dst_unused:UNUSED_PAD src0_sel:DWORD src1_sel:DWORD
	v_or_b32_e32 v10, v10, v11
	v_and_b32_e32 v10, 0xffff, v10
	s_branch .LBB119_66
.LBB119_47:
	s_and_saveexec_b64 s[24:25], s[16:17]
	s_cbranch_execz .LBB119_54
; %bb.48:
	s_mov_b32 s37, 0
	s_mov_b64 s[26:27], 0
	s_waitcnt lgkmcnt(0)
	v_mov_b32_e32 v8, 0
	v_pk_mov_b32 v[6:7], v[0:1], v[0:1] op_sel:[0,1]
	s_branch .LBB119_50
.LBB119_49:                             ;   in Loop: Header=BB119_50 Depth=1
	s_or_b64 exec, exec, s[30:31]
	s_add_i32 s37, s37, 2
	v_cmp_eq_u32_e64 s[28:29], 8, s37
	v_add_u32_e32 v7, 32, v7
	s_or_b64 s[26:27], s[28:29], s[26:27]
	v_add_u32_e32 v6, 32, v6
	s_andn2_b64 exec, exec, s[26:27]
	s_cbranch_execz .LBB119_54
.LBB119_50:                             ; =>This Inner Loop Header: Depth=1
	s_or_b32 s28, s37, 1
	v_cmp_le_u32_e64 s[28:29], s28, 7
	v_cmp_le_u32_e64 s[38:39], s37, 7
	s_and_saveexec_b64 s[30:31], s[38:39]
	s_cbranch_execz .LBB119_52
; %bb.51:                               ;   in Loop: Header=BB119_50 Depth=1
	v_lshlrev_b32_e32 v9, 2, v6
	ds_write_b32 v9, v8
.LBB119_52:                             ;   in Loop: Header=BB119_50 Depth=1
	s_or_b64 exec, exec, s[30:31]
	s_and_saveexec_b64 s[30:31], s[28:29]
	s_cbranch_execz .LBB119_49
; %bb.53:                               ;   in Loop: Header=BB119_50 Depth=1
	v_lshlrev_b32_e32 v9, 2, v7
	ds_write_b32 v9, v8
	s_branch .LBB119_49
.LBB119_54:
	s_or_b64 exec, exec, s[24:25]
	s_lshl_b32 s24, -1, s36
	v_xor_b32_e32 v14, 0x7f, v24
	s_not_b32 s24, s24
	s_waitcnt lgkmcnt(0)
	v_and_b32_e32 v6, s24, v14
	v_bfe_u32 v7, v6, 3, 5
	v_lshlrev_b32_e32 v6, 4, v6
	s_movk_i32 s25, 0x70
	v_and_or_b32 v6, v6, s25, v0
	v_lshlrev_b32_e32 v6, 1, v6
	v_add_lshl_u32 v17, v6, v7, 1
	ds_read_u16 v16, v17
	v_xor_b32_e32 v15, 0x7f, v23
	s_waitcnt lgkmcnt(0)
	v_add_u16_e32 v6, 1, v16
	ds_write_b16 v17, v6
	v_and_b32_e32 v6, s24, v15
	v_bfe_u32 v7, v6, 3, 5
	v_lshlrev_b32_e32 v6, 4, v6
	v_and_or_b32 v6, v6, s25, v0
	v_lshlrev_b32_e32 v6, 1, v6
	v_add_lshl_u32 v24, v6, v7, 1
	ds_read_u16 v23, v24
	s_waitcnt lgkmcnt(0)
	v_add_u16_e32 v6, 1, v23
	ds_write_b16 v24, v6
	s_waitcnt lgkmcnt(0)
	; wave barrier
	s_waitcnt lgkmcnt(0)
	ds_read2_b32 v[12:13], v21 offset1:1
	ds_read2_b32 v[10:11], v21 offset0:2 offset1:3
	ds_read2_b32 v[6:7], v21 offset0:4 offset1:5
	ds_read2_b32 v[8:9], v21 offset0:6 offset1:7
	s_waitcnt lgkmcnt(3)
	v_add_u32_e32 v25, v13, v12
	s_waitcnt lgkmcnt(2)
	v_add3_u32 v25, v25, v10, v11
	s_waitcnt lgkmcnt(1)
	v_add3_u32 v25, v25, v6, v7
	;; [unrolled: 2-line block ×3, first 2 shown]
	s_nop 1
	v_mov_b32_dpp v25, v9 row_shr:1 row_mask:0xf bank_mask:0xf
	v_cndmask_b32_e64 v25, v25, 0, s[14:15]
	v_add_u32_e32 v9, v25, v9
	s_nop 1
	v_mov_b32_dpp v25, v9 row_shr:2 row_mask:0xf bank_mask:0xf
	v_cndmask_b32_e64 v25, 0, v25, s[12:13]
	v_add_u32_e32 v9, v9, v25
	;; [unrolled: 4-line block ×4, first 2 shown]
	s_and_saveexec_b64 s[24:25], s[6:7]
	s_cbranch_execz .LBB119_56
; %bb.55:
	v_mov_b32_e32 v25, 0
	ds_write_b32 v25, v9 offset:512
.LBB119_56:
	s_or_b64 exec, exec, s[24:25]
	ds_bpermute_b32 v25, v22, v9
	v_mov_b32_e32 v9, 0
	s_waitcnt lgkmcnt(0)
	; wave barrier
	s_waitcnt lgkmcnt(0)
	ds_read_b32 v26, v9 offset:512
	v_cndmask_b32_e64 v25, v25, 0, s[4:5]
	s_mov_b32 s30, 0
	s_waitcnt lgkmcnt(0)
	v_lshl_add_u32 v25, v26, 16, v25
	v_add_u32_e32 v12, v25, v12
	v_add_u32_e32 v13, v12, v13
	;; [unrolled: 1-line block ×7, first 2 shown]
	ds_write2_b32 v21, v25, v12 offset1:1
	ds_write2_b32 v21, v13, v10 offset0:2 offset1:3
	ds_write2_b32 v21, v11, v6 offset0:4 offset1:5
	;; [unrolled: 1-line block ×3, first 2 shown]
	s_waitcnt lgkmcnt(0)
	; wave barrier
	s_waitcnt lgkmcnt(0)
	ds_read_u16 v6, v17
	ds_read_u16 v7, v24
	s_waitcnt lgkmcnt(0)
	; wave barrier
	s_waitcnt lgkmcnt(0)
	v_add_u32_sdwa v6, v6, v16 dst_sel:DWORD dst_unused:UNUSED_PAD src0_sel:DWORD src1_sel:WORD_0
	v_add_u32_sdwa v7, v7, v23 dst_sel:DWORD dst_unused:UNUSED_PAD src0_sel:DWORD src1_sel:WORD_0
	ds_write_b8 v6, v14
	ds_write_b8 v7, v15
	v_lshlrev_b32_e32 v6, 3, v6
	s_waitcnt lgkmcnt(0)
	; wave barrier
	s_waitcnt lgkmcnt(0)
	ds_read_u8 v14, v18
	ds_read_u8 v15, v18 offset:1
	s_waitcnt lgkmcnt(0)
	; wave barrier
	s_waitcnt lgkmcnt(0)
	ds_write_b64 v6, v[2:3]
	v_lshlrev_b32_e32 v2, 3, v7
	ds_write_b64 v2, v[4:5]
	s_waitcnt lgkmcnt(0)
	; wave barrier
	s_waitcnt lgkmcnt(0)
	ds_read2_b64 v[2:5], v20 offset1:1
	s_waitcnt lgkmcnt(0)
	; wave barrier
	s_waitcnt lgkmcnt(0)
	s_and_saveexec_b64 s[24:25], s[16:17]
	s_cbranch_execz .LBB119_63
; %bb.57:
	s_mov_b64 s[16:17], 0
	v_pk_mov_b32 v[6:7], v[0:1], v[0:1] op_sel:[0,1]
	s_branch .LBB119_59
.LBB119_58:                             ;   in Loop: Header=BB119_59 Depth=1
	s_or_b64 exec, exec, s[28:29]
	s_add_i32 s30, s30, 2
	v_cmp_eq_u32_e64 s[26:27], 8, s30
	v_add_u32_e32 v7, 32, v7
	s_or_b64 s[16:17], s[26:27], s[16:17]
	v_add_u32_e32 v6, 32, v6
	s_andn2_b64 exec, exec, s[16:17]
	s_cbranch_execz .LBB119_63
.LBB119_59:                             ; =>This Inner Loop Header: Depth=1
	s_or_b32 s26, s30, 1
	v_cmp_le_u32_e64 s[26:27], s26, 7
	v_cmp_le_u32_e64 s[36:37], s30, 7
	s_and_saveexec_b64 s[28:29], s[36:37]
	s_cbranch_execz .LBB119_61
; %bb.60:                               ;   in Loop: Header=BB119_59 Depth=1
	v_lshlrev_b32_e32 v1, 2, v6
	ds_write_b32 v1, v9
.LBB119_61:                             ;   in Loop: Header=BB119_59 Depth=1
	s_or_b64 exec, exec, s[28:29]
	s_and_saveexec_b64 s[28:29], s[26:27]
	s_cbranch_execz .LBB119_58
; %bb.62:                               ;   in Loop: Header=BB119_59 Depth=1
	v_lshlrev_b32_e32 v1, 2, v7
	ds_write_b32 v1, v9
	s_branch .LBB119_58
.LBB119_63:
	s_or_b64 exec, exec, s[24:25]
	s_min_u32 s16, s35, 4
	s_lshl_b32 s16, -1, s16
	v_lshrrev_b16_e32 v1, 4, v14
	s_not_b32 s16, s16
	v_and_b32_e32 v1, 15, v1
	v_and_b32_sdwa v1, v1, s16 dst_sel:DWORD dst_unused:UNUSED_PAD src0_sel:WORD_0 src1_sel:DWORD
	v_lshlrev_b32_e32 v6, 4, v1
	s_movk_i32 s17, 0x70
	v_lshrrev_b32_e32 v1, 2, v1
	v_and_or_b32 v6, v6, s17, v0
	v_and_b32_e32 v1, 2, v1
	v_lshl_or_b32 v16, v6, 2, v1
	ds_read_u16 v1, v16
	s_waitcnt lgkmcnt(0)
	v_add_u16_e32 v6, 1, v1
	ds_write_b16 v16, v6
	v_lshrrev_b16_e32 v6, 4, v15
	v_and_b32_e32 v6, 15, v6
	v_and_b32_sdwa v6, v6, s16 dst_sel:DWORD dst_unused:UNUSED_PAD src0_sel:WORD_0 src1_sel:DWORD
	v_lshlrev_b32_e32 v7, 4, v6
	v_lshrrev_b32_e32 v6, 2, v6
	v_and_or_b32 v7, v7, s17, v0
	v_and_b32_e32 v6, 2, v6
	v_lshl_or_b32 v23, v7, 2, v6
	ds_read_u16 v17, v23
	s_waitcnt lgkmcnt(0)
	v_add_u16_e32 v6, 1, v17
	ds_write_b16 v23, v6
	s_waitcnt lgkmcnt(0)
	; wave barrier
	s_waitcnt lgkmcnt(0)
	ds_read2_b32 v[12:13], v21 offset1:1
	ds_read2_b32 v[10:11], v21 offset0:2 offset1:3
	ds_read2_b32 v[6:7], v21 offset0:4 offset1:5
	;; [unrolled: 1-line block ×3, first 2 shown]
	s_waitcnt lgkmcnt(3)
	v_add_u32_e32 v24, v13, v12
	s_waitcnt lgkmcnt(2)
	v_add3_u32 v24, v24, v10, v11
	s_waitcnt lgkmcnt(1)
	v_add3_u32 v24, v24, v6, v7
	;; [unrolled: 2-line block ×3, first 2 shown]
	s_nop 1
	v_mov_b32_dpp v24, v9 row_shr:1 row_mask:0xf bank_mask:0xf
	v_cndmask_b32_e64 v24, v24, 0, s[14:15]
	v_add_u32_e32 v9, v24, v9
	s_nop 1
	v_mov_b32_dpp v24, v9 row_shr:2 row_mask:0xf bank_mask:0xf
	v_cndmask_b32_e64 v24, 0, v24, s[12:13]
	v_add_u32_e32 v9, v9, v24
	;; [unrolled: 4-line block ×4, first 2 shown]
	s_and_saveexec_b64 s[8:9], s[6:7]
	s_cbranch_execz .LBB119_65
; %bb.64:
	v_mov_b32_e32 v24, 0
	ds_write_b32 v24, v9 offset:512
.LBB119_65:
	s_or_b64 exec, exec, s[8:9]
	ds_bpermute_b32 v9, v22, v9
	v_mov_b32_e32 v22, 0
	s_waitcnt lgkmcnt(0)
	; wave barrier
	s_waitcnt lgkmcnt(0)
	ds_read_b32 v22, v22 offset:512
	v_cndmask_b32_e64 v9, v9, 0, s[4:5]
	s_movk_i32 s4, 0x7f
	s_waitcnt lgkmcnt(0)
	v_lshl_add_u32 v9, v22, 16, v9
	v_add_u32_e32 v12, v9, v12
	v_add_u32_e32 v13, v12, v13
	v_add_u32_e32 v10, v13, v10
	v_add_u32_e32 v11, v10, v11
	v_add_u32_e32 v6, v11, v6
	v_add_u32_e32 v7, v6, v7
	v_add_u32_e32 v8, v7, v8
	ds_write2_b32 v21, v9, v12 offset1:1
	ds_write2_b32 v21, v13, v10 offset0:2 offset1:3
	ds_write2_b32 v21, v11, v6 offset0:4 offset1:5
	;; [unrolled: 1-line block ×3, first 2 shown]
	s_waitcnt lgkmcnt(0)
	; wave barrier
	s_waitcnt lgkmcnt(0)
	ds_read_u16 v6, v23
	ds_read_u16 v7, v16
	s_waitcnt lgkmcnt(0)
	; wave barrier
	s_waitcnt lgkmcnt(0)
	v_add_u32_sdwa v6, v6, v17 dst_sel:DWORD dst_unused:UNUSED_PAD src0_sel:DWORD src1_sel:WORD_0
	v_add_u32_sdwa v1, v7, v1 dst_sel:DWORD dst_unused:UNUSED_PAD src0_sel:DWORD src1_sel:WORD_0
	ds_write_b8 v1, v14
	ds_write_b8 v6, v15
	s_waitcnt lgkmcnt(0)
	; wave barrier
	s_waitcnt lgkmcnt(0)
	ds_read_u8 v10, v18
	ds_read_u8 v11, v18 offset:1
	v_lshlrev_b32_e32 v1, 3, v1
	s_waitcnt lgkmcnt(0)
	; wave barrier
	s_waitcnt lgkmcnt(0)
	ds_write_b64 v1, v[2:3]
	v_lshlrev_b32_e32 v1, 3, v6
	ds_write_b64 v1, v[4:5]
	s_waitcnt lgkmcnt(0)
	; wave barrier
	s_waitcnt lgkmcnt(0)
	ds_read2_b64 v[6:9], v20 offset1:1
	v_xor_b32_e32 v1, 0x7f, v10
	v_xor_b32_sdwa v2, v11, s4 dst_sel:BYTE_1 dst_unused:UNUSED_PAD src0_sel:DWORD src1_sel:DWORD
	v_or_b32_e32 v1, v1, v2
	v_and_b32_e32 v10, 0xffff, v1
.LBB119_66:
	v_lshrrev_b16_e32 v1, 8, v10
	s_waitcnt lgkmcnt(0)
	; wave barrier
	s_waitcnt lgkmcnt(0)
	ds_write_b8 v18, v10
	ds_write_b8 v18, v1 offset:1
	s_waitcnt lgkmcnt(0)
	; wave barrier
	s_waitcnt lgkmcnt(0)
	ds_read_u8 v1, v0 offset:16
	v_pk_mov_b32 v[2:3], s[22:23], s[22:23] op_sel:[0,1]
	v_mad_u64_u32 v[2:3], s[4:5], v0, s18, v[2:3]
	v_mov_b32_e32 v4, v3
	v_mad_u64_u32 v[4:5], s[4:5], v0, s19, v[4:5]
	v_mov_b32_e32 v3, v4
	s_and_saveexec_b64 s[4:5], s[0:1]
	s_cbranch_execz .LBB119_68
; %bb.67:
	ds_read_u8 v4, v0
	s_waitcnt lgkmcnt(0)
	global_store_byte v[2:3], v4, off
.LBB119_68:
	s_or_b64 exec, exec, s[4:5]
	s_and_saveexec_b64 s[4:5], s[2:3]
	s_cbranch_execz .LBB119_70
; %bb.69:
	s_lshl_b64 s[6:7], s[18:19], 4
	v_mov_b32_e32 v4, s7
	v_add_co_u32_e32 v2, vcc, s6, v2
	v_addc_co_u32_e32 v3, vcc, v3, v4, vcc
	s_waitcnt lgkmcnt(0)
	global_store_byte v[2:3], v1, off
.LBB119_70:
	s_or_b64 exec, exec, s[4:5]
	v_mad_u64_u32 v[4:5], s[4:5], v0, s20, 0
	s_waitcnt lgkmcnt(0)
	; wave barrier
	s_waitcnt lgkmcnt(0)
	ds_write2_b64 v20, v[6:7], v[8:9] offset1:1
	v_mov_b32_e32 v6, v5
	s_waitcnt lgkmcnt(0)
	; wave barrier
	s_waitcnt lgkmcnt(0)
	ds_read_b64 v[2:3], v19 offset:128
	v_mad_u64_u32 v[0:1], s[4:5], v0, s21, v[6:7]
	v_mov_b32_e32 v5, v0
	v_lshlrev_b64 v[0:1], 3, v[4:5]
	v_mov_b32_e32 v4, s34
	v_add_co_u32_e32 v0, vcc, s33, v0
	v_addc_co_u32_e32 v1, vcc, v4, v1, vcc
	s_and_saveexec_b64 s[4:5], s[0:1]
	s_cbranch_execz .LBB119_72
; %bb.71:
	ds_read_b64 v[4:5], v19
	s_waitcnt lgkmcnt(0)
	global_store_dwordx2 v[0:1], v[4:5], off
.LBB119_72:
	s_or_b64 exec, exec, s[4:5]
	s_and_saveexec_b64 s[0:1], s[2:3]
	s_cbranch_execz .LBB119_74
; %bb.73:
	s_lshl_b64 s[0:1], s[20:21], 7
	v_mov_b32_e32 v4, s1
	v_add_co_u32_e32 v0, vcc, s0, v0
	v_addc_co_u32_e32 v1, vcc, v1, v4, vcc
	s_waitcnt lgkmcnt(0)
	global_store_dwordx2 v[0:1], v[2:3], off
.LBB119_74:
	s_endpgm
	.section	.rodata,"a",@progbits
	.p2align	6, 0x0
	.amdhsa_kernel _ZN2at6native18radixSortKVInPlaceILin1ELin1ELi16ELi2EalmEEvNS_4cuda6detail10TensorInfoIT3_T5_EES6_S6_S6_NS4_IT4_S6_EES6_b
		.amdhsa_group_segment_fixed_size 528
		.amdhsa_private_segment_fixed_size 0
		.amdhsa_kernarg_size 1128
		.amdhsa_user_sgpr_count 6
		.amdhsa_user_sgpr_private_segment_buffer 1
		.amdhsa_user_sgpr_dispatch_ptr 0
		.amdhsa_user_sgpr_queue_ptr 0
		.amdhsa_user_sgpr_kernarg_segment_ptr 1
		.amdhsa_user_sgpr_dispatch_id 0
		.amdhsa_user_sgpr_flat_scratch_init 0
		.amdhsa_user_sgpr_kernarg_preload_length 0
		.amdhsa_user_sgpr_kernarg_preload_offset 0
		.amdhsa_user_sgpr_private_segment_size 0
		.amdhsa_uses_dynamic_stack 0
		.amdhsa_system_sgpr_private_segment_wavefront_offset 0
		.amdhsa_system_sgpr_workgroup_id_x 1
		.amdhsa_system_sgpr_workgroup_id_y 1
		.amdhsa_system_sgpr_workgroup_id_z 1
		.amdhsa_system_sgpr_workgroup_info 0
		.amdhsa_system_vgpr_workitem_id 0
		.amdhsa_next_free_vgpr 32
		.amdhsa_next_free_sgpr 40
		.amdhsa_accum_offset 32
		.amdhsa_reserve_vcc 1
		.amdhsa_reserve_flat_scratch 0
		.amdhsa_float_round_mode_32 0
		.amdhsa_float_round_mode_16_64 0
		.amdhsa_float_denorm_mode_32 3
		.amdhsa_float_denorm_mode_16_64 3
		.amdhsa_dx10_clamp 1
		.amdhsa_ieee_mode 1
		.amdhsa_fp16_overflow 0
		.amdhsa_tg_split 0
		.amdhsa_exception_fp_ieee_invalid_op 0
		.amdhsa_exception_fp_denorm_src 0
		.amdhsa_exception_fp_ieee_div_zero 0
		.amdhsa_exception_fp_ieee_overflow 0
		.amdhsa_exception_fp_ieee_underflow 0
		.amdhsa_exception_fp_ieee_inexact 0
		.amdhsa_exception_int_div_zero 0
	.end_amdhsa_kernel
	.section	.text._ZN2at6native18radixSortKVInPlaceILin1ELin1ELi16ELi2EalmEEvNS_4cuda6detail10TensorInfoIT3_T5_EES6_S6_S6_NS4_IT4_S6_EES6_b,"axG",@progbits,_ZN2at6native18radixSortKVInPlaceILin1ELin1ELi16ELi2EalmEEvNS_4cuda6detail10TensorInfoIT3_T5_EES6_S6_S6_NS4_IT4_S6_EES6_b,comdat
.Lfunc_end119:
	.size	_ZN2at6native18radixSortKVInPlaceILin1ELin1ELi16ELi2EalmEEvNS_4cuda6detail10TensorInfoIT3_T5_EES6_S6_S6_NS4_IT4_S6_EES6_b, .Lfunc_end119-_ZN2at6native18radixSortKVInPlaceILin1ELin1ELi16ELi2EalmEEvNS_4cuda6detail10TensorInfoIT3_T5_EES6_S6_S6_NS4_IT4_S6_EES6_b
                                        ; -- End function
	.section	.AMDGPU.csdata,"",@progbits
; Kernel info:
; codeLenInByte = 5756
; NumSgprs: 44
; NumVgprs: 32
; NumAgprs: 0
; TotalNumVgprs: 32
; ScratchSize: 0
; MemoryBound: 0
; FloatMode: 240
; IeeeMode: 1
; LDSByteSize: 528 bytes/workgroup (compile time only)
; SGPRBlocks: 5
; VGPRBlocks: 3
; NumSGPRsForWavesPerEU: 44
; NumVGPRsForWavesPerEU: 32
; AccumOffset: 32
; Occupancy: 8
; WaveLimiterHint : 1
; COMPUTE_PGM_RSRC2:SCRATCH_EN: 0
; COMPUTE_PGM_RSRC2:USER_SGPR: 6
; COMPUTE_PGM_RSRC2:TRAP_HANDLER: 0
; COMPUTE_PGM_RSRC2:TGID_X_EN: 1
; COMPUTE_PGM_RSRC2:TGID_Y_EN: 1
; COMPUTE_PGM_RSRC2:TGID_Z_EN: 1
; COMPUTE_PGM_RSRC2:TIDIG_COMP_CNT: 0
; COMPUTE_PGM_RSRC3_GFX90A:ACCUM_OFFSET: 7
; COMPUTE_PGM_RSRC3_GFX90A:TG_SPLIT: 0
	.section	.text._ZN2at6native18radixSortKVInPlaceILin2ELin1ELi512ELi8EiljEEvNS_4cuda6detail10TensorInfoIT3_T5_EES6_S6_S6_NS4_IT4_S6_EES6_b,"axG",@progbits,_ZN2at6native18radixSortKVInPlaceILin2ELin1ELi512ELi8EiljEEvNS_4cuda6detail10TensorInfoIT3_T5_EES6_S6_S6_NS4_IT4_S6_EES6_b,comdat
	.protected	_ZN2at6native18radixSortKVInPlaceILin2ELin1ELi512ELi8EiljEEvNS_4cuda6detail10TensorInfoIT3_T5_EES6_S6_S6_NS4_IT4_S6_EES6_b ; -- Begin function _ZN2at6native18radixSortKVInPlaceILin2ELin1ELi512ELi8EiljEEvNS_4cuda6detail10TensorInfoIT3_T5_EES6_S6_S6_NS4_IT4_S6_EES6_b
	.globl	_ZN2at6native18radixSortKVInPlaceILin2ELin1ELi512ELi8EiljEEvNS_4cuda6detail10TensorInfoIT3_T5_EES6_S6_S6_NS4_IT4_S6_EES6_b
	.p2align	8
	.type	_ZN2at6native18radixSortKVInPlaceILin2ELin1ELi512ELi8EiljEEvNS_4cuda6detail10TensorInfoIT3_T5_EES6_S6_S6_NS4_IT4_S6_EES6_b,@function
_ZN2at6native18radixSortKVInPlaceILin2ELin1ELi512ELi8EiljEEvNS_4cuda6detail10TensorInfoIT3_T5_EES6_S6_S6_NS4_IT4_S6_EES6_b: ; @_ZN2at6native18radixSortKVInPlaceILin2ELin1ELi512ELi8EiljEEvNS_4cuda6detail10TensorInfoIT3_T5_EES6_S6_S6_NS4_IT4_S6_EES6_b
; %bb.0:
	s_load_dwordx2 s[0:1], s[4:5], 0x1c8
	s_load_dwordx4 s[48:51], s[4:5], 0xd8
	s_add_u32 s54, s4, 0x1c8
	s_addc_u32 s55, s5, 0
	s_waitcnt lgkmcnt(0)
	s_mul_i32 s1, s1, s8
	s_add_i32 s1, s1, s7
	s_mul_i32 s0, s1, s0
	s_add_i32 s6, s0, s6
	s_cmp_ge_u32 s6, s48
	s_cbranch_scc1 .LBB120_110
; %bb.1:
	s_load_dword s2, s[4:5], 0x1b8
	s_load_dwordx2 s[0:1], s[4:5], 0x0
	s_add_u32 s14, s4, 0xe8
	s_addc_u32 s15, s5, 0
	s_mov_b32 s17, 0
	s_waitcnt lgkmcnt(0)
	s_cmp_lt_i32 s2, 2
	s_mov_b32 s16, s6
	s_cbranch_scc1 .LBB120_4
; %bb.2:
	s_add_i32 s16, s2, -1
	s_add_i32 s7, s2, 1
	s_lshl_b64 s[2:3], s[16:17], 2
	s_add_u32 s2, s2, s14
	s_addc_u32 s3, s3, s15
	s_add_u32 s2, s2, 8
	s_addc_u32 s3, s3, 0
	s_mov_b32 s16, s6
.LBB120_3:                              ; =>This Inner Loop Header: Depth=1
	s_load_dword s8, s[2:3], 0x0
	s_load_dword s10, s[2:3], 0x64
	s_mov_b32 s9, s16
	s_waitcnt lgkmcnt(0)
	v_cvt_f32_u32_e32 v1, s8
	s_sub_i32 s11, 0, s8
	v_rcp_iflag_f32_e32 v1, v1
	v_mul_f32_e32 v1, 0x4f7ffffe, v1
	v_cvt_u32_f32_e32 v1, v1
	v_readfirstlane_b32 s12, v1
	s_mul_i32 s11, s11, s12
	s_mul_hi_u32 s11, s12, s11
	s_add_i32 s12, s12, s11
	s_mul_hi_u32 s11, s16, s12
	s_mul_i32 s12, s11, s8
	s_sub_i32 s12, s16, s12
	s_add_i32 s13, s11, 1
	s_sub_i32 s16, s12, s8
	s_cmp_ge_u32 s12, s8
	s_cselect_b32 s11, s13, s11
	s_cselect_b32 s12, s16, s12
	s_add_i32 s13, s11, 1
	s_cmp_ge_u32 s12, s8
	s_cselect_b32 s16, s13, s11
	s_mul_i32 s8, s16, s8
	s_sub_i32 s8, s9, s8
	s_mul_i32 s8, s10, s8
	s_add_i32 s7, s7, -1
	s_add_i32 s17, s8, s17
	s_add_u32 s2, s2, -4
	s_addc_u32 s3, s3, -1
	s_cmp_gt_u32 s7, 2
	s_cbranch_scc1 .LBB120_3
.LBB120_4:
	s_load_dword s2, s[4:5], 0x6c
	s_load_dwordx2 s[52:53], s[4:5], 0x1c0
	s_mov_b32 s3, 0
	v_and_b32_e32 v38, 0x3ff, v0
	v_mul_lo_u32 v34, v38, s50
	s_waitcnt lgkmcnt(0)
	s_mul_i32 s2, s2, s6
	s_bitcmp1_b32 s53, 0
	s_cselect_b64 s[34:35], -1, 0
	s_brev_b32 s6, 1
	s_and_b64 s[4:5], s[34:35], exec
	s_cselect_b32 s4, s6, 0x7fffffff
	s_lshl_b64 s[2:3], s[2:3], 2
	s_mov_b32 s5, s4
	s_add_u32 s33, s0, s2
	s_mov_b32 s6, s4
	s_mov_b32 s7, s4
	;; [unrolled: 1-line block ×6, first 2 shown]
	v_pk_mov_b32 v[2:3], s[4:5], s[4:5] op_sel:[0,1]
	s_addc_u32 s48, s1, s3
	v_cmp_gt_u32_e64 s[0:1], s49, v38
	v_pk_mov_b32 v[4:5], s[6:7], s[6:7] op_sel:[0,1]
	v_pk_mov_b32 v[6:7], s[8:9], s[8:9] op_sel:[0,1]
	v_pk_mov_b32 v[8:9], s[10:11], s[10:11] op_sel:[0,1]
	v_mov_b32_e32 v10, s4
	s_and_saveexec_b64 s[2:3], s[0:1]
	s_cbranch_execz .LBB120_6
; %bb.5:
	v_mov_b32_e32 v35, 0
	v_lshlrev_b64 v[2:3], 2, v[34:35]
	v_mov_b32_e32 v1, s48
	v_add_co_u32_e32 v2, vcc, s33, v2
	v_addc_co_u32_e32 v3, vcc, v1, v3, vcc
	global_load_dword v10, v[2:3], off
	v_pk_mov_b32 v[2:3], s[4:5], s[4:5] op_sel:[0,1]
	v_pk_mov_b32 v[4:5], s[6:7], s[6:7] op_sel:[0,1]
	;; [unrolled: 1-line block ×4, first 2 shown]
                                        ; kill: def $vgpr2 killed $vgpr10 killed $exec
.LBB120_6:
	s_or_b64 exec, exec, s[2:3]
	v_add_u32_e32 v30, 0x200, v38
	v_cmp_gt_u32_e64 s[2:3], s49, v30
	s_and_saveexec_b64 s[4:5], s[2:3]
	s_cbranch_execz .LBB120_8
; %bb.7:
	v_mul_lo_u32 v2, v30, s50
	v_mov_b32_e32 v3, 0
	v_lshlrev_b64 v[2:3], 2, v[2:3]
	v_mov_b32_e32 v1, s48
	v_add_co_u32_e32 v2, vcc, s33, v2
	v_addc_co_u32_e32 v3, vcc, v1, v3, vcc
	global_load_dword v3, v[2:3], off
.LBB120_8:
	s_or_b64 exec, exec, s[4:5]
	v_or_b32_e32 v28, 0x400, v38
	v_cmp_gt_u32_e64 s[4:5], s49, v28
	s_and_saveexec_b64 s[6:7], s[4:5]
	s_cbranch_execz .LBB120_10
; %bb.9:
	v_mul_lo_u32 v12, v28, s50
	v_mov_b32_e32 v13, 0
	v_lshlrev_b64 v[12:13], 2, v[12:13]
	v_mov_b32_e32 v1, s48
	v_add_co_u32_e32 v12, vcc, s33, v12
	v_addc_co_u32_e32 v13, vcc, v1, v13, vcc
	global_load_dword v4, v[12:13], off
.LBB120_10:
	s_or_b64 exec, exec, s[6:7]
	v_add_u32_e32 v26, 0x600, v38
	v_cmp_gt_u32_e64 s[6:7], s49, v26
	s_and_saveexec_b64 s[8:9], s[6:7]
	s_cbranch_execz .LBB120_12
; %bb.11:
	v_mul_lo_u32 v12, v26, s50
	v_mov_b32_e32 v13, 0
	v_lshlrev_b64 v[12:13], 2, v[12:13]
	v_mov_b32_e32 v1, s48
	v_add_co_u32_e32 v12, vcc, s33, v12
	v_addc_co_u32_e32 v13, vcc, v1, v13, vcc
	global_load_dword v5, v[12:13], off
.LBB120_12:
	s_or_b64 exec, exec, s[8:9]
	v_or_b32_e32 v24, 0x800, v38
	v_cmp_gt_u32_e64 s[8:9], s49, v24
	s_and_saveexec_b64 s[10:11], s[8:9]
	s_cbranch_execz .LBB120_14
; %bb.13:
	v_mul_lo_u32 v12, v24, s50
	v_mov_b32_e32 v13, 0
	v_lshlrev_b64 v[12:13], 2, v[12:13]
	v_mov_b32_e32 v1, s48
	v_add_co_u32_e32 v12, vcc, s33, v12
	v_addc_co_u32_e32 v13, vcc, v1, v13, vcc
	global_load_dword v6, v[12:13], off
.LBB120_14:
	s_or_b64 exec, exec, s[10:11]
	v_add_u32_e32 v21, 0xa00, v38
	v_cmp_gt_u32_e64 s[10:11], s49, v21
	s_and_saveexec_b64 s[12:13], s[10:11]
	s_cbranch_execz .LBB120_16
; %bb.15:
	v_mul_lo_u32 v12, v21, s50
	v_mov_b32_e32 v13, 0
	v_lshlrev_b64 v[12:13], 2, v[12:13]
	v_mov_b32_e32 v1, s48
	v_add_co_u32_e32 v12, vcc, s33, v12
	v_addc_co_u32_e32 v13, vcc, v1, v13, vcc
	global_load_dword v7, v[12:13], off
.LBB120_16:
	s_or_b64 exec, exec, s[12:13]
	s_load_dwordx2 s[18:19], s[14:15], 0x0
	v_or_b32_e32 v19, 0xc00, v38
	v_cmp_gt_u32_e64 s[12:13], s49, v19
	s_and_saveexec_b64 s[20:21], s[12:13]
	s_cbranch_execz .LBB120_18
; %bb.17:
	v_mul_lo_u32 v12, v19, s50
	v_mov_b32_e32 v13, 0
	v_lshlrev_b64 v[12:13], 2, v[12:13]
	v_mov_b32_e32 v1, s48
	v_add_co_u32_e32 v12, vcc, s33, v12
	v_addc_co_u32_e32 v13, vcc, v1, v13, vcc
	global_load_dword v8, v[12:13], off
.LBB120_18:
	s_or_b64 exec, exec, s[20:21]
	s_load_dword s22, s[14:15], 0x6c
	v_add_u32_e32 v1, 0xe00, v38
	v_cmp_gt_u32_e64 s[14:15], s49, v1
	s_and_saveexec_b64 s[20:21], s[14:15]
	s_cbranch_execz .LBB120_20
; %bb.19:
	v_mul_lo_u32 v12, v1, s50
	v_mov_b32_e32 v13, 0
	v_lshlrev_b64 v[12:13], 2, v[12:13]
	v_mov_b32_e32 v2, s48
	v_add_co_u32_e32 v12, vcc, s33, v12
	v_addc_co_u32_e32 v13, vcc, v2, v13, vcc
	global_load_dword v9, v[12:13], off
.LBB120_20:
	s_or_b64 exec, exec, s[20:21]
	v_lshrrev_b32_e32 v2, 5, v38
	v_add_u32_e32 v32, v2, v38
	v_lshrrev_b32_e32 v2, 5, v30
	v_add_u32_e32 v31, v2, v38
	;; [unrolled: 2-line block ×8, first 2 shown]
	v_lshlrev_b32_e32 v87, 3, v38
	v_lshrrev_b32_e32 v2, 2, v38
	v_add_u32_e32 v22, v2, v87
	v_lshlrev_b32_e32 v39, 2, v32
	v_lshlrev_b32_e32 v35, 2, v31
	;; [unrolled: 1-line block ×9, first 2 shown]
	s_waitcnt vmcnt(0)
	ds_write_b32 v39, v10
	ds_write_b32 v35, v3 offset:2048
	ds_write_b32 v72, v4 offset:4096
	;; [unrolled: 1-line block ×7, first 2 shown]
	s_waitcnt lgkmcnt(0)
	s_barrier
	ds_read2_b32 v[46:47], v78 offset1:1
	ds_read2_b32 v[44:45], v78 offset0:2 offset1:3
	ds_read2_b32 v[42:43], v78 offset0:4 offset1:5
	ds_read2_b32 v[40:41], v78 offset0:6 offset1:7
	s_mul_i32 s16, s22, s16
	s_add_i32 s16, s16, s17
	s_mov_b32 s17, 0
	s_lshl_b64 s[20:21], s[16:17], 3
	s_add_u32 s49, s18, s20
	s_mov_b32 s16, s17
	s_addc_u32 s51, s19, s21
	s_mov_b32 s18, s17
	s_mov_b32 s19, s17
	;; [unrolled: 1-line block ×14, first 2 shown]
	v_pk_mov_b32 v[2:3], s[16:17], s[16:17] op_sel:[0,1]
	v_pk_mov_b32 v[4:5], s[18:19], s[18:19] op_sel:[0,1]
	;; [unrolled: 1-line block ×8, first 2 shown]
	v_pk_mov_b32 v[2:3], 0, 0
	v_mul_lo_u32 v36, v38, s52
	s_waitcnt lgkmcnt(0)
	s_barrier
	s_and_saveexec_b64 s[16:17], s[0:1]
	s_cbranch_execnz .LBB120_57
; %bb.21:
	s_or_b64 exec, exec, s[16:17]
	s_and_saveexec_b64 s[16:17], s[2:3]
	s_cbranch_execnz .LBB120_58
.LBB120_22:
	s_or_b64 exec, exec, s[16:17]
	s_and_saveexec_b64 s[16:17], s[4:5]
	s_cbranch_execnz .LBB120_59
.LBB120_23:
	s_or_b64 exec, exec, s[16:17]
	s_and_saveexec_b64 s[16:17], s[6:7]
	s_cbranch_execnz .LBB120_60
.LBB120_24:
	s_or_b64 exec, exec, s[16:17]
	s_and_saveexec_b64 s[16:17], s[8:9]
	s_cbranch_execnz .LBB120_61
.LBB120_25:
	s_or_b64 exec, exec, s[16:17]
	s_and_saveexec_b64 s[16:17], s[10:11]
	s_cbranch_execnz .LBB120_62
.LBB120_26:
	s_or_b64 exec, exec, s[16:17]
	s_and_saveexec_b64 s[16:17], s[12:13]
	s_cbranch_execnz .LBB120_63
.LBB120_27:
	s_or_b64 exec, exec, s[16:17]
	s_xor_b64 s[16:17], s[34:35], -1
	s_and_saveexec_b64 s[18:19], s[14:15]
	s_cbranch_execz .LBB120_29
.LBB120_28:
	v_mul_lo_u32 v16, v1, s52
	v_mov_b32_e32 v17, 0
	v_lshlrev_b64 v[16:17], 3, v[16:17]
	v_mov_b32_e32 v1, s51
	v_add_co_u32_e32 v16, vcc, s49, v16
	v_addc_co_u32_e32 v17, vcc, v1, v17, vcc
	global_load_dwordx2 v[16:17], v[16:17], off
.LBB120_29:
	s_or_b64 exec, exec, s[18:19]
	v_lshlrev_b32_e32 v79, 3, v32
	v_lshlrev_b32_e32 v37, 3, v31
	;; [unrolled: 1-line block ×9, first 2 shown]
	s_waitcnt vmcnt(0)
	ds_write_b64 v79, v[2:3]
	ds_write_b64 v37, v[4:5] offset:4096
	ds_write_b64 v80, v[6:7] offset:8192
	;; [unrolled: 1-line block ×7, first 2 shown]
	s_waitcnt lgkmcnt(0)
	s_barrier
	ds_read2_b64 v[14:17], v86 offset1:1
	ds_read2_b64 v[10:13], v86 offset0:2 offset1:3
	ds_read2_b64 v[6:9], v86 offset0:4 offset1:5
	;; [unrolled: 1-line block ×3, first 2 shown]
	v_mbcnt_lo_u32_b32 v1, -1, 0
	v_mbcnt_hi_u32_b32 v90, -1, v1
	v_and_b32_e32 v91, 0x3c0, v38
	v_add_u32_e32 v1, v90, v91
	v_lshlrev_b32_e32 v18, 3, v1
	v_lshlrev_b32_e32 v104, 5, v1
	v_and_b32_e32 v1, 0x1e00, v87
	v_or_b32_e32 v19, v90, v1
	s_mov_b32 s53, 0
	v_lshlrev_b32_e32 v103, 2, v19
	s_and_b64 vcc, exec, s[16:17]
	v_bfe_u32 v99, v0, 10, 10
	v_bfe_u32 v100, v0, 20, 10
	v_lshlrev_b32_e32 v102, 3, v18
	v_lshlrev_b32_e32 v101, 3, v19
	;; [unrolled: 1-line block ×4, first 2 shown]
	v_and_b32_e32 v97, 15, v90
	v_and_b32_e32 v98, 16, v90
	v_cmp_lt_u32_e64 s[16:17], 31, v90
	v_cmp_gt_u32_e64 s[18:19], 8, v38
	v_cmp_lt_u32_e64 s[20:21], 63, v38
	v_add_u32_e32 v94, -1, v90
	v_and_b32_e32 v96, 64, v90
	v_cmp_eq_u32_e64 s[22:23], 0, v90
	v_cmp_eq_u32_e64 s[24:25], 0, v38
	v_lshrrev_b32_e32 v95, 4, v38
	v_and_b32_e32 v93, 7, v90
	v_and_or_b32 v92, v90, 63, v1
	s_waitcnt lgkmcnt(0)
	s_barrier
	s_cbranch_vccz .LBB120_64
; %bb.30:
	v_xor_b32_e32 v0, 0x80000000, v47
	v_xor_b32_e32 v1, 0x80000000, v46
	;; [unrolled: 1-line block ×8, first 2 shown]
	ds_write2_b32 v104, v1, v0 offset1:1
	ds_write2_b32 v104, v19, v18 offset0:2 offset1:3
	ds_write2_b32 v104, v21, v20 offset0:4 offset1:5
	;; [unrolled: 1-line block ×3, first 2 shown]
	; wave barrier
	ds_read2st64_b32 v[64:65], v103 offset1:1
	ds_read2st64_b32 v[66:67], v103 offset0:2 offset1:3
	ds_read2st64_b32 v[68:69], v103 offset0:4 offset1:5
	;; [unrolled: 1-line block ×3, first 2 shown]
	s_waitcnt lgkmcnt(0)
	s_barrier
	ds_write2_b64 v102, v[14:15], v[16:17] offset1:1
	ds_write2_b64 v102, v[10:11], v[12:13] offset0:2 offset1:3
	ds_write2_b64 v102, v[6:7], v[8:9] offset0:4 offset1:5
	;; [unrolled: 1-line block ×3, first 2 shown]
	; wave barrier
	ds_read2st64_b64 v[18:21], v101 offset1:1
	ds_read2st64_b64 v[22:25], v101 offset0:2 offset1:3
	ds_read2st64_b64 v[26:29], v101 offset0:4 offset1:5
	;; [unrolled: 1-line block ×3, first 2 shown]
	s_waitcnt lgkmcnt(0)
	s_barrier
	s_load_dword s28, s[54:55], 0xc
	s_getpc_b64 s[26:27]
	s_add_u32 s26, s26, _ZN7rocprim17ROCPRIM_400000_NS16block_radix_sortIiLj512ELj8ElLj1ELj1ELj0ELNS0_26block_radix_rank_algorithmE1ELNS0_18block_padding_hintE2ELNS0_4arch9wavefront6targetE1EE19radix_bits_per_passE@rel32@lo+4
	s_addc_u32 s27, s27, _ZN7rocprim17ROCPRIM_400000_NS16block_radix_sortIiLj512ELj8ElLj1ELj1ELj0ELNS0_26block_radix_rank_algorithmE1ELNS0_18block_padding_hintE2ELNS0_4arch9wavefront6targetE1EE19radix_bits_per_passE@rel32@hi+12
	s_load_dword s56, s[26:27], 0x0
	v_cmp_lt_i32_e32 vcc, v94, v96
	v_and_b32_e32 v108, 60, v95
	s_waitcnt lgkmcnt(0)
	s_lshr_b32 s26, s28, 16
	s_and_b32 s27, s28, 0xffff
	v_mad_u32_u24 v0, v100, s26, v99
	v_mad_u64_u32 v[0:1], s[26:27], v0, s27, v[38:39]
	v_lshrrev_b32_e32 v106, 6, v0
	v_min_u32_e32 v0, 0x1c0, v91
	v_or_b32_e32 v0, 63, v0
	v_cmp_eq_u32_e64 s[38:39], v0, v38
	v_cndmask_b32_e32 v0, v94, v90, vcc
	s_mov_b32 s57, 32
	v_add_u32_e32 v105, 32, v89
	v_cmp_eq_u32_e64 s[26:27], 0, v97
	v_cmp_lt_u32_e64 s[28:29], 1, v97
	v_cmp_lt_u32_e64 s[30:31], 3, v97
	;; [unrolled: 1-line block ×3, first 2 shown]
	v_cmp_eq_u32_e64 s[36:37], 0, v98
	v_lshlrev_b32_e32 v107, 2, v0
	v_cmp_eq_u32_e64 s[40:41], 0, v93
	v_cmp_lt_u32_e64 s[42:43], 1, v93
	v_cmp_lt_u32_e64 s[44:45], 3, v93
	v_add_u32_e32 v109, -4, v108
	v_lshlrev_b32_e32 v110, 2, v92
	v_lshlrev_b32_e32 v111, 3, v92
	v_mov_b32_e32 v62, 0
	s_branch .LBB120_32
.LBB120_31:                             ;   in Loop: Header=BB120_32 Depth=1
	v_lshlrev_b32_e32 v18, 2, v63
	s_barrier
	ds_write_b32 v18, v119
	v_lshlrev_b32_e32 v18, 2, v121
	ds_write_b32 v18, v118
	v_lshlrev_b32_e32 v18, 2, v122
	;; [unrolled: 2-line block ×8, first 2 shown]
	s_waitcnt lgkmcnt(0)
	s_barrier
	ds_read2st64_b32 v[64:65], v110 offset1:1
	ds_read2st64_b32 v[66:67], v110 offset0:2 offset1:3
	ds_read2st64_b32 v[68:69], v110 offset0:4 offset1:5
	;; [unrolled: 1-line block ×3, first 2 shown]
	s_waitcnt lgkmcnt(0)
	s_barrier
	ds_write_b64 v18, v[60:61]
	v_lshlrev_b32_e32 v18, 3, v121
	ds_write_b64 v18, v[58:59]
	v_lshlrev_b32_e32 v18, 3, v122
	;; [unrolled: 2-line block ×7, first 2 shown]
	ds_write_b64 v18, v[0:1]
	s_waitcnt lgkmcnt(0)
	s_barrier
	ds_read2st64_b64 v[18:21], v111 offset1:1
	ds_read2st64_b64 v[22:25], v111 offset0:2 offset1:3
	ds_read2st64_b64 v[26:29], v111 offset0:4 offset1:5
	;; [unrolled: 1-line block ×3, first 2 shown]
	s_add_i32 s53, s53, 8
	s_add_i32 s57, s57, -8
	s_waitcnt lgkmcnt(0)
	s_barrier
	s_cbranch_execz .LBB120_56
.LBB120_32:                             ; =>This Inner Loop Header: Depth=1
	s_min_u32 s46, s56, s57
	v_mov_b32_e32 v119, v64
	s_lshl_b32 s46, -1, s46
	v_pk_mov_b32 v[60:61], v[18:19], v[18:19] op_sel:[0,1]
	s_not_b32 s58, s46
	v_lshrrev_b32_e32 v18, s53, v119
	v_and_b32_e32 v18, s58, v18
	v_lshl_add_u32 v19, v18, 3, v106
	v_pk_mov_b32 v[56:57], v[22:23], v[22:23] op_sel:[0,1]
	v_lshl_add_u32 v22, v19, 2, 32
	v_and_b32_e32 v19, 1, v18
	v_pk_mov_b32 v[58:59], v[20:21], v[20:21] op_sel:[0,1]
	v_add_co_u32_e32 v20, vcc, -1, v19
	v_addc_co_u32_e64 v21, s[46:47], 0, -1, vcc
	v_cmp_ne_u32_e32 vcc, 0, v19
	v_lshlrev_b32_e32 v63, 30, v18
	v_xor_b32_e32 v19, vcc_hi, v21
	v_not_b32_e32 v21, v63
	v_xor_b32_e32 v20, vcc_lo, v20
	v_cmp_gt_i64_e32 vcc, 0, v[62:63]
	v_ashrrev_i32_e32 v21, 31, v21
	v_and_b32_e32 v20, exec_lo, v20
	v_xor_b32_e32 v23, vcc_hi, v21
	v_xor_b32_e32 v21, vcc_lo, v21
	v_lshlrev_b32_e32 v63, 29, v18
	v_and_b32_e32 v20, v20, v21
	v_not_b32_e32 v21, v63
	v_and_b32_e32 v19, exec_hi, v19
	v_cmp_gt_i64_e32 vcc, 0, v[62:63]
	v_ashrrev_i32_e32 v21, 31, v21
	v_and_b32_e32 v19, v19, v23
	v_xor_b32_e32 v23, vcc_hi, v21
	v_xor_b32_e32 v21, vcc_lo, v21
	v_lshlrev_b32_e32 v63, 28, v18
	v_and_b32_e32 v20, v20, v21
	v_not_b32_e32 v21, v63
	v_cmp_gt_i64_e32 vcc, 0, v[62:63]
	v_ashrrev_i32_e32 v21, 31, v21
	v_and_b32_e32 v19, v19, v23
	v_xor_b32_e32 v23, vcc_hi, v21
	v_xor_b32_e32 v21, vcc_lo, v21
	v_lshlrev_b32_e32 v63, 27, v18
	v_and_b32_e32 v20, v20, v21
	v_not_b32_e32 v21, v63
	;; [unrolled: 8-line block ×3, first 2 shown]
	v_cmp_gt_i64_e32 vcc, 0, v[62:63]
	v_ashrrev_i32_e32 v21, 31, v21
	v_and_b32_e32 v19, v19, v23
	v_xor_b32_e32 v23, vcc_hi, v21
	v_xor_b32_e32 v21, vcc_lo, v21
	v_lshlrev_b32_e32 v63, 25, v18
	v_and_b32_e32 v20, v20, v21
	v_cmp_gt_i64_e32 vcc, 0, v[62:63]
	v_not_b32_e32 v21, v63
	v_lshlrev_b32_e32 v63, 24, v18
	v_ashrrev_i32_e32 v21, 31, v21
	v_not_b32_e32 v18, v63
	v_and_b32_e32 v19, v19, v23
	v_xor_b32_e32 v23, vcc_hi, v21
	v_xor_b32_e32 v21, vcc_lo, v21
	v_cmp_gt_i64_e32 vcc, 0, v[62:63]
	v_ashrrev_i32_e32 v18, 31, v18
	v_and_b32_e32 v20, v20, v21
	v_xor_b32_e32 v21, vcc_hi, v18
	v_xor_b32_e32 v18, vcc_lo, v18
	v_and_b32_e32 v19, v19, v23
	v_and_b32_e32 v18, v20, v18
	;; [unrolled: 1-line block ×3, first 2 shown]
	v_mbcnt_lo_u32_b32 v20, v18, 0
	v_mbcnt_hi_u32_b32 v23, v19, v20
	v_cmp_eq_u32_e32 vcc, 0, v23
	v_cmp_ne_u64_e64 s[46:47], 0, v[18:19]
	v_mov_b32_e32 v112, v71
	v_mov_b32_e32 v113, v70
	;; [unrolled: 1-line block ×7, first 2 shown]
	v_pk_mov_b32 v[0:1], v[32:33], v[32:33] op_sel:[0,1]
	v_pk_mov_b32 v[48:49], v[30:31], v[30:31] op_sel:[0,1]
	;; [unrolled: 1-line block ×5, first 2 shown]
	s_and_b64 s[60:61], s[46:47], vcc
	ds_write2_b32 v89, v62, v62 offset0:8 offset1:9
	ds_write2_b32 v105, v62, v62 offset0:2 offset1:3
	s_waitcnt lgkmcnt(0)
	s_barrier
	s_waitcnt lgkmcnt(0)
	; wave barrier
	s_and_saveexec_b64 s[46:47], s[60:61]
	s_cbranch_execz .LBB120_34
; %bb.33:                               ;   in Loop: Header=BB120_32 Depth=1
	v_bcnt_u32_b32 v18, v18, 0
	v_bcnt_u32_b32 v18, v19, v18
	ds_write_b32 v22, v18
.LBB120_34:                             ;   in Loop: Header=BB120_32 Depth=1
	s_or_b64 exec, exec, s[46:47]
	v_lshrrev_b32_e32 v18, s53, v118
	v_and_b32_e32 v18, s58, v18
	v_lshlrev_b32_e32 v19, 3, v18
	v_add_lshl_u32 v19, v19, v106, 2
	; wave barrier
	v_add_u32_e32 v25, 32, v19
	ds_read_b32 v24, v19 offset:32
	v_and_b32_e32 v19, 1, v18
	v_add_co_u32_e32 v20, vcc, -1, v19
	v_addc_co_u32_e64 v21, s[46:47], 0, -1, vcc
	v_cmp_ne_u32_e32 vcc, 0, v19
	v_lshlrev_b32_e32 v63, 30, v18
	v_xor_b32_e32 v19, vcc_hi, v21
	v_not_b32_e32 v21, v63
	v_xor_b32_e32 v20, vcc_lo, v20
	v_cmp_gt_i64_e32 vcc, 0, v[62:63]
	v_ashrrev_i32_e32 v21, 31, v21
	v_and_b32_e32 v20, exec_lo, v20
	v_xor_b32_e32 v26, vcc_hi, v21
	v_xor_b32_e32 v21, vcc_lo, v21
	v_lshlrev_b32_e32 v63, 29, v18
	v_and_b32_e32 v20, v20, v21
	v_not_b32_e32 v21, v63
	v_and_b32_e32 v19, exec_hi, v19
	v_cmp_gt_i64_e32 vcc, 0, v[62:63]
	v_ashrrev_i32_e32 v21, 31, v21
	v_and_b32_e32 v19, v19, v26
	v_xor_b32_e32 v26, vcc_hi, v21
	v_xor_b32_e32 v21, vcc_lo, v21
	v_lshlrev_b32_e32 v63, 28, v18
	v_and_b32_e32 v20, v20, v21
	v_not_b32_e32 v21, v63
	v_cmp_gt_i64_e32 vcc, 0, v[62:63]
	v_ashrrev_i32_e32 v21, 31, v21
	v_and_b32_e32 v19, v19, v26
	v_xor_b32_e32 v26, vcc_hi, v21
	v_xor_b32_e32 v21, vcc_lo, v21
	v_lshlrev_b32_e32 v63, 27, v18
	v_and_b32_e32 v20, v20, v21
	v_not_b32_e32 v21, v63
	v_cmp_gt_i64_e32 vcc, 0, v[62:63]
	v_ashrrev_i32_e32 v21, 31, v21
	v_and_b32_e32 v19, v19, v26
	v_xor_b32_e32 v26, vcc_hi, v21
	v_xor_b32_e32 v21, vcc_lo, v21
	v_lshlrev_b32_e32 v63, 26, v18
	v_and_b32_e32 v20, v20, v21
	v_not_b32_e32 v21, v63
	v_cmp_gt_i64_e32 vcc, 0, v[62:63]
	v_ashrrev_i32_e32 v21, 31, v21
	v_and_b32_e32 v19, v19, v26
	v_xor_b32_e32 v26, vcc_hi, v21
	v_xor_b32_e32 v21, vcc_lo, v21
	v_lshlrev_b32_e32 v63, 25, v18
	v_and_b32_e32 v20, v20, v21
	v_cmp_gt_i64_e32 vcc, 0, v[62:63]
	v_not_b32_e32 v21, v63
	v_lshlrev_b32_e32 v63, 24, v18
	v_ashrrev_i32_e32 v21, 31, v21
	v_not_b32_e32 v18, v63
	v_and_b32_e32 v19, v19, v26
	v_xor_b32_e32 v26, vcc_hi, v21
	v_xor_b32_e32 v21, vcc_lo, v21
	v_cmp_gt_i64_e32 vcc, 0, v[62:63]
	v_ashrrev_i32_e32 v18, 31, v18
	v_and_b32_e32 v20, v20, v21
	v_xor_b32_e32 v21, vcc_hi, v18
	v_xor_b32_e32 v18, vcc_lo, v18
	v_and_b32_e32 v19, v19, v26
	v_and_b32_e32 v18, v20, v18
	v_and_b32_e32 v19, v19, v21
	v_mbcnt_lo_u32_b32 v20, v18, 0
	v_mbcnt_hi_u32_b32 v26, v19, v20
	v_cmp_eq_u32_e32 vcc, 0, v26
	v_cmp_ne_u64_e64 s[46:47], 0, v[18:19]
	s_and_b64 s[60:61], s[46:47], vcc
	; wave barrier
	s_and_saveexec_b64 s[46:47], s[60:61]
	s_cbranch_execz .LBB120_36
; %bb.35:                               ;   in Loop: Header=BB120_32 Depth=1
	v_bcnt_u32_b32 v18, v18, 0
	v_bcnt_u32_b32 v18, v19, v18
	s_waitcnt lgkmcnt(0)
	v_add_u32_e32 v18, v24, v18
	ds_write_b32 v25, v18
.LBB120_36:                             ;   in Loop: Header=BB120_32 Depth=1
	s_or_b64 exec, exec, s[46:47]
	v_lshrrev_b32_e32 v18, s53, v117
	v_and_b32_e32 v18, s58, v18
	v_lshlrev_b32_e32 v19, 3, v18
	v_add_lshl_u32 v19, v19, v106, 2
	; wave barrier
	v_add_u32_e32 v28, 32, v19
	ds_read_b32 v27, v19 offset:32
	v_and_b32_e32 v19, 1, v18
	v_add_co_u32_e32 v20, vcc, -1, v19
	v_addc_co_u32_e64 v21, s[46:47], 0, -1, vcc
	v_cmp_ne_u32_e32 vcc, 0, v19
	v_lshlrev_b32_e32 v63, 30, v18
	v_xor_b32_e32 v19, vcc_hi, v21
	v_not_b32_e32 v21, v63
	v_xor_b32_e32 v20, vcc_lo, v20
	v_cmp_gt_i64_e32 vcc, 0, v[62:63]
	v_ashrrev_i32_e32 v21, 31, v21
	v_and_b32_e32 v20, exec_lo, v20
	v_xor_b32_e32 v29, vcc_hi, v21
	v_xor_b32_e32 v21, vcc_lo, v21
	v_lshlrev_b32_e32 v63, 29, v18
	v_and_b32_e32 v20, v20, v21
	v_not_b32_e32 v21, v63
	v_and_b32_e32 v19, exec_hi, v19
	v_cmp_gt_i64_e32 vcc, 0, v[62:63]
	v_ashrrev_i32_e32 v21, 31, v21
	v_and_b32_e32 v19, v19, v29
	v_xor_b32_e32 v29, vcc_hi, v21
	v_xor_b32_e32 v21, vcc_lo, v21
	v_lshlrev_b32_e32 v63, 28, v18
	v_and_b32_e32 v20, v20, v21
	v_not_b32_e32 v21, v63
	v_cmp_gt_i64_e32 vcc, 0, v[62:63]
	v_ashrrev_i32_e32 v21, 31, v21
	v_and_b32_e32 v19, v19, v29
	v_xor_b32_e32 v29, vcc_hi, v21
	v_xor_b32_e32 v21, vcc_lo, v21
	v_lshlrev_b32_e32 v63, 27, v18
	v_and_b32_e32 v20, v20, v21
	v_not_b32_e32 v21, v63
	;; [unrolled: 8-line block ×3, first 2 shown]
	v_cmp_gt_i64_e32 vcc, 0, v[62:63]
	v_ashrrev_i32_e32 v21, 31, v21
	v_and_b32_e32 v19, v19, v29
	v_xor_b32_e32 v29, vcc_hi, v21
	v_xor_b32_e32 v21, vcc_lo, v21
	v_lshlrev_b32_e32 v63, 25, v18
	v_and_b32_e32 v20, v20, v21
	v_cmp_gt_i64_e32 vcc, 0, v[62:63]
	v_not_b32_e32 v21, v63
	v_lshlrev_b32_e32 v63, 24, v18
	v_ashrrev_i32_e32 v21, 31, v21
	v_not_b32_e32 v18, v63
	v_and_b32_e32 v19, v19, v29
	v_xor_b32_e32 v29, vcc_hi, v21
	v_xor_b32_e32 v21, vcc_lo, v21
	v_cmp_gt_i64_e32 vcc, 0, v[62:63]
	v_ashrrev_i32_e32 v18, 31, v18
	v_and_b32_e32 v20, v20, v21
	v_xor_b32_e32 v21, vcc_hi, v18
	v_xor_b32_e32 v18, vcc_lo, v18
	v_and_b32_e32 v19, v19, v29
	v_and_b32_e32 v18, v20, v18
	;; [unrolled: 1-line block ×3, first 2 shown]
	v_mbcnt_lo_u32_b32 v20, v18, 0
	v_mbcnt_hi_u32_b32 v29, v19, v20
	v_cmp_eq_u32_e32 vcc, 0, v29
	v_cmp_ne_u64_e64 s[46:47], 0, v[18:19]
	s_and_b64 s[60:61], s[46:47], vcc
	; wave barrier
	s_and_saveexec_b64 s[46:47], s[60:61]
	s_cbranch_execz .LBB120_38
; %bb.37:                               ;   in Loop: Header=BB120_32 Depth=1
	v_bcnt_u32_b32 v18, v18, 0
	v_bcnt_u32_b32 v18, v19, v18
	s_waitcnt lgkmcnt(0)
	v_add_u32_e32 v18, v27, v18
	ds_write_b32 v28, v18
.LBB120_38:                             ;   in Loop: Header=BB120_32 Depth=1
	s_or_b64 exec, exec, s[46:47]
	v_lshrrev_b32_e32 v18, s53, v116
	v_and_b32_e32 v18, s58, v18
	v_lshlrev_b32_e32 v19, 3, v18
	v_add_lshl_u32 v19, v19, v106, 2
	; wave barrier
	v_add_u32_e32 v31, 32, v19
	ds_read_b32 v30, v19 offset:32
	v_and_b32_e32 v19, 1, v18
	v_add_co_u32_e32 v20, vcc, -1, v19
	v_addc_co_u32_e64 v21, s[46:47], 0, -1, vcc
	v_cmp_ne_u32_e32 vcc, 0, v19
	v_lshlrev_b32_e32 v63, 30, v18
	v_xor_b32_e32 v19, vcc_hi, v21
	v_not_b32_e32 v21, v63
	v_xor_b32_e32 v20, vcc_lo, v20
	v_cmp_gt_i64_e32 vcc, 0, v[62:63]
	v_ashrrev_i32_e32 v21, 31, v21
	v_and_b32_e32 v20, exec_lo, v20
	v_xor_b32_e32 v32, vcc_hi, v21
	v_xor_b32_e32 v21, vcc_lo, v21
	v_lshlrev_b32_e32 v63, 29, v18
	v_and_b32_e32 v20, v20, v21
	v_not_b32_e32 v21, v63
	v_and_b32_e32 v19, exec_hi, v19
	v_cmp_gt_i64_e32 vcc, 0, v[62:63]
	v_ashrrev_i32_e32 v21, 31, v21
	v_and_b32_e32 v19, v19, v32
	v_xor_b32_e32 v32, vcc_hi, v21
	v_xor_b32_e32 v21, vcc_lo, v21
	v_lshlrev_b32_e32 v63, 28, v18
	v_and_b32_e32 v20, v20, v21
	v_not_b32_e32 v21, v63
	v_cmp_gt_i64_e32 vcc, 0, v[62:63]
	v_ashrrev_i32_e32 v21, 31, v21
	v_and_b32_e32 v19, v19, v32
	v_xor_b32_e32 v32, vcc_hi, v21
	v_xor_b32_e32 v21, vcc_lo, v21
	v_lshlrev_b32_e32 v63, 27, v18
	v_and_b32_e32 v20, v20, v21
	v_not_b32_e32 v21, v63
	;; [unrolled: 8-line block ×3, first 2 shown]
	v_cmp_gt_i64_e32 vcc, 0, v[62:63]
	v_ashrrev_i32_e32 v21, 31, v21
	v_and_b32_e32 v19, v19, v32
	v_xor_b32_e32 v32, vcc_hi, v21
	v_xor_b32_e32 v21, vcc_lo, v21
	v_lshlrev_b32_e32 v63, 25, v18
	v_and_b32_e32 v20, v20, v21
	v_cmp_gt_i64_e32 vcc, 0, v[62:63]
	v_not_b32_e32 v21, v63
	v_lshlrev_b32_e32 v63, 24, v18
	v_ashrrev_i32_e32 v21, 31, v21
	v_not_b32_e32 v18, v63
	v_and_b32_e32 v19, v19, v32
	v_xor_b32_e32 v32, vcc_hi, v21
	v_xor_b32_e32 v21, vcc_lo, v21
	v_cmp_gt_i64_e32 vcc, 0, v[62:63]
	v_ashrrev_i32_e32 v18, 31, v18
	v_and_b32_e32 v20, v20, v21
	v_xor_b32_e32 v21, vcc_hi, v18
	v_xor_b32_e32 v18, vcc_lo, v18
	v_and_b32_e32 v19, v19, v32
	v_and_b32_e32 v18, v20, v18
	;; [unrolled: 1-line block ×3, first 2 shown]
	v_mbcnt_lo_u32_b32 v20, v18, 0
	v_mbcnt_hi_u32_b32 v32, v19, v20
	v_cmp_eq_u32_e32 vcc, 0, v32
	v_cmp_ne_u64_e64 s[46:47], 0, v[18:19]
	s_and_b64 s[60:61], s[46:47], vcc
	; wave barrier
	s_and_saveexec_b64 s[46:47], s[60:61]
	s_cbranch_execz .LBB120_40
; %bb.39:                               ;   in Loop: Header=BB120_32 Depth=1
	v_bcnt_u32_b32 v18, v18, 0
	v_bcnt_u32_b32 v18, v19, v18
	s_waitcnt lgkmcnt(0)
	v_add_u32_e32 v18, v30, v18
	ds_write_b32 v31, v18
.LBB120_40:                             ;   in Loop: Header=BB120_32 Depth=1
	s_or_b64 exec, exec, s[46:47]
	v_lshrrev_b32_e32 v18, s53, v115
	v_and_b32_e32 v18, s58, v18
	v_lshlrev_b32_e32 v19, 3, v18
	v_add_lshl_u32 v19, v19, v106, 2
	; wave barrier
	v_add_u32_e32 v64, 32, v19
	ds_read_b32 v33, v19 offset:32
	v_and_b32_e32 v19, 1, v18
	v_add_co_u32_e32 v20, vcc, -1, v19
	v_addc_co_u32_e64 v21, s[46:47], 0, -1, vcc
	v_cmp_ne_u32_e32 vcc, 0, v19
	v_lshlrev_b32_e32 v63, 30, v18
	v_xor_b32_e32 v19, vcc_hi, v21
	v_not_b32_e32 v21, v63
	v_xor_b32_e32 v20, vcc_lo, v20
	v_cmp_gt_i64_e32 vcc, 0, v[62:63]
	v_ashrrev_i32_e32 v21, 31, v21
	v_and_b32_e32 v19, exec_hi, v19
	v_xor_b32_e32 v63, vcc_hi, v21
	v_and_b32_e32 v20, exec_lo, v20
	v_xor_b32_e32 v21, vcc_lo, v21
	v_and_b32_e32 v19, v19, v63
	v_lshlrev_b32_e32 v63, 29, v18
	v_and_b32_e32 v20, v20, v21
	v_not_b32_e32 v21, v63
	v_cmp_gt_i64_e32 vcc, 0, v[62:63]
	v_ashrrev_i32_e32 v21, 31, v21
	v_xor_b32_e32 v63, vcc_hi, v21
	v_xor_b32_e32 v21, vcc_lo, v21
	v_and_b32_e32 v19, v19, v63
	v_lshlrev_b32_e32 v63, 28, v18
	v_and_b32_e32 v20, v20, v21
	v_not_b32_e32 v21, v63
	v_cmp_gt_i64_e32 vcc, 0, v[62:63]
	v_ashrrev_i32_e32 v21, 31, v21
	v_xor_b32_e32 v63, vcc_hi, v21
	;; [unrolled: 8-line block ×5, first 2 shown]
	v_and_b32_e32 v19, v19, v63
	v_lshlrev_b32_e32 v63, 24, v18
	v_not_b32_e32 v18, v63
	v_xor_b32_e32 v21, vcc_lo, v21
	v_cmp_gt_i64_e32 vcc, 0, v[62:63]
	v_ashrrev_i32_e32 v18, 31, v18
	v_and_b32_e32 v20, v20, v21
	v_xor_b32_e32 v21, vcc_hi, v18
	v_xor_b32_e32 v18, vcc_lo, v18
	v_and_b32_e32 v18, v20, v18
	v_and_b32_e32 v19, v19, v21
	v_mbcnt_lo_u32_b32 v20, v18, 0
	v_mbcnt_hi_u32_b32 v65, v19, v20
	v_cmp_eq_u32_e32 vcc, 0, v65
	v_cmp_ne_u64_e64 s[46:47], 0, v[18:19]
	s_and_b64 s[60:61], s[46:47], vcc
	; wave barrier
	s_and_saveexec_b64 s[46:47], s[60:61]
	s_cbranch_execz .LBB120_42
; %bb.41:                               ;   in Loop: Header=BB120_32 Depth=1
	v_bcnt_u32_b32 v18, v18, 0
	v_bcnt_u32_b32 v18, v19, v18
	s_waitcnt lgkmcnt(0)
	v_add_u32_e32 v18, v33, v18
	ds_write_b32 v64, v18
.LBB120_42:                             ;   in Loop: Header=BB120_32 Depth=1
	s_or_b64 exec, exec, s[46:47]
	v_lshrrev_b32_e32 v18, s53, v114
	v_and_b32_e32 v18, s58, v18
	v_lshlrev_b32_e32 v19, 3, v18
	v_add_lshl_u32 v19, v19, v106, 2
	; wave barrier
	v_add_u32_e32 v67, 32, v19
	ds_read_b32 v66, v19 offset:32
	v_and_b32_e32 v19, 1, v18
	v_add_co_u32_e32 v20, vcc, -1, v19
	v_addc_co_u32_e64 v21, s[46:47], 0, -1, vcc
	v_cmp_ne_u32_e32 vcc, 0, v19
	v_lshlrev_b32_e32 v63, 30, v18
	v_xor_b32_e32 v19, vcc_hi, v21
	v_not_b32_e32 v21, v63
	v_xor_b32_e32 v20, vcc_lo, v20
	v_cmp_gt_i64_e32 vcc, 0, v[62:63]
	v_ashrrev_i32_e32 v21, 31, v21
	v_and_b32_e32 v19, exec_hi, v19
	v_xor_b32_e32 v63, vcc_hi, v21
	v_and_b32_e32 v20, exec_lo, v20
	v_xor_b32_e32 v21, vcc_lo, v21
	v_and_b32_e32 v19, v19, v63
	v_lshlrev_b32_e32 v63, 29, v18
	v_and_b32_e32 v20, v20, v21
	v_not_b32_e32 v21, v63
	v_cmp_gt_i64_e32 vcc, 0, v[62:63]
	v_ashrrev_i32_e32 v21, 31, v21
	v_xor_b32_e32 v63, vcc_hi, v21
	v_xor_b32_e32 v21, vcc_lo, v21
	v_and_b32_e32 v19, v19, v63
	v_lshlrev_b32_e32 v63, 28, v18
	v_and_b32_e32 v20, v20, v21
	v_not_b32_e32 v21, v63
	v_cmp_gt_i64_e32 vcc, 0, v[62:63]
	v_ashrrev_i32_e32 v21, 31, v21
	v_xor_b32_e32 v63, vcc_hi, v21
	;; [unrolled: 8-line block ×5, first 2 shown]
	v_and_b32_e32 v19, v19, v63
	v_lshlrev_b32_e32 v63, 24, v18
	v_not_b32_e32 v18, v63
	v_xor_b32_e32 v21, vcc_lo, v21
	v_cmp_gt_i64_e32 vcc, 0, v[62:63]
	v_ashrrev_i32_e32 v18, 31, v18
	v_and_b32_e32 v20, v20, v21
	v_xor_b32_e32 v21, vcc_hi, v18
	v_xor_b32_e32 v18, vcc_lo, v18
	v_and_b32_e32 v18, v20, v18
	v_and_b32_e32 v19, v19, v21
	v_mbcnt_lo_u32_b32 v20, v18, 0
	v_mbcnt_hi_u32_b32 v68, v19, v20
	v_cmp_eq_u32_e32 vcc, 0, v68
	v_cmp_ne_u64_e64 s[46:47], 0, v[18:19]
	s_and_b64 s[60:61], s[46:47], vcc
	; wave barrier
	s_and_saveexec_b64 s[46:47], s[60:61]
	s_cbranch_execz .LBB120_44
; %bb.43:                               ;   in Loop: Header=BB120_32 Depth=1
	v_bcnt_u32_b32 v18, v18, 0
	v_bcnt_u32_b32 v18, v19, v18
	s_waitcnt lgkmcnt(0)
	v_add_u32_e32 v18, v66, v18
	ds_write_b32 v67, v18
.LBB120_44:                             ;   in Loop: Header=BB120_32 Depth=1
	s_or_b64 exec, exec, s[46:47]
	v_lshrrev_b32_e32 v18, s53, v113
	v_and_b32_e32 v18, s58, v18
	v_lshlrev_b32_e32 v19, 3, v18
	v_add_lshl_u32 v19, v19, v106, 2
	; wave barrier
	v_add_u32_e32 v70, 32, v19
	ds_read_b32 v69, v19 offset:32
	v_and_b32_e32 v19, 1, v18
	v_add_co_u32_e32 v20, vcc, -1, v19
	v_addc_co_u32_e64 v21, s[46:47], 0, -1, vcc
	v_cmp_ne_u32_e32 vcc, 0, v19
	v_lshlrev_b32_e32 v63, 30, v18
	v_xor_b32_e32 v19, vcc_hi, v21
	v_not_b32_e32 v21, v63
	v_xor_b32_e32 v20, vcc_lo, v20
	v_cmp_gt_i64_e32 vcc, 0, v[62:63]
	v_ashrrev_i32_e32 v21, 31, v21
	v_and_b32_e32 v19, exec_hi, v19
	v_xor_b32_e32 v63, vcc_hi, v21
	v_and_b32_e32 v20, exec_lo, v20
	v_xor_b32_e32 v21, vcc_lo, v21
	v_and_b32_e32 v19, v19, v63
	v_lshlrev_b32_e32 v63, 29, v18
	v_and_b32_e32 v20, v20, v21
	v_not_b32_e32 v21, v63
	v_cmp_gt_i64_e32 vcc, 0, v[62:63]
	v_ashrrev_i32_e32 v21, 31, v21
	v_xor_b32_e32 v63, vcc_hi, v21
	v_xor_b32_e32 v21, vcc_lo, v21
	v_and_b32_e32 v19, v19, v63
	v_lshlrev_b32_e32 v63, 28, v18
	v_and_b32_e32 v20, v20, v21
	v_not_b32_e32 v21, v63
	v_cmp_gt_i64_e32 vcc, 0, v[62:63]
	v_ashrrev_i32_e32 v21, 31, v21
	v_xor_b32_e32 v63, vcc_hi, v21
	;; [unrolled: 8-line block ×5, first 2 shown]
	v_and_b32_e32 v19, v19, v63
	v_lshlrev_b32_e32 v63, 24, v18
	v_not_b32_e32 v18, v63
	v_xor_b32_e32 v21, vcc_lo, v21
	v_cmp_gt_i64_e32 vcc, 0, v[62:63]
	v_ashrrev_i32_e32 v18, 31, v18
	v_and_b32_e32 v20, v20, v21
	v_xor_b32_e32 v21, vcc_hi, v18
	v_xor_b32_e32 v18, vcc_lo, v18
	v_and_b32_e32 v18, v20, v18
	v_and_b32_e32 v19, v19, v21
	v_mbcnt_lo_u32_b32 v20, v18, 0
	v_mbcnt_hi_u32_b32 v71, v19, v20
	v_cmp_eq_u32_e32 vcc, 0, v71
	v_cmp_ne_u64_e64 s[46:47], 0, v[18:19]
	s_and_b64 s[60:61], s[46:47], vcc
	; wave barrier
	s_and_saveexec_b64 s[46:47], s[60:61]
	s_cbranch_execz .LBB120_46
; %bb.45:                               ;   in Loop: Header=BB120_32 Depth=1
	v_bcnt_u32_b32 v18, v18, 0
	v_bcnt_u32_b32 v18, v19, v18
	s_waitcnt lgkmcnt(0)
	v_add_u32_e32 v18, v69, v18
	ds_write_b32 v70, v18
.LBB120_46:                             ;   in Loop: Header=BB120_32 Depth=1
	s_or_b64 exec, exec, s[46:47]
	v_lshrrev_b32_e32 v18, s53, v112
	v_and_b32_e32 v18, s58, v18
	v_lshlrev_b32_e32 v19, 3, v18
	v_add_lshl_u32 v19, v19, v106, 2
	; wave barrier
	v_add_u32_e32 v121, 32, v19
	ds_read_b32 v120, v19 offset:32
	v_and_b32_e32 v19, 1, v18
	v_add_co_u32_e32 v20, vcc, -1, v19
	v_addc_co_u32_e64 v21, s[46:47], 0, -1, vcc
	v_cmp_ne_u32_e32 vcc, 0, v19
	v_lshlrev_b32_e32 v63, 30, v18
	v_xor_b32_e32 v19, vcc_hi, v21
	v_not_b32_e32 v21, v63
	v_xor_b32_e32 v20, vcc_lo, v20
	v_cmp_gt_i64_e32 vcc, 0, v[62:63]
	v_ashrrev_i32_e32 v21, 31, v21
	v_and_b32_e32 v19, exec_hi, v19
	v_xor_b32_e32 v63, vcc_hi, v21
	v_and_b32_e32 v20, exec_lo, v20
	v_xor_b32_e32 v21, vcc_lo, v21
	v_and_b32_e32 v19, v19, v63
	v_lshlrev_b32_e32 v63, 29, v18
	v_and_b32_e32 v20, v20, v21
	v_not_b32_e32 v21, v63
	v_cmp_gt_i64_e32 vcc, 0, v[62:63]
	v_ashrrev_i32_e32 v21, 31, v21
	v_xor_b32_e32 v63, vcc_hi, v21
	v_xor_b32_e32 v21, vcc_lo, v21
	v_and_b32_e32 v19, v19, v63
	v_lshlrev_b32_e32 v63, 28, v18
	v_and_b32_e32 v20, v20, v21
	v_not_b32_e32 v21, v63
	v_cmp_gt_i64_e32 vcc, 0, v[62:63]
	v_ashrrev_i32_e32 v21, 31, v21
	v_xor_b32_e32 v63, vcc_hi, v21
	v_xor_b32_e32 v21, vcc_lo, v21
	v_and_b32_e32 v19, v19, v63
	v_lshlrev_b32_e32 v63, 27, v18
	v_and_b32_e32 v20, v20, v21
	v_not_b32_e32 v21, v63
	v_cmp_gt_i64_e32 vcc, 0, v[62:63]
	v_ashrrev_i32_e32 v21, 31, v21
	v_xor_b32_e32 v63, vcc_hi, v21
	v_xor_b32_e32 v21, vcc_lo, v21
	v_and_b32_e32 v19, v19, v63
	v_lshlrev_b32_e32 v63, 26, v18
	v_and_b32_e32 v20, v20, v21
	v_not_b32_e32 v21, v63
	v_cmp_gt_i64_e32 vcc, 0, v[62:63]
	v_ashrrev_i32_e32 v21, 31, v21
	v_xor_b32_e32 v63, vcc_hi, v21
	v_xor_b32_e32 v21, vcc_lo, v21
	v_and_b32_e32 v19, v19, v63
	v_lshlrev_b32_e32 v63, 25, v18
	v_and_b32_e32 v20, v20, v21
	v_not_b32_e32 v21, v63
	v_cmp_gt_i64_e32 vcc, 0, v[62:63]
	v_ashrrev_i32_e32 v21, 31, v21
	v_xor_b32_e32 v63, vcc_hi, v21
	v_and_b32_e32 v19, v19, v63
	v_lshlrev_b32_e32 v63, 24, v18
	v_not_b32_e32 v18, v63
	v_xor_b32_e32 v21, vcc_lo, v21
	v_cmp_gt_i64_e32 vcc, 0, v[62:63]
	v_ashrrev_i32_e32 v18, 31, v18
	v_and_b32_e32 v20, v20, v21
	v_xor_b32_e32 v21, vcc_hi, v18
	v_xor_b32_e32 v18, vcc_lo, v18
	v_and_b32_e32 v18, v20, v18
	v_and_b32_e32 v19, v19, v21
	v_mbcnt_lo_u32_b32 v20, v18, 0
	v_mbcnt_hi_u32_b32 v127, v19, v20
	v_cmp_eq_u32_e32 vcc, 0, v127
	v_cmp_ne_u64_e64 s[46:47], 0, v[18:19]
	s_and_b64 s[58:59], s[46:47], vcc
	; wave barrier
	s_and_saveexec_b64 s[46:47], s[58:59]
	s_cbranch_execz .LBB120_48
; %bb.47:                               ;   in Loop: Header=BB120_32 Depth=1
	v_bcnt_u32_b32 v18, v18, 0
	v_bcnt_u32_b32 v18, v19, v18
	s_waitcnt lgkmcnt(0)
	v_add_u32_e32 v18, v120, v18
	ds_write_b32 v121, v18
.LBB120_48:                             ;   in Loop: Header=BB120_32 Depth=1
	s_or_b64 exec, exec, s[46:47]
	; wave barrier
	s_waitcnt lgkmcnt(0)
	s_barrier
	ds_read2_b32 v[20:21], v89 offset0:8 offset1:9
	ds_read2_b32 v[18:19], v105 offset0:2 offset1:3
	s_waitcnt lgkmcnt(1)
	v_add_u32_e32 v63, v21, v20
	s_waitcnt lgkmcnt(0)
	v_add3_u32 v19, v63, v18, v19
	s_nop 1
	v_mov_b32_dpp v63, v19 row_shr:1 row_mask:0xf bank_mask:0xf
	v_cndmask_b32_e64 v63, v63, 0, s[26:27]
	v_add_u32_e32 v19, v63, v19
	s_nop 1
	v_mov_b32_dpp v63, v19 row_shr:2 row_mask:0xf bank_mask:0xf
	v_cndmask_b32_e64 v63, 0, v63, s[28:29]
	v_add_u32_e32 v19, v19, v63
	;; [unrolled: 4-line block ×4, first 2 shown]
	s_nop 1
	v_mov_b32_dpp v63, v19 row_bcast:15 row_mask:0xf bank_mask:0xf
	v_cndmask_b32_e64 v63, v63, 0, s[36:37]
	v_add_u32_e32 v19, v19, v63
	s_nop 1
	v_mov_b32_dpp v63, v19 row_bcast:31 row_mask:0xf bank_mask:0xf
	v_cndmask_b32_e64 v63, 0, v63, s[16:17]
	v_add_u32_e32 v19, v19, v63
	s_and_saveexec_b64 s[46:47], s[38:39]
	s_cbranch_execz .LBB120_50
; %bb.49:                               ;   in Loop: Header=BB120_32 Depth=1
	ds_write_b32 v108, v19
.LBB120_50:                             ;   in Loop: Header=BB120_32 Depth=1
	s_or_b64 exec, exec, s[46:47]
	s_waitcnt lgkmcnt(0)
	s_barrier
	s_and_saveexec_b64 s[46:47], s[18:19]
	s_cbranch_execz .LBB120_52
; %bb.51:                               ;   in Loop: Header=BB120_32 Depth=1
	ds_read_b32 v63, v88
	s_waitcnt lgkmcnt(0)
	s_nop 0
	v_mov_b32_dpp v122, v63 row_shr:1 row_mask:0xf bank_mask:0xf
	v_cndmask_b32_e64 v122, v122, 0, s[40:41]
	v_add_u32_e32 v63, v122, v63
	s_nop 1
	v_mov_b32_dpp v122, v63 row_shr:2 row_mask:0xf bank_mask:0xf
	v_cndmask_b32_e64 v122, 0, v122, s[42:43]
	v_add_u32_e32 v63, v63, v122
	;; [unrolled: 4-line block ×3, first 2 shown]
	ds_write_b32 v88, v63
.LBB120_52:                             ;   in Loop: Header=BB120_32 Depth=1
	s_or_b64 exec, exec, s[46:47]
	v_mov_b32_e32 v63, 0
	s_waitcnt lgkmcnt(0)
	s_barrier
	s_and_saveexec_b64 s[46:47], s[20:21]
	s_cbranch_execz .LBB120_54
; %bb.53:                               ;   in Loop: Header=BB120_32 Depth=1
	ds_read_b32 v63, v109
.LBB120_54:                             ;   in Loop: Header=BB120_32 Depth=1
	s_or_b64 exec, exec, s[46:47]
	s_waitcnt lgkmcnt(0)
	v_add_u32_e32 v19, v63, v19
	ds_bpermute_b32 v19, v107, v19
	s_cmp_gt_u32 s53, 23
	s_waitcnt lgkmcnt(0)
	v_cndmask_b32_e64 v19, v19, v63, s[22:23]
	v_cndmask_b32_e64 v19, v19, 0, s[24:25]
	v_add_u32_e32 v20, v19, v20
	v_add_u32_e32 v21, v20, v21
	;; [unrolled: 1-line block ×3, first 2 shown]
	ds_write2_b32 v89, v19, v20 offset0:8 offset1:9
	ds_write2_b32 v105, v21, v18 offset0:2 offset1:3
	s_waitcnt lgkmcnt(0)
	s_barrier
	ds_read_b32 v18, v22
	ds_read_b32 v19, v25
	;; [unrolled: 1-line block ×8, first 2 shown]
	s_waitcnt lgkmcnt(7)
	v_add_u32_e32 v63, v18, v23
	s_waitcnt lgkmcnt(6)
	v_add3_u32 v121, v26, v24, v19
	s_waitcnt lgkmcnt(5)
	v_add3_u32 v122, v29, v27, v20
	;; [unrolled: 2-line block ×7, first 2 shown]
	s_cbranch_scc0 .LBB120_31
; %bb.55:
                                        ; implicit-def: $vgpr71
                                        ; implicit-def: $vgpr69
                                        ; implicit-def: $vgpr67
                                        ; implicit-def: $vgpr65
                                        ; implicit-def: $vgpr32_vgpr33
                                        ; implicit-def: $vgpr28_vgpr29
                                        ; implicit-def: $vgpr24_vgpr25
                                        ; implicit-def: $vgpr20_vgpr21
                                        ; implicit-def: $sgpr53
                                        ; implicit-def: $sgpr57
.LBB120_56:
	v_lshlrev_b32_e32 v18, 2, v63
	s_barrier
	ds_write_b32 v18, v119
	v_lshlrev_b32_e32 v18, 2, v121
	ds_write_b32 v18, v118
	v_lshlrev_b32_e32 v18, 2, v122
	;; [unrolled: 2-line block ×7, first 2 shown]
	v_lshlrev_b32_e32 v22, 2, v87
	ds_write_b32 v18, v112
	s_waitcnt lgkmcnt(0)
	s_barrier
	ds_read2_b32 v[18:19], v22 offset1:1
	ds_read2_b32 v[20:21], v22 offset0:2 offset1:3
	ds_read2_b32 v[66:67], v22 offset0:4 offset1:5
	;; [unrolled: 1-line block ×3, first 2 shown]
	v_lshlrev_b32_e32 v23, 3, v63
	v_lshlrev_b32_e32 v24, 3, v121
	;; [unrolled: 1-line block ×9, first 2 shown]
	s_waitcnt lgkmcnt(3)
	v_xor_b32_e32 v62, 0x80000000, v18
	v_xor_b32_e32 v64, 0x80000000, v19
	s_waitcnt lgkmcnt(2)
	v_xor_b32_e32 v63, 0x80000000, v20
	v_xor_b32_e32 v65, 0x80000000, v21
	s_waitcnt lgkmcnt(0)
	s_barrier
	ds_write_b64 v23, v[60:61]
	ds_write_b64 v24, v[58:59]
	;; [unrolled: 1-line block ×8, first 2 shown]
	s_waitcnt lgkmcnt(0)
	s_barrier
	ds_read2_b64 v[18:21], v31 offset1:1
	ds_read2_b64 v[22:25], v31 offset0:2 offset1:3
	ds_read2_b64 v[26:29], v31 offset0:4 offset1:5
	;; [unrolled: 1-line block ×3, first 2 shown]
	v_xor_b32_e32 v66, 0x80000000, v66
	v_xor_b32_e32 v0, 0x80000000, v67
	;; [unrolled: 1-line block ×4, first 2 shown]
	s_branch .LBB120_92
.LBB120_57:
	v_mov_b32_e32 v37, 0
	v_lshlrev_b64 v[2:3], 3, v[36:37]
	v_mov_b32_e32 v4, s51
	v_add_co_u32_e32 v2, vcc, s49, v2
	v_addc_co_u32_e32 v3, vcc, v4, v3, vcc
	global_load_dwordx2 v[2:3], v[2:3], off
	v_mov_b32_e32 v4, v37
	v_mov_b32_e32 v5, v37
	;; [unrolled: 1-line block ×14, first 2 shown]
	s_or_b64 exec, exec, s[16:17]
	s_and_saveexec_b64 s[16:17], s[2:3]
	s_cbranch_execz .LBB120_22
.LBB120_58:
	v_mul_lo_u32 v4, v30, s52
	v_mov_b32_e32 v5, 0
	v_lshlrev_b64 v[4:5], 3, v[4:5]
	v_mov_b32_e32 v30, s51
	v_add_co_u32_e32 v4, vcc, s49, v4
	v_addc_co_u32_e32 v5, vcc, v30, v5, vcc
	global_load_dwordx2 v[4:5], v[4:5], off
	s_or_b64 exec, exec, s[16:17]
	s_and_saveexec_b64 s[16:17], s[4:5]
	s_cbranch_execz .LBB120_23
.LBB120_59:
	v_mul_lo_u32 v6, v28, s52
	v_mov_b32_e32 v7, 0
	v_lshlrev_b64 v[6:7], 3, v[6:7]
	v_mov_b32_e32 v28, s51
	v_add_co_u32_e32 v6, vcc, s49, v6
	v_addc_co_u32_e32 v7, vcc, v28, v7, vcc
	global_load_dwordx2 v[6:7], v[6:7], off
	s_or_b64 exec, exec, s[16:17]
	s_and_saveexec_b64 s[16:17], s[6:7]
	s_cbranch_execz .LBB120_24
.LBB120_60:
	v_mul_lo_u32 v8, v26, s52
	v_mov_b32_e32 v9, 0
	v_lshlrev_b64 v[8:9], 3, v[8:9]
	v_mov_b32_e32 v26, s51
	v_add_co_u32_e32 v8, vcc, s49, v8
	v_addc_co_u32_e32 v9, vcc, v26, v9, vcc
	global_load_dwordx2 v[8:9], v[8:9], off
	s_or_b64 exec, exec, s[16:17]
	s_and_saveexec_b64 s[16:17], s[8:9]
	s_cbranch_execz .LBB120_25
.LBB120_61:
	v_mul_lo_u32 v10, v24, s52
	v_mov_b32_e32 v11, 0
	v_lshlrev_b64 v[10:11], 3, v[10:11]
	v_mov_b32_e32 v24, s51
	v_add_co_u32_e32 v10, vcc, s49, v10
	v_addc_co_u32_e32 v11, vcc, v24, v11, vcc
	global_load_dwordx2 v[10:11], v[10:11], off
	s_or_b64 exec, exec, s[16:17]
	s_and_saveexec_b64 s[16:17], s[10:11]
	s_cbranch_execz .LBB120_26
.LBB120_62:
	v_mul_lo_u32 v12, v21, s52
	v_mov_b32_e32 v13, 0
	v_lshlrev_b64 v[12:13], 3, v[12:13]
	v_mov_b32_e32 v21, s51
	v_add_co_u32_e32 v12, vcc, s49, v12
	v_addc_co_u32_e32 v13, vcc, v21, v13, vcc
	global_load_dwordx2 v[12:13], v[12:13], off
	s_or_b64 exec, exec, s[16:17]
	s_and_saveexec_b64 s[16:17], s[12:13]
	s_cbranch_execz .LBB120_27
.LBB120_63:
	v_mul_lo_u32 v14, v19, s52
	v_mov_b32_e32 v15, 0
	v_lshlrev_b64 v[14:15], 3, v[14:15]
	v_mov_b32_e32 v19, s51
	v_add_co_u32_e32 v14, vcc, s49, v14
	v_addc_co_u32_e32 v15, vcc, v19, v15, vcc
	global_load_dwordx2 v[14:15], v[14:15], off
	s_or_b64 exec, exec, s[16:17]
	s_xor_b64 s[16:17], s[34:35], -1
	s_and_saveexec_b64 s[18:19], s[14:15]
	s_cbranch_execnz .LBB120_28
	s_branch .LBB120_29
.LBB120_64:
                                        ; implicit-def: $vgpr48
                                        ; implicit-def: $vgpr1
                                        ; implicit-def: $vgpr0
                                        ; implicit-def: $vgpr66
                                        ; implicit-def: $vgpr65
                                        ; implicit-def: $vgpr63
                                        ; implicit-def: $vgpr64
                                        ; implicit-def: $vgpr62
                                        ; implicit-def: $vgpr32_vgpr33
                                        ; implicit-def: $vgpr28_vgpr29
                                        ; implicit-def: $vgpr24_vgpr25
                                        ; implicit-def: $vgpr20_vgpr21
	s_cbranch_execz .LBB120_92
; %bb.65:
	v_xor_b32_e32 v0, 0x7fffffff, v47
	v_xor_b32_e32 v1, 0x7fffffff, v46
	s_waitcnt lgkmcnt(3)
	v_xor_b32_e32 v18, 0x7fffffff, v45
	v_xor_b32_e32 v19, 0x7fffffff, v44
	v_xor_b32_e32 v20, 0x7fffffff, v43
	v_xor_b32_e32 v21, 0x7fffffff, v42
	s_waitcnt lgkmcnt(2)
	v_xor_b32_e32 v22, 0x7fffffff, v41
	v_xor_b32_e32 v23, 0x7fffffff, v40
	ds_write2_b32 v104, v1, v0 offset1:1
	ds_write2_b32 v104, v19, v18 offset0:2 offset1:3
	ds_write2_b32 v104, v21, v20 offset0:4 offset1:5
	;; [unrolled: 1-line block ×3, first 2 shown]
	; wave barrier
	ds_read2st64_b32 v[40:41], v103 offset1:1
	ds_read2st64_b32 v[42:43], v103 offset0:2 offset1:3
	ds_read2st64_b32 v[44:45], v103 offset0:4 offset1:5
	;; [unrolled: 1-line block ×3, first 2 shown]
	s_waitcnt lgkmcnt(0)
	s_barrier
	ds_write2_b64 v102, v[14:15], v[16:17] offset1:1
	ds_write2_b64 v102, v[10:11], v[12:13] offset0:2 offset1:3
	ds_write2_b64 v102, v[6:7], v[8:9] offset0:4 offset1:5
	;; [unrolled: 1-line block ×3, first 2 shown]
	; wave barrier
	ds_read2st64_b64 v[0:3], v101 offset1:1
	ds_read2st64_b64 v[4:7], v101 offset0:2 offset1:3
	ds_read2st64_b64 v[8:11], v101 offset0:4 offset1:5
	ds_read2st64_b64 v[12:15], v101 offset0:6 offset1:7
	s_waitcnt lgkmcnt(0)
	s_barrier
	s_load_dword s18, s[54:55], 0xc
	s_getpc_b64 s[16:17]
	s_add_u32 s16, s16, _ZN7rocprim17ROCPRIM_400000_NS16block_radix_sortIiLj512ELj8ElLj1ELj1ELj0ELNS0_26block_radix_rank_algorithmE1ELNS0_18block_padding_hintE2ELNS0_4arch9wavefront6targetE1EE19radix_bits_per_passE@rel32@lo+4
	s_addc_u32 s17, s17, _ZN7rocprim17ROCPRIM_400000_NS16block_radix_sortIiLj512ELj8ElLj1ELj1ELj0ELNS0_26block_radix_rank_algorithmE1ELNS0_18block_padding_hintE2ELNS0_4arch9wavefront6targetE1EE19radix_bits_per_passE@rel32@hi+12
	s_load_dword s53, s[16:17], 0x0
	v_cmp_lt_i32_e32 vcc, v94, v96
	v_cmp_gt_u32_e64 s[30:31], 8, v38
	s_waitcnt lgkmcnt(0)
	s_lshr_b32 s16, s18, 16
	s_and_b32 s17, s18, 0xffff
	v_mad_u32_u24 v16, v100, s16, v99
	v_mad_u64_u32 v[16:17], s[16:17], v16, s17, v[38:39]
	v_lshrrev_b32_e32 v49, 6, v16
	v_min_u32_e32 v16, 0x1c0, v91
	v_or_b32_e32 v16, 63, v16
	v_cmp_eq_u32_e64 s[28:29], v16, v38
	v_cmp_lt_u32_e64 s[34:35], 63, v38
	v_cndmask_b32_e32 v16, v94, v90, vcc
	v_cmp_eq_u32_e64 s[38:39], 0, v38
	v_and_b32_e32 v38, 60, v95
	s_mov_b32 s54, 32
	v_add_u32_e32 v48, 32, v89
	s_mov_b32 s55, 0
	v_cmp_eq_u32_e64 s[16:17], 0, v97
	v_cmp_lt_u32_e64 s[18:19], 1, v97
	v_cmp_lt_u32_e64 s[20:21], 3, v97
	;; [unrolled: 1-line block ×3, first 2 shown]
	v_cmp_eq_u32_e64 s[24:25], 0, v98
	v_cmp_lt_u32_e64 s[26:27], 31, v90
	v_lshlrev_b32_e32 v50, 2, v16
	v_cmp_eq_u32_e64 s[36:37], 0, v90
	v_cmp_eq_u32_e64 s[40:41], 0, v93
	v_cmp_lt_u32_e64 s[42:43], 1, v93
	v_cmp_lt_u32_e64 s[44:45], 3, v93
	v_add_u32_e32 v51, -4, v38
	v_lshlrev_b32_e32 v52, 2, v92
	v_lshlrev_b32_e32 v53, 3, v92
	v_mov_b32_e32 v32, 0
	s_branch .LBB120_67
.LBB120_66:                             ;   in Loop: Header=BB120_67 Depth=1
	v_lshlrev_b32_e32 v0, 2, v33
	s_barrier
	ds_write_b32 v0, v61
	v_lshlrev_b32_e32 v0, 2, v63
	ds_write_b32 v0, v60
	v_lshlrev_b32_e32 v0, 2, v64
	;; [unrolled: 2-line block ×8, first 2 shown]
	s_waitcnt lgkmcnt(0)
	s_barrier
	ds_read2st64_b32 v[40:41], v52 offset1:1
	ds_read2st64_b32 v[42:43], v52 offset0:2 offset1:3
	ds_read2st64_b32 v[44:45], v52 offset0:4 offset1:5
	;; [unrolled: 1-line block ×3, first 2 shown]
	s_waitcnt lgkmcnt(0)
	s_barrier
	ds_write_b64 v0, v[30:31]
	v_lshlrev_b32_e32 v0, 3, v63
	ds_write_b64 v0, v[28:29]
	v_lshlrev_b32_e32 v0, 3, v64
	;; [unrolled: 2-line block ×7, first 2 shown]
	ds_write_b64 v0, v[16:17]
	s_waitcnt lgkmcnt(0)
	s_barrier
	ds_read2st64_b64 v[0:3], v53 offset1:1
	ds_read2st64_b64 v[4:7], v53 offset0:2 offset1:3
	ds_read2st64_b64 v[8:11], v53 offset0:4 offset1:5
	;; [unrolled: 1-line block ×3, first 2 shown]
	s_add_i32 s55, s55, 8
	s_add_i32 s54, s54, -8
	s_waitcnt lgkmcnt(0)
	s_barrier
	s_cbranch_execz .LBB120_91
.LBB120_67:                             ; =>This Inner Loop Header: Depth=1
	s_min_u32 s46, s53, s54
	v_mov_b32_e32 v61, v40
	s_lshl_b32 s46, -1, s46
	v_pk_mov_b32 v[30:31], v[0:1], v[0:1] op_sel:[0,1]
	s_not_b32 s56, s46
	v_lshrrev_b32_e32 v0, s55, v61
	v_and_b32_e32 v0, s56, v0
	v_lshl_add_u32 v1, v0, 3, v49
	v_pk_mov_b32 v[26:27], v[4:5], v[4:5] op_sel:[0,1]
	v_lshl_add_u32 v4, v1, 2, 32
	v_and_b32_e32 v1, 1, v0
	v_pk_mov_b32 v[28:29], v[2:3], v[2:3] op_sel:[0,1]
	v_add_co_u32_e32 v2, vcc, -1, v1
	v_addc_co_u32_e64 v3, s[46:47], 0, -1, vcc
	v_cmp_ne_u32_e32 vcc, 0, v1
	v_lshlrev_b32_e32 v33, 30, v0
	v_xor_b32_e32 v1, vcc_hi, v3
	v_not_b32_e32 v3, v33
	v_xor_b32_e32 v2, vcc_lo, v2
	v_cmp_gt_i64_e32 vcc, 0, v[32:33]
	v_ashrrev_i32_e32 v3, 31, v3
	v_and_b32_e32 v2, exec_lo, v2
	v_xor_b32_e32 v5, vcc_hi, v3
	v_xor_b32_e32 v3, vcc_lo, v3
	v_lshlrev_b32_e32 v33, 29, v0
	v_and_b32_e32 v2, v2, v3
	v_not_b32_e32 v3, v33
	v_and_b32_e32 v1, exec_hi, v1
	v_cmp_gt_i64_e32 vcc, 0, v[32:33]
	v_ashrrev_i32_e32 v3, 31, v3
	v_and_b32_e32 v1, v1, v5
	v_xor_b32_e32 v5, vcc_hi, v3
	v_xor_b32_e32 v3, vcc_lo, v3
	v_lshlrev_b32_e32 v33, 28, v0
	v_and_b32_e32 v2, v2, v3
	v_not_b32_e32 v3, v33
	v_cmp_gt_i64_e32 vcc, 0, v[32:33]
	v_ashrrev_i32_e32 v3, 31, v3
	v_and_b32_e32 v1, v1, v5
	v_xor_b32_e32 v5, vcc_hi, v3
	v_xor_b32_e32 v3, vcc_lo, v3
	v_lshlrev_b32_e32 v33, 27, v0
	v_and_b32_e32 v2, v2, v3
	v_not_b32_e32 v3, v33
	;; [unrolled: 8-line block ×3, first 2 shown]
	v_cmp_gt_i64_e32 vcc, 0, v[32:33]
	v_ashrrev_i32_e32 v3, 31, v3
	v_and_b32_e32 v1, v1, v5
	v_xor_b32_e32 v5, vcc_hi, v3
	v_xor_b32_e32 v3, vcc_lo, v3
	v_lshlrev_b32_e32 v33, 25, v0
	v_and_b32_e32 v2, v2, v3
	v_cmp_gt_i64_e32 vcc, 0, v[32:33]
	v_not_b32_e32 v3, v33
	v_lshlrev_b32_e32 v33, 24, v0
	v_ashrrev_i32_e32 v3, 31, v3
	v_not_b32_e32 v0, v33
	v_and_b32_e32 v1, v1, v5
	v_xor_b32_e32 v5, vcc_hi, v3
	v_xor_b32_e32 v3, vcc_lo, v3
	v_cmp_gt_i64_e32 vcc, 0, v[32:33]
	v_ashrrev_i32_e32 v0, 31, v0
	v_and_b32_e32 v2, v2, v3
	v_xor_b32_e32 v3, vcc_hi, v0
	v_xor_b32_e32 v0, vcc_lo, v0
	v_and_b32_e32 v1, v1, v5
	v_and_b32_e32 v0, v2, v0
	v_and_b32_e32 v1, v1, v3
	v_mbcnt_lo_u32_b32 v2, v0, 0
	v_mbcnt_hi_u32_b32 v5, v1, v2
	v_cmp_eq_u32_e32 vcc, 0, v5
	v_cmp_ne_u64_e64 s[46:47], 0, v[0:1]
	v_mov_b32_e32 v54, v47
	v_mov_b32_e32 v55, v46
	;; [unrolled: 1-line block ×7, first 2 shown]
	v_pk_mov_b32 v[16:17], v[14:15], v[14:15] op_sel:[0,1]
	v_pk_mov_b32 v[18:19], v[12:13], v[12:13] op_sel:[0,1]
	;; [unrolled: 1-line block ×5, first 2 shown]
	s_and_b64 s[58:59], s[46:47], vcc
	ds_write2_b32 v89, v32, v32 offset0:8 offset1:9
	ds_write2_b32 v48, v32, v32 offset0:2 offset1:3
	s_waitcnt lgkmcnt(0)
	s_barrier
	s_waitcnt lgkmcnt(0)
	; wave barrier
	s_and_saveexec_b64 s[46:47], s[58:59]
	s_cbranch_execz .LBB120_69
; %bb.68:                               ;   in Loop: Header=BB120_67 Depth=1
	v_bcnt_u32_b32 v0, v0, 0
	v_bcnt_u32_b32 v0, v1, v0
	ds_write_b32 v4, v0
.LBB120_69:                             ;   in Loop: Header=BB120_67 Depth=1
	s_or_b64 exec, exec, s[46:47]
	v_lshrrev_b32_e32 v0, s55, v60
	v_and_b32_e32 v0, s56, v0
	v_lshlrev_b32_e32 v1, 3, v0
	v_add_lshl_u32 v1, v1, v49, 2
	; wave barrier
	v_add_u32_e32 v7, 32, v1
	ds_read_b32 v6, v1 offset:32
	v_and_b32_e32 v1, 1, v0
	v_add_co_u32_e32 v2, vcc, -1, v1
	v_addc_co_u32_e64 v3, s[46:47], 0, -1, vcc
	v_cmp_ne_u32_e32 vcc, 0, v1
	v_lshlrev_b32_e32 v33, 30, v0
	v_xor_b32_e32 v1, vcc_hi, v3
	v_not_b32_e32 v3, v33
	v_xor_b32_e32 v2, vcc_lo, v2
	v_cmp_gt_i64_e32 vcc, 0, v[32:33]
	v_ashrrev_i32_e32 v3, 31, v3
	v_and_b32_e32 v2, exec_lo, v2
	v_xor_b32_e32 v8, vcc_hi, v3
	v_xor_b32_e32 v3, vcc_lo, v3
	v_lshlrev_b32_e32 v33, 29, v0
	v_and_b32_e32 v2, v2, v3
	v_not_b32_e32 v3, v33
	v_and_b32_e32 v1, exec_hi, v1
	v_cmp_gt_i64_e32 vcc, 0, v[32:33]
	v_ashrrev_i32_e32 v3, 31, v3
	v_and_b32_e32 v1, v1, v8
	v_xor_b32_e32 v8, vcc_hi, v3
	v_xor_b32_e32 v3, vcc_lo, v3
	v_lshlrev_b32_e32 v33, 28, v0
	v_and_b32_e32 v2, v2, v3
	v_not_b32_e32 v3, v33
	v_cmp_gt_i64_e32 vcc, 0, v[32:33]
	v_ashrrev_i32_e32 v3, 31, v3
	v_and_b32_e32 v1, v1, v8
	v_xor_b32_e32 v8, vcc_hi, v3
	v_xor_b32_e32 v3, vcc_lo, v3
	v_lshlrev_b32_e32 v33, 27, v0
	v_and_b32_e32 v2, v2, v3
	v_not_b32_e32 v3, v33
	;; [unrolled: 8-line block ×3, first 2 shown]
	v_cmp_gt_i64_e32 vcc, 0, v[32:33]
	v_ashrrev_i32_e32 v3, 31, v3
	v_and_b32_e32 v1, v1, v8
	v_xor_b32_e32 v8, vcc_hi, v3
	v_xor_b32_e32 v3, vcc_lo, v3
	v_lshlrev_b32_e32 v33, 25, v0
	v_and_b32_e32 v2, v2, v3
	v_cmp_gt_i64_e32 vcc, 0, v[32:33]
	v_not_b32_e32 v3, v33
	v_lshlrev_b32_e32 v33, 24, v0
	v_ashrrev_i32_e32 v3, 31, v3
	v_not_b32_e32 v0, v33
	v_and_b32_e32 v1, v1, v8
	v_xor_b32_e32 v8, vcc_hi, v3
	v_xor_b32_e32 v3, vcc_lo, v3
	v_cmp_gt_i64_e32 vcc, 0, v[32:33]
	v_ashrrev_i32_e32 v0, 31, v0
	v_and_b32_e32 v2, v2, v3
	v_xor_b32_e32 v3, vcc_hi, v0
	v_xor_b32_e32 v0, vcc_lo, v0
	v_and_b32_e32 v1, v1, v8
	v_and_b32_e32 v0, v2, v0
	;; [unrolled: 1-line block ×3, first 2 shown]
	v_mbcnt_lo_u32_b32 v2, v0, 0
	v_mbcnt_hi_u32_b32 v8, v1, v2
	v_cmp_eq_u32_e32 vcc, 0, v8
	v_cmp_ne_u64_e64 s[46:47], 0, v[0:1]
	s_and_b64 s[58:59], s[46:47], vcc
	; wave barrier
	s_and_saveexec_b64 s[46:47], s[58:59]
	s_cbranch_execz .LBB120_71
; %bb.70:                               ;   in Loop: Header=BB120_67 Depth=1
	v_bcnt_u32_b32 v0, v0, 0
	v_bcnt_u32_b32 v0, v1, v0
	s_waitcnt lgkmcnt(0)
	v_add_u32_e32 v0, v6, v0
	ds_write_b32 v7, v0
.LBB120_71:                             ;   in Loop: Header=BB120_67 Depth=1
	s_or_b64 exec, exec, s[46:47]
	v_lshrrev_b32_e32 v0, s55, v59
	v_and_b32_e32 v0, s56, v0
	v_lshlrev_b32_e32 v1, 3, v0
	v_add_lshl_u32 v1, v1, v49, 2
	; wave barrier
	v_add_u32_e32 v10, 32, v1
	ds_read_b32 v9, v1 offset:32
	v_and_b32_e32 v1, 1, v0
	v_add_co_u32_e32 v2, vcc, -1, v1
	v_addc_co_u32_e64 v3, s[46:47], 0, -1, vcc
	v_cmp_ne_u32_e32 vcc, 0, v1
	v_lshlrev_b32_e32 v33, 30, v0
	v_xor_b32_e32 v1, vcc_hi, v3
	v_not_b32_e32 v3, v33
	v_xor_b32_e32 v2, vcc_lo, v2
	v_cmp_gt_i64_e32 vcc, 0, v[32:33]
	v_ashrrev_i32_e32 v3, 31, v3
	v_and_b32_e32 v2, exec_lo, v2
	v_xor_b32_e32 v11, vcc_hi, v3
	v_xor_b32_e32 v3, vcc_lo, v3
	v_lshlrev_b32_e32 v33, 29, v0
	v_and_b32_e32 v2, v2, v3
	v_not_b32_e32 v3, v33
	v_and_b32_e32 v1, exec_hi, v1
	v_cmp_gt_i64_e32 vcc, 0, v[32:33]
	v_ashrrev_i32_e32 v3, 31, v3
	v_and_b32_e32 v1, v1, v11
	v_xor_b32_e32 v11, vcc_hi, v3
	v_xor_b32_e32 v3, vcc_lo, v3
	v_lshlrev_b32_e32 v33, 28, v0
	v_and_b32_e32 v2, v2, v3
	v_not_b32_e32 v3, v33
	v_cmp_gt_i64_e32 vcc, 0, v[32:33]
	v_ashrrev_i32_e32 v3, 31, v3
	v_and_b32_e32 v1, v1, v11
	v_xor_b32_e32 v11, vcc_hi, v3
	v_xor_b32_e32 v3, vcc_lo, v3
	v_lshlrev_b32_e32 v33, 27, v0
	v_and_b32_e32 v2, v2, v3
	v_not_b32_e32 v3, v33
	;; [unrolled: 8-line block ×3, first 2 shown]
	v_cmp_gt_i64_e32 vcc, 0, v[32:33]
	v_ashrrev_i32_e32 v3, 31, v3
	v_and_b32_e32 v1, v1, v11
	v_xor_b32_e32 v11, vcc_hi, v3
	v_xor_b32_e32 v3, vcc_lo, v3
	v_lshlrev_b32_e32 v33, 25, v0
	v_and_b32_e32 v2, v2, v3
	v_cmp_gt_i64_e32 vcc, 0, v[32:33]
	v_not_b32_e32 v3, v33
	v_lshlrev_b32_e32 v33, 24, v0
	v_ashrrev_i32_e32 v3, 31, v3
	v_not_b32_e32 v0, v33
	v_and_b32_e32 v1, v1, v11
	v_xor_b32_e32 v11, vcc_hi, v3
	v_xor_b32_e32 v3, vcc_lo, v3
	v_cmp_gt_i64_e32 vcc, 0, v[32:33]
	v_ashrrev_i32_e32 v0, 31, v0
	v_and_b32_e32 v2, v2, v3
	v_xor_b32_e32 v3, vcc_hi, v0
	v_xor_b32_e32 v0, vcc_lo, v0
	v_and_b32_e32 v1, v1, v11
	v_and_b32_e32 v0, v2, v0
	;; [unrolled: 1-line block ×3, first 2 shown]
	v_mbcnt_lo_u32_b32 v2, v0, 0
	v_mbcnt_hi_u32_b32 v11, v1, v2
	v_cmp_eq_u32_e32 vcc, 0, v11
	v_cmp_ne_u64_e64 s[46:47], 0, v[0:1]
	s_and_b64 s[58:59], s[46:47], vcc
	; wave barrier
	s_and_saveexec_b64 s[46:47], s[58:59]
	s_cbranch_execz .LBB120_73
; %bb.72:                               ;   in Loop: Header=BB120_67 Depth=1
	v_bcnt_u32_b32 v0, v0, 0
	v_bcnt_u32_b32 v0, v1, v0
	s_waitcnt lgkmcnt(0)
	v_add_u32_e32 v0, v9, v0
	ds_write_b32 v10, v0
.LBB120_73:                             ;   in Loop: Header=BB120_67 Depth=1
	s_or_b64 exec, exec, s[46:47]
	v_lshrrev_b32_e32 v0, s55, v58
	v_and_b32_e32 v0, s56, v0
	v_lshlrev_b32_e32 v1, 3, v0
	v_add_lshl_u32 v1, v1, v49, 2
	; wave barrier
	v_add_u32_e32 v13, 32, v1
	ds_read_b32 v12, v1 offset:32
	v_and_b32_e32 v1, 1, v0
	v_add_co_u32_e32 v2, vcc, -1, v1
	v_addc_co_u32_e64 v3, s[46:47], 0, -1, vcc
	v_cmp_ne_u32_e32 vcc, 0, v1
	v_lshlrev_b32_e32 v33, 30, v0
	v_xor_b32_e32 v1, vcc_hi, v3
	v_not_b32_e32 v3, v33
	v_xor_b32_e32 v2, vcc_lo, v2
	v_cmp_gt_i64_e32 vcc, 0, v[32:33]
	v_ashrrev_i32_e32 v3, 31, v3
	v_and_b32_e32 v2, exec_lo, v2
	v_xor_b32_e32 v14, vcc_hi, v3
	v_xor_b32_e32 v3, vcc_lo, v3
	v_lshlrev_b32_e32 v33, 29, v0
	v_and_b32_e32 v2, v2, v3
	v_not_b32_e32 v3, v33
	v_and_b32_e32 v1, exec_hi, v1
	v_cmp_gt_i64_e32 vcc, 0, v[32:33]
	v_ashrrev_i32_e32 v3, 31, v3
	v_and_b32_e32 v1, v1, v14
	v_xor_b32_e32 v14, vcc_hi, v3
	v_xor_b32_e32 v3, vcc_lo, v3
	v_lshlrev_b32_e32 v33, 28, v0
	v_and_b32_e32 v2, v2, v3
	v_not_b32_e32 v3, v33
	v_cmp_gt_i64_e32 vcc, 0, v[32:33]
	v_ashrrev_i32_e32 v3, 31, v3
	v_and_b32_e32 v1, v1, v14
	v_xor_b32_e32 v14, vcc_hi, v3
	v_xor_b32_e32 v3, vcc_lo, v3
	v_lshlrev_b32_e32 v33, 27, v0
	v_and_b32_e32 v2, v2, v3
	v_not_b32_e32 v3, v33
	;; [unrolled: 8-line block ×3, first 2 shown]
	v_cmp_gt_i64_e32 vcc, 0, v[32:33]
	v_ashrrev_i32_e32 v3, 31, v3
	v_and_b32_e32 v1, v1, v14
	v_xor_b32_e32 v14, vcc_hi, v3
	v_xor_b32_e32 v3, vcc_lo, v3
	v_lshlrev_b32_e32 v33, 25, v0
	v_and_b32_e32 v2, v2, v3
	v_cmp_gt_i64_e32 vcc, 0, v[32:33]
	v_not_b32_e32 v3, v33
	v_lshlrev_b32_e32 v33, 24, v0
	v_ashrrev_i32_e32 v3, 31, v3
	v_not_b32_e32 v0, v33
	v_and_b32_e32 v1, v1, v14
	v_xor_b32_e32 v14, vcc_hi, v3
	v_xor_b32_e32 v3, vcc_lo, v3
	v_cmp_gt_i64_e32 vcc, 0, v[32:33]
	v_ashrrev_i32_e32 v0, 31, v0
	v_and_b32_e32 v2, v2, v3
	v_xor_b32_e32 v3, vcc_hi, v0
	v_xor_b32_e32 v0, vcc_lo, v0
	v_and_b32_e32 v1, v1, v14
	v_and_b32_e32 v0, v2, v0
	v_and_b32_e32 v1, v1, v3
	v_mbcnt_lo_u32_b32 v2, v0, 0
	v_mbcnt_hi_u32_b32 v14, v1, v2
	v_cmp_eq_u32_e32 vcc, 0, v14
	v_cmp_ne_u64_e64 s[46:47], 0, v[0:1]
	s_and_b64 s[58:59], s[46:47], vcc
	; wave barrier
	s_and_saveexec_b64 s[46:47], s[58:59]
	s_cbranch_execz .LBB120_75
; %bb.74:                               ;   in Loop: Header=BB120_67 Depth=1
	v_bcnt_u32_b32 v0, v0, 0
	v_bcnt_u32_b32 v0, v1, v0
	s_waitcnt lgkmcnt(0)
	v_add_u32_e32 v0, v12, v0
	ds_write_b32 v13, v0
.LBB120_75:                             ;   in Loop: Header=BB120_67 Depth=1
	s_or_b64 exec, exec, s[46:47]
	v_lshrrev_b32_e32 v0, s55, v57
	v_and_b32_e32 v0, s56, v0
	v_lshlrev_b32_e32 v1, 3, v0
	v_add_lshl_u32 v1, v1, v49, 2
	; wave barrier
	v_add_u32_e32 v40, 32, v1
	ds_read_b32 v15, v1 offset:32
	v_and_b32_e32 v1, 1, v0
	v_add_co_u32_e32 v2, vcc, -1, v1
	v_addc_co_u32_e64 v3, s[46:47], 0, -1, vcc
	v_cmp_ne_u32_e32 vcc, 0, v1
	v_lshlrev_b32_e32 v33, 30, v0
	v_xor_b32_e32 v1, vcc_hi, v3
	v_not_b32_e32 v3, v33
	v_xor_b32_e32 v2, vcc_lo, v2
	v_cmp_gt_i64_e32 vcc, 0, v[32:33]
	v_ashrrev_i32_e32 v3, 31, v3
	v_and_b32_e32 v1, exec_hi, v1
	v_xor_b32_e32 v33, vcc_hi, v3
	v_and_b32_e32 v2, exec_lo, v2
	v_xor_b32_e32 v3, vcc_lo, v3
	v_and_b32_e32 v1, v1, v33
	v_lshlrev_b32_e32 v33, 29, v0
	v_and_b32_e32 v2, v2, v3
	v_not_b32_e32 v3, v33
	v_cmp_gt_i64_e32 vcc, 0, v[32:33]
	v_ashrrev_i32_e32 v3, 31, v3
	v_xor_b32_e32 v33, vcc_hi, v3
	v_xor_b32_e32 v3, vcc_lo, v3
	v_and_b32_e32 v1, v1, v33
	v_lshlrev_b32_e32 v33, 28, v0
	v_and_b32_e32 v2, v2, v3
	v_not_b32_e32 v3, v33
	v_cmp_gt_i64_e32 vcc, 0, v[32:33]
	v_ashrrev_i32_e32 v3, 31, v3
	v_xor_b32_e32 v33, vcc_hi, v3
	v_xor_b32_e32 v3, vcc_lo, v3
	v_and_b32_e32 v1, v1, v33
	v_lshlrev_b32_e32 v33, 27, v0
	v_and_b32_e32 v2, v2, v3
	v_not_b32_e32 v3, v33
	v_cmp_gt_i64_e32 vcc, 0, v[32:33]
	v_ashrrev_i32_e32 v3, 31, v3
	v_xor_b32_e32 v33, vcc_hi, v3
	v_xor_b32_e32 v3, vcc_lo, v3
	v_and_b32_e32 v1, v1, v33
	v_lshlrev_b32_e32 v33, 26, v0
	v_and_b32_e32 v2, v2, v3
	v_not_b32_e32 v3, v33
	v_cmp_gt_i64_e32 vcc, 0, v[32:33]
	v_ashrrev_i32_e32 v3, 31, v3
	v_xor_b32_e32 v33, vcc_hi, v3
	v_xor_b32_e32 v3, vcc_lo, v3
	v_and_b32_e32 v1, v1, v33
	v_lshlrev_b32_e32 v33, 25, v0
	v_and_b32_e32 v2, v2, v3
	v_not_b32_e32 v3, v33
	v_cmp_gt_i64_e32 vcc, 0, v[32:33]
	v_ashrrev_i32_e32 v3, 31, v3
	v_xor_b32_e32 v33, vcc_hi, v3
	v_and_b32_e32 v1, v1, v33
	v_lshlrev_b32_e32 v33, 24, v0
	v_not_b32_e32 v0, v33
	v_xor_b32_e32 v3, vcc_lo, v3
	v_cmp_gt_i64_e32 vcc, 0, v[32:33]
	v_ashrrev_i32_e32 v0, 31, v0
	v_and_b32_e32 v2, v2, v3
	v_xor_b32_e32 v3, vcc_hi, v0
	v_xor_b32_e32 v0, vcc_lo, v0
	v_and_b32_e32 v0, v2, v0
	v_and_b32_e32 v1, v1, v3
	v_mbcnt_lo_u32_b32 v2, v0, 0
	v_mbcnt_hi_u32_b32 v41, v1, v2
	v_cmp_eq_u32_e32 vcc, 0, v41
	v_cmp_ne_u64_e64 s[46:47], 0, v[0:1]
	s_and_b64 s[58:59], s[46:47], vcc
	; wave barrier
	s_and_saveexec_b64 s[46:47], s[58:59]
	s_cbranch_execz .LBB120_77
; %bb.76:                               ;   in Loop: Header=BB120_67 Depth=1
	v_bcnt_u32_b32 v0, v0, 0
	v_bcnt_u32_b32 v0, v1, v0
	s_waitcnt lgkmcnt(0)
	v_add_u32_e32 v0, v15, v0
	ds_write_b32 v40, v0
.LBB120_77:                             ;   in Loop: Header=BB120_67 Depth=1
	s_or_b64 exec, exec, s[46:47]
	v_lshrrev_b32_e32 v0, s55, v56
	v_and_b32_e32 v0, s56, v0
	v_lshlrev_b32_e32 v1, 3, v0
	v_add_lshl_u32 v1, v1, v49, 2
	; wave barrier
	v_add_u32_e32 v43, 32, v1
	ds_read_b32 v42, v1 offset:32
	v_and_b32_e32 v1, 1, v0
	v_add_co_u32_e32 v2, vcc, -1, v1
	v_addc_co_u32_e64 v3, s[46:47], 0, -1, vcc
	v_cmp_ne_u32_e32 vcc, 0, v1
	v_lshlrev_b32_e32 v33, 30, v0
	v_xor_b32_e32 v1, vcc_hi, v3
	v_not_b32_e32 v3, v33
	v_xor_b32_e32 v2, vcc_lo, v2
	v_cmp_gt_i64_e32 vcc, 0, v[32:33]
	v_ashrrev_i32_e32 v3, 31, v3
	v_and_b32_e32 v1, exec_hi, v1
	v_xor_b32_e32 v33, vcc_hi, v3
	v_and_b32_e32 v2, exec_lo, v2
	v_xor_b32_e32 v3, vcc_lo, v3
	v_and_b32_e32 v1, v1, v33
	v_lshlrev_b32_e32 v33, 29, v0
	v_and_b32_e32 v2, v2, v3
	v_not_b32_e32 v3, v33
	v_cmp_gt_i64_e32 vcc, 0, v[32:33]
	v_ashrrev_i32_e32 v3, 31, v3
	v_xor_b32_e32 v33, vcc_hi, v3
	v_xor_b32_e32 v3, vcc_lo, v3
	v_and_b32_e32 v1, v1, v33
	v_lshlrev_b32_e32 v33, 28, v0
	v_and_b32_e32 v2, v2, v3
	v_not_b32_e32 v3, v33
	v_cmp_gt_i64_e32 vcc, 0, v[32:33]
	v_ashrrev_i32_e32 v3, 31, v3
	v_xor_b32_e32 v33, vcc_hi, v3
	;; [unrolled: 8-line block ×5, first 2 shown]
	v_and_b32_e32 v1, v1, v33
	v_lshlrev_b32_e32 v33, 24, v0
	v_not_b32_e32 v0, v33
	v_xor_b32_e32 v3, vcc_lo, v3
	v_cmp_gt_i64_e32 vcc, 0, v[32:33]
	v_ashrrev_i32_e32 v0, 31, v0
	v_and_b32_e32 v2, v2, v3
	v_xor_b32_e32 v3, vcc_hi, v0
	v_xor_b32_e32 v0, vcc_lo, v0
	v_and_b32_e32 v0, v2, v0
	v_and_b32_e32 v1, v1, v3
	v_mbcnt_lo_u32_b32 v2, v0, 0
	v_mbcnt_hi_u32_b32 v44, v1, v2
	v_cmp_eq_u32_e32 vcc, 0, v44
	v_cmp_ne_u64_e64 s[46:47], 0, v[0:1]
	s_and_b64 s[58:59], s[46:47], vcc
	; wave barrier
	s_and_saveexec_b64 s[46:47], s[58:59]
	s_cbranch_execz .LBB120_79
; %bb.78:                               ;   in Loop: Header=BB120_67 Depth=1
	v_bcnt_u32_b32 v0, v0, 0
	v_bcnt_u32_b32 v0, v1, v0
	s_waitcnt lgkmcnt(0)
	v_add_u32_e32 v0, v42, v0
	ds_write_b32 v43, v0
.LBB120_79:                             ;   in Loop: Header=BB120_67 Depth=1
	s_or_b64 exec, exec, s[46:47]
	v_lshrrev_b32_e32 v0, s55, v55
	v_and_b32_e32 v0, s56, v0
	v_lshlrev_b32_e32 v1, 3, v0
	v_add_lshl_u32 v1, v1, v49, 2
	; wave barrier
	v_add_u32_e32 v46, 32, v1
	ds_read_b32 v45, v1 offset:32
	v_and_b32_e32 v1, 1, v0
	v_add_co_u32_e32 v2, vcc, -1, v1
	v_addc_co_u32_e64 v3, s[46:47], 0, -1, vcc
	v_cmp_ne_u32_e32 vcc, 0, v1
	v_lshlrev_b32_e32 v33, 30, v0
	v_xor_b32_e32 v1, vcc_hi, v3
	v_not_b32_e32 v3, v33
	v_xor_b32_e32 v2, vcc_lo, v2
	v_cmp_gt_i64_e32 vcc, 0, v[32:33]
	v_ashrrev_i32_e32 v3, 31, v3
	v_and_b32_e32 v1, exec_hi, v1
	v_xor_b32_e32 v33, vcc_hi, v3
	v_and_b32_e32 v2, exec_lo, v2
	v_xor_b32_e32 v3, vcc_lo, v3
	v_and_b32_e32 v1, v1, v33
	v_lshlrev_b32_e32 v33, 29, v0
	v_and_b32_e32 v2, v2, v3
	v_not_b32_e32 v3, v33
	v_cmp_gt_i64_e32 vcc, 0, v[32:33]
	v_ashrrev_i32_e32 v3, 31, v3
	v_xor_b32_e32 v33, vcc_hi, v3
	v_xor_b32_e32 v3, vcc_lo, v3
	v_and_b32_e32 v1, v1, v33
	v_lshlrev_b32_e32 v33, 28, v0
	v_and_b32_e32 v2, v2, v3
	v_not_b32_e32 v3, v33
	v_cmp_gt_i64_e32 vcc, 0, v[32:33]
	v_ashrrev_i32_e32 v3, 31, v3
	v_xor_b32_e32 v33, vcc_hi, v3
	;; [unrolled: 8-line block ×5, first 2 shown]
	v_and_b32_e32 v1, v1, v33
	v_lshlrev_b32_e32 v33, 24, v0
	v_not_b32_e32 v0, v33
	v_xor_b32_e32 v3, vcc_lo, v3
	v_cmp_gt_i64_e32 vcc, 0, v[32:33]
	v_ashrrev_i32_e32 v0, 31, v0
	v_and_b32_e32 v2, v2, v3
	v_xor_b32_e32 v3, vcc_hi, v0
	v_xor_b32_e32 v0, vcc_lo, v0
	v_and_b32_e32 v0, v2, v0
	v_and_b32_e32 v1, v1, v3
	v_mbcnt_lo_u32_b32 v2, v0, 0
	v_mbcnt_hi_u32_b32 v47, v1, v2
	v_cmp_eq_u32_e32 vcc, 0, v47
	v_cmp_ne_u64_e64 s[46:47], 0, v[0:1]
	s_and_b64 s[58:59], s[46:47], vcc
	; wave barrier
	s_and_saveexec_b64 s[46:47], s[58:59]
	s_cbranch_execz .LBB120_81
; %bb.80:                               ;   in Loop: Header=BB120_67 Depth=1
	v_bcnt_u32_b32 v0, v0, 0
	v_bcnt_u32_b32 v0, v1, v0
	s_waitcnt lgkmcnt(0)
	v_add_u32_e32 v0, v45, v0
	ds_write_b32 v46, v0
.LBB120_81:                             ;   in Loop: Header=BB120_67 Depth=1
	s_or_b64 exec, exec, s[46:47]
	v_lshrrev_b32_e32 v0, s55, v54
	v_and_b32_e32 v0, s56, v0
	v_lshlrev_b32_e32 v1, 3, v0
	v_add_lshl_u32 v1, v1, v49, 2
	; wave barrier
	v_add_u32_e32 v63, 32, v1
	ds_read_b32 v62, v1 offset:32
	v_and_b32_e32 v1, 1, v0
	v_add_co_u32_e32 v2, vcc, -1, v1
	v_addc_co_u32_e64 v3, s[46:47], 0, -1, vcc
	v_cmp_ne_u32_e32 vcc, 0, v1
	v_lshlrev_b32_e32 v33, 30, v0
	v_xor_b32_e32 v1, vcc_hi, v3
	v_not_b32_e32 v3, v33
	v_xor_b32_e32 v2, vcc_lo, v2
	v_cmp_gt_i64_e32 vcc, 0, v[32:33]
	v_ashrrev_i32_e32 v3, 31, v3
	v_and_b32_e32 v1, exec_hi, v1
	v_xor_b32_e32 v33, vcc_hi, v3
	v_and_b32_e32 v2, exec_lo, v2
	v_xor_b32_e32 v3, vcc_lo, v3
	v_and_b32_e32 v1, v1, v33
	v_lshlrev_b32_e32 v33, 29, v0
	v_and_b32_e32 v2, v2, v3
	v_not_b32_e32 v3, v33
	v_cmp_gt_i64_e32 vcc, 0, v[32:33]
	v_ashrrev_i32_e32 v3, 31, v3
	v_xor_b32_e32 v33, vcc_hi, v3
	v_xor_b32_e32 v3, vcc_lo, v3
	v_and_b32_e32 v1, v1, v33
	v_lshlrev_b32_e32 v33, 28, v0
	v_and_b32_e32 v2, v2, v3
	v_not_b32_e32 v3, v33
	v_cmp_gt_i64_e32 vcc, 0, v[32:33]
	v_ashrrev_i32_e32 v3, 31, v3
	v_xor_b32_e32 v33, vcc_hi, v3
	;; [unrolled: 8-line block ×5, first 2 shown]
	v_and_b32_e32 v1, v1, v33
	v_lshlrev_b32_e32 v33, 24, v0
	v_not_b32_e32 v0, v33
	v_xor_b32_e32 v3, vcc_lo, v3
	v_cmp_gt_i64_e32 vcc, 0, v[32:33]
	v_ashrrev_i32_e32 v0, 31, v0
	v_and_b32_e32 v2, v2, v3
	v_xor_b32_e32 v3, vcc_hi, v0
	v_xor_b32_e32 v0, vcc_lo, v0
	v_and_b32_e32 v0, v2, v0
	v_and_b32_e32 v1, v1, v3
	v_mbcnt_lo_u32_b32 v2, v0, 0
	v_mbcnt_hi_u32_b32 v69, v1, v2
	v_cmp_eq_u32_e32 vcc, 0, v69
	v_cmp_ne_u64_e64 s[46:47], 0, v[0:1]
	s_and_b64 s[56:57], s[46:47], vcc
	; wave barrier
	s_and_saveexec_b64 s[46:47], s[56:57]
	s_cbranch_execz .LBB120_83
; %bb.82:                               ;   in Loop: Header=BB120_67 Depth=1
	v_bcnt_u32_b32 v0, v0, 0
	v_bcnt_u32_b32 v0, v1, v0
	s_waitcnt lgkmcnt(0)
	v_add_u32_e32 v0, v62, v0
	ds_write_b32 v63, v0
.LBB120_83:                             ;   in Loop: Header=BB120_67 Depth=1
	s_or_b64 exec, exec, s[46:47]
	; wave barrier
	s_waitcnt lgkmcnt(0)
	s_barrier
	ds_read2_b32 v[2:3], v89 offset0:8 offset1:9
	ds_read2_b32 v[0:1], v48 offset0:2 offset1:3
	s_waitcnt lgkmcnt(1)
	v_add_u32_e32 v33, v3, v2
	s_waitcnt lgkmcnt(0)
	v_add3_u32 v1, v33, v0, v1
	s_nop 1
	v_mov_b32_dpp v33, v1 row_shr:1 row_mask:0xf bank_mask:0xf
	v_cndmask_b32_e64 v33, v33, 0, s[16:17]
	v_add_u32_e32 v1, v33, v1
	s_nop 1
	v_mov_b32_dpp v33, v1 row_shr:2 row_mask:0xf bank_mask:0xf
	v_cndmask_b32_e64 v33, 0, v33, s[18:19]
	v_add_u32_e32 v1, v1, v33
	;; [unrolled: 4-line block ×4, first 2 shown]
	s_nop 1
	v_mov_b32_dpp v33, v1 row_bcast:15 row_mask:0xf bank_mask:0xf
	v_cndmask_b32_e64 v33, v33, 0, s[24:25]
	v_add_u32_e32 v1, v1, v33
	s_nop 1
	v_mov_b32_dpp v33, v1 row_bcast:31 row_mask:0xf bank_mask:0xf
	v_cndmask_b32_e64 v33, 0, v33, s[26:27]
	v_add_u32_e32 v1, v1, v33
	s_and_saveexec_b64 s[46:47], s[28:29]
	s_cbranch_execz .LBB120_85
; %bb.84:                               ;   in Loop: Header=BB120_67 Depth=1
	ds_write_b32 v38, v1
.LBB120_85:                             ;   in Loop: Header=BB120_67 Depth=1
	s_or_b64 exec, exec, s[46:47]
	s_waitcnt lgkmcnt(0)
	s_barrier
	s_and_saveexec_b64 s[46:47], s[30:31]
	s_cbranch_execz .LBB120_87
; %bb.86:                               ;   in Loop: Header=BB120_67 Depth=1
	ds_read_b32 v33, v88
	s_waitcnt lgkmcnt(0)
	s_nop 0
	v_mov_b32_dpp v64, v33 row_shr:1 row_mask:0xf bank_mask:0xf
	v_cndmask_b32_e64 v64, v64, 0, s[40:41]
	v_add_u32_e32 v33, v64, v33
	s_nop 1
	v_mov_b32_dpp v64, v33 row_shr:2 row_mask:0xf bank_mask:0xf
	v_cndmask_b32_e64 v64, 0, v64, s[42:43]
	v_add_u32_e32 v33, v33, v64
	;; [unrolled: 4-line block ×3, first 2 shown]
	ds_write_b32 v88, v33
.LBB120_87:                             ;   in Loop: Header=BB120_67 Depth=1
	s_or_b64 exec, exec, s[46:47]
	v_mov_b32_e32 v33, 0
	s_waitcnt lgkmcnt(0)
	s_barrier
	s_and_saveexec_b64 s[46:47], s[34:35]
	s_cbranch_execz .LBB120_89
; %bb.88:                               ;   in Loop: Header=BB120_67 Depth=1
	ds_read_b32 v33, v51
.LBB120_89:                             ;   in Loop: Header=BB120_67 Depth=1
	s_or_b64 exec, exec, s[46:47]
	s_waitcnt lgkmcnt(0)
	v_add_u32_e32 v1, v33, v1
	ds_bpermute_b32 v1, v50, v1
	s_cmp_gt_u32 s55, 23
	s_waitcnt lgkmcnt(0)
	v_cndmask_b32_e64 v1, v1, v33, s[36:37]
	v_cndmask_b32_e64 v1, v1, 0, s[38:39]
	v_add_u32_e32 v2, v1, v2
	v_add_u32_e32 v3, v2, v3
	;; [unrolled: 1-line block ×3, first 2 shown]
	ds_write2_b32 v89, v1, v2 offset0:8 offset1:9
	ds_write2_b32 v48, v3, v0 offset0:2 offset1:3
	s_waitcnt lgkmcnt(0)
	s_barrier
	ds_read_b32 v0, v4
	ds_read_b32 v1, v7
	;; [unrolled: 1-line block ×8, first 2 shown]
	s_waitcnt lgkmcnt(7)
	v_add_u32_e32 v33, v0, v5
	s_waitcnt lgkmcnt(6)
	v_add3_u32 v63, v8, v6, v1
	s_waitcnt lgkmcnt(5)
	v_add3_u32 v64, v11, v9, v2
	s_waitcnt lgkmcnt(4)
	v_add3_u32 v65, v14, v12, v3
	s_waitcnt lgkmcnt(3)
	v_add3_u32 v66, v41, v15, v4
	s_waitcnt lgkmcnt(2)
	v_add3_u32 v67, v44, v42, v7
	s_waitcnt lgkmcnt(1)
	v_add3_u32 v68, v47, v45, v10
	s_waitcnt lgkmcnt(0)
	v_add3_u32 v62, v69, v62, v13
	s_cbranch_scc0 .LBB120_66
; %bb.90:
                                        ; implicit-def: $vgpr47
                                        ; implicit-def: $vgpr45
                                        ; implicit-def: $vgpr43
                                        ; implicit-def: $vgpr41
                                        ; implicit-def: $vgpr14_vgpr15
                                        ; implicit-def: $vgpr10_vgpr11
                                        ; implicit-def: $vgpr6_vgpr7
                                        ; implicit-def: $vgpr2_vgpr3
                                        ; implicit-def: $sgpr55
                                        ; implicit-def: $sgpr54
.LBB120_91:
	v_lshlrev_b32_e32 v0, 2, v33
	s_barrier
	ds_write_b32 v0, v61
	v_lshlrev_b32_e32 v0, 2, v63
	ds_write_b32 v0, v60
	v_lshlrev_b32_e32 v0, 2, v64
	;; [unrolled: 2-line block ×7, first 2 shown]
	v_lshlrev_b32_e32 v6, 2, v87
	v_lshlrev_b32_e32 v8, 3, v33
	;; [unrolled: 1-line block ×3, first 2 shown]
	ds_write_b32 v0, v54
	s_waitcnt lgkmcnt(0)
	s_barrier
	v_lshlrev_b32_e32 v9, 3, v63
	v_lshlrev_b32_e32 v10, 3, v64
	;; [unrolled: 1-line block ×7, first 2 shown]
	ds_read2_b32 v[0:1], v6 offset1:1
	ds_read2_b32 v[2:3], v6 offset0:2 offset1:3
	ds_read2_b32 v[4:5], v6 offset0:4 offset1:5
	;; [unrolled: 1-line block ×3, first 2 shown]
	s_waitcnt lgkmcnt(0)
	s_barrier
	ds_write_b64 v8, v[30:31]
	ds_write_b64 v9, v[28:29]
	;; [unrolled: 1-line block ×8, first 2 shown]
	s_waitcnt lgkmcnt(0)
	s_barrier
	ds_read2_b64 v[18:21], v32 offset1:1
	ds_read2_b64 v[22:25], v32 offset0:2 offset1:3
	ds_read2_b64 v[26:29], v32 offset0:4 offset1:5
	;; [unrolled: 1-line block ×3, first 2 shown]
	v_xor_b32_e32 v62, 0x7fffffff, v0
	v_xor_b32_e32 v64, 0x7fffffff, v1
	;; [unrolled: 1-line block ×8, first 2 shown]
.LBB120_92:
	s_waitcnt lgkmcnt(0)
	s_barrier
	ds_write2_b32 v78, v62, v64 offset1:1
	ds_write2_b32 v78, v63, v65 offset0:2 offset1:3
	ds_write2_b32 v78, v66, v0 offset0:4 offset1:5
	;; [unrolled: 1-line block ×3, first 2 shown]
	s_waitcnt lgkmcnt(0)
	s_barrier
	ds_read_b32 v8, v35 offset:2048
	ds_read_b32 v7, v72 offset:4096
	;; [unrolled: 1-line block ×7, first 2 shown]
	v_mov_b32_e32 v35, 0
	v_lshlrev_b64 v[0:1], 2, v[34:35]
	v_mov_b32_e32 v9, s48
	v_add_co_u32_e32 v0, vcc, s33, v0
	v_addc_co_u32_e32 v1, vcc, v9, v1, vcc
	s_and_saveexec_b64 s[16:17], s[0:1]
	s_cbranch_execnz .LBB120_111
; %bb.93:
	s_or_b64 exec, exec, s[16:17]
	s_and_saveexec_b64 s[16:17], s[2:3]
	s_cbranch_execnz .LBB120_112
.LBB120_94:
	s_or_b64 exec, exec, s[16:17]
	s_and_saveexec_b64 s[16:17], s[4:5]
	s_cbranch_execnz .LBB120_113
.LBB120_95:
	s_or_b64 exec, exec, s[16:17]
	s_and_saveexec_b64 s[16:17], s[6:7]
	s_cbranch_execnz .LBB120_114
.LBB120_96:
	s_or_b64 exec, exec, s[16:17]
	s_and_saveexec_b64 s[16:17], s[8:9]
	s_cbranch_execnz .LBB120_115
.LBB120_97:
	s_or_b64 exec, exec, s[16:17]
	s_and_saveexec_b64 s[16:17], s[10:11]
	s_cbranch_execnz .LBB120_116
.LBB120_98:
	s_or_b64 exec, exec, s[16:17]
	s_and_saveexec_b64 s[16:17], s[12:13]
	s_cbranch_execnz .LBB120_117
.LBB120_99:
	s_or_b64 exec, exec, s[16:17]
	s_and_saveexec_b64 s[16:17], s[14:15]
	s_cbranch_execz .LBB120_101
.LBB120_100:
	s_mul_i32 s18, s50, 0xe00
	s_mov_b32 s19, 0
	s_lshl_b64 s[18:19], s[18:19], 2
	s_waitcnt lgkmcnt(1)
	v_mov_b32_e32 v3, s19
	v_add_co_u32_e32 v0, vcc, s18, v0
	v_addc_co_u32_e32 v1, vcc, v1, v3, vcc
	s_waitcnt lgkmcnt(0)
	global_store_dword v[0:1], v2, off
.LBB120_101:
	s_or_b64 exec, exec, s[16:17]
	s_waitcnt lgkmcnt(0)
	s_barrier
	ds_write2_b64 v86, v[18:19], v[20:21] offset1:1
	ds_write2_b64 v86, v[22:23], v[24:25] offset0:2 offset1:3
	ds_write2_b64 v86, v[26:27], v[28:29] offset0:4 offset1:5
	;; [unrolled: 1-line block ×3, first 2 shown]
	s_waitcnt lgkmcnt(0)
	s_barrier
	ds_read_b64 v[14:15], v37 offset:4096
	ds_read_b64 v[12:13], v80 offset:8192
	;; [unrolled: 1-line block ×7, first 2 shown]
	v_mov_b32_e32 v37, 0
	v_lshlrev_b64 v[2:3], 3, v[36:37]
	v_mov_b32_e32 v16, s51
	v_add_co_u32_e32 v2, vcc, s49, v2
	v_addc_co_u32_e32 v3, vcc, v16, v3, vcc
	s_and_saveexec_b64 s[16:17], s[0:1]
	s_cbranch_execnz .LBB120_118
; %bb.102:
	s_or_b64 exec, exec, s[16:17]
	s_and_saveexec_b64 s[0:1], s[2:3]
	s_cbranch_execnz .LBB120_119
.LBB120_103:
	s_or_b64 exec, exec, s[0:1]
	s_and_saveexec_b64 s[0:1], s[4:5]
	s_cbranch_execnz .LBB120_120
.LBB120_104:
	s_or_b64 exec, exec, s[0:1]
	s_and_saveexec_b64 s[0:1], s[6:7]
	s_cbranch_execnz .LBB120_121
.LBB120_105:
	s_or_b64 exec, exec, s[0:1]
	s_and_saveexec_b64 s[0:1], s[8:9]
	s_cbranch_execnz .LBB120_122
.LBB120_106:
	s_or_b64 exec, exec, s[0:1]
	s_and_saveexec_b64 s[0:1], s[10:11]
	s_cbranch_execnz .LBB120_123
.LBB120_107:
	s_or_b64 exec, exec, s[0:1]
	s_and_saveexec_b64 s[0:1], s[12:13]
	s_cbranch_execnz .LBB120_124
.LBB120_108:
	s_or_b64 exec, exec, s[0:1]
	s_and_saveexec_b64 s[0:1], s[14:15]
	s_cbranch_execz .LBB120_110
.LBB120_109:
	s_mul_i32 s0, s52, 0xe00
	s_mov_b32 s1, 0
	s_lshl_b64 s[0:1], s[0:1], 3
	s_waitcnt lgkmcnt(1)
	v_mov_b32_e32 v4, s1
	v_add_co_u32_e32 v2, vcc, s0, v2
	v_addc_co_u32_e32 v3, vcc, v3, v4, vcc
	s_waitcnt lgkmcnt(0)
	global_store_dwordx2 v[2:3], v[0:1], off
.LBB120_110:
	s_endpgm
.LBB120_111:
	ds_read_b32 v9, v39
	s_waitcnt lgkmcnt(0)
	global_store_dword v[0:1], v9, off
	s_or_b64 exec, exec, s[16:17]
	s_and_saveexec_b64 s[16:17], s[2:3]
	s_cbranch_execz .LBB120_94
.LBB120_112:
	s_lshl_b32 s18, s50, 9
	s_mov_b32 s19, 0
	s_lshl_b64 s[18:19], s[18:19], 2
	v_mov_b32_e32 v9, s19
	v_add_co_u32_e32 v10, vcc, s18, v0
	v_addc_co_u32_e32 v11, vcc, v1, v9, vcc
	s_waitcnt lgkmcnt(6)
	global_store_dword v[10:11], v8, off
	s_or_b64 exec, exec, s[16:17]
	s_and_saveexec_b64 s[16:17], s[4:5]
	s_cbranch_execz .LBB120_95
.LBB120_113:
	s_lshl_b32 s18, s50, 10
	s_mov_b32 s19, 0
	s_lshl_b64 s[18:19], s[18:19], 2
	v_mov_b32_e32 v9, s19
	s_waitcnt lgkmcnt(6)
	v_add_co_u32_e32 v8, vcc, s18, v0
	v_addc_co_u32_e32 v9, vcc, v1, v9, vcc
	s_waitcnt lgkmcnt(5)
	global_store_dword v[8:9], v7, off
	s_or_b64 exec, exec, s[16:17]
	s_and_saveexec_b64 s[16:17], s[6:7]
	s_cbranch_execz .LBB120_96
.LBB120_114:
	s_mul_i32 s18, s50, 0x600
	s_mov_b32 s19, 0
	s_lshl_b64 s[18:19], s[18:19], 2
	s_waitcnt lgkmcnt(5)
	v_mov_b32_e32 v7, s19
	v_add_co_u32_e32 v8, vcc, s18, v0
	v_addc_co_u32_e32 v9, vcc, v1, v7, vcc
	s_waitcnt lgkmcnt(4)
	global_store_dword v[8:9], v6, off
	s_or_b64 exec, exec, s[16:17]
	s_and_saveexec_b64 s[16:17], s[8:9]
	s_cbranch_execz .LBB120_97
.LBB120_115:
	s_lshl_b32 s18, s50, 11
	s_mov_b32 s19, 0
	s_lshl_b64 s[18:19], s[18:19], 2
	s_waitcnt lgkmcnt(5)
	v_mov_b32_e32 v7, s19
	s_waitcnt lgkmcnt(4)
	v_add_co_u32_e32 v6, vcc, s18, v0
	v_addc_co_u32_e32 v7, vcc, v1, v7, vcc
	s_waitcnt lgkmcnt(3)
	global_store_dword v[6:7], v5, off
	s_or_b64 exec, exec, s[16:17]
	s_and_saveexec_b64 s[16:17], s[10:11]
	s_cbranch_execz .LBB120_98
.LBB120_116:
	s_mul_i32 s18, s50, 0xa00
	s_mov_b32 s19, 0
	s_lshl_b64 s[18:19], s[18:19], 2
	s_waitcnt lgkmcnt(3)
	v_mov_b32_e32 v5, s19
	v_add_co_u32_e32 v6, vcc, s18, v0
	v_addc_co_u32_e32 v7, vcc, v1, v5, vcc
	s_waitcnt lgkmcnt(2)
	global_store_dword v[6:7], v4, off
	s_or_b64 exec, exec, s[16:17]
	s_and_saveexec_b64 s[16:17], s[12:13]
	s_cbranch_execz .LBB120_99
.LBB120_117:
	s_mul_i32 s18, s50, 0xc00
	s_mov_b32 s19, 0
	s_lshl_b64 s[18:19], s[18:19], 2
	s_waitcnt lgkmcnt(3)
	v_mov_b32_e32 v5, s19
	s_waitcnt lgkmcnt(2)
	v_add_co_u32_e32 v4, vcc, s18, v0
	v_addc_co_u32_e32 v5, vcc, v1, v5, vcc
	s_waitcnt lgkmcnt(1)
	global_store_dword v[4:5], v3, off
	s_or_b64 exec, exec, s[16:17]
	s_and_saveexec_b64 s[16:17], s[14:15]
	s_cbranch_execnz .LBB120_100
	s_branch .LBB120_101
.LBB120_118:
	ds_read_b64 v[16:17], v79
	s_waitcnt lgkmcnt(0)
	global_store_dwordx2 v[2:3], v[16:17], off
	s_or_b64 exec, exec, s[16:17]
	s_and_saveexec_b64 s[0:1], s[2:3]
	s_cbranch_execz .LBB120_103
.LBB120_119:
	s_lshl_b32 s2, s52, 9
	s_mov_b32 s3, 0
	s_lshl_b64 s[2:3], s[2:3], 3
	v_mov_b32_e32 v17, s3
	v_add_co_u32_e32 v16, vcc, s2, v2
	v_addc_co_u32_e32 v17, vcc, v3, v17, vcc
	s_waitcnt lgkmcnt(6)
	global_store_dwordx2 v[16:17], v[14:15], off
	s_or_b64 exec, exec, s[0:1]
	s_and_saveexec_b64 s[0:1], s[4:5]
	s_cbranch_execz .LBB120_104
.LBB120_120:
	s_lshl_b32 s2, s52, 10
	s_mov_b32 s3, 0
	s_lshl_b64 s[2:3], s[2:3], 3
	s_waitcnt lgkmcnt(6)
	v_mov_b32_e32 v15, s3
	v_add_co_u32_e32 v14, vcc, s2, v2
	v_addc_co_u32_e32 v15, vcc, v3, v15, vcc
	s_waitcnt lgkmcnt(5)
	global_store_dwordx2 v[14:15], v[12:13], off
	s_or_b64 exec, exec, s[0:1]
	s_and_saveexec_b64 s[0:1], s[6:7]
	s_cbranch_execz .LBB120_105
.LBB120_121:
	s_mul_i32 s2, s52, 0x600
	s_mov_b32 s3, 0
	s_lshl_b64 s[2:3], s[2:3], 3
	s_waitcnt lgkmcnt(5)
	v_mov_b32_e32 v13, s3
	v_add_co_u32_e32 v12, vcc, s2, v2
	v_addc_co_u32_e32 v13, vcc, v3, v13, vcc
	s_waitcnt lgkmcnt(4)
	global_store_dwordx2 v[12:13], v[10:11], off
	s_or_b64 exec, exec, s[0:1]
	s_and_saveexec_b64 s[0:1], s[8:9]
	s_cbranch_execz .LBB120_106
.LBB120_122:
	s_lshl_b32 s2, s52, 11
	s_mov_b32 s3, 0
	s_lshl_b64 s[2:3], s[2:3], 3
	s_waitcnt lgkmcnt(4)
	v_mov_b32_e32 v11, s3
	v_add_co_u32_e32 v10, vcc, s2, v2
	v_addc_co_u32_e32 v11, vcc, v3, v11, vcc
	s_waitcnt lgkmcnt(3)
	global_store_dwordx2 v[10:11], v[8:9], off
	s_or_b64 exec, exec, s[0:1]
	s_and_saveexec_b64 s[0:1], s[10:11]
	s_cbranch_execz .LBB120_107
.LBB120_123:
	s_mul_i32 s2, s52, 0xa00
	s_mov_b32 s3, 0
	s_lshl_b64 s[2:3], s[2:3], 3
	s_waitcnt lgkmcnt(3)
	v_mov_b32_e32 v9, s3
	v_add_co_u32_e32 v8, vcc, s2, v2
	v_addc_co_u32_e32 v9, vcc, v3, v9, vcc
	s_waitcnt lgkmcnt(2)
	global_store_dwordx2 v[8:9], v[6:7], off
	s_or_b64 exec, exec, s[0:1]
	s_and_saveexec_b64 s[0:1], s[12:13]
	s_cbranch_execz .LBB120_108
.LBB120_124:
	s_mul_i32 s2, s52, 0xc00
	s_mov_b32 s3, 0
	s_lshl_b64 s[2:3], s[2:3], 3
	s_waitcnt lgkmcnt(2)
	v_mov_b32_e32 v7, s3
	v_add_co_u32_e32 v6, vcc, s2, v2
	v_addc_co_u32_e32 v7, vcc, v3, v7, vcc
	s_waitcnt lgkmcnt(1)
	global_store_dwordx2 v[6:7], v[4:5], off
	s_or_b64 exec, exec, s[0:1]
	s_and_saveexec_b64 s[0:1], s[14:15]
	s_cbranch_execnz .LBB120_109
	s_branch .LBB120_110
	.section	.rodata,"a",@progbits
	.p2align	6, 0x0
	.amdhsa_kernel _ZN2at6native18radixSortKVInPlaceILin2ELin1ELi512ELi8EiljEEvNS_4cuda6detail10TensorInfoIT3_T5_EES6_S6_S6_NS4_IT4_S6_EES6_b
		.amdhsa_group_segment_fixed_size 33792
		.amdhsa_private_segment_fixed_size 0
		.amdhsa_kernarg_size 712
		.amdhsa_user_sgpr_count 6
		.amdhsa_user_sgpr_private_segment_buffer 1
		.amdhsa_user_sgpr_dispatch_ptr 0
		.amdhsa_user_sgpr_queue_ptr 0
		.amdhsa_user_sgpr_kernarg_segment_ptr 1
		.amdhsa_user_sgpr_dispatch_id 0
		.amdhsa_user_sgpr_flat_scratch_init 0
		.amdhsa_user_sgpr_kernarg_preload_length 0
		.amdhsa_user_sgpr_kernarg_preload_offset 0
		.amdhsa_user_sgpr_private_segment_size 0
		.amdhsa_uses_dynamic_stack 0
		.amdhsa_system_sgpr_private_segment_wavefront_offset 0
		.amdhsa_system_sgpr_workgroup_id_x 1
		.amdhsa_system_sgpr_workgroup_id_y 1
		.amdhsa_system_sgpr_workgroup_id_z 1
		.amdhsa_system_sgpr_workgroup_info 0
		.amdhsa_system_vgpr_workitem_id 2
		.amdhsa_next_free_vgpr 128
		.amdhsa_next_free_sgpr 62
		.amdhsa_accum_offset 128
		.amdhsa_reserve_vcc 1
		.amdhsa_reserve_flat_scratch 0
		.amdhsa_float_round_mode_32 0
		.amdhsa_float_round_mode_16_64 0
		.amdhsa_float_denorm_mode_32 3
		.amdhsa_float_denorm_mode_16_64 3
		.amdhsa_dx10_clamp 1
		.amdhsa_ieee_mode 1
		.amdhsa_fp16_overflow 0
		.amdhsa_tg_split 0
		.amdhsa_exception_fp_ieee_invalid_op 0
		.amdhsa_exception_fp_denorm_src 0
		.amdhsa_exception_fp_ieee_div_zero 0
		.amdhsa_exception_fp_ieee_overflow 0
		.amdhsa_exception_fp_ieee_underflow 0
		.amdhsa_exception_fp_ieee_inexact 0
		.amdhsa_exception_int_div_zero 0
	.end_amdhsa_kernel
	.section	.text._ZN2at6native18radixSortKVInPlaceILin2ELin1ELi512ELi8EiljEEvNS_4cuda6detail10TensorInfoIT3_T5_EES6_S6_S6_NS4_IT4_S6_EES6_b,"axG",@progbits,_ZN2at6native18radixSortKVInPlaceILin2ELin1ELi512ELi8EiljEEvNS_4cuda6detail10TensorInfoIT3_T5_EES6_S6_S6_NS4_IT4_S6_EES6_b,comdat
.Lfunc_end120:
	.size	_ZN2at6native18radixSortKVInPlaceILin2ELin1ELi512ELi8EiljEEvNS_4cuda6detail10TensorInfoIT3_T5_EES6_S6_S6_NS4_IT4_S6_EES6_b, .Lfunc_end120-_ZN2at6native18radixSortKVInPlaceILin2ELin1ELi512ELi8EiljEEvNS_4cuda6detail10TensorInfoIT3_T5_EES6_S6_S6_NS4_IT4_S6_EES6_b
                                        ; -- End function
	.section	.AMDGPU.csdata,"",@progbits
; Kernel info:
; codeLenInByte = 13036
; NumSgprs: 66
; NumVgprs: 128
; NumAgprs: 0
; TotalNumVgprs: 128
; ScratchSize: 0
; MemoryBound: 0
; FloatMode: 240
; IeeeMode: 1
; LDSByteSize: 33792 bytes/workgroup (compile time only)
; SGPRBlocks: 8
; VGPRBlocks: 15
; NumSGPRsForWavesPerEU: 66
; NumVGPRsForWavesPerEU: 128
; AccumOffset: 128
; Occupancy: 2
; WaveLimiterHint : 1
; COMPUTE_PGM_RSRC2:SCRATCH_EN: 0
; COMPUTE_PGM_RSRC2:USER_SGPR: 6
; COMPUTE_PGM_RSRC2:TRAP_HANDLER: 0
; COMPUTE_PGM_RSRC2:TGID_X_EN: 1
; COMPUTE_PGM_RSRC2:TGID_Y_EN: 1
; COMPUTE_PGM_RSRC2:TGID_Z_EN: 1
; COMPUTE_PGM_RSRC2:TIDIG_COMP_CNT: 2
; COMPUTE_PGM_RSRC3_GFX90A:ACCUM_OFFSET: 31
; COMPUTE_PGM_RSRC3_GFX90A:TG_SPLIT: 0
	.section	.text._ZN2at6native18radixSortKVInPlaceILin2ELin1ELi256ELi8EiljEEvNS_4cuda6detail10TensorInfoIT3_T5_EES6_S6_S6_NS4_IT4_S6_EES6_b,"axG",@progbits,_ZN2at6native18radixSortKVInPlaceILin2ELin1ELi256ELi8EiljEEvNS_4cuda6detail10TensorInfoIT3_T5_EES6_S6_S6_NS4_IT4_S6_EES6_b,comdat
	.protected	_ZN2at6native18radixSortKVInPlaceILin2ELin1ELi256ELi8EiljEEvNS_4cuda6detail10TensorInfoIT3_T5_EES6_S6_S6_NS4_IT4_S6_EES6_b ; -- Begin function _ZN2at6native18radixSortKVInPlaceILin2ELin1ELi256ELi8EiljEEvNS_4cuda6detail10TensorInfoIT3_T5_EES6_S6_S6_NS4_IT4_S6_EES6_b
	.globl	_ZN2at6native18radixSortKVInPlaceILin2ELin1ELi256ELi8EiljEEvNS_4cuda6detail10TensorInfoIT3_T5_EES6_S6_S6_NS4_IT4_S6_EES6_b
	.p2align	8
	.type	_ZN2at6native18radixSortKVInPlaceILin2ELin1ELi256ELi8EiljEEvNS_4cuda6detail10TensorInfoIT3_T5_EES6_S6_S6_NS4_IT4_S6_EES6_b,@function
_ZN2at6native18radixSortKVInPlaceILin2ELin1ELi256ELi8EiljEEvNS_4cuda6detail10TensorInfoIT3_T5_EES6_S6_S6_NS4_IT4_S6_EES6_b: ; @_ZN2at6native18radixSortKVInPlaceILin2ELin1ELi256ELi8EiljEEvNS_4cuda6detail10TensorInfoIT3_T5_EES6_S6_S6_NS4_IT4_S6_EES6_b
; %bb.0:
	s_load_dwordx2 s[0:1], s[4:5], 0x1c8
	s_load_dwordx4 s[44:47], s[4:5], 0xd8
	s_add_u32 s50, s4, 0x1c8
	s_addc_u32 s51, s5, 0
	s_waitcnt lgkmcnt(0)
	s_mul_i32 s1, s1, s8
	s_add_i32 s1, s1, s7
	s_mul_i32 s0, s1, s0
	s_add_i32 s6, s0, s6
	s_cmp_ge_u32 s6, s44
	s_cbranch_scc1 .LBB121_110
; %bb.1:
	s_load_dword s2, s[4:5], 0x1b8
	s_load_dwordx2 s[0:1], s[4:5], 0x0
	s_add_u32 s14, s4, 0xe8
	s_addc_u32 s15, s5, 0
	s_mov_b32 s17, 0
	s_waitcnt lgkmcnt(0)
	s_cmp_lt_i32 s2, 2
	s_mov_b32 s16, s6
	s_cbranch_scc1 .LBB121_4
; %bb.2:
	s_add_i32 s16, s2, -1
	s_add_i32 s7, s2, 1
	s_lshl_b64 s[2:3], s[16:17], 2
	s_add_u32 s2, s2, s14
	s_addc_u32 s3, s3, s15
	s_add_u32 s2, s2, 8
	s_addc_u32 s3, s3, 0
	s_mov_b32 s16, s6
.LBB121_3:                              ; =>This Inner Loop Header: Depth=1
	s_load_dword s8, s[2:3], 0x0
	s_load_dword s10, s[2:3], 0x64
	s_mov_b32 s9, s16
	s_waitcnt lgkmcnt(0)
	v_cvt_f32_u32_e32 v1, s8
	s_sub_i32 s11, 0, s8
	v_rcp_iflag_f32_e32 v1, v1
	v_mul_f32_e32 v1, 0x4f7ffffe, v1
	v_cvt_u32_f32_e32 v1, v1
	v_readfirstlane_b32 s12, v1
	s_mul_i32 s11, s11, s12
	s_mul_hi_u32 s11, s12, s11
	s_add_i32 s12, s12, s11
	s_mul_hi_u32 s11, s16, s12
	s_mul_i32 s12, s11, s8
	s_sub_i32 s12, s16, s12
	s_add_i32 s13, s11, 1
	s_sub_i32 s16, s12, s8
	s_cmp_ge_u32 s12, s8
	s_cselect_b32 s11, s13, s11
	s_cselect_b32 s12, s16, s12
	s_add_i32 s13, s11, 1
	s_cmp_ge_u32 s12, s8
	s_cselect_b32 s16, s13, s11
	s_mul_i32 s8, s16, s8
	s_sub_i32 s8, s9, s8
	s_mul_i32 s8, s10, s8
	s_add_i32 s7, s7, -1
	s_add_i32 s17, s8, s17
	s_add_u32 s2, s2, -4
	s_addc_u32 s3, s3, -1
	s_cmp_gt_u32 s7, 2
	s_cbranch_scc1 .LBB121_3
.LBB121_4:
	s_load_dword s2, s[4:5], 0x6c
	s_load_dwordx2 s[48:49], s[4:5], 0x1c0
	s_mov_b32 s3, 0
	v_and_b32_e32 v38, 0x3ff, v0
	v_mul_lo_u32 v34, v38, s46
	s_waitcnt lgkmcnt(0)
	s_mul_i32 s2, s2, s6
	s_bitcmp1_b32 s49, 0
	s_cselect_b64 s[34:35], -1, 0
	s_brev_b32 s6, 1
	s_and_b64 s[4:5], s[34:35], exec
	s_cselect_b32 s4, s6, 0x7fffffff
	s_lshl_b64 s[2:3], s[2:3], 2
	s_mov_b32 s5, s4
	s_add_u32 s33, s0, s2
	s_mov_b32 s6, s4
	s_mov_b32 s7, s4
	;; [unrolled: 1-line block ×6, first 2 shown]
	v_pk_mov_b32 v[2:3], s[4:5], s[4:5] op_sel:[0,1]
	s_addc_u32 s47, s1, s3
	v_cmp_gt_u32_e64 s[0:1], s45, v38
	v_pk_mov_b32 v[4:5], s[6:7], s[6:7] op_sel:[0,1]
	v_pk_mov_b32 v[6:7], s[8:9], s[8:9] op_sel:[0,1]
	;; [unrolled: 1-line block ×3, first 2 shown]
	v_mov_b32_e32 v10, s4
	s_and_saveexec_b64 s[2:3], s[0:1]
	s_cbranch_execz .LBB121_6
; %bb.5:
	v_mov_b32_e32 v35, 0
	v_lshlrev_b64 v[2:3], 2, v[34:35]
	v_mov_b32_e32 v1, s47
	v_add_co_u32_e32 v2, vcc, s33, v2
	v_addc_co_u32_e32 v3, vcc, v1, v3, vcc
	global_load_dword v10, v[2:3], off
	v_pk_mov_b32 v[2:3], s[4:5], s[4:5] op_sel:[0,1]
	v_pk_mov_b32 v[4:5], s[6:7], s[6:7] op_sel:[0,1]
	;; [unrolled: 1-line block ×4, first 2 shown]
                                        ; kill: def $vgpr2 killed $vgpr10 killed $exec
.LBB121_6:
	s_or_b64 exec, exec, s[2:3]
	v_add_u32_e32 v30, 0x100, v38
	v_cmp_gt_u32_e64 s[2:3], s45, v30
	s_and_saveexec_b64 s[4:5], s[2:3]
	s_cbranch_execz .LBB121_8
; %bb.7:
	v_mul_lo_u32 v2, v30, s46
	v_mov_b32_e32 v3, 0
	v_lshlrev_b64 v[2:3], 2, v[2:3]
	v_mov_b32_e32 v1, s47
	v_add_co_u32_e32 v2, vcc, s33, v2
	v_addc_co_u32_e32 v3, vcc, v1, v3, vcc
	global_load_dword v3, v[2:3], off
.LBB121_8:
	s_or_b64 exec, exec, s[4:5]
	v_add_u32_e32 v28, 0x200, v38
	v_cmp_gt_u32_e64 s[4:5], s45, v28
	s_and_saveexec_b64 s[6:7], s[4:5]
	s_cbranch_execz .LBB121_10
; %bb.9:
	v_mul_lo_u32 v12, v28, s46
	v_mov_b32_e32 v13, 0
	v_lshlrev_b64 v[12:13], 2, v[12:13]
	v_mov_b32_e32 v1, s47
	v_add_co_u32_e32 v12, vcc, s33, v12
	v_addc_co_u32_e32 v13, vcc, v1, v13, vcc
	global_load_dword v4, v[12:13], off
.LBB121_10:
	;; [unrolled: 14-line block ×3, first 2 shown]
	s_or_b64 exec, exec, s[8:9]
	v_or_b32_e32 v24, 0x400, v38
	v_cmp_gt_u32_e64 s[8:9], s45, v24
	s_and_saveexec_b64 s[10:11], s[8:9]
	s_cbranch_execz .LBB121_14
; %bb.13:
	v_mul_lo_u32 v12, v24, s46
	v_mov_b32_e32 v13, 0
	v_lshlrev_b64 v[12:13], 2, v[12:13]
	v_mov_b32_e32 v1, s47
	v_add_co_u32_e32 v12, vcc, s33, v12
	v_addc_co_u32_e32 v13, vcc, v1, v13, vcc
	global_load_dword v6, v[12:13], off
.LBB121_14:
	s_or_b64 exec, exec, s[10:11]
	v_add_u32_e32 v21, 0x500, v38
	v_cmp_gt_u32_e64 s[10:11], s45, v21
	s_and_saveexec_b64 s[12:13], s[10:11]
	s_cbranch_execz .LBB121_16
; %bb.15:
	v_mul_lo_u32 v12, v21, s46
	v_mov_b32_e32 v13, 0
	v_lshlrev_b64 v[12:13], 2, v[12:13]
	v_mov_b32_e32 v1, s47
	v_add_co_u32_e32 v12, vcc, s33, v12
	v_addc_co_u32_e32 v13, vcc, v1, v13, vcc
	global_load_dword v7, v[12:13], off
.LBB121_16:
	s_or_b64 exec, exec, s[12:13]
	s_load_dwordx2 s[18:19], s[14:15], 0x0
	v_add_u32_e32 v19, 0x600, v38
	v_cmp_gt_u32_e64 s[12:13], s45, v19
	s_and_saveexec_b64 s[20:21], s[12:13]
	s_cbranch_execz .LBB121_18
; %bb.17:
	v_mul_lo_u32 v12, v19, s46
	v_mov_b32_e32 v13, 0
	v_lshlrev_b64 v[12:13], 2, v[12:13]
	v_mov_b32_e32 v1, s47
	v_add_co_u32_e32 v12, vcc, s33, v12
	v_addc_co_u32_e32 v13, vcc, v1, v13, vcc
	global_load_dword v8, v[12:13], off
.LBB121_18:
	s_or_b64 exec, exec, s[20:21]
	s_load_dword s22, s[14:15], 0x6c
	v_add_u32_e32 v1, 0x700, v38
	v_cmp_gt_u32_e64 s[14:15], s45, v1
	s_and_saveexec_b64 s[20:21], s[14:15]
	s_cbranch_execz .LBB121_20
; %bb.19:
	v_mul_lo_u32 v12, v1, s46
	v_mov_b32_e32 v13, 0
	v_lshlrev_b64 v[12:13], 2, v[12:13]
	v_mov_b32_e32 v2, s47
	v_add_co_u32_e32 v12, vcc, s33, v12
	v_addc_co_u32_e32 v13, vcc, v2, v13, vcc
	global_load_dword v9, v[12:13], off
.LBB121_20:
	s_or_b64 exec, exec, s[20:21]
	v_lshrrev_b32_e32 v2, 5, v38
	v_add_u32_e32 v32, v2, v38
	v_lshrrev_b32_e32 v2, 5, v30
	v_add_u32_e32 v31, v2, v38
	;; [unrolled: 2-line block ×8, first 2 shown]
	v_lshlrev_b32_e32 v87, 3, v38
	v_lshrrev_b32_e32 v2, 2, v38
	v_add_u32_e32 v22, v2, v87
	v_lshlrev_b32_e32 v39, 2, v32
	v_lshlrev_b32_e32 v35, 2, v31
	;; [unrolled: 1-line block ×9, first 2 shown]
	s_waitcnt vmcnt(0)
	ds_write_b32 v39, v10
	ds_write_b32 v35, v3 offset:1024
	ds_write_b32 v72, v4 offset:2048
	;; [unrolled: 1-line block ×7, first 2 shown]
	s_waitcnt lgkmcnt(0)
	s_barrier
	ds_read2_b32 v[46:47], v78 offset1:1
	ds_read2_b32 v[44:45], v78 offset0:2 offset1:3
	ds_read2_b32 v[42:43], v78 offset0:4 offset1:5
	;; [unrolled: 1-line block ×3, first 2 shown]
	s_mul_i32 s16, s22, s16
	s_add_i32 s16, s16, s17
	s_mov_b32 s17, 0
	s_lshl_b64 s[20:21], s[16:17], 3
	s_add_u32 s49, s18, s20
	s_mov_b32 s16, s17
	s_addc_u32 s52, s19, s21
	s_mov_b32 s18, s17
	s_mov_b32 s19, s17
	s_mov_b32 s20, s17
	s_mov_b32 s21, s17
	s_mov_b32 s22, s17
	s_mov_b32 s23, s17
	s_mov_b32 s24, s17
	s_mov_b32 s25, s17
	s_mov_b32 s26, s17
	s_mov_b32 s27, s17
	s_mov_b32 s28, s17
	s_mov_b32 s29, s17
	s_mov_b32 s30, s17
	s_mov_b32 s31, s17
	v_pk_mov_b32 v[2:3], s[16:17], s[16:17] op_sel:[0,1]
	v_pk_mov_b32 v[4:5], s[18:19], s[18:19] op_sel:[0,1]
	v_pk_mov_b32 v[6:7], s[20:21], s[20:21] op_sel:[0,1]
	v_pk_mov_b32 v[8:9], s[22:23], s[22:23] op_sel:[0,1]
	v_pk_mov_b32 v[10:11], s[24:25], s[24:25] op_sel:[0,1]
	v_pk_mov_b32 v[12:13], s[26:27], s[26:27] op_sel:[0,1]
	v_pk_mov_b32 v[14:15], s[28:29], s[28:29] op_sel:[0,1]
	v_pk_mov_b32 v[16:17], s[30:31], s[30:31] op_sel:[0,1]
	v_pk_mov_b32 v[2:3], 0, 0
	v_mul_lo_u32 v36, v38, s48
	s_waitcnt lgkmcnt(0)
	s_barrier
	s_and_saveexec_b64 s[16:17], s[0:1]
	s_cbranch_execnz .LBB121_57
; %bb.21:
	s_or_b64 exec, exec, s[16:17]
	s_and_saveexec_b64 s[16:17], s[2:3]
	s_cbranch_execnz .LBB121_58
.LBB121_22:
	s_or_b64 exec, exec, s[16:17]
	s_and_saveexec_b64 s[16:17], s[4:5]
	s_cbranch_execnz .LBB121_59
.LBB121_23:
	s_or_b64 exec, exec, s[16:17]
	s_and_saveexec_b64 s[16:17], s[6:7]
	s_cbranch_execnz .LBB121_60
.LBB121_24:
	s_or_b64 exec, exec, s[16:17]
	s_and_saveexec_b64 s[16:17], s[8:9]
	s_cbranch_execnz .LBB121_61
.LBB121_25:
	s_or_b64 exec, exec, s[16:17]
	s_and_saveexec_b64 s[16:17], s[10:11]
	s_cbranch_execnz .LBB121_62
.LBB121_26:
	s_or_b64 exec, exec, s[16:17]
	s_and_saveexec_b64 s[16:17], s[12:13]
	s_cbranch_execnz .LBB121_63
.LBB121_27:
	s_or_b64 exec, exec, s[16:17]
	s_xor_b64 s[16:17], s[34:35], -1
	s_and_saveexec_b64 s[18:19], s[14:15]
	s_cbranch_execz .LBB121_29
.LBB121_28:
	v_mul_lo_u32 v16, v1, s48
	v_mov_b32_e32 v17, 0
	v_lshlrev_b64 v[16:17], 3, v[16:17]
	v_mov_b32_e32 v1, s52
	v_add_co_u32_e32 v16, vcc, s49, v16
	v_addc_co_u32_e32 v17, vcc, v1, v17, vcc
	global_load_dwordx2 v[16:17], v[16:17], off
.LBB121_29:
	s_or_b64 exec, exec, s[18:19]
	v_lshlrev_b32_e32 v79, 3, v32
	v_lshlrev_b32_e32 v37, 3, v31
	;; [unrolled: 1-line block ×9, first 2 shown]
	s_waitcnt vmcnt(0)
	ds_write_b64 v79, v[2:3]
	ds_write_b64 v37, v[4:5] offset:2048
	ds_write_b64 v80, v[6:7] offset:4096
	;; [unrolled: 1-line block ×7, first 2 shown]
	s_waitcnt lgkmcnt(0)
	s_barrier
	ds_read2_b64 v[14:17], v86 offset1:1
	ds_read2_b64 v[10:13], v86 offset0:2 offset1:3
	ds_read2_b64 v[6:9], v86 offset0:4 offset1:5
	;; [unrolled: 1-line block ×3, first 2 shown]
	v_mbcnt_lo_u32_b32 v1, -1, 0
	v_mbcnt_hi_u32_b32 v90, -1, v1
	v_and_b32_e32 v91, 0x3c0, v38
	v_add_u32_e32 v1, v90, v91
	v_lshlrev_b32_e32 v18, 3, v1
	v_lshlrev_b32_e32 v104, 5, v1
	v_and_b32_e32 v1, 0x1e00, v87
	v_or_b32_e32 v19, v90, v1
	s_mov_b32 s53, 0
	v_lshlrev_b32_e32 v103, 2, v19
	s_and_b64 vcc, exec, s[16:17]
	v_bfe_u32 v99, v0, 10, 10
	v_bfe_u32 v100, v0, 20, 10
	v_lshlrev_b32_e32 v102, 3, v18
	v_lshlrev_b32_e32 v101, 3, v19
	;; [unrolled: 1-line block ×4, first 2 shown]
	v_and_b32_e32 v97, 15, v90
	v_and_b32_e32 v98, 16, v90
	v_cmp_lt_u32_e64 s[16:17], 31, v90
	v_cmp_gt_u32_e64 s[18:19], 4, v38
	v_cmp_lt_u32_e64 s[20:21], 63, v38
	v_add_u32_e32 v94, -1, v90
	v_and_b32_e32 v96, 64, v90
	v_cmp_eq_u32_e64 s[22:23], 0, v90
	v_cmp_eq_u32_e64 s[24:25], 0, v38
	v_lshrrev_b32_e32 v95, 4, v38
	v_and_b32_e32 v93, 3, v90
	v_and_or_b32 v92, v90, 63, v1
	s_waitcnt lgkmcnt(0)
	s_barrier
	s_cbranch_vccz .LBB121_64
; %bb.30:
	v_xor_b32_e32 v0, 0x80000000, v47
	v_xor_b32_e32 v1, 0x80000000, v46
	;; [unrolled: 1-line block ×8, first 2 shown]
	ds_write2_b32 v104, v1, v0 offset1:1
	ds_write2_b32 v104, v19, v18 offset0:2 offset1:3
	ds_write2_b32 v104, v21, v20 offset0:4 offset1:5
	;; [unrolled: 1-line block ×3, first 2 shown]
	; wave barrier
	ds_read2st64_b32 v[64:65], v103 offset1:1
	ds_read2st64_b32 v[66:67], v103 offset0:2 offset1:3
	ds_read2st64_b32 v[68:69], v103 offset0:4 offset1:5
	;; [unrolled: 1-line block ×3, first 2 shown]
	s_waitcnt lgkmcnt(0)
	s_barrier
	ds_write2_b64 v102, v[14:15], v[16:17] offset1:1
	ds_write2_b64 v102, v[10:11], v[12:13] offset0:2 offset1:3
	ds_write2_b64 v102, v[6:7], v[8:9] offset0:4 offset1:5
	;; [unrolled: 1-line block ×3, first 2 shown]
	; wave barrier
	ds_read2st64_b64 v[18:21], v101 offset1:1
	ds_read2st64_b64 v[22:25], v101 offset0:2 offset1:3
	ds_read2st64_b64 v[26:29], v101 offset0:4 offset1:5
	;; [unrolled: 1-line block ×3, first 2 shown]
	s_waitcnt lgkmcnt(0)
	s_barrier
	s_load_dword s28, s[50:51], 0xc
	s_getpc_b64 s[26:27]
	s_add_u32 s26, s26, _ZN7rocprim17ROCPRIM_400000_NS16block_radix_sortIiLj256ELj8ElLj1ELj1ELj0ELNS0_26block_radix_rank_algorithmE1ELNS0_18block_padding_hintE2ELNS0_4arch9wavefront6targetE1EE19radix_bits_per_passE@rel32@lo+4
	s_addc_u32 s27, s27, _ZN7rocprim17ROCPRIM_400000_NS16block_radix_sortIiLj256ELj8ElLj1ELj1ELj0ELNS0_26block_radix_rank_algorithmE1ELNS0_18block_padding_hintE2ELNS0_4arch9wavefront6targetE1EE19radix_bits_per_passE@rel32@hi+12
	s_load_dword s54, s[26:27], 0x0
	v_cmp_lt_i32_e32 vcc, v94, v96
	v_and_b32_e32 v108, 60, v95
	s_waitcnt lgkmcnt(0)
	s_lshr_b32 s26, s28, 16
	s_and_b32 s27, s28, 0xffff
	v_mad_u32_u24 v0, v100, s26, v99
	v_mad_u64_u32 v[0:1], s[26:27], v0, s27, v[38:39]
	v_lshrrev_b32_e32 v106, 6, v0
	v_min_u32_e32 v0, 0xc0, v91
	v_or_b32_e32 v0, 63, v0
	v_cmp_eq_u32_e64 s[38:39], v0, v38
	v_cndmask_b32_e32 v0, v94, v90, vcc
	v_add_u32_e32 v105, 16, v89
	v_cmp_eq_u32_e64 s[26:27], 0, v97
	v_cmp_lt_u32_e64 s[28:29], 1, v97
	v_cmp_lt_u32_e64 s[30:31], 3, v97
	;; [unrolled: 1-line block ×3, first 2 shown]
	v_cmp_eq_u32_e64 s[36:37], 0, v98
	v_lshlrev_b32_e32 v107, 2, v0
	v_cmp_eq_u32_e64 s[40:41], 0, v93
	v_cmp_lt_u32_e64 s[42:43], 1, v93
	v_add_u32_e32 v109, -4, v108
	v_lshlrev_b32_e32 v110, 2, v92
	v_lshlrev_b32_e32 v111, 3, v92
	s_mov_b32 s55, 32
	v_mov_b32_e32 v62, 0
	s_branch .LBB121_32
.LBB121_31:                             ;   in Loop: Header=BB121_32 Depth=1
	v_lshlrev_b32_e32 v18, 2, v63
	s_barrier
	ds_write_b32 v18, v119
	v_lshlrev_b32_e32 v18, 2, v121
	ds_write_b32 v18, v118
	v_lshlrev_b32_e32 v18, 2, v122
	;; [unrolled: 2-line block ×8, first 2 shown]
	s_waitcnt lgkmcnt(0)
	s_barrier
	ds_read2st64_b32 v[64:65], v110 offset1:1
	ds_read2st64_b32 v[66:67], v110 offset0:2 offset1:3
	ds_read2st64_b32 v[68:69], v110 offset0:4 offset1:5
	;; [unrolled: 1-line block ×3, first 2 shown]
	s_waitcnt lgkmcnt(0)
	s_barrier
	ds_write_b64 v18, v[60:61]
	v_lshlrev_b32_e32 v18, 3, v121
	ds_write_b64 v18, v[58:59]
	v_lshlrev_b32_e32 v18, 3, v122
	;; [unrolled: 2-line block ×7, first 2 shown]
	ds_write_b64 v18, v[0:1]
	s_waitcnt lgkmcnt(0)
	s_barrier
	ds_read2st64_b64 v[18:21], v111 offset1:1
	ds_read2st64_b64 v[22:25], v111 offset0:2 offset1:3
	ds_read2st64_b64 v[26:29], v111 offset0:4 offset1:5
	;; [unrolled: 1-line block ×3, first 2 shown]
	s_add_i32 s53, s53, 8
	s_add_i32 s55, s55, -8
	s_waitcnt lgkmcnt(0)
	s_barrier
	s_cbranch_execz .LBB121_56
.LBB121_32:                             ; =>This Inner Loop Header: Depth=1
	s_min_u32 s44, s54, s55
	v_mov_b32_e32 v119, v64
	s_lshl_b32 s44, -1, s44
	v_pk_mov_b32 v[60:61], v[18:19], v[18:19] op_sel:[0,1]
	s_not_b32 s56, s44
	v_lshrrev_b32_e32 v18, s53, v119
	v_and_b32_e32 v18, s56, v18
	v_lshl_add_u32 v19, v18, 2, v106
	v_pk_mov_b32 v[56:57], v[22:23], v[22:23] op_sel:[0,1]
	v_lshl_add_u32 v22, v19, 2, 16
	v_and_b32_e32 v19, 1, v18
	v_pk_mov_b32 v[58:59], v[20:21], v[20:21] op_sel:[0,1]
	v_add_co_u32_e32 v20, vcc, -1, v19
	v_addc_co_u32_e64 v21, s[44:45], 0, -1, vcc
	v_cmp_ne_u32_e32 vcc, 0, v19
	v_lshlrev_b32_e32 v63, 30, v18
	v_xor_b32_e32 v19, vcc_hi, v21
	v_not_b32_e32 v21, v63
	v_xor_b32_e32 v20, vcc_lo, v20
	v_cmp_gt_i64_e32 vcc, 0, v[62:63]
	v_ashrrev_i32_e32 v21, 31, v21
	v_and_b32_e32 v20, exec_lo, v20
	v_xor_b32_e32 v23, vcc_hi, v21
	v_xor_b32_e32 v21, vcc_lo, v21
	v_lshlrev_b32_e32 v63, 29, v18
	v_and_b32_e32 v20, v20, v21
	v_not_b32_e32 v21, v63
	v_and_b32_e32 v19, exec_hi, v19
	v_cmp_gt_i64_e32 vcc, 0, v[62:63]
	v_ashrrev_i32_e32 v21, 31, v21
	v_and_b32_e32 v19, v19, v23
	v_xor_b32_e32 v23, vcc_hi, v21
	v_xor_b32_e32 v21, vcc_lo, v21
	v_lshlrev_b32_e32 v63, 28, v18
	v_and_b32_e32 v20, v20, v21
	v_not_b32_e32 v21, v63
	v_cmp_gt_i64_e32 vcc, 0, v[62:63]
	v_ashrrev_i32_e32 v21, 31, v21
	v_and_b32_e32 v19, v19, v23
	v_xor_b32_e32 v23, vcc_hi, v21
	v_xor_b32_e32 v21, vcc_lo, v21
	v_lshlrev_b32_e32 v63, 27, v18
	v_and_b32_e32 v20, v20, v21
	v_not_b32_e32 v21, v63
	;; [unrolled: 8-line block ×3, first 2 shown]
	v_cmp_gt_i64_e32 vcc, 0, v[62:63]
	v_ashrrev_i32_e32 v21, 31, v21
	v_and_b32_e32 v19, v19, v23
	v_xor_b32_e32 v23, vcc_hi, v21
	v_xor_b32_e32 v21, vcc_lo, v21
	v_lshlrev_b32_e32 v63, 25, v18
	v_and_b32_e32 v20, v20, v21
	v_cmp_gt_i64_e32 vcc, 0, v[62:63]
	v_not_b32_e32 v21, v63
	v_lshlrev_b32_e32 v63, 24, v18
	v_ashrrev_i32_e32 v21, 31, v21
	v_not_b32_e32 v18, v63
	v_and_b32_e32 v19, v19, v23
	v_xor_b32_e32 v23, vcc_hi, v21
	v_xor_b32_e32 v21, vcc_lo, v21
	v_cmp_gt_i64_e32 vcc, 0, v[62:63]
	v_ashrrev_i32_e32 v18, 31, v18
	v_and_b32_e32 v20, v20, v21
	v_xor_b32_e32 v21, vcc_hi, v18
	v_xor_b32_e32 v18, vcc_lo, v18
	v_and_b32_e32 v19, v19, v23
	v_and_b32_e32 v18, v20, v18
	;; [unrolled: 1-line block ×3, first 2 shown]
	v_mbcnt_lo_u32_b32 v20, v18, 0
	v_mbcnt_hi_u32_b32 v23, v19, v20
	v_cmp_eq_u32_e32 vcc, 0, v23
	v_cmp_ne_u64_e64 s[44:45], 0, v[18:19]
	v_mov_b32_e32 v112, v71
	v_mov_b32_e32 v113, v70
	v_mov_b32_e32 v114, v69
	v_mov_b32_e32 v115, v68
	v_mov_b32_e32 v116, v67
	v_mov_b32_e32 v117, v66
	v_mov_b32_e32 v118, v65
	v_pk_mov_b32 v[0:1], v[32:33], v[32:33] op_sel:[0,1]
	v_pk_mov_b32 v[48:49], v[30:31], v[30:31] op_sel:[0,1]
	v_pk_mov_b32 v[50:51], v[28:29], v[28:29] op_sel:[0,1]
	v_pk_mov_b32 v[52:53], v[26:27], v[26:27] op_sel:[0,1]
	v_pk_mov_b32 v[54:55], v[24:25], v[24:25] op_sel:[0,1]
	s_and_b64 s[58:59], s[44:45], vcc
	ds_write2_b32 v89, v62, v62 offset0:4 offset1:5
	ds_write2_b32 v105, v62, v62 offset0:2 offset1:3
	s_waitcnt lgkmcnt(0)
	s_barrier
	s_waitcnt lgkmcnt(0)
	; wave barrier
	s_and_saveexec_b64 s[44:45], s[58:59]
	s_cbranch_execz .LBB121_34
; %bb.33:                               ;   in Loop: Header=BB121_32 Depth=1
	v_bcnt_u32_b32 v18, v18, 0
	v_bcnt_u32_b32 v18, v19, v18
	ds_write_b32 v22, v18
.LBB121_34:                             ;   in Loop: Header=BB121_32 Depth=1
	s_or_b64 exec, exec, s[44:45]
	v_lshrrev_b32_e32 v18, s53, v118
	v_and_b32_e32 v18, s56, v18
	v_lshlrev_b32_e32 v19, 2, v18
	v_add_lshl_u32 v19, v19, v106, 2
	; wave barrier
	v_add_u32_e32 v25, 16, v19
	ds_read_b32 v24, v19 offset:16
	v_and_b32_e32 v19, 1, v18
	v_add_co_u32_e32 v20, vcc, -1, v19
	v_addc_co_u32_e64 v21, s[44:45], 0, -1, vcc
	v_cmp_ne_u32_e32 vcc, 0, v19
	v_lshlrev_b32_e32 v63, 30, v18
	v_xor_b32_e32 v19, vcc_hi, v21
	v_not_b32_e32 v21, v63
	v_xor_b32_e32 v20, vcc_lo, v20
	v_cmp_gt_i64_e32 vcc, 0, v[62:63]
	v_ashrrev_i32_e32 v21, 31, v21
	v_and_b32_e32 v20, exec_lo, v20
	v_xor_b32_e32 v26, vcc_hi, v21
	v_xor_b32_e32 v21, vcc_lo, v21
	v_lshlrev_b32_e32 v63, 29, v18
	v_and_b32_e32 v20, v20, v21
	v_not_b32_e32 v21, v63
	v_and_b32_e32 v19, exec_hi, v19
	v_cmp_gt_i64_e32 vcc, 0, v[62:63]
	v_ashrrev_i32_e32 v21, 31, v21
	v_and_b32_e32 v19, v19, v26
	v_xor_b32_e32 v26, vcc_hi, v21
	v_xor_b32_e32 v21, vcc_lo, v21
	v_lshlrev_b32_e32 v63, 28, v18
	v_and_b32_e32 v20, v20, v21
	v_not_b32_e32 v21, v63
	v_cmp_gt_i64_e32 vcc, 0, v[62:63]
	v_ashrrev_i32_e32 v21, 31, v21
	v_and_b32_e32 v19, v19, v26
	v_xor_b32_e32 v26, vcc_hi, v21
	v_xor_b32_e32 v21, vcc_lo, v21
	v_lshlrev_b32_e32 v63, 27, v18
	v_and_b32_e32 v20, v20, v21
	v_not_b32_e32 v21, v63
	;; [unrolled: 8-line block ×3, first 2 shown]
	v_cmp_gt_i64_e32 vcc, 0, v[62:63]
	v_ashrrev_i32_e32 v21, 31, v21
	v_and_b32_e32 v19, v19, v26
	v_xor_b32_e32 v26, vcc_hi, v21
	v_xor_b32_e32 v21, vcc_lo, v21
	v_lshlrev_b32_e32 v63, 25, v18
	v_and_b32_e32 v20, v20, v21
	v_cmp_gt_i64_e32 vcc, 0, v[62:63]
	v_not_b32_e32 v21, v63
	v_lshlrev_b32_e32 v63, 24, v18
	v_ashrrev_i32_e32 v21, 31, v21
	v_not_b32_e32 v18, v63
	v_and_b32_e32 v19, v19, v26
	v_xor_b32_e32 v26, vcc_hi, v21
	v_xor_b32_e32 v21, vcc_lo, v21
	v_cmp_gt_i64_e32 vcc, 0, v[62:63]
	v_ashrrev_i32_e32 v18, 31, v18
	v_and_b32_e32 v20, v20, v21
	v_xor_b32_e32 v21, vcc_hi, v18
	v_xor_b32_e32 v18, vcc_lo, v18
	v_and_b32_e32 v19, v19, v26
	v_and_b32_e32 v18, v20, v18
	;; [unrolled: 1-line block ×3, first 2 shown]
	v_mbcnt_lo_u32_b32 v20, v18, 0
	v_mbcnt_hi_u32_b32 v26, v19, v20
	v_cmp_eq_u32_e32 vcc, 0, v26
	v_cmp_ne_u64_e64 s[44:45], 0, v[18:19]
	s_and_b64 s[58:59], s[44:45], vcc
	; wave barrier
	s_and_saveexec_b64 s[44:45], s[58:59]
	s_cbranch_execz .LBB121_36
; %bb.35:                               ;   in Loop: Header=BB121_32 Depth=1
	v_bcnt_u32_b32 v18, v18, 0
	v_bcnt_u32_b32 v18, v19, v18
	s_waitcnt lgkmcnt(0)
	v_add_u32_e32 v18, v24, v18
	ds_write_b32 v25, v18
.LBB121_36:                             ;   in Loop: Header=BB121_32 Depth=1
	s_or_b64 exec, exec, s[44:45]
	v_lshrrev_b32_e32 v18, s53, v117
	v_and_b32_e32 v18, s56, v18
	v_lshlrev_b32_e32 v19, 2, v18
	v_add_lshl_u32 v19, v19, v106, 2
	; wave barrier
	v_add_u32_e32 v28, 16, v19
	ds_read_b32 v27, v19 offset:16
	v_and_b32_e32 v19, 1, v18
	v_add_co_u32_e32 v20, vcc, -1, v19
	v_addc_co_u32_e64 v21, s[44:45], 0, -1, vcc
	v_cmp_ne_u32_e32 vcc, 0, v19
	v_lshlrev_b32_e32 v63, 30, v18
	v_xor_b32_e32 v19, vcc_hi, v21
	v_not_b32_e32 v21, v63
	v_xor_b32_e32 v20, vcc_lo, v20
	v_cmp_gt_i64_e32 vcc, 0, v[62:63]
	v_ashrrev_i32_e32 v21, 31, v21
	v_and_b32_e32 v20, exec_lo, v20
	v_xor_b32_e32 v29, vcc_hi, v21
	v_xor_b32_e32 v21, vcc_lo, v21
	v_lshlrev_b32_e32 v63, 29, v18
	v_and_b32_e32 v20, v20, v21
	v_not_b32_e32 v21, v63
	v_and_b32_e32 v19, exec_hi, v19
	v_cmp_gt_i64_e32 vcc, 0, v[62:63]
	v_ashrrev_i32_e32 v21, 31, v21
	v_and_b32_e32 v19, v19, v29
	v_xor_b32_e32 v29, vcc_hi, v21
	v_xor_b32_e32 v21, vcc_lo, v21
	v_lshlrev_b32_e32 v63, 28, v18
	v_and_b32_e32 v20, v20, v21
	v_not_b32_e32 v21, v63
	v_cmp_gt_i64_e32 vcc, 0, v[62:63]
	v_ashrrev_i32_e32 v21, 31, v21
	v_and_b32_e32 v19, v19, v29
	v_xor_b32_e32 v29, vcc_hi, v21
	v_xor_b32_e32 v21, vcc_lo, v21
	v_lshlrev_b32_e32 v63, 27, v18
	v_and_b32_e32 v20, v20, v21
	v_not_b32_e32 v21, v63
	;; [unrolled: 8-line block ×3, first 2 shown]
	v_cmp_gt_i64_e32 vcc, 0, v[62:63]
	v_ashrrev_i32_e32 v21, 31, v21
	v_and_b32_e32 v19, v19, v29
	v_xor_b32_e32 v29, vcc_hi, v21
	v_xor_b32_e32 v21, vcc_lo, v21
	v_lshlrev_b32_e32 v63, 25, v18
	v_and_b32_e32 v20, v20, v21
	v_cmp_gt_i64_e32 vcc, 0, v[62:63]
	v_not_b32_e32 v21, v63
	v_lshlrev_b32_e32 v63, 24, v18
	v_ashrrev_i32_e32 v21, 31, v21
	v_not_b32_e32 v18, v63
	v_and_b32_e32 v19, v19, v29
	v_xor_b32_e32 v29, vcc_hi, v21
	v_xor_b32_e32 v21, vcc_lo, v21
	v_cmp_gt_i64_e32 vcc, 0, v[62:63]
	v_ashrrev_i32_e32 v18, 31, v18
	v_and_b32_e32 v20, v20, v21
	v_xor_b32_e32 v21, vcc_hi, v18
	v_xor_b32_e32 v18, vcc_lo, v18
	v_and_b32_e32 v19, v19, v29
	v_and_b32_e32 v18, v20, v18
	;; [unrolled: 1-line block ×3, first 2 shown]
	v_mbcnt_lo_u32_b32 v20, v18, 0
	v_mbcnt_hi_u32_b32 v29, v19, v20
	v_cmp_eq_u32_e32 vcc, 0, v29
	v_cmp_ne_u64_e64 s[44:45], 0, v[18:19]
	s_and_b64 s[58:59], s[44:45], vcc
	; wave barrier
	s_and_saveexec_b64 s[44:45], s[58:59]
	s_cbranch_execz .LBB121_38
; %bb.37:                               ;   in Loop: Header=BB121_32 Depth=1
	v_bcnt_u32_b32 v18, v18, 0
	v_bcnt_u32_b32 v18, v19, v18
	s_waitcnt lgkmcnt(0)
	v_add_u32_e32 v18, v27, v18
	ds_write_b32 v28, v18
.LBB121_38:                             ;   in Loop: Header=BB121_32 Depth=1
	s_or_b64 exec, exec, s[44:45]
	v_lshrrev_b32_e32 v18, s53, v116
	v_and_b32_e32 v18, s56, v18
	v_lshlrev_b32_e32 v19, 2, v18
	v_add_lshl_u32 v19, v19, v106, 2
	; wave barrier
	v_add_u32_e32 v31, 16, v19
	ds_read_b32 v30, v19 offset:16
	v_and_b32_e32 v19, 1, v18
	v_add_co_u32_e32 v20, vcc, -1, v19
	v_addc_co_u32_e64 v21, s[44:45], 0, -1, vcc
	v_cmp_ne_u32_e32 vcc, 0, v19
	v_lshlrev_b32_e32 v63, 30, v18
	v_xor_b32_e32 v19, vcc_hi, v21
	v_not_b32_e32 v21, v63
	v_xor_b32_e32 v20, vcc_lo, v20
	v_cmp_gt_i64_e32 vcc, 0, v[62:63]
	v_ashrrev_i32_e32 v21, 31, v21
	v_and_b32_e32 v20, exec_lo, v20
	v_xor_b32_e32 v32, vcc_hi, v21
	v_xor_b32_e32 v21, vcc_lo, v21
	v_lshlrev_b32_e32 v63, 29, v18
	v_and_b32_e32 v20, v20, v21
	v_not_b32_e32 v21, v63
	v_and_b32_e32 v19, exec_hi, v19
	v_cmp_gt_i64_e32 vcc, 0, v[62:63]
	v_ashrrev_i32_e32 v21, 31, v21
	v_and_b32_e32 v19, v19, v32
	v_xor_b32_e32 v32, vcc_hi, v21
	v_xor_b32_e32 v21, vcc_lo, v21
	v_lshlrev_b32_e32 v63, 28, v18
	v_and_b32_e32 v20, v20, v21
	v_not_b32_e32 v21, v63
	v_cmp_gt_i64_e32 vcc, 0, v[62:63]
	v_ashrrev_i32_e32 v21, 31, v21
	v_and_b32_e32 v19, v19, v32
	v_xor_b32_e32 v32, vcc_hi, v21
	v_xor_b32_e32 v21, vcc_lo, v21
	v_lshlrev_b32_e32 v63, 27, v18
	v_and_b32_e32 v20, v20, v21
	v_not_b32_e32 v21, v63
	;; [unrolled: 8-line block ×3, first 2 shown]
	v_cmp_gt_i64_e32 vcc, 0, v[62:63]
	v_ashrrev_i32_e32 v21, 31, v21
	v_and_b32_e32 v19, v19, v32
	v_xor_b32_e32 v32, vcc_hi, v21
	v_xor_b32_e32 v21, vcc_lo, v21
	v_lshlrev_b32_e32 v63, 25, v18
	v_and_b32_e32 v20, v20, v21
	v_cmp_gt_i64_e32 vcc, 0, v[62:63]
	v_not_b32_e32 v21, v63
	v_lshlrev_b32_e32 v63, 24, v18
	v_ashrrev_i32_e32 v21, 31, v21
	v_not_b32_e32 v18, v63
	v_and_b32_e32 v19, v19, v32
	v_xor_b32_e32 v32, vcc_hi, v21
	v_xor_b32_e32 v21, vcc_lo, v21
	v_cmp_gt_i64_e32 vcc, 0, v[62:63]
	v_ashrrev_i32_e32 v18, 31, v18
	v_and_b32_e32 v20, v20, v21
	v_xor_b32_e32 v21, vcc_hi, v18
	v_xor_b32_e32 v18, vcc_lo, v18
	v_and_b32_e32 v19, v19, v32
	v_and_b32_e32 v18, v20, v18
	;; [unrolled: 1-line block ×3, first 2 shown]
	v_mbcnt_lo_u32_b32 v20, v18, 0
	v_mbcnt_hi_u32_b32 v32, v19, v20
	v_cmp_eq_u32_e32 vcc, 0, v32
	v_cmp_ne_u64_e64 s[44:45], 0, v[18:19]
	s_and_b64 s[58:59], s[44:45], vcc
	; wave barrier
	s_and_saveexec_b64 s[44:45], s[58:59]
	s_cbranch_execz .LBB121_40
; %bb.39:                               ;   in Loop: Header=BB121_32 Depth=1
	v_bcnt_u32_b32 v18, v18, 0
	v_bcnt_u32_b32 v18, v19, v18
	s_waitcnt lgkmcnt(0)
	v_add_u32_e32 v18, v30, v18
	ds_write_b32 v31, v18
.LBB121_40:                             ;   in Loop: Header=BB121_32 Depth=1
	s_or_b64 exec, exec, s[44:45]
	v_lshrrev_b32_e32 v18, s53, v115
	v_and_b32_e32 v18, s56, v18
	v_lshlrev_b32_e32 v19, 2, v18
	v_add_lshl_u32 v19, v19, v106, 2
	; wave barrier
	v_add_u32_e32 v64, 16, v19
	ds_read_b32 v33, v19 offset:16
	v_and_b32_e32 v19, 1, v18
	v_add_co_u32_e32 v20, vcc, -1, v19
	v_addc_co_u32_e64 v21, s[44:45], 0, -1, vcc
	v_cmp_ne_u32_e32 vcc, 0, v19
	v_lshlrev_b32_e32 v63, 30, v18
	v_xor_b32_e32 v19, vcc_hi, v21
	v_not_b32_e32 v21, v63
	v_xor_b32_e32 v20, vcc_lo, v20
	v_cmp_gt_i64_e32 vcc, 0, v[62:63]
	v_ashrrev_i32_e32 v21, 31, v21
	v_and_b32_e32 v19, exec_hi, v19
	v_xor_b32_e32 v63, vcc_hi, v21
	v_and_b32_e32 v20, exec_lo, v20
	v_xor_b32_e32 v21, vcc_lo, v21
	v_and_b32_e32 v19, v19, v63
	v_lshlrev_b32_e32 v63, 29, v18
	v_and_b32_e32 v20, v20, v21
	v_not_b32_e32 v21, v63
	v_cmp_gt_i64_e32 vcc, 0, v[62:63]
	v_ashrrev_i32_e32 v21, 31, v21
	v_xor_b32_e32 v63, vcc_hi, v21
	v_xor_b32_e32 v21, vcc_lo, v21
	v_and_b32_e32 v19, v19, v63
	v_lshlrev_b32_e32 v63, 28, v18
	v_and_b32_e32 v20, v20, v21
	v_not_b32_e32 v21, v63
	v_cmp_gt_i64_e32 vcc, 0, v[62:63]
	v_ashrrev_i32_e32 v21, 31, v21
	v_xor_b32_e32 v63, vcc_hi, v21
	;; [unrolled: 8-line block ×5, first 2 shown]
	v_and_b32_e32 v19, v19, v63
	v_lshlrev_b32_e32 v63, 24, v18
	v_not_b32_e32 v18, v63
	v_xor_b32_e32 v21, vcc_lo, v21
	v_cmp_gt_i64_e32 vcc, 0, v[62:63]
	v_ashrrev_i32_e32 v18, 31, v18
	v_and_b32_e32 v20, v20, v21
	v_xor_b32_e32 v21, vcc_hi, v18
	v_xor_b32_e32 v18, vcc_lo, v18
	v_and_b32_e32 v18, v20, v18
	v_and_b32_e32 v19, v19, v21
	v_mbcnt_lo_u32_b32 v20, v18, 0
	v_mbcnt_hi_u32_b32 v65, v19, v20
	v_cmp_eq_u32_e32 vcc, 0, v65
	v_cmp_ne_u64_e64 s[44:45], 0, v[18:19]
	s_and_b64 s[58:59], s[44:45], vcc
	; wave barrier
	s_and_saveexec_b64 s[44:45], s[58:59]
	s_cbranch_execz .LBB121_42
; %bb.41:                               ;   in Loop: Header=BB121_32 Depth=1
	v_bcnt_u32_b32 v18, v18, 0
	v_bcnt_u32_b32 v18, v19, v18
	s_waitcnt lgkmcnt(0)
	v_add_u32_e32 v18, v33, v18
	ds_write_b32 v64, v18
.LBB121_42:                             ;   in Loop: Header=BB121_32 Depth=1
	s_or_b64 exec, exec, s[44:45]
	v_lshrrev_b32_e32 v18, s53, v114
	v_and_b32_e32 v18, s56, v18
	v_lshlrev_b32_e32 v19, 2, v18
	v_add_lshl_u32 v19, v19, v106, 2
	; wave barrier
	v_add_u32_e32 v67, 16, v19
	ds_read_b32 v66, v19 offset:16
	v_and_b32_e32 v19, 1, v18
	v_add_co_u32_e32 v20, vcc, -1, v19
	v_addc_co_u32_e64 v21, s[44:45], 0, -1, vcc
	v_cmp_ne_u32_e32 vcc, 0, v19
	v_lshlrev_b32_e32 v63, 30, v18
	v_xor_b32_e32 v19, vcc_hi, v21
	v_not_b32_e32 v21, v63
	v_xor_b32_e32 v20, vcc_lo, v20
	v_cmp_gt_i64_e32 vcc, 0, v[62:63]
	v_ashrrev_i32_e32 v21, 31, v21
	v_and_b32_e32 v19, exec_hi, v19
	v_xor_b32_e32 v63, vcc_hi, v21
	v_and_b32_e32 v20, exec_lo, v20
	v_xor_b32_e32 v21, vcc_lo, v21
	v_and_b32_e32 v19, v19, v63
	v_lshlrev_b32_e32 v63, 29, v18
	v_and_b32_e32 v20, v20, v21
	v_not_b32_e32 v21, v63
	v_cmp_gt_i64_e32 vcc, 0, v[62:63]
	v_ashrrev_i32_e32 v21, 31, v21
	v_xor_b32_e32 v63, vcc_hi, v21
	v_xor_b32_e32 v21, vcc_lo, v21
	v_and_b32_e32 v19, v19, v63
	v_lshlrev_b32_e32 v63, 28, v18
	v_and_b32_e32 v20, v20, v21
	v_not_b32_e32 v21, v63
	v_cmp_gt_i64_e32 vcc, 0, v[62:63]
	v_ashrrev_i32_e32 v21, 31, v21
	v_xor_b32_e32 v63, vcc_hi, v21
	;; [unrolled: 8-line block ×5, first 2 shown]
	v_and_b32_e32 v19, v19, v63
	v_lshlrev_b32_e32 v63, 24, v18
	v_not_b32_e32 v18, v63
	v_xor_b32_e32 v21, vcc_lo, v21
	v_cmp_gt_i64_e32 vcc, 0, v[62:63]
	v_ashrrev_i32_e32 v18, 31, v18
	v_and_b32_e32 v20, v20, v21
	v_xor_b32_e32 v21, vcc_hi, v18
	v_xor_b32_e32 v18, vcc_lo, v18
	v_and_b32_e32 v18, v20, v18
	v_and_b32_e32 v19, v19, v21
	v_mbcnt_lo_u32_b32 v20, v18, 0
	v_mbcnt_hi_u32_b32 v68, v19, v20
	v_cmp_eq_u32_e32 vcc, 0, v68
	v_cmp_ne_u64_e64 s[44:45], 0, v[18:19]
	s_and_b64 s[58:59], s[44:45], vcc
	; wave barrier
	s_and_saveexec_b64 s[44:45], s[58:59]
	s_cbranch_execz .LBB121_44
; %bb.43:                               ;   in Loop: Header=BB121_32 Depth=1
	v_bcnt_u32_b32 v18, v18, 0
	v_bcnt_u32_b32 v18, v19, v18
	s_waitcnt lgkmcnt(0)
	v_add_u32_e32 v18, v66, v18
	ds_write_b32 v67, v18
.LBB121_44:                             ;   in Loop: Header=BB121_32 Depth=1
	s_or_b64 exec, exec, s[44:45]
	v_lshrrev_b32_e32 v18, s53, v113
	v_and_b32_e32 v18, s56, v18
	v_lshlrev_b32_e32 v19, 2, v18
	v_add_lshl_u32 v19, v19, v106, 2
	; wave barrier
	v_add_u32_e32 v70, 16, v19
	ds_read_b32 v69, v19 offset:16
	v_and_b32_e32 v19, 1, v18
	v_add_co_u32_e32 v20, vcc, -1, v19
	v_addc_co_u32_e64 v21, s[44:45], 0, -1, vcc
	v_cmp_ne_u32_e32 vcc, 0, v19
	v_lshlrev_b32_e32 v63, 30, v18
	v_xor_b32_e32 v19, vcc_hi, v21
	v_not_b32_e32 v21, v63
	v_xor_b32_e32 v20, vcc_lo, v20
	v_cmp_gt_i64_e32 vcc, 0, v[62:63]
	v_ashrrev_i32_e32 v21, 31, v21
	v_and_b32_e32 v19, exec_hi, v19
	v_xor_b32_e32 v63, vcc_hi, v21
	v_and_b32_e32 v20, exec_lo, v20
	v_xor_b32_e32 v21, vcc_lo, v21
	v_and_b32_e32 v19, v19, v63
	v_lshlrev_b32_e32 v63, 29, v18
	v_and_b32_e32 v20, v20, v21
	v_not_b32_e32 v21, v63
	v_cmp_gt_i64_e32 vcc, 0, v[62:63]
	v_ashrrev_i32_e32 v21, 31, v21
	v_xor_b32_e32 v63, vcc_hi, v21
	v_xor_b32_e32 v21, vcc_lo, v21
	v_and_b32_e32 v19, v19, v63
	v_lshlrev_b32_e32 v63, 28, v18
	v_and_b32_e32 v20, v20, v21
	v_not_b32_e32 v21, v63
	v_cmp_gt_i64_e32 vcc, 0, v[62:63]
	v_ashrrev_i32_e32 v21, 31, v21
	v_xor_b32_e32 v63, vcc_hi, v21
	;; [unrolled: 8-line block ×5, first 2 shown]
	v_and_b32_e32 v19, v19, v63
	v_lshlrev_b32_e32 v63, 24, v18
	v_not_b32_e32 v18, v63
	v_xor_b32_e32 v21, vcc_lo, v21
	v_cmp_gt_i64_e32 vcc, 0, v[62:63]
	v_ashrrev_i32_e32 v18, 31, v18
	v_and_b32_e32 v20, v20, v21
	v_xor_b32_e32 v21, vcc_hi, v18
	v_xor_b32_e32 v18, vcc_lo, v18
	v_and_b32_e32 v18, v20, v18
	v_and_b32_e32 v19, v19, v21
	v_mbcnt_lo_u32_b32 v20, v18, 0
	v_mbcnt_hi_u32_b32 v71, v19, v20
	v_cmp_eq_u32_e32 vcc, 0, v71
	v_cmp_ne_u64_e64 s[44:45], 0, v[18:19]
	s_and_b64 s[58:59], s[44:45], vcc
	; wave barrier
	s_and_saveexec_b64 s[44:45], s[58:59]
	s_cbranch_execz .LBB121_46
; %bb.45:                               ;   in Loop: Header=BB121_32 Depth=1
	v_bcnt_u32_b32 v18, v18, 0
	v_bcnt_u32_b32 v18, v19, v18
	s_waitcnt lgkmcnt(0)
	v_add_u32_e32 v18, v69, v18
	ds_write_b32 v70, v18
.LBB121_46:                             ;   in Loop: Header=BB121_32 Depth=1
	s_or_b64 exec, exec, s[44:45]
	v_lshrrev_b32_e32 v18, s53, v112
	v_and_b32_e32 v18, s56, v18
	v_lshlrev_b32_e32 v19, 2, v18
	v_add_lshl_u32 v19, v19, v106, 2
	; wave barrier
	v_add_u32_e32 v121, 16, v19
	ds_read_b32 v120, v19 offset:16
	v_and_b32_e32 v19, 1, v18
	v_add_co_u32_e32 v20, vcc, -1, v19
	v_addc_co_u32_e64 v21, s[44:45], 0, -1, vcc
	v_cmp_ne_u32_e32 vcc, 0, v19
	v_lshlrev_b32_e32 v63, 30, v18
	v_xor_b32_e32 v19, vcc_hi, v21
	v_not_b32_e32 v21, v63
	v_xor_b32_e32 v20, vcc_lo, v20
	v_cmp_gt_i64_e32 vcc, 0, v[62:63]
	v_ashrrev_i32_e32 v21, 31, v21
	v_and_b32_e32 v19, exec_hi, v19
	v_xor_b32_e32 v63, vcc_hi, v21
	v_and_b32_e32 v20, exec_lo, v20
	v_xor_b32_e32 v21, vcc_lo, v21
	v_and_b32_e32 v19, v19, v63
	v_lshlrev_b32_e32 v63, 29, v18
	v_and_b32_e32 v20, v20, v21
	v_not_b32_e32 v21, v63
	v_cmp_gt_i64_e32 vcc, 0, v[62:63]
	v_ashrrev_i32_e32 v21, 31, v21
	v_xor_b32_e32 v63, vcc_hi, v21
	v_xor_b32_e32 v21, vcc_lo, v21
	v_and_b32_e32 v19, v19, v63
	v_lshlrev_b32_e32 v63, 28, v18
	v_and_b32_e32 v20, v20, v21
	v_not_b32_e32 v21, v63
	v_cmp_gt_i64_e32 vcc, 0, v[62:63]
	v_ashrrev_i32_e32 v21, 31, v21
	v_xor_b32_e32 v63, vcc_hi, v21
	;; [unrolled: 8-line block ×5, first 2 shown]
	v_and_b32_e32 v19, v19, v63
	v_lshlrev_b32_e32 v63, 24, v18
	v_not_b32_e32 v18, v63
	v_xor_b32_e32 v21, vcc_lo, v21
	v_cmp_gt_i64_e32 vcc, 0, v[62:63]
	v_ashrrev_i32_e32 v18, 31, v18
	v_and_b32_e32 v20, v20, v21
	v_xor_b32_e32 v21, vcc_hi, v18
	v_xor_b32_e32 v18, vcc_lo, v18
	v_and_b32_e32 v18, v20, v18
	v_and_b32_e32 v19, v19, v21
	v_mbcnt_lo_u32_b32 v20, v18, 0
	v_mbcnt_hi_u32_b32 v127, v19, v20
	v_cmp_eq_u32_e32 vcc, 0, v127
	v_cmp_ne_u64_e64 s[44:45], 0, v[18:19]
	s_and_b64 s[56:57], s[44:45], vcc
	; wave barrier
	s_and_saveexec_b64 s[44:45], s[56:57]
	s_cbranch_execz .LBB121_48
; %bb.47:                               ;   in Loop: Header=BB121_32 Depth=1
	v_bcnt_u32_b32 v18, v18, 0
	v_bcnt_u32_b32 v18, v19, v18
	s_waitcnt lgkmcnt(0)
	v_add_u32_e32 v18, v120, v18
	ds_write_b32 v121, v18
.LBB121_48:                             ;   in Loop: Header=BB121_32 Depth=1
	s_or_b64 exec, exec, s[44:45]
	; wave barrier
	s_waitcnt lgkmcnt(0)
	s_barrier
	ds_read2_b32 v[20:21], v89 offset0:4 offset1:5
	ds_read2_b32 v[18:19], v105 offset0:2 offset1:3
	s_waitcnt lgkmcnt(1)
	v_add_u32_e32 v63, v21, v20
	s_waitcnt lgkmcnt(0)
	v_add3_u32 v19, v63, v18, v19
	s_nop 1
	v_mov_b32_dpp v63, v19 row_shr:1 row_mask:0xf bank_mask:0xf
	v_cndmask_b32_e64 v63, v63, 0, s[26:27]
	v_add_u32_e32 v19, v63, v19
	s_nop 1
	v_mov_b32_dpp v63, v19 row_shr:2 row_mask:0xf bank_mask:0xf
	v_cndmask_b32_e64 v63, 0, v63, s[28:29]
	v_add_u32_e32 v19, v19, v63
	;; [unrolled: 4-line block ×4, first 2 shown]
	s_nop 1
	v_mov_b32_dpp v63, v19 row_bcast:15 row_mask:0xf bank_mask:0xf
	v_cndmask_b32_e64 v63, v63, 0, s[36:37]
	v_add_u32_e32 v19, v19, v63
	s_nop 1
	v_mov_b32_dpp v63, v19 row_bcast:31 row_mask:0xf bank_mask:0xf
	v_cndmask_b32_e64 v63, 0, v63, s[16:17]
	v_add_u32_e32 v19, v19, v63
	s_and_saveexec_b64 s[44:45], s[38:39]
	s_cbranch_execz .LBB121_50
; %bb.49:                               ;   in Loop: Header=BB121_32 Depth=1
	ds_write_b32 v108, v19
.LBB121_50:                             ;   in Loop: Header=BB121_32 Depth=1
	s_or_b64 exec, exec, s[44:45]
	s_waitcnt lgkmcnt(0)
	s_barrier
	s_and_saveexec_b64 s[44:45], s[18:19]
	s_cbranch_execz .LBB121_52
; %bb.51:                               ;   in Loop: Header=BB121_32 Depth=1
	ds_read_b32 v63, v88
	s_waitcnt lgkmcnt(0)
	s_nop 0
	v_mov_b32_dpp v122, v63 row_shr:1 row_mask:0xf bank_mask:0xf
	v_cndmask_b32_e64 v122, v122, 0, s[40:41]
	v_add_u32_e32 v63, v122, v63
	s_nop 1
	v_mov_b32_dpp v122, v63 row_shr:2 row_mask:0xf bank_mask:0xf
	v_cndmask_b32_e64 v122, 0, v122, s[42:43]
	v_add_u32_e32 v63, v63, v122
	ds_write_b32 v88, v63
.LBB121_52:                             ;   in Loop: Header=BB121_32 Depth=1
	s_or_b64 exec, exec, s[44:45]
	v_mov_b32_e32 v63, 0
	s_waitcnt lgkmcnt(0)
	s_barrier
	s_and_saveexec_b64 s[44:45], s[20:21]
	s_cbranch_execz .LBB121_54
; %bb.53:                               ;   in Loop: Header=BB121_32 Depth=1
	ds_read_b32 v63, v109
.LBB121_54:                             ;   in Loop: Header=BB121_32 Depth=1
	s_or_b64 exec, exec, s[44:45]
	s_waitcnt lgkmcnt(0)
	v_add_u32_e32 v19, v63, v19
	ds_bpermute_b32 v19, v107, v19
	s_cmp_gt_u32 s53, 23
	s_waitcnt lgkmcnt(0)
	v_cndmask_b32_e64 v19, v19, v63, s[22:23]
	v_cndmask_b32_e64 v19, v19, 0, s[24:25]
	v_add_u32_e32 v20, v19, v20
	v_add_u32_e32 v21, v20, v21
	;; [unrolled: 1-line block ×3, first 2 shown]
	ds_write2_b32 v89, v19, v20 offset0:4 offset1:5
	ds_write2_b32 v105, v21, v18 offset0:2 offset1:3
	s_waitcnt lgkmcnt(0)
	s_barrier
	ds_read_b32 v18, v22
	ds_read_b32 v19, v25
	;; [unrolled: 1-line block ×8, first 2 shown]
	s_waitcnt lgkmcnt(7)
	v_add_u32_e32 v63, v18, v23
	s_waitcnt lgkmcnt(6)
	v_add3_u32 v121, v26, v24, v19
	s_waitcnt lgkmcnt(5)
	v_add3_u32 v122, v29, v27, v20
	;; [unrolled: 2-line block ×7, first 2 shown]
	s_cbranch_scc0 .LBB121_31
; %bb.55:
                                        ; implicit-def: $vgpr71
                                        ; implicit-def: $vgpr69
                                        ; implicit-def: $vgpr67
                                        ; implicit-def: $vgpr65
                                        ; implicit-def: $vgpr32_vgpr33
                                        ; implicit-def: $vgpr28_vgpr29
                                        ; implicit-def: $vgpr24_vgpr25
                                        ; implicit-def: $vgpr20_vgpr21
                                        ; implicit-def: $sgpr53
                                        ; implicit-def: $sgpr55
.LBB121_56:
	v_lshlrev_b32_e32 v18, 2, v63
	s_barrier
	ds_write_b32 v18, v119
	v_lshlrev_b32_e32 v18, 2, v121
	ds_write_b32 v18, v118
	v_lshlrev_b32_e32 v18, 2, v122
	;; [unrolled: 2-line block ×7, first 2 shown]
	v_lshlrev_b32_e32 v22, 2, v87
	ds_write_b32 v18, v112
	s_waitcnt lgkmcnt(0)
	s_barrier
	ds_read2_b32 v[18:19], v22 offset1:1
	ds_read2_b32 v[20:21], v22 offset0:2 offset1:3
	ds_read2_b32 v[66:67], v22 offset0:4 offset1:5
	;; [unrolled: 1-line block ×3, first 2 shown]
	v_lshlrev_b32_e32 v23, 3, v63
	v_lshlrev_b32_e32 v24, 3, v121
	;; [unrolled: 1-line block ×9, first 2 shown]
	s_waitcnt lgkmcnt(3)
	v_xor_b32_e32 v62, 0x80000000, v18
	v_xor_b32_e32 v64, 0x80000000, v19
	s_waitcnt lgkmcnt(2)
	v_xor_b32_e32 v63, 0x80000000, v20
	v_xor_b32_e32 v65, 0x80000000, v21
	s_waitcnt lgkmcnt(0)
	s_barrier
	ds_write_b64 v23, v[60:61]
	ds_write_b64 v24, v[58:59]
	;; [unrolled: 1-line block ×8, first 2 shown]
	s_waitcnt lgkmcnt(0)
	s_barrier
	ds_read2_b64 v[18:21], v31 offset1:1
	ds_read2_b64 v[22:25], v31 offset0:2 offset1:3
	ds_read2_b64 v[26:29], v31 offset0:4 offset1:5
	;; [unrolled: 1-line block ×3, first 2 shown]
	v_xor_b32_e32 v66, 0x80000000, v66
	v_xor_b32_e32 v0, 0x80000000, v67
	;; [unrolled: 1-line block ×4, first 2 shown]
	s_branch .LBB121_92
.LBB121_57:
	v_mov_b32_e32 v37, 0
	v_lshlrev_b64 v[2:3], 3, v[36:37]
	v_mov_b32_e32 v4, s52
	v_add_co_u32_e32 v2, vcc, s49, v2
	v_addc_co_u32_e32 v3, vcc, v4, v3, vcc
	global_load_dwordx2 v[2:3], v[2:3], off
	v_mov_b32_e32 v4, v37
	v_mov_b32_e32 v5, v37
	v_mov_b32_e32 v6, v37
	v_mov_b32_e32 v7, v37
	v_mov_b32_e32 v8, v37
	v_mov_b32_e32 v9, v37
	v_mov_b32_e32 v10, v37
	v_mov_b32_e32 v11, v37
	v_mov_b32_e32 v12, v37
	v_mov_b32_e32 v13, v37
	v_mov_b32_e32 v14, v37
	v_mov_b32_e32 v15, v37
	v_mov_b32_e32 v16, v37
	v_mov_b32_e32 v17, v37
	s_or_b64 exec, exec, s[16:17]
	s_and_saveexec_b64 s[16:17], s[2:3]
	s_cbranch_execz .LBB121_22
.LBB121_58:
	v_mul_lo_u32 v4, v30, s48
	v_mov_b32_e32 v5, 0
	v_lshlrev_b64 v[4:5], 3, v[4:5]
	v_mov_b32_e32 v30, s52
	v_add_co_u32_e32 v4, vcc, s49, v4
	v_addc_co_u32_e32 v5, vcc, v30, v5, vcc
	global_load_dwordx2 v[4:5], v[4:5], off
	s_or_b64 exec, exec, s[16:17]
	s_and_saveexec_b64 s[16:17], s[4:5]
	s_cbranch_execz .LBB121_23
.LBB121_59:
	v_mul_lo_u32 v6, v28, s48
	v_mov_b32_e32 v7, 0
	v_lshlrev_b64 v[6:7], 3, v[6:7]
	v_mov_b32_e32 v28, s52
	v_add_co_u32_e32 v6, vcc, s49, v6
	v_addc_co_u32_e32 v7, vcc, v28, v7, vcc
	global_load_dwordx2 v[6:7], v[6:7], off
	s_or_b64 exec, exec, s[16:17]
	s_and_saveexec_b64 s[16:17], s[6:7]
	s_cbranch_execz .LBB121_24
.LBB121_60:
	v_mul_lo_u32 v8, v26, s48
	v_mov_b32_e32 v9, 0
	v_lshlrev_b64 v[8:9], 3, v[8:9]
	v_mov_b32_e32 v26, s52
	v_add_co_u32_e32 v8, vcc, s49, v8
	v_addc_co_u32_e32 v9, vcc, v26, v9, vcc
	global_load_dwordx2 v[8:9], v[8:9], off
	s_or_b64 exec, exec, s[16:17]
	s_and_saveexec_b64 s[16:17], s[8:9]
	s_cbranch_execz .LBB121_25
.LBB121_61:
	v_mul_lo_u32 v10, v24, s48
	v_mov_b32_e32 v11, 0
	v_lshlrev_b64 v[10:11], 3, v[10:11]
	v_mov_b32_e32 v24, s52
	v_add_co_u32_e32 v10, vcc, s49, v10
	v_addc_co_u32_e32 v11, vcc, v24, v11, vcc
	global_load_dwordx2 v[10:11], v[10:11], off
	s_or_b64 exec, exec, s[16:17]
	s_and_saveexec_b64 s[16:17], s[10:11]
	s_cbranch_execz .LBB121_26
.LBB121_62:
	v_mul_lo_u32 v12, v21, s48
	v_mov_b32_e32 v13, 0
	v_lshlrev_b64 v[12:13], 3, v[12:13]
	v_mov_b32_e32 v21, s52
	v_add_co_u32_e32 v12, vcc, s49, v12
	v_addc_co_u32_e32 v13, vcc, v21, v13, vcc
	global_load_dwordx2 v[12:13], v[12:13], off
	s_or_b64 exec, exec, s[16:17]
	s_and_saveexec_b64 s[16:17], s[12:13]
	s_cbranch_execz .LBB121_27
.LBB121_63:
	v_mul_lo_u32 v14, v19, s48
	v_mov_b32_e32 v15, 0
	v_lshlrev_b64 v[14:15], 3, v[14:15]
	v_mov_b32_e32 v19, s52
	v_add_co_u32_e32 v14, vcc, s49, v14
	v_addc_co_u32_e32 v15, vcc, v19, v15, vcc
	global_load_dwordx2 v[14:15], v[14:15], off
	s_or_b64 exec, exec, s[16:17]
	s_xor_b64 s[16:17], s[34:35], -1
	s_and_saveexec_b64 s[18:19], s[14:15]
	s_cbranch_execnz .LBB121_28
	s_branch .LBB121_29
.LBB121_64:
                                        ; implicit-def: $vgpr48
                                        ; implicit-def: $vgpr1
                                        ; implicit-def: $vgpr0
                                        ; implicit-def: $vgpr66
                                        ; implicit-def: $vgpr65
                                        ; implicit-def: $vgpr63
                                        ; implicit-def: $vgpr64
                                        ; implicit-def: $vgpr62
                                        ; implicit-def: $vgpr32_vgpr33
                                        ; implicit-def: $vgpr28_vgpr29
                                        ; implicit-def: $vgpr24_vgpr25
                                        ; implicit-def: $vgpr20_vgpr21
	s_cbranch_execz .LBB121_92
; %bb.65:
	v_xor_b32_e32 v0, 0x7fffffff, v47
	v_xor_b32_e32 v1, 0x7fffffff, v46
	s_waitcnt lgkmcnt(3)
	v_xor_b32_e32 v18, 0x7fffffff, v45
	v_xor_b32_e32 v19, 0x7fffffff, v44
	;; [unrolled: 1-line block ×4, first 2 shown]
	s_waitcnt lgkmcnt(2)
	v_xor_b32_e32 v22, 0x7fffffff, v41
	v_xor_b32_e32 v23, 0x7fffffff, v40
	ds_write2_b32 v104, v1, v0 offset1:1
	ds_write2_b32 v104, v19, v18 offset0:2 offset1:3
	ds_write2_b32 v104, v21, v20 offset0:4 offset1:5
	;; [unrolled: 1-line block ×3, first 2 shown]
	; wave barrier
	ds_read2st64_b32 v[40:41], v103 offset1:1
	ds_read2st64_b32 v[42:43], v103 offset0:2 offset1:3
	ds_read2st64_b32 v[44:45], v103 offset0:4 offset1:5
	;; [unrolled: 1-line block ×3, first 2 shown]
	s_waitcnt lgkmcnt(0)
	s_barrier
	ds_write2_b64 v102, v[14:15], v[16:17] offset1:1
	ds_write2_b64 v102, v[10:11], v[12:13] offset0:2 offset1:3
	ds_write2_b64 v102, v[6:7], v[8:9] offset0:4 offset1:5
	;; [unrolled: 1-line block ×3, first 2 shown]
	; wave barrier
	ds_read2st64_b64 v[0:3], v101 offset1:1
	ds_read2st64_b64 v[4:7], v101 offset0:2 offset1:3
	ds_read2st64_b64 v[8:11], v101 offset0:4 offset1:5
	ds_read2st64_b64 v[12:15], v101 offset0:6 offset1:7
	s_waitcnt lgkmcnt(0)
	s_barrier
	s_load_dword s18, s[50:51], 0xc
	s_getpc_b64 s[16:17]
	s_add_u32 s16, s16, _ZN7rocprim17ROCPRIM_400000_NS16block_radix_sortIiLj256ELj8ElLj1ELj1ELj0ELNS0_26block_radix_rank_algorithmE1ELNS0_18block_padding_hintE2ELNS0_4arch9wavefront6targetE1EE19radix_bits_per_passE@rel32@lo+4
	s_addc_u32 s17, s17, _ZN7rocprim17ROCPRIM_400000_NS16block_radix_sortIiLj256ELj8ElLj1ELj1ELj0ELNS0_26block_radix_rank_algorithmE1ELNS0_18block_padding_hintE2ELNS0_4arch9wavefront6targetE1EE19radix_bits_per_passE@rel32@hi+12
	s_load_dword s50, s[16:17], 0x0
	v_cmp_lt_i32_e32 vcc, v94, v96
	v_cmp_gt_u32_e64 s[30:31], 4, v38
	s_waitcnt lgkmcnt(0)
	s_lshr_b32 s16, s18, 16
	s_and_b32 s17, s18, 0xffff
	v_mad_u32_u24 v16, v100, s16, v99
	v_mad_u64_u32 v[16:17], s[16:17], v16, s17, v[38:39]
	v_lshrrev_b32_e32 v49, 6, v16
	v_min_u32_e32 v16, 0xc0, v91
	v_or_b32_e32 v16, 63, v16
	v_cmp_eq_u32_e64 s[28:29], v16, v38
	v_cmp_lt_u32_e64 s[34:35], 63, v38
	v_cndmask_b32_e32 v16, v94, v90, vcc
	v_cmp_eq_u32_e64 s[38:39], 0, v38
	v_and_b32_e32 v38, 60, v95
	v_add_u32_e32 v48, 16, v89
	s_mov_b32 s51, 0
	v_cmp_eq_u32_e64 s[16:17], 0, v97
	v_cmp_lt_u32_e64 s[18:19], 1, v97
	v_cmp_lt_u32_e64 s[20:21], 3, v97
	;; [unrolled: 1-line block ×3, first 2 shown]
	v_cmp_eq_u32_e64 s[24:25], 0, v98
	v_cmp_lt_u32_e64 s[26:27], 31, v90
	v_lshlrev_b32_e32 v50, 2, v16
	v_cmp_eq_u32_e64 s[36:37], 0, v90
	v_cmp_eq_u32_e64 s[40:41], 0, v93
	v_cmp_lt_u32_e64 s[42:43], 1, v93
	v_add_u32_e32 v51, -4, v38
	v_lshlrev_b32_e32 v52, 2, v92
	v_lshlrev_b32_e32 v53, 3, v92
	s_mov_b32 s53, 32
	v_mov_b32_e32 v32, 0
	s_branch .LBB121_67
.LBB121_66:                             ;   in Loop: Header=BB121_67 Depth=1
	v_lshlrev_b32_e32 v0, 2, v33
	s_barrier
	ds_write_b32 v0, v61
	v_lshlrev_b32_e32 v0, 2, v63
	ds_write_b32 v0, v60
	v_lshlrev_b32_e32 v0, 2, v64
	;; [unrolled: 2-line block ×8, first 2 shown]
	s_waitcnt lgkmcnt(0)
	s_barrier
	ds_read2st64_b32 v[40:41], v52 offset1:1
	ds_read2st64_b32 v[42:43], v52 offset0:2 offset1:3
	ds_read2st64_b32 v[44:45], v52 offset0:4 offset1:5
	;; [unrolled: 1-line block ×3, first 2 shown]
	s_waitcnt lgkmcnt(0)
	s_barrier
	ds_write_b64 v0, v[30:31]
	v_lshlrev_b32_e32 v0, 3, v63
	ds_write_b64 v0, v[28:29]
	v_lshlrev_b32_e32 v0, 3, v64
	;; [unrolled: 2-line block ×7, first 2 shown]
	ds_write_b64 v0, v[16:17]
	s_waitcnt lgkmcnt(0)
	s_barrier
	ds_read2st64_b64 v[0:3], v53 offset1:1
	ds_read2st64_b64 v[4:7], v53 offset0:2 offset1:3
	ds_read2st64_b64 v[8:11], v53 offset0:4 offset1:5
	;; [unrolled: 1-line block ×3, first 2 shown]
	s_add_i32 s51, s51, 8
	s_add_i32 s53, s53, -8
	s_waitcnt lgkmcnt(0)
	s_barrier
	s_cbranch_execz .LBB121_91
.LBB121_67:                             ; =>This Inner Loop Header: Depth=1
	s_min_u32 s44, s50, s53
	v_mov_b32_e32 v61, v40
	s_lshl_b32 s44, -1, s44
	v_pk_mov_b32 v[30:31], v[0:1], v[0:1] op_sel:[0,1]
	s_not_b32 s54, s44
	v_lshrrev_b32_e32 v0, s51, v61
	v_and_b32_e32 v0, s54, v0
	v_lshl_add_u32 v1, v0, 2, v49
	v_pk_mov_b32 v[26:27], v[4:5], v[4:5] op_sel:[0,1]
	v_lshl_add_u32 v4, v1, 2, 16
	v_and_b32_e32 v1, 1, v0
	v_pk_mov_b32 v[28:29], v[2:3], v[2:3] op_sel:[0,1]
	v_add_co_u32_e32 v2, vcc, -1, v1
	v_addc_co_u32_e64 v3, s[44:45], 0, -1, vcc
	v_cmp_ne_u32_e32 vcc, 0, v1
	v_lshlrev_b32_e32 v33, 30, v0
	v_xor_b32_e32 v1, vcc_hi, v3
	v_not_b32_e32 v3, v33
	v_xor_b32_e32 v2, vcc_lo, v2
	v_cmp_gt_i64_e32 vcc, 0, v[32:33]
	v_ashrrev_i32_e32 v3, 31, v3
	v_and_b32_e32 v2, exec_lo, v2
	v_xor_b32_e32 v5, vcc_hi, v3
	v_xor_b32_e32 v3, vcc_lo, v3
	v_lshlrev_b32_e32 v33, 29, v0
	v_and_b32_e32 v2, v2, v3
	v_not_b32_e32 v3, v33
	v_and_b32_e32 v1, exec_hi, v1
	v_cmp_gt_i64_e32 vcc, 0, v[32:33]
	v_ashrrev_i32_e32 v3, 31, v3
	v_and_b32_e32 v1, v1, v5
	v_xor_b32_e32 v5, vcc_hi, v3
	v_xor_b32_e32 v3, vcc_lo, v3
	v_lshlrev_b32_e32 v33, 28, v0
	v_and_b32_e32 v2, v2, v3
	v_not_b32_e32 v3, v33
	v_cmp_gt_i64_e32 vcc, 0, v[32:33]
	v_ashrrev_i32_e32 v3, 31, v3
	v_and_b32_e32 v1, v1, v5
	v_xor_b32_e32 v5, vcc_hi, v3
	v_xor_b32_e32 v3, vcc_lo, v3
	v_lshlrev_b32_e32 v33, 27, v0
	v_and_b32_e32 v2, v2, v3
	v_not_b32_e32 v3, v33
	;; [unrolled: 8-line block ×3, first 2 shown]
	v_cmp_gt_i64_e32 vcc, 0, v[32:33]
	v_ashrrev_i32_e32 v3, 31, v3
	v_and_b32_e32 v1, v1, v5
	v_xor_b32_e32 v5, vcc_hi, v3
	v_xor_b32_e32 v3, vcc_lo, v3
	v_lshlrev_b32_e32 v33, 25, v0
	v_and_b32_e32 v2, v2, v3
	v_cmp_gt_i64_e32 vcc, 0, v[32:33]
	v_not_b32_e32 v3, v33
	v_lshlrev_b32_e32 v33, 24, v0
	v_ashrrev_i32_e32 v3, 31, v3
	v_not_b32_e32 v0, v33
	v_and_b32_e32 v1, v1, v5
	v_xor_b32_e32 v5, vcc_hi, v3
	v_xor_b32_e32 v3, vcc_lo, v3
	v_cmp_gt_i64_e32 vcc, 0, v[32:33]
	v_ashrrev_i32_e32 v0, 31, v0
	v_and_b32_e32 v2, v2, v3
	v_xor_b32_e32 v3, vcc_hi, v0
	v_xor_b32_e32 v0, vcc_lo, v0
	v_and_b32_e32 v1, v1, v5
	v_and_b32_e32 v0, v2, v0
	;; [unrolled: 1-line block ×3, first 2 shown]
	v_mbcnt_lo_u32_b32 v2, v0, 0
	v_mbcnt_hi_u32_b32 v5, v1, v2
	v_cmp_eq_u32_e32 vcc, 0, v5
	v_cmp_ne_u64_e64 s[44:45], 0, v[0:1]
	v_mov_b32_e32 v54, v47
	v_mov_b32_e32 v55, v46
	v_mov_b32_e32 v56, v45
	v_mov_b32_e32 v57, v44
	v_mov_b32_e32 v58, v43
	v_mov_b32_e32 v59, v42
	v_mov_b32_e32 v60, v41
	v_pk_mov_b32 v[16:17], v[14:15], v[14:15] op_sel:[0,1]
	v_pk_mov_b32 v[18:19], v[12:13], v[12:13] op_sel:[0,1]
	;; [unrolled: 1-line block ×5, first 2 shown]
	s_and_b64 s[56:57], s[44:45], vcc
	ds_write2_b32 v89, v32, v32 offset0:4 offset1:5
	ds_write2_b32 v48, v32, v32 offset0:2 offset1:3
	s_waitcnt lgkmcnt(0)
	s_barrier
	s_waitcnt lgkmcnt(0)
	; wave barrier
	s_and_saveexec_b64 s[44:45], s[56:57]
	s_cbranch_execz .LBB121_69
; %bb.68:                               ;   in Loop: Header=BB121_67 Depth=1
	v_bcnt_u32_b32 v0, v0, 0
	v_bcnt_u32_b32 v0, v1, v0
	ds_write_b32 v4, v0
.LBB121_69:                             ;   in Loop: Header=BB121_67 Depth=1
	s_or_b64 exec, exec, s[44:45]
	v_lshrrev_b32_e32 v0, s51, v60
	v_and_b32_e32 v0, s54, v0
	v_lshlrev_b32_e32 v1, 2, v0
	v_add_lshl_u32 v1, v1, v49, 2
	; wave barrier
	v_add_u32_e32 v7, 16, v1
	ds_read_b32 v6, v1 offset:16
	v_and_b32_e32 v1, 1, v0
	v_add_co_u32_e32 v2, vcc, -1, v1
	v_addc_co_u32_e64 v3, s[44:45], 0, -1, vcc
	v_cmp_ne_u32_e32 vcc, 0, v1
	v_lshlrev_b32_e32 v33, 30, v0
	v_xor_b32_e32 v1, vcc_hi, v3
	v_not_b32_e32 v3, v33
	v_xor_b32_e32 v2, vcc_lo, v2
	v_cmp_gt_i64_e32 vcc, 0, v[32:33]
	v_ashrrev_i32_e32 v3, 31, v3
	v_and_b32_e32 v2, exec_lo, v2
	v_xor_b32_e32 v8, vcc_hi, v3
	v_xor_b32_e32 v3, vcc_lo, v3
	v_lshlrev_b32_e32 v33, 29, v0
	v_and_b32_e32 v2, v2, v3
	v_not_b32_e32 v3, v33
	v_and_b32_e32 v1, exec_hi, v1
	v_cmp_gt_i64_e32 vcc, 0, v[32:33]
	v_ashrrev_i32_e32 v3, 31, v3
	v_and_b32_e32 v1, v1, v8
	v_xor_b32_e32 v8, vcc_hi, v3
	v_xor_b32_e32 v3, vcc_lo, v3
	v_lshlrev_b32_e32 v33, 28, v0
	v_and_b32_e32 v2, v2, v3
	v_not_b32_e32 v3, v33
	v_cmp_gt_i64_e32 vcc, 0, v[32:33]
	v_ashrrev_i32_e32 v3, 31, v3
	v_and_b32_e32 v1, v1, v8
	v_xor_b32_e32 v8, vcc_hi, v3
	v_xor_b32_e32 v3, vcc_lo, v3
	v_lshlrev_b32_e32 v33, 27, v0
	v_and_b32_e32 v2, v2, v3
	v_not_b32_e32 v3, v33
	;; [unrolled: 8-line block ×3, first 2 shown]
	v_cmp_gt_i64_e32 vcc, 0, v[32:33]
	v_ashrrev_i32_e32 v3, 31, v3
	v_and_b32_e32 v1, v1, v8
	v_xor_b32_e32 v8, vcc_hi, v3
	v_xor_b32_e32 v3, vcc_lo, v3
	v_lshlrev_b32_e32 v33, 25, v0
	v_and_b32_e32 v2, v2, v3
	v_cmp_gt_i64_e32 vcc, 0, v[32:33]
	v_not_b32_e32 v3, v33
	v_lshlrev_b32_e32 v33, 24, v0
	v_ashrrev_i32_e32 v3, 31, v3
	v_not_b32_e32 v0, v33
	v_and_b32_e32 v1, v1, v8
	v_xor_b32_e32 v8, vcc_hi, v3
	v_xor_b32_e32 v3, vcc_lo, v3
	v_cmp_gt_i64_e32 vcc, 0, v[32:33]
	v_ashrrev_i32_e32 v0, 31, v0
	v_and_b32_e32 v2, v2, v3
	v_xor_b32_e32 v3, vcc_hi, v0
	v_xor_b32_e32 v0, vcc_lo, v0
	v_and_b32_e32 v1, v1, v8
	v_and_b32_e32 v0, v2, v0
	;; [unrolled: 1-line block ×3, first 2 shown]
	v_mbcnt_lo_u32_b32 v2, v0, 0
	v_mbcnt_hi_u32_b32 v8, v1, v2
	v_cmp_eq_u32_e32 vcc, 0, v8
	v_cmp_ne_u64_e64 s[44:45], 0, v[0:1]
	s_and_b64 s[56:57], s[44:45], vcc
	; wave barrier
	s_and_saveexec_b64 s[44:45], s[56:57]
	s_cbranch_execz .LBB121_71
; %bb.70:                               ;   in Loop: Header=BB121_67 Depth=1
	v_bcnt_u32_b32 v0, v0, 0
	v_bcnt_u32_b32 v0, v1, v0
	s_waitcnt lgkmcnt(0)
	v_add_u32_e32 v0, v6, v0
	ds_write_b32 v7, v0
.LBB121_71:                             ;   in Loop: Header=BB121_67 Depth=1
	s_or_b64 exec, exec, s[44:45]
	v_lshrrev_b32_e32 v0, s51, v59
	v_and_b32_e32 v0, s54, v0
	v_lshlrev_b32_e32 v1, 2, v0
	v_add_lshl_u32 v1, v1, v49, 2
	; wave barrier
	v_add_u32_e32 v10, 16, v1
	ds_read_b32 v9, v1 offset:16
	v_and_b32_e32 v1, 1, v0
	v_add_co_u32_e32 v2, vcc, -1, v1
	v_addc_co_u32_e64 v3, s[44:45], 0, -1, vcc
	v_cmp_ne_u32_e32 vcc, 0, v1
	v_lshlrev_b32_e32 v33, 30, v0
	v_xor_b32_e32 v1, vcc_hi, v3
	v_not_b32_e32 v3, v33
	v_xor_b32_e32 v2, vcc_lo, v2
	v_cmp_gt_i64_e32 vcc, 0, v[32:33]
	v_ashrrev_i32_e32 v3, 31, v3
	v_and_b32_e32 v2, exec_lo, v2
	v_xor_b32_e32 v11, vcc_hi, v3
	v_xor_b32_e32 v3, vcc_lo, v3
	v_lshlrev_b32_e32 v33, 29, v0
	v_and_b32_e32 v2, v2, v3
	v_not_b32_e32 v3, v33
	v_and_b32_e32 v1, exec_hi, v1
	v_cmp_gt_i64_e32 vcc, 0, v[32:33]
	v_ashrrev_i32_e32 v3, 31, v3
	v_and_b32_e32 v1, v1, v11
	v_xor_b32_e32 v11, vcc_hi, v3
	v_xor_b32_e32 v3, vcc_lo, v3
	v_lshlrev_b32_e32 v33, 28, v0
	v_and_b32_e32 v2, v2, v3
	v_not_b32_e32 v3, v33
	v_cmp_gt_i64_e32 vcc, 0, v[32:33]
	v_ashrrev_i32_e32 v3, 31, v3
	v_and_b32_e32 v1, v1, v11
	v_xor_b32_e32 v11, vcc_hi, v3
	v_xor_b32_e32 v3, vcc_lo, v3
	v_lshlrev_b32_e32 v33, 27, v0
	v_and_b32_e32 v2, v2, v3
	v_not_b32_e32 v3, v33
	;; [unrolled: 8-line block ×3, first 2 shown]
	v_cmp_gt_i64_e32 vcc, 0, v[32:33]
	v_ashrrev_i32_e32 v3, 31, v3
	v_and_b32_e32 v1, v1, v11
	v_xor_b32_e32 v11, vcc_hi, v3
	v_xor_b32_e32 v3, vcc_lo, v3
	v_lshlrev_b32_e32 v33, 25, v0
	v_and_b32_e32 v2, v2, v3
	v_cmp_gt_i64_e32 vcc, 0, v[32:33]
	v_not_b32_e32 v3, v33
	v_lshlrev_b32_e32 v33, 24, v0
	v_ashrrev_i32_e32 v3, 31, v3
	v_not_b32_e32 v0, v33
	v_and_b32_e32 v1, v1, v11
	v_xor_b32_e32 v11, vcc_hi, v3
	v_xor_b32_e32 v3, vcc_lo, v3
	v_cmp_gt_i64_e32 vcc, 0, v[32:33]
	v_ashrrev_i32_e32 v0, 31, v0
	v_and_b32_e32 v2, v2, v3
	v_xor_b32_e32 v3, vcc_hi, v0
	v_xor_b32_e32 v0, vcc_lo, v0
	v_and_b32_e32 v1, v1, v11
	v_and_b32_e32 v0, v2, v0
	;; [unrolled: 1-line block ×3, first 2 shown]
	v_mbcnt_lo_u32_b32 v2, v0, 0
	v_mbcnt_hi_u32_b32 v11, v1, v2
	v_cmp_eq_u32_e32 vcc, 0, v11
	v_cmp_ne_u64_e64 s[44:45], 0, v[0:1]
	s_and_b64 s[56:57], s[44:45], vcc
	; wave barrier
	s_and_saveexec_b64 s[44:45], s[56:57]
	s_cbranch_execz .LBB121_73
; %bb.72:                               ;   in Loop: Header=BB121_67 Depth=1
	v_bcnt_u32_b32 v0, v0, 0
	v_bcnt_u32_b32 v0, v1, v0
	s_waitcnt lgkmcnt(0)
	v_add_u32_e32 v0, v9, v0
	ds_write_b32 v10, v0
.LBB121_73:                             ;   in Loop: Header=BB121_67 Depth=1
	s_or_b64 exec, exec, s[44:45]
	v_lshrrev_b32_e32 v0, s51, v58
	v_and_b32_e32 v0, s54, v0
	v_lshlrev_b32_e32 v1, 2, v0
	v_add_lshl_u32 v1, v1, v49, 2
	; wave barrier
	v_add_u32_e32 v13, 16, v1
	ds_read_b32 v12, v1 offset:16
	v_and_b32_e32 v1, 1, v0
	v_add_co_u32_e32 v2, vcc, -1, v1
	v_addc_co_u32_e64 v3, s[44:45], 0, -1, vcc
	v_cmp_ne_u32_e32 vcc, 0, v1
	v_lshlrev_b32_e32 v33, 30, v0
	v_xor_b32_e32 v1, vcc_hi, v3
	v_not_b32_e32 v3, v33
	v_xor_b32_e32 v2, vcc_lo, v2
	v_cmp_gt_i64_e32 vcc, 0, v[32:33]
	v_ashrrev_i32_e32 v3, 31, v3
	v_and_b32_e32 v2, exec_lo, v2
	v_xor_b32_e32 v14, vcc_hi, v3
	v_xor_b32_e32 v3, vcc_lo, v3
	v_lshlrev_b32_e32 v33, 29, v0
	v_and_b32_e32 v2, v2, v3
	v_not_b32_e32 v3, v33
	v_and_b32_e32 v1, exec_hi, v1
	v_cmp_gt_i64_e32 vcc, 0, v[32:33]
	v_ashrrev_i32_e32 v3, 31, v3
	v_and_b32_e32 v1, v1, v14
	v_xor_b32_e32 v14, vcc_hi, v3
	v_xor_b32_e32 v3, vcc_lo, v3
	v_lshlrev_b32_e32 v33, 28, v0
	v_and_b32_e32 v2, v2, v3
	v_not_b32_e32 v3, v33
	v_cmp_gt_i64_e32 vcc, 0, v[32:33]
	v_ashrrev_i32_e32 v3, 31, v3
	v_and_b32_e32 v1, v1, v14
	v_xor_b32_e32 v14, vcc_hi, v3
	v_xor_b32_e32 v3, vcc_lo, v3
	v_lshlrev_b32_e32 v33, 27, v0
	v_and_b32_e32 v2, v2, v3
	v_not_b32_e32 v3, v33
	;; [unrolled: 8-line block ×3, first 2 shown]
	v_cmp_gt_i64_e32 vcc, 0, v[32:33]
	v_ashrrev_i32_e32 v3, 31, v3
	v_and_b32_e32 v1, v1, v14
	v_xor_b32_e32 v14, vcc_hi, v3
	v_xor_b32_e32 v3, vcc_lo, v3
	v_lshlrev_b32_e32 v33, 25, v0
	v_and_b32_e32 v2, v2, v3
	v_cmp_gt_i64_e32 vcc, 0, v[32:33]
	v_not_b32_e32 v3, v33
	v_lshlrev_b32_e32 v33, 24, v0
	v_ashrrev_i32_e32 v3, 31, v3
	v_not_b32_e32 v0, v33
	v_and_b32_e32 v1, v1, v14
	v_xor_b32_e32 v14, vcc_hi, v3
	v_xor_b32_e32 v3, vcc_lo, v3
	v_cmp_gt_i64_e32 vcc, 0, v[32:33]
	v_ashrrev_i32_e32 v0, 31, v0
	v_and_b32_e32 v2, v2, v3
	v_xor_b32_e32 v3, vcc_hi, v0
	v_xor_b32_e32 v0, vcc_lo, v0
	v_and_b32_e32 v1, v1, v14
	v_and_b32_e32 v0, v2, v0
	;; [unrolled: 1-line block ×3, first 2 shown]
	v_mbcnt_lo_u32_b32 v2, v0, 0
	v_mbcnt_hi_u32_b32 v14, v1, v2
	v_cmp_eq_u32_e32 vcc, 0, v14
	v_cmp_ne_u64_e64 s[44:45], 0, v[0:1]
	s_and_b64 s[56:57], s[44:45], vcc
	; wave barrier
	s_and_saveexec_b64 s[44:45], s[56:57]
	s_cbranch_execz .LBB121_75
; %bb.74:                               ;   in Loop: Header=BB121_67 Depth=1
	v_bcnt_u32_b32 v0, v0, 0
	v_bcnt_u32_b32 v0, v1, v0
	s_waitcnt lgkmcnt(0)
	v_add_u32_e32 v0, v12, v0
	ds_write_b32 v13, v0
.LBB121_75:                             ;   in Loop: Header=BB121_67 Depth=1
	s_or_b64 exec, exec, s[44:45]
	v_lshrrev_b32_e32 v0, s51, v57
	v_and_b32_e32 v0, s54, v0
	v_lshlrev_b32_e32 v1, 2, v0
	v_add_lshl_u32 v1, v1, v49, 2
	; wave barrier
	v_add_u32_e32 v40, 16, v1
	ds_read_b32 v15, v1 offset:16
	v_and_b32_e32 v1, 1, v0
	v_add_co_u32_e32 v2, vcc, -1, v1
	v_addc_co_u32_e64 v3, s[44:45], 0, -1, vcc
	v_cmp_ne_u32_e32 vcc, 0, v1
	v_lshlrev_b32_e32 v33, 30, v0
	v_xor_b32_e32 v1, vcc_hi, v3
	v_not_b32_e32 v3, v33
	v_xor_b32_e32 v2, vcc_lo, v2
	v_cmp_gt_i64_e32 vcc, 0, v[32:33]
	v_ashrrev_i32_e32 v3, 31, v3
	v_and_b32_e32 v1, exec_hi, v1
	v_xor_b32_e32 v33, vcc_hi, v3
	v_and_b32_e32 v2, exec_lo, v2
	v_xor_b32_e32 v3, vcc_lo, v3
	v_and_b32_e32 v1, v1, v33
	v_lshlrev_b32_e32 v33, 29, v0
	v_and_b32_e32 v2, v2, v3
	v_not_b32_e32 v3, v33
	v_cmp_gt_i64_e32 vcc, 0, v[32:33]
	v_ashrrev_i32_e32 v3, 31, v3
	v_xor_b32_e32 v33, vcc_hi, v3
	v_xor_b32_e32 v3, vcc_lo, v3
	v_and_b32_e32 v1, v1, v33
	v_lshlrev_b32_e32 v33, 28, v0
	v_and_b32_e32 v2, v2, v3
	v_not_b32_e32 v3, v33
	v_cmp_gt_i64_e32 vcc, 0, v[32:33]
	v_ashrrev_i32_e32 v3, 31, v3
	v_xor_b32_e32 v33, vcc_hi, v3
	;; [unrolled: 8-line block ×5, first 2 shown]
	v_and_b32_e32 v1, v1, v33
	v_lshlrev_b32_e32 v33, 24, v0
	v_not_b32_e32 v0, v33
	v_xor_b32_e32 v3, vcc_lo, v3
	v_cmp_gt_i64_e32 vcc, 0, v[32:33]
	v_ashrrev_i32_e32 v0, 31, v0
	v_and_b32_e32 v2, v2, v3
	v_xor_b32_e32 v3, vcc_hi, v0
	v_xor_b32_e32 v0, vcc_lo, v0
	v_and_b32_e32 v0, v2, v0
	v_and_b32_e32 v1, v1, v3
	v_mbcnt_lo_u32_b32 v2, v0, 0
	v_mbcnt_hi_u32_b32 v41, v1, v2
	v_cmp_eq_u32_e32 vcc, 0, v41
	v_cmp_ne_u64_e64 s[44:45], 0, v[0:1]
	s_and_b64 s[56:57], s[44:45], vcc
	; wave barrier
	s_and_saveexec_b64 s[44:45], s[56:57]
	s_cbranch_execz .LBB121_77
; %bb.76:                               ;   in Loop: Header=BB121_67 Depth=1
	v_bcnt_u32_b32 v0, v0, 0
	v_bcnt_u32_b32 v0, v1, v0
	s_waitcnt lgkmcnt(0)
	v_add_u32_e32 v0, v15, v0
	ds_write_b32 v40, v0
.LBB121_77:                             ;   in Loop: Header=BB121_67 Depth=1
	s_or_b64 exec, exec, s[44:45]
	v_lshrrev_b32_e32 v0, s51, v56
	v_and_b32_e32 v0, s54, v0
	v_lshlrev_b32_e32 v1, 2, v0
	v_add_lshl_u32 v1, v1, v49, 2
	; wave barrier
	v_add_u32_e32 v43, 16, v1
	ds_read_b32 v42, v1 offset:16
	v_and_b32_e32 v1, 1, v0
	v_add_co_u32_e32 v2, vcc, -1, v1
	v_addc_co_u32_e64 v3, s[44:45], 0, -1, vcc
	v_cmp_ne_u32_e32 vcc, 0, v1
	v_lshlrev_b32_e32 v33, 30, v0
	v_xor_b32_e32 v1, vcc_hi, v3
	v_not_b32_e32 v3, v33
	v_xor_b32_e32 v2, vcc_lo, v2
	v_cmp_gt_i64_e32 vcc, 0, v[32:33]
	v_ashrrev_i32_e32 v3, 31, v3
	v_and_b32_e32 v1, exec_hi, v1
	v_xor_b32_e32 v33, vcc_hi, v3
	v_and_b32_e32 v2, exec_lo, v2
	v_xor_b32_e32 v3, vcc_lo, v3
	v_and_b32_e32 v1, v1, v33
	v_lshlrev_b32_e32 v33, 29, v0
	v_and_b32_e32 v2, v2, v3
	v_not_b32_e32 v3, v33
	v_cmp_gt_i64_e32 vcc, 0, v[32:33]
	v_ashrrev_i32_e32 v3, 31, v3
	v_xor_b32_e32 v33, vcc_hi, v3
	v_xor_b32_e32 v3, vcc_lo, v3
	v_and_b32_e32 v1, v1, v33
	v_lshlrev_b32_e32 v33, 28, v0
	v_and_b32_e32 v2, v2, v3
	v_not_b32_e32 v3, v33
	v_cmp_gt_i64_e32 vcc, 0, v[32:33]
	v_ashrrev_i32_e32 v3, 31, v3
	v_xor_b32_e32 v33, vcc_hi, v3
	;; [unrolled: 8-line block ×5, first 2 shown]
	v_and_b32_e32 v1, v1, v33
	v_lshlrev_b32_e32 v33, 24, v0
	v_not_b32_e32 v0, v33
	v_xor_b32_e32 v3, vcc_lo, v3
	v_cmp_gt_i64_e32 vcc, 0, v[32:33]
	v_ashrrev_i32_e32 v0, 31, v0
	v_and_b32_e32 v2, v2, v3
	v_xor_b32_e32 v3, vcc_hi, v0
	v_xor_b32_e32 v0, vcc_lo, v0
	v_and_b32_e32 v0, v2, v0
	v_and_b32_e32 v1, v1, v3
	v_mbcnt_lo_u32_b32 v2, v0, 0
	v_mbcnt_hi_u32_b32 v44, v1, v2
	v_cmp_eq_u32_e32 vcc, 0, v44
	v_cmp_ne_u64_e64 s[44:45], 0, v[0:1]
	s_and_b64 s[56:57], s[44:45], vcc
	; wave barrier
	s_and_saveexec_b64 s[44:45], s[56:57]
	s_cbranch_execz .LBB121_79
; %bb.78:                               ;   in Loop: Header=BB121_67 Depth=1
	v_bcnt_u32_b32 v0, v0, 0
	v_bcnt_u32_b32 v0, v1, v0
	s_waitcnt lgkmcnt(0)
	v_add_u32_e32 v0, v42, v0
	ds_write_b32 v43, v0
.LBB121_79:                             ;   in Loop: Header=BB121_67 Depth=1
	s_or_b64 exec, exec, s[44:45]
	v_lshrrev_b32_e32 v0, s51, v55
	v_and_b32_e32 v0, s54, v0
	v_lshlrev_b32_e32 v1, 2, v0
	v_add_lshl_u32 v1, v1, v49, 2
	; wave barrier
	v_add_u32_e32 v46, 16, v1
	ds_read_b32 v45, v1 offset:16
	v_and_b32_e32 v1, 1, v0
	v_add_co_u32_e32 v2, vcc, -1, v1
	v_addc_co_u32_e64 v3, s[44:45], 0, -1, vcc
	v_cmp_ne_u32_e32 vcc, 0, v1
	v_lshlrev_b32_e32 v33, 30, v0
	v_xor_b32_e32 v1, vcc_hi, v3
	v_not_b32_e32 v3, v33
	v_xor_b32_e32 v2, vcc_lo, v2
	v_cmp_gt_i64_e32 vcc, 0, v[32:33]
	v_ashrrev_i32_e32 v3, 31, v3
	v_and_b32_e32 v1, exec_hi, v1
	v_xor_b32_e32 v33, vcc_hi, v3
	v_and_b32_e32 v2, exec_lo, v2
	v_xor_b32_e32 v3, vcc_lo, v3
	v_and_b32_e32 v1, v1, v33
	v_lshlrev_b32_e32 v33, 29, v0
	v_and_b32_e32 v2, v2, v3
	v_not_b32_e32 v3, v33
	v_cmp_gt_i64_e32 vcc, 0, v[32:33]
	v_ashrrev_i32_e32 v3, 31, v3
	v_xor_b32_e32 v33, vcc_hi, v3
	v_xor_b32_e32 v3, vcc_lo, v3
	v_and_b32_e32 v1, v1, v33
	v_lshlrev_b32_e32 v33, 28, v0
	v_and_b32_e32 v2, v2, v3
	v_not_b32_e32 v3, v33
	v_cmp_gt_i64_e32 vcc, 0, v[32:33]
	v_ashrrev_i32_e32 v3, 31, v3
	v_xor_b32_e32 v33, vcc_hi, v3
	;; [unrolled: 8-line block ×5, first 2 shown]
	v_and_b32_e32 v1, v1, v33
	v_lshlrev_b32_e32 v33, 24, v0
	v_not_b32_e32 v0, v33
	v_xor_b32_e32 v3, vcc_lo, v3
	v_cmp_gt_i64_e32 vcc, 0, v[32:33]
	v_ashrrev_i32_e32 v0, 31, v0
	v_and_b32_e32 v2, v2, v3
	v_xor_b32_e32 v3, vcc_hi, v0
	v_xor_b32_e32 v0, vcc_lo, v0
	v_and_b32_e32 v0, v2, v0
	v_and_b32_e32 v1, v1, v3
	v_mbcnt_lo_u32_b32 v2, v0, 0
	v_mbcnt_hi_u32_b32 v47, v1, v2
	v_cmp_eq_u32_e32 vcc, 0, v47
	v_cmp_ne_u64_e64 s[44:45], 0, v[0:1]
	s_and_b64 s[56:57], s[44:45], vcc
	; wave barrier
	s_and_saveexec_b64 s[44:45], s[56:57]
	s_cbranch_execz .LBB121_81
; %bb.80:                               ;   in Loop: Header=BB121_67 Depth=1
	v_bcnt_u32_b32 v0, v0, 0
	v_bcnt_u32_b32 v0, v1, v0
	s_waitcnt lgkmcnt(0)
	v_add_u32_e32 v0, v45, v0
	ds_write_b32 v46, v0
.LBB121_81:                             ;   in Loop: Header=BB121_67 Depth=1
	s_or_b64 exec, exec, s[44:45]
	v_lshrrev_b32_e32 v0, s51, v54
	v_and_b32_e32 v0, s54, v0
	v_lshlrev_b32_e32 v1, 2, v0
	v_add_lshl_u32 v1, v1, v49, 2
	; wave barrier
	v_add_u32_e32 v63, 16, v1
	ds_read_b32 v62, v1 offset:16
	v_and_b32_e32 v1, 1, v0
	v_add_co_u32_e32 v2, vcc, -1, v1
	v_addc_co_u32_e64 v3, s[44:45], 0, -1, vcc
	v_cmp_ne_u32_e32 vcc, 0, v1
	v_lshlrev_b32_e32 v33, 30, v0
	v_xor_b32_e32 v1, vcc_hi, v3
	v_not_b32_e32 v3, v33
	v_xor_b32_e32 v2, vcc_lo, v2
	v_cmp_gt_i64_e32 vcc, 0, v[32:33]
	v_ashrrev_i32_e32 v3, 31, v3
	v_and_b32_e32 v1, exec_hi, v1
	v_xor_b32_e32 v33, vcc_hi, v3
	v_and_b32_e32 v2, exec_lo, v2
	v_xor_b32_e32 v3, vcc_lo, v3
	v_and_b32_e32 v1, v1, v33
	v_lshlrev_b32_e32 v33, 29, v0
	v_and_b32_e32 v2, v2, v3
	v_not_b32_e32 v3, v33
	v_cmp_gt_i64_e32 vcc, 0, v[32:33]
	v_ashrrev_i32_e32 v3, 31, v3
	v_xor_b32_e32 v33, vcc_hi, v3
	v_xor_b32_e32 v3, vcc_lo, v3
	v_and_b32_e32 v1, v1, v33
	v_lshlrev_b32_e32 v33, 28, v0
	v_and_b32_e32 v2, v2, v3
	v_not_b32_e32 v3, v33
	v_cmp_gt_i64_e32 vcc, 0, v[32:33]
	v_ashrrev_i32_e32 v3, 31, v3
	v_xor_b32_e32 v33, vcc_hi, v3
	;; [unrolled: 8-line block ×5, first 2 shown]
	v_and_b32_e32 v1, v1, v33
	v_lshlrev_b32_e32 v33, 24, v0
	v_not_b32_e32 v0, v33
	v_xor_b32_e32 v3, vcc_lo, v3
	v_cmp_gt_i64_e32 vcc, 0, v[32:33]
	v_ashrrev_i32_e32 v0, 31, v0
	v_and_b32_e32 v2, v2, v3
	v_xor_b32_e32 v3, vcc_hi, v0
	v_xor_b32_e32 v0, vcc_lo, v0
	v_and_b32_e32 v0, v2, v0
	v_and_b32_e32 v1, v1, v3
	v_mbcnt_lo_u32_b32 v2, v0, 0
	v_mbcnt_hi_u32_b32 v69, v1, v2
	v_cmp_eq_u32_e32 vcc, 0, v69
	v_cmp_ne_u64_e64 s[44:45], 0, v[0:1]
	s_and_b64 s[54:55], s[44:45], vcc
	; wave barrier
	s_and_saveexec_b64 s[44:45], s[54:55]
	s_cbranch_execz .LBB121_83
; %bb.82:                               ;   in Loop: Header=BB121_67 Depth=1
	v_bcnt_u32_b32 v0, v0, 0
	v_bcnt_u32_b32 v0, v1, v0
	s_waitcnt lgkmcnt(0)
	v_add_u32_e32 v0, v62, v0
	ds_write_b32 v63, v0
.LBB121_83:                             ;   in Loop: Header=BB121_67 Depth=1
	s_or_b64 exec, exec, s[44:45]
	; wave barrier
	s_waitcnt lgkmcnt(0)
	s_barrier
	ds_read2_b32 v[2:3], v89 offset0:4 offset1:5
	ds_read2_b32 v[0:1], v48 offset0:2 offset1:3
	s_waitcnt lgkmcnt(1)
	v_add_u32_e32 v33, v3, v2
	s_waitcnt lgkmcnt(0)
	v_add3_u32 v1, v33, v0, v1
	s_nop 1
	v_mov_b32_dpp v33, v1 row_shr:1 row_mask:0xf bank_mask:0xf
	v_cndmask_b32_e64 v33, v33, 0, s[16:17]
	v_add_u32_e32 v1, v33, v1
	s_nop 1
	v_mov_b32_dpp v33, v1 row_shr:2 row_mask:0xf bank_mask:0xf
	v_cndmask_b32_e64 v33, 0, v33, s[18:19]
	v_add_u32_e32 v1, v1, v33
	;; [unrolled: 4-line block ×4, first 2 shown]
	s_nop 1
	v_mov_b32_dpp v33, v1 row_bcast:15 row_mask:0xf bank_mask:0xf
	v_cndmask_b32_e64 v33, v33, 0, s[24:25]
	v_add_u32_e32 v1, v1, v33
	s_nop 1
	v_mov_b32_dpp v33, v1 row_bcast:31 row_mask:0xf bank_mask:0xf
	v_cndmask_b32_e64 v33, 0, v33, s[26:27]
	v_add_u32_e32 v1, v1, v33
	s_and_saveexec_b64 s[44:45], s[28:29]
	s_cbranch_execz .LBB121_85
; %bb.84:                               ;   in Loop: Header=BB121_67 Depth=1
	ds_write_b32 v38, v1
.LBB121_85:                             ;   in Loop: Header=BB121_67 Depth=1
	s_or_b64 exec, exec, s[44:45]
	s_waitcnt lgkmcnt(0)
	s_barrier
	s_and_saveexec_b64 s[44:45], s[30:31]
	s_cbranch_execz .LBB121_87
; %bb.86:                               ;   in Loop: Header=BB121_67 Depth=1
	ds_read_b32 v33, v88
	s_waitcnt lgkmcnt(0)
	s_nop 0
	v_mov_b32_dpp v64, v33 row_shr:1 row_mask:0xf bank_mask:0xf
	v_cndmask_b32_e64 v64, v64, 0, s[40:41]
	v_add_u32_e32 v33, v64, v33
	s_nop 1
	v_mov_b32_dpp v64, v33 row_shr:2 row_mask:0xf bank_mask:0xf
	v_cndmask_b32_e64 v64, 0, v64, s[42:43]
	v_add_u32_e32 v33, v33, v64
	ds_write_b32 v88, v33
.LBB121_87:                             ;   in Loop: Header=BB121_67 Depth=1
	s_or_b64 exec, exec, s[44:45]
	v_mov_b32_e32 v33, 0
	s_waitcnt lgkmcnt(0)
	s_barrier
	s_and_saveexec_b64 s[44:45], s[34:35]
	s_cbranch_execz .LBB121_89
; %bb.88:                               ;   in Loop: Header=BB121_67 Depth=1
	ds_read_b32 v33, v51
.LBB121_89:                             ;   in Loop: Header=BB121_67 Depth=1
	s_or_b64 exec, exec, s[44:45]
	s_waitcnt lgkmcnt(0)
	v_add_u32_e32 v1, v33, v1
	ds_bpermute_b32 v1, v50, v1
	s_cmp_gt_u32 s51, 23
	s_waitcnt lgkmcnt(0)
	v_cndmask_b32_e64 v1, v1, v33, s[36:37]
	v_cndmask_b32_e64 v1, v1, 0, s[38:39]
	v_add_u32_e32 v2, v1, v2
	v_add_u32_e32 v3, v2, v3
	;; [unrolled: 1-line block ×3, first 2 shown]
	ds_write2_b32 v89, v1, v2 offset0:4 offset1:5
	ds_write2_b32 v48, v3, v0 offset0:2 offset1:3
	s_waitcnt lgkmcnt(0)
	s_barrier
	ds_read_b32 v0, v4
	ds_read_b32 v1, v7
	;; [unrolled: 1-line block ×8, first 2 shown]
	s_waitcnt lgkmcnt(7)
	v_add_u32_e32 v33, v0, v5
	s_waitcnt lgkmcnt(6)
	v_add3_u32 v63, v8, v6, v1
	s_waitcnt lgkmcnt(5)
	v_add3_u32 v64, v11, v9, v2
	s_waitcnt lgkmcnt(4)
	v_add3_u32 v65, v14, v12, v3
	s_waitcnt lgkmcnt(3)
	v_add3_u32 v66, v41, v15, v4
	s_waitcnt lgkmcnt(2)
	v_add3_u32 v67, v44, v42, v7
	s_waitcnt lgkmcnt(1)
	v_add3_u32 v68, v47, v45, v10
	s_waitcnt lgkmcnt(0)
	v_add3_u32 v62, v69, v62, v13
	s_cbranch_scc0 .LBB121_66
; %bb.90:
                                        ; implicit-def: $vgpr47
                                        ; implicit-def: $vgpr45
                                        ; implicit-def: $vgpr43
                                        ; implicit-def: $vgpr41
                                        ; implicit-def: $vgpr14_vgpr15
                                        ; implicit-def: $vgpr10_vgpr11
                                        ; implicit-def: $vgpr6_vgpr7
                                        ; implicit-def: $vgpr2_vgpr3
                                        ; implicit-def: $sgpr51
                                        ; implicit-def: $sgpr53
.LBB121_91:
	v_lshlrev_b32_e32 v0, 2, v33
	s_barrier
	ds_write_b32 v0, v61
	v_lshlrev_b32_e32 v0, 2, v63
	ds_write_b32 v0, v60
	v_lshlrev_b32_e32 v0, 2, v64
	;; [unrolled: 2-line block ×7, first 2 shown]
	v_lshlrev_b32_e32 v6, 2, v87
	v_lshlrev_b32_e32 v8, 3, v33
	;; [unrolled: 1-line block ×3, first 2 shown]
	ds_write_b32 v0, v54
	s_waitcnt lgkmcnt(0)
	s_barrier
	v_lshlrev_b32_e32 v9, 3, v63
	v_lshlrev_b32_e32 v10, 3, v64
	;; [unrolled: 1-line block ×7, first 2 shown]
	ds_read2_b32 v[0:1], v6 offset1:1
	ds_read2_b32 v[2:3], v6 offset0:2 offset1:3
	ds_read2_b32 v[4:5], v6 offset0:4 offset1:5
	;; [unrolled: 1-line block ×3, first 2 shown]
	s_waitcnt lgkmcnt(0)
	s_barrier
	ds_write_b64 v8, v[30:31]
	ds_write_b64 v9, v[28:29]
	;; [unrolled: 1-line block ×8, first 2 shown]
	s_waitcnt lgkmcnt(0)
	s_barrier
	ds_read2_b64 v[18:21], v32 offset1:1
	ds_read2_b64 v[22:25], v32 offset0:2 offset1:3
	ds_read2_b64 v[26:29], v32 offset0:4 offset1:5
	;; [unrolled: 1-line block ×3, first 2 shown]
	v_xor_b32_e32 v62, 0x7fffffff, v0
	v_xor_b32_e32 v64, 0x7fffffff, v1
	;; [unrolled: 1-line block ×8, first 2 shown]
.LBB121_92:
	s_waitcnt lgkmcnt(0)
	s_barrier
	ds_write2_b32 v78, v62, v64 offset1:1
	ds_write2_b32 v78, v63, v65 offset0:2 offset1:3
	ds_write2_b32 v78, v66, v0 offset0:4 offset1:5
	;; [unrolled: 1-line block ×3, first 2 shown]
	s_waitcnt lgkmcnt(0)
	s_barrier
	ds_read_b32 v8, v35 offset:1024
	ds_read_b32 v7, v72 offset:2048
	;; [unrolled: 1-line block ×7, first 2 shown]
	v_mov_b32_e32 v35, 0
	v_lshlrev_b64 v[0:1], 2, v[34:35]
	v_mov_b32_e32 v9, s47
	v_add_co_u32_e32 v0, vcc, s33, v0
	v_addc_co_u32_e32 v1, vcc, v9, v1, vcc
	s_and_saveexec_b64 s[16:17], s[0:1]
	s_cbranch_execnz .LBB121_111
; %bb.93:
	s_or_b64 exec, exec, s[16:17]
	s_and_saveexec_b64 s[16:17], s[2:3]
	s_cbranch_execnz .LBB121_112
.LBB121_94:
	s_or_b64 exec, exec, s[16:17]
	s_and_saveexec_b64 s[16:17], s[4:5]
	s_cbranch_execnz .LBB121_113
.LBB121_95:
	s_or_b64 exec, exec, s[16:17]
	s_and_saveexec_b64 s[16:17], s[6:7]
	s_cbranch_execnz .LBB121_114
.LBB121_96:
	s_or_b64 exec, exec, s[16:17]
	s_and_saveexec_b64 s[16:17], s[8:9]
	s_cbranch_execnz .LBB121_115
.LBB121_97:
	s_or_b64 exec, exec, s[16:17]
	s_and_saveexec_b64 s[16:17], s[10:11]
	s_cbranch_execnz .LBB121_116
.LBB121_98:
	s_or_b64 exec, exec, s[16:17]
	s_and_saveexec_b64 s[16:17], s[12:13]
	s_cbranch_execnz .LBB121_117
.LBB121_99:
	s_or_b64 exec, exec, s[16:17]
	s_and_saveexec_b64 s[16:17], s[14:15]
	s_cbranch_execz .LBB121_101
.LBB121_100:
	s_mul_i32 s18, s46, 0x700
	s_mov_b32 s19, 0
	s_lshl_b64 s[18:19], s[18:19], 2
	s_waitcnt lgkmcnt(1)
	v_mov_b32_e32 v3, s19
	v_add_co_u32_e32 v0, vcc, s18, v0
	v_addc_co_u32_e32 v1, vcc, v1, v3, vcc
	s_waitcnt lgkmcnt(0)
	global_store_dword v[0:1], v2, off
.LBB121_101:
	s_or_b64 exec, exec, s[16:17]
	s_waitcnt lgkmcnt(0)
	s_barrier
	ds_write2_b64 v86, v[18:19], v[20:21] offset1:1
	ds_write2_b64 v86, v[22:23], v[24:25] offset0:2 offset1:3
	ds_write2_b64 v86, v[26:27], v[28:29] offset0:4 offset1:5
	;; [unrolled: 1-line block ×3, first 2 shown]
	s_waitcnt lgkmcnt(0)
	s_barrier
	ds_read_b64 v[14:15], v37 offset:2048
	ds_read_b64 v[12:13], v80 offset:4096
	;; [unrolled: 1-line block ×7, first 2 shown]
	v_mov_b32_e32 v37, 0
	v_lshlrev_b64 v[2:3], 3, v[36:37]
	v_mov_b32_e32 v16, s52
	v_add_co_u32_e32 v2, vcc, s49, v2
	v_addc_co_u32_e32 v3, vcc, v16, v3, vcc
	s_and_saveexec_b64 s[16:17], s[0:1]
	s_cbranch_execnz .LBB121_118
; %bb.102:
	s_or_b64 exec, exec, s[16:17]
	s_and_saveexec_b64 s[0:1], s[2:3]
	s_cbranch_execnz .LBB121_119
.LBB121_103:
	s_or_b64 exec, exec, s[0:1]
	s_and_saveexec_b64 s[0:1], s[4:5]
	s_cbranch_execnz .LBB121_120
.LBB121_104:
	s_or_b64 exec, exec, s[0:1]
	s_and_saveexec_b64 s[0:1], s[6:7]
	s_cbranch_execnz .LBB121_121
.LBB121_105:
	s_or_b64 exec, exec, s[0:1]
	s_and_saveexec_b64 s[0:1], s[8:9]
	s_cbranch_execnz .LBB121_122
.LBB121_106:
	s_or_b64 exec, exec, s[0:1]
	s_and_saveexec_b64 s[0:1], s[10:11]
	s_cbranch_execnz .LBB121_123
.LBB121_107:
	s_or_b64 exec, exec, s[0:1]
	s_and_saveexec_b64 s[0:1], s[12:13]
	s_cbranch_execnz .LBB121_124
.LBB121_108:
	s_or_b64 exec, exec, s[0:1]
	s_and_saveexec_b64 s[0:1], s[14:15]
	s_cbranch_execz .LBB121_110
.LBB121_109:
	s_mul_i32 s0, s48, 0x700
	s_mov_b32 s1, 0
	s_lshl_b64 s[0:1], s[0:1], 3
	s_waitcnt lgkmcnt(1)
	v_mov_b32_e32 v4, s1
	v_add_co_u32_e32 v2, vcc, s0, v2
	v_addc_co_u32_e32 v3, vcc, v3, v4, vcc
	s_waitcnt lgkmcnt(0)
	global_store_dwordx2 v[2:3], v[0:1], off
.LBB121_110:
	s_endpgm
.LBB121_111:
	ds_read_b32 v9, v39
	s_waitcnt lgkmcnt(0)
	global_store_dword v[0:1], v9, off
	s_or_b64 exec, exec, s[16:17]
	s_and_saveexec_b64 s[16:17], s[2:3]
	s_cbranch_execz .LBB121_94
.LBB121_112:
	s_lshl_b32 s18, s46, 8
	s_mov_b32 s19, 0
	s_lshl_b64 s[18:19], s[18:19], 2
	v_mov_b32_e32 v9, s19
	v_add_co_u32_e32 v10, vcc, s18, v0
	v_addc_co_u32_e32 v11, vcc, v1, v9, vcc
	s_waitcnt lgkmcnt(6)
	global_store_dword v[10:11], v8, off
	s_or_b64 exec, exec, s[16:17]
	s_and_saveexec_b64 s[16:17], s[4:5]
	s_cbranch_execz .LBB121_95
.LBB121_113:
	s_lshl_b32 s18, s46, 9
	s_mov_b32 s19, 0
	s_lshl_b64 s[18:19], s[18:19], 2
	v_mov_b32_e32 v9, s19
	s_waitcnt lgkmcnt(6)
	v_add_co_u32_e32 v8, vcc, s18, v0
	v_addc_co_u32_e32 v9, vcc, v1, v9, vcc
	s_waitcnt lgkmcnt(5)
	global_store_dword v[8:9], v7, off
	s_or_b64 exec, exec, s[16:17]
	s_and_saveexec_b64 s[16:17], s[6:7]
	s_cbranch_execz .LBB121_96
.LBB121_114:
	s_mul_i32 s18, s46, 0x300
	s_mov_b32 s19, 0
	s_lshl_b64 s[18:19], s[18:19], 2
	s_waitcnt lgkmcnt(5)
	v_mov_b32_e32 v7, s19
	v_add_co_u32_e32 v8, vcc, s18, v0
	v_addc_co_u32_e32 v9, vcc, v1, v7, vcc
	s_waitcnt lgkmcnt(4)
	global_store_dword v[8:9], v6, off
	s_or_b64 exec, exec, s[16:17]
	s_and_saveexec_b64 s[16:17], s[8:9]
	s_cbranch_execz .LBB121_97
.LBB121_115:
	s_lshl_b32 s18, s46, 10
	s_mov_b32 s19, 0
	s_lshl_b64 s[18:19], s[18:19], 2
	s_waitcnt lgkmcnt(5)
	v_mov_b32_e32 v7, s19
	s_waitcnt lgkmcnt(4)
	v_add_co_u32_e32 v6, vcc, s18, v0
	v_addc_co_u32_e32 v7, vcc, v1, v7, vcc
	s_waitcnt lgkmcnt(3)
	global_store_dword v[6:7], v5, off
	s_or_b64 exec, exec, s[16:17]
	s_and_saveexec_b64 s[16:17], s[10:11]
	s_cbranch_execz .LBB121_98
.LBB121_116:
	s_mul_i32 s18, s46, 0x500
	s_mov_b32 s19, 0
	s_lshl_b64 s[18:19], s[18:19], 2
	s_waitcnt lgkmcnt(3)
	v_mov_b32_e32 v5, s19
	v_add_co_u32_e32 v6, vcc, s18, v0
	v_addc_co_u32_e32 v7, vcc, v1, v5, vcc
	s_waitcnt lgkmcnt(2)
	global_store_dword v[6:7], v4, off
	s_or_b64 exec, exec, s[16:17]
	s_and_saveexec_b64 s[16:17], s[12:13]
	s_cbranch_execz .LBB121_99
.LBB121_117:
	s_mul_i32 s18, s46, 0x600
	s_mov_b32 s19, 0
	s_lshl_b64 s[18:19], s[18:19], 2
	s_waitcnt lgkmcnt(3)
	v_mov_b32_e32 v5, s19
	s_waitcnt lgkmcnt(2)
	v_add_co_u32_e32 v4, vcc, s18, v0
	v_addc_co_u32_e32 v5, vcc, v1, v5, vcc
	s_waitcnt lgkmcnt(1)
	global_store_dword v[4:5], v3, off
	s_or_b64 exec, exec, s[16:17]
	s_and_saveexec_b64 s[16:17], s[14:15]
	s_cbranch_execnz .LBB121_100
	s_branch .LBB121_101
.LBB121_118:
	ds_read_b64 v[16:17], v79
	s_waitcnt lgkmcnt(0)
	global_store_dwordx2 v[2:3], v[16:17], off
	s_or_b64 exec, exec, s[16:17]
	s_and_saveexec_b64 s[0:1], s[2:3]
	s_cbranch_execz .LBB121_103
.LBB121_119:
	s_lshl_b32 s2, s48, 8
	s_mov_b32 s3, 0
	s_lshl_b64 s[2:3], s[2:3], 3
	v_mov_b32_e32 v17, s3
	v_add_co_u32_e32 v16, vcc, s2, v2
	v_addc_co_u32_e32 v17, vcc, v3, v17, vcc
	s_waitcnt lgkmcnt(6)
	global_store_dwordx2 v[16:17], v[14:15], off
	s_or_b64 exec, exec, s[0:1]
	s_and_saveexec_b64 s[0:1], s[4:5]
	s_cbranch_execz .LBB121_104
.LBB121_120:
	s_lshl_b32 s2, s48, 9
	s_mov_b32 s3, 0
	s_lshl_b64 s[2:3], s[2:3], 3
	s_waitcnt lgkmcnt(6)
	v_mov_b32_e32 v15, s3
	v_add_co_u32_e32 v14, vcc, s2, v2
	v_addc_co_u32_e32 v15, vcc, v3, v15, vcc
	s_waitcnt lgkmcnt(5)
	global_store_dwordx2 v[14:15], v[12:13], off
	s_or_b64 exec, exec, s[0:1]
	s_and_saveexec_b64 s[0:1], s[6:7]
	s_cbranch_execz .LBB121_105
.LBB121_121:
	s_mul_i32 s2, s48, 0x300
	s_mov_b32 s3, 0
	s_lshl_b64 s[2:3], s[2:3], 3
	s_waitcnt lgkmcnt(5)
	v_mov_b32_e32 v13, s3
	v_add_co_u32_e32 v12, vcc, s2, v2
	v_addc_co_u32_e32 v13, vcc, v3, v13, vcc
	s_waitcnt lgkmcnt(4)
	global_store_dwordx2 v[12:13], v[10:11], off
	s_or_b64 exec, exec, s[0:1]
	s_and_saveexec_b64 s[0:1], s[8:9]
	s_cbranch_execz .LBB121_106
.LBB121_122:
	s_lshl_b32 s2, s48, 10
	s_mov_b32 s3, 0
	s_lshl_b64 s[2:3], s[2:3], 3
	s_waitcnt lgkmcnt(4)
	v_mov_b32_e32 v11, s3
	v_add_co_u32_e32 v10, vcc, s2, v2
	v_addc_co_u32_e32 v11, vcc, v3, v11, vcc
	s_waitcnt lgkmcnt(3)
	global_store_dwordx2 v[10:11], v[8:9], off
	s_or_b64 exec, exec, s[0:1]
	s_and_saveexec_b64 s[0:1], s[10:11]
	s_cbranch_execz .LBB121_107
.LBB121_123:
	s_mul_i32 s2, s48, 0x500
	s_mov_b32 s3, 0
	s_lshl_b64 s[2:3], s[2:3], 3
	s_waitcnt lgkmcnt(3)
	v_mov_b32_e32 v9, s3
	v_add_co_u32_e32 v8, vcc, s2, v2
	v_addc_co_u32_e32 v9, vcc, v3, v9, vcc
	s_waitcnt lgkmcnt(2)
	global_store_dwordx2 v[8:9], v[6:7], off
	s_or_b64 exec, exec, s[0:1]
	s_and_saveexec_b64 s[0:1], s[12:13]
	s_cbranch_execz .LBB121_108
.LBB121_124:
	s_mul_i32 s2, s48, 0x600
	s_mov_b32 s3, 0
	s_lshl_b64 s[2:3], s[2:3], 3
	s_waitcnt lgkmcnt(2)
	v_mov_b32_e32 v7, s3
	v_add_co_u32_e32 v6, vcc, s2, v2
	v_addc_co_u32_e32 v7, vcc, v3, v7, vcc
	s_waitcnt lgkmcnt(1)
	global_store_dwordx2 v[6:7], v[4:5], off
	s_or_b64 exec, exec, s[0:1]
	s_and_saveexec_b64 s[0:1], s[14:15]
	s_cbranch_execnz .LBB121_109
	s_branch .LBB121_110
	.section	.rodata,"a",@progbits
	.p2align	6, 0x0
	.amdhsa_kernel _ZN2at6native18radixSortKVInPlaceILin2ELin1ELi256ELi8EiljEEvNS_4cuda6detail10TensorInfoIT3_T5_EES6_S6_S6_NS4_IT4_S6_EES6_b
		.amdhsa_group_segment_fixed_size 16896
		.amdhsa_private_segment_fixed_size 0
		.amdhsa_kernarg_size 712
		.amdhsa_user_sgpr_count 6
		.amdhsa_user_sgpr_private_segment_buffer 1
		.amdhsa_user_sgpr_dispatch_ptr 0
		.amdhsa_user_sgpr_queue_ptr 0
		.amdhsa_user_sgpr_kernarg_segment_ptr 1
		.amdhsa_user_sgpr_dispatch_id 0
		.amdhsa_user_sgpr_flat_scratch_init 0
		.amdhsa_user_sgpr_kernarg_preload_length 0
		.amdhsa_user_sgpr_kernarg_preload_offset 0
		.amdhsa_user_sgpr_private_segment_size 0
		.amdhsa_uses_dynamic_stack 0
		.amdhsa_system_sgpr_private_segment_wavefront_offset 0
		.amdhsa_system_sgpr_workgroup_id_x 1
		.amdhsa_system_sgpr_workgroup_id_y 1
		.amdhsa_system_sgpr_workgroup_id_z 1
		.amdhsa_system_sgpr_workgroup_info 0
		.amdhsa_system_vgpr_workitem_id 2
		.amdhsa_next_free_vgpr 128
		.amdhsa_next_free_sgpr 60
		.amdhsa_accum_offset 128
		.amdhsa_reserve_vcc 1
		.amdhsa_reserve_flat_scratch 0
		.amdhsa_float_round_mode_32 0
		.amdhsa_float_round_mode_16_64 0
		.amdhsa_float_denorm_mode_32 3
		.amdhsa_float_denorm_mode_16_64 3
		.amdhsa_dx10_clamp 1
		.amdhsa_ieee_mode 1
		.amdhsa_fp16_overflow 0
		.amdhsa_tg_split 0
		.amdhsa_exception_fp_ieee_invalid_op 0
		.amdhsa_exception_fp_denorm_src 0
		.amdhsa_exception_fp_ieee_div_zero 0
		.amdhsa_exception_fp_ieee_overflow 0
		.amdhsa_exception_fp_ieee_underflow 0
		.amdhsa_exception_fp_ieee_inexact 0
		.amdhsa_exception_int_div_zero 0
	.end_amdhsa_kernel
	.section	.text._ZN2at6native18radixSortKVInPlaceILin2ELin1ELi256ELi8EiljEEvNS_4cuda6detail10TensorInfoIT3_T5_EES6_S6_S6_NS4_IT4_S6_EES6_b,"axG",@progbits,_ZN2at6native18radixSortKVInPlaceILin2ELin1ELi256ELi8EiljEEvNS_4cuda6detail10TensorInfoIT3_T5_EES6_S6_S6_NS4_IT4_S6_EES6_b,comdat
.Lfunc_end121:
	.size	_ZN2at6native18radixSortKVInPlaceILin2ELin1ELi256ELi8EiljEEvNS_4cuda6detail10TensorInfoIT3_T5_EES6_S6_S6_NS4_IT4_S6_EES6_b, .Lfunc_end121-_ZN2at6native18radixSortKVInPlaceILin2ELin1ELi256ELi8EiljEEvNS_4cuda6detail10TensorInfoIT3_T5_EES6_S6_S6_NS4_IT4_S6_EES6_b
                                        ; -- End function
	.section	.AMDGPU.csdata,"",@progbits
; Kernel info:
; codeLenInByte = 12972
; NumSgprs: 64
; NumVgprs: 128
; NumAgprs: 0
; TotalNumVgprs: 128
; ScratchSize: 0
; MemoryBound: 0
; FloatMode: 240
; IeeeMode: 1
; LDSByteSize: 16896 bytes/workgroup (compile time only)
; SGPRBlocks: 7
; VGPRBlocks: 15
; NumSGPRsForWavesPerEU: 64
; NumVGPRsForWavesPerEU: 128
; AccumOffset: 128
; Occupancy: 3
; WaveLimiterHint : 1
; COMPUTE_PGM_RSRC2:SCRATCH_EN: 0
; COMPUTE_PGM_RSRC2:USER_SGPR: 6
; COMPUTE_PGM_RSRC2:TRAP_HANDLER: 0
; COMPUTE_PGM_RSRC2:TGID_X_EN: 1
; COMPUTE_PGM_RSRC2:TGID_Y_EN: 1
; COMPUTE_PGM_RSRC2:TGID_Z_EN: 1
; COMPUTE_PGM_RSRC2:TIDIG_COMP_CNT: 2
; COMPUTE_PGM_RSRC3_GFX90A:ACCUM_OFFSET: 31
; COMPUTE_PGM_RSRC3_GFX90A:TG_SPLIT: 0
	.section	.text._ZN2at6native18radixSortKVInPlaceILin2ELin1ELi128ELi8EiljEEvNS_4cuda6detail10TensorInfoIT3_T5_EES6_S6_S6_NS4_IT4_S6_EES6_b,"axG",@progbits,_ZN2at6native18radixSortKVInPlaceILin2ELin1ELi128ELi8EiljEEvNS_4cuda6detail10TensorInfoIT3_T5_EES6_S6_S6_NS4_IT4_S6_EES6_b,comdat
	.protected	_ZN2at6native18radixSortKVInPlaceILin2ELin1ELi128ELi8EiljEEvNS_4cuda6detail10TensorInfoIT3_T5_EES6_S6_S6_NS4_IT4_S6_EES6_b ; -- Begin function _ZN2at6native18radixSortKVInPlaceILin2ELin1ELi128ELi8EiljEEvNS_4cuda6detail10TensorInfoIT3_T5_EES6_S6_S6_NS4_IT4_S6_EES6_b
	.globl	_ZN2at6native18radixSortKVInPlaceILin2ELin1ELi128ELi8EiljEEvNS_4cuda6detail10TensorInfoIT3_T5_EES6_S6_S6_NS4_IT4_S6_EES6_b
	.p2align	8
	.type	_ZN2at6native18radixSortKVInPlaceILin2ELin1ELi128ELi8EiljEEvNS_4cuda6detail10TensorInfoIT3_T5_EES6_S6_S6_NS4_IT4_S6_EES6_b,@function
_ZN2at6native18radixSortKVInPlaceILin2ELin1ELi128ELi8EiljEEvNS_4cuda6detail10TensorInfoIT3_T5_EES6_S6_S6_NS4_IT4_S6_EES6_b: ; @_ZN2at6native18radixSortKVInPlaceILin2ELin1ELi128ELi8EiljEEvNS_4cuda6detail10TensorInfoIT3_T5_EES6_S6_S6_NS4_IT4_S6_EES6_b
; %bb.0:
	s_load_dwordx2 s[0:1], s[4:5], 0x1c8
	s_load_dwordx4 s[44:47], s[4:5], 0xd8
	s_add_u32 s50, s4, 0x1c8
	s_addc_u32 s51, s5, 0
	s_waitcnt lgkmcnt(0)
	s_mul_i32 s1, s1, s8
	s_add_i32 s1, s1, s7
	s_mul_i32 s0, s1, s0
	s_add_i32 s6, s0, s6
	s_cmp_ge_u32 s6, s44
	s_cbranch_scc1 .LBB122_110
; %bb.1:
	s_load_dword s2, s[4:5], 0x1b8
	s_load_dwordx2 s[0:1], s[4:5], 0x0
	s_add_u32 s14, s4, 0xe8
	s_addc_u32 s15, s5, 0
	s_mov_b32 s17, 0
	s_waitcnt lgkmcnt(0)
	s_cmp_lt_i32 s2, 2
	s_mov_b32 s16, s6
	s_cbranch_scc1 .LBB122_4
; %bb.2:
	s_add_i32 s16, s2, -1
	s_add_i32 s7, s2, 1
	s_lshl_b64 s[2:3], s[16:17], 2
	s_add_u32 s2, s2, s14
	s_addc_u32 s3, s3, s15
	s_add_u32 s2, s2, 8
	s_addc_u32 s3, s3, 0
	s_mov_b32 s16, s6
.LBB122_3:                              ; =>This Inner Loop Header: Depth=1
	s_load_dword s8, s[2:3], 0x0
	s_load_dword s10, s[2:3], 0x64
	s_mov_b32 s9, s16
	s_waitcnt lgkmcnt(0)
	v_cvt_f32_u32_e32 v1, s8
	s_sub_i32 s11, 0, s8
	v_rcp_iflag_f32_e32 v1, v1
	v_mul_f32_e32 v1, 0x4f7ffffe, v1
	v_cvt_u32_f32_e32 v1, v1
	v_readfirstlane_b32 s12, v1
	s_mul_i32 s11, s11, s12
	s_mul_hi_u32 s11, s12, s11
	s_add_i32 s12, s12, s11
	s_mul_hi_u32 s11, s16, s12
	s_mul_i32 s12, s11, s8
	s_sub_i32 s12, s16, s12
	s_add_i32 s13, s11, 1
	s_sub_i32 s16, s12, s8
	s_cmp_ge_u32 s12, s8
	s_cselect_b32 s11, s13, s11
	s_cselect_b32 s12, s16, s12
	s_add_i32 s13, s11, 1
	s_cmp_ge_u32 s12, s8
	s_cselect_b32 s16, s13, s11
	s_mul_i32 s8, s16, s8
	s_sub_i32 s8, s9, s8
	s_mul_i32 s8, s10, s8
	s_add_i32 s7, s7, -1
	s_add_i32 s17, s8, s17
	s_add_u32 s2, s2, -4
	s_addc_u32 s3, s3, -1
	s_cmp_gt_u32 s7, 2
	s_cbranch_scc1 .LBB122_3
.LBB122_4:
	s_load_dword s2, s[4:5], 0x6c
	s_load_dwordx2 s[48:49], s[4:5], 0x1c0
	s_mov_b32 s3, 0
	v_and_b32_e32 v38, 0x3ff, v0
	v_mul_lo_u32 v34, v38, s46
	s_waitcnt lgkmcnt(0)
	s_mul_i32 s2, s2, s6
	s_bitcmp1_b32 s49, 0
	s_cselect_b64 s[34:35], -1, 0
	s_brev_b32 s6, 1
	s_and_b64 s[4:5], s[34:35], exec
	s_cselect_b32 s4, s6, 0x7fffffff
	s_lshl_b64 s[2:3], s[2:3], 2
	s_mov_b32 s5, s4
	s_add_u32 s33, s0, s2
	s_mov_b32 s6, s4
	s_mov_b32 s7, s4
	;; [unrolled: 1-line block ×6, first 2 shown]
	v_pk_mov_b32 v[2:3], s[4:5], s[4:5] op_sel:[0,1]
	s_addc_u32 s44, s1, s3
	v_cmp_gt_u32_e64 s[0:1], s45, v38
	v_pk_mov_b32 v[4:5], s[6:7], s[6:7] op_sel:[0,1]
	v_pk_mov_b32 v[6:7], s[8:9], s[8:9] op_sel:[0,1]
	;; [unrolled: 1-line block ×3, first 2 shown]
	v_mov_b32_e32 v10, s4
	s_and_saveexec_b64 s[2:3], s[0:1]
	s_cbranch_execz .LBB122_6
; %bb.5:
	v_mov_b32_e32 v35, 0
	v_lshlrev_b64 v[2:3], 2, v[34:35]
	v_mov_b32_e32 v1, s44
	v_add_co_u32_e32 v2, vcc, s33, v2
	v_addc_co_u32_e32 v3, vcc, v1, v3, vcc
	global_load_dword v10, v[2:3], off
	v_pk_mov_b32 v[2:3], s[4:5], s[4:5] op_sel:[0,1]
	v_pk_mov_b32 v[4:5], s[6:7], s[6:7] op_sel:[0,1]
	;; [unrolled: 1-line block ×4, first 2 shown]
                                        ; kill: def $vgpr2 killed $vgpr10 killed $exec
.LBB122_6:
	s_or_b64 exec, exec, s[2:3]
	v_add_u32_e32 v30, 0x80, v38
	v_cmp_gt_u32_e64 s[2:3], s45, v30
	s_and_saveexec_b64 s[4:5], s[2:3]
	s_cbranch_execz .LBB122_8
; %bb.7:
	v_mul_lo_u32 v2, v30, s46
	v_mov_b32_e32 v3, 0
	v_lshlrev_b64 v[2:3], 2, v[2:3]
	v_mov_b32_e32 v1, s44
	v_add_co_u32_e32 v2, vcc, s33, v2
	v_addc_co_u32_e32 v3, vcc, v1, v3, vcc
	global_load_dword v3, v[2:3], off
.LBB122_8:
	s_or_b64 exec, exec, s[4:5]
	v_add_u32_e32 v28, 0x100, v38
	v_cmp_gt_u32_e64 s[4:5], s45, v28
	s_and_saveexec_b64 s[6:7], s[4:5]
	s_cbranch_execz .LBB122_10
; %bb.9:
	v_mul_lo_u32 v12, v28, s46
	v_mov_b32_e32 v13, 0
	v_lshlrev_b64 v[12:13], 2, v[12:13]
	v_mov_b32_e32 v1, s44
	v_add_co_u32_e32 v12, vcc, s33, v12
	v_addc_co_u32_e32 v13, vcc, v1, v13, vcc
	global_load_dword v4, v[12:13], off
.LBB122_10:
	;; [unrolled: 14-line block ×5, first 2 shown]
	s_or_b64 exec, exec, s[12:13]
	s_load_dwordx2 s[18:19], s[14:15], 0x0
	v_add_u32_e32 v19, 0x300, v38
	v_cmp_gt_u32_e64 s[12:13], s45, v19
	s_and_saveexec_b64 s[20:21], s[12:13]
	s_cbranch_execz .LBB122_18
; %bb.17:
	v_mul_lo_u32 v12, v19, s46
	v_mov_b32_e32 v13, 0
	v_lshlrev_b64 v[12:13], 2, v[12:13]
	v_mov_b32_e32 v1, s44
	v_add_co_u32_e32 v12, vcc, s33, v12
	v_addc_co_u32_e32 v13, vcc, v1, v13, vcc
	global_load_dword v8, v[12:13], off
.LBB122_18:
	s_or_b64 exec, exec, s[20:21]
	s_load_dword s22, s[14:15], 0x6c
	v_add_u32_e32 v1, 0x380, v38
	v_cmp_gt_u32_e64 s[14:15], s45, v1
	s_and_saveexec_b64 s[20:21], s[14:15]
	s_cbranch_execz .LBB122_20
; %bb.19:
	v_mul_lo_u32 v12, v1, s46
	v_mov_b32_e32 v13, 0
	v_lshlrev_b64 v[12:13], 2, v[12:13]
	v_mov_b32_e32 v2, s44
	v_add_co_u32_e32 v12, vcc, s33, v12
	v_addc_co_u32_e32 v13, vcc, v2, v13, vcc
	global_load_dword v9, v[12:13], off
.LBB122_20:
	s_or_b64 exec, exec, s[20:21]
	v_lshrrev_b32_e32 v2, 5, v38
	v_add_u32_e32 v32, v2, v38
	v_lshrrev_b32_e32 v2, 5, v30
	v_add_u32_e32 v31, v2, v38
	;; [unrolled: 2-line block ×8, first 2 shown]
	v_lshlrev_b32_e32 v87, 3, v38
	v_lshrrev_b32_e32 v2, 2, v38
	v_add_u32_e32 v22, v2, v87
	v_lshlrev_b32_e32 v39, 2, v32
	v_lshlrev_b32_e32 v35, 2, v31
	;; [unrolled: 1-line block ×9, first 2 shown]
	s_waitcnt vmcnt(0)
	ds_write_b32 v39, v10
	ds_write_b32 v35, v3 offset:512
	ds_write_b32 v72, v4 offset:1024
	;; [unrolled: 1-line block ×7, first 2 shown]
	s_waitcnt lgkmcnt(0)
	s_barrier
	ds_read2_b32 v[46:47], v78 offset1:1
	ds_read2_b32 v[44:45], v78 offset0:2 offset1:3
	ds_read2_b32 v[42:43], v78 offset0:4 offset1:5
	;; [unrolled: 1-line block ×3, first 2 shown]
	s_mul_i32 s16, s22, s16
	s_add_i32 s16, s16, s17
	s_mov_b32 s17, 0
	s_lshl_b64 s[20:21], s[16:17], 3
	s_add_u32 s45, s18, s20
	s_mov_b32 s16, s17
	s_addc_u32 s47, s19, s21
	s_mov_b32 s18, s17
	s_mov_b32 s19, s17
	;; [unrolled: 1-line block ×14, first 2 shown]
	v_pk_mov_b32 v[2:3], s[16:17], s[16:17] op_sel:[0,1]
	v_pk_mov_b32 v[4:5], s[18:19], s[18:19] op_sel:[0,1]
	;; [unrolled: 1-line block ×8, first 2 shown]
	v_pk_mov_b32 v[2:3], 0, 0
	v_mul_lo_u32 v36, v38, s48
	s_waitcnt lgkmcnt(0)
	s_barrier
	s_and_saveexec_b64 s[16:17], s[0:1]
	s_cbranch_execnz .LBB122_57
; %bb.21:
	s_or_b64 exec, exec, s[16:17]
	s_and_saveexec_b64 s[16:17], s[2:3]
	s_cbranch_execnz .LBB122_58
.LBB122_22:
	s_or_b64 exec, exec, s[16:17]
	s_and_saveexec_b64 s[16:17], s[4:5]
	s_cbranch_execnz .LBB122_59
.LBB122_23:
	s_or_b64 exec, exec, s[16:17]
	s_and_saveexec_b64 s[16:17], s[6:7]
	s_cbranch_execnz .LBB122_60
.LBB122_24:
	s_or_b64 exec, exec, s[16:17]
	s_and_saveexec_b64 s[16:17], s[8:9]
	s_cbranch_execnz .LBB122_61
.LBB122_25:
	s_or_b64 exec, exec, s[16:17]
	s_and_saveexec_b64 s[16:17], s[10:11]
	s_cbranch_execnz .LBB122_62
.LBB122_26:
	s_or_b64 exec, exec, s[16:17]
	s_and_saveexec_b64 s[16:17], s[12:13]
	s_cbranch_execnz .LBB122_63
.LBB122_27:
	s_or_b64 exec, exec, s[16:17]
	s_xor_b64 s[16:17], s[34:35], -1
	s_and_saveexec_b64 s[18:19], s[14:15]
	s_cbranch_execz .LBB122_29
.LBB122_28:
	v_mul_lo_u32 v16, v1, s48
	v_mov_b32_e32 v17, 0
	v_lshlrev_b64 v[16:17], 3, v[16:17]
	v_mov_b32_e32 v1, s47
	v_add_co_u32_e32 v16, vcc, s45, v16
	v_addc_co_u32_e32 v17, vcc, v1, v17, vcc
	global_load_dwordx2 v[16:17], v[16:17], off
.LBB122_29:
	s_or_b64 exec, exec, s[18:19]
	v_lshlrev_b32_e32 v79, 3, v32
	v_lshlrev_b32_e32 v37, 3, v31
	;; [unrolled: 1-line block ×9, first 2 shown]
	s_waitcnt vmcnt(0)
	ds_write_b64 v79, v[2:3]
	ds_write_b64 v37, v[4:5] offset:1024
	ds_write_b64 v80, v[6:7] offset:2048
	;; [unrolled: 1-line block ×7, first 2 shown]
	s_waitcnt lgkmcnt(0)
	s_barrier
	ds_read2_b64 v[14:17], v86 offset1:1
	ds_read2_b64 v[10:13], v86 offset0:2 offset1:3
	ds_read2_b64 v[6:9], v86 offset0:4 offset1:5
	;; [unrolled: 1-line block ×3, first 2 shown]
	v_mbcnt_lo_u32_b32 v1, -1, 0
	v_mbcnt_hi_u32_b32 v90, -1, v1
	v_and_b32_e32 v1, 0x3c0, v38
	v_add_u32_e32 v18, v90, v1
	v_lshlrev_b32_e32 v19, 3, v18
	v_lshlrev_b32_e32 v104, 5, v18
	v_and_b32_e32 v18, 0x1e00, v87
	v_or_b32_e32 v20, v90, v18
	s_mov_b32 s49, 0
	v_lshlrev_b32_e32 v103, 2, v20
	s_and_b64 vcc, exec, s[16:17]
	v_bfe_u32 v99, v0, 10, 10
	v_bfe_u32 v100, v0, 20, 10
	v_lshlrev_b32_e32 v102, 3, v19
	v_lshlrev_b32_e32 v101, 3, v20
	;; [unrolled: 1-line block ×4, first 2 shown]
	v_and_b32_e32 v95, 15, v90
	v_and_b32_e32 v96, 16, v90
	v_cmp_lt_u32_e64 s[16:17], 31, v90
	v_min_u32_e32 v97, 64, v1
	v_cmp_gt_u32_e64 s[18:19], 2, v38
	v_cmp_lt_u32_e64 s[20:21], 63, v38
	v_add_u32_e32 v92, -1, v90
	v_and_b32_e32 v98, 64, v90
	v_cmp_eq_u32_e64 s[22:23], 0, v90
	v_cmp_eq_u32_e64 s[24:25], 0, v38
	v_lshrrev_b32_e32 v93, 4, v38
	v_and_b32_e32 v94, 1, v90
	v_and_or_b32 v91, v90, 63, v18
	s_waitcnt lgkmcnt(0)
	s_barrier
	s_cbranch_vccz .LBB122_64
; %bb.30:
	v_xor_b32_e32 v0, 0x80000000, v47
	v_xor_b32_e32 v1, 0x80000000, v46
	v_xor_b32_e32 v18, 0x80000000, v45
	v_xor_b32_e32 v19, 0x80000000, v44
	v_xor_b32_e32 v20, 0x80000000, v43
	v_xor_b32_e32 v21, 0x80000000, v42
	v_xor_b32_e32 v22, 0x80000000, v41
	v_xor_b32_e32 v23, 0x80000000, v40
	ds_write2_b32 v104, v1, v0 offset1:1
	ds_write2_b32 v104, v19, v18 offset0:2 offset1:3
	ds_write2_b32 v104, v21, v20 offset0:4 offset1:5
	;; [unrolled: 1-line block ×3, first 2 shown]
	; wave barrier
	ds_read2st64_b32 v[64:65], v103 offset1:1
	ds_read2st64_b32 v[66:67], v103 offset0:2 offset1:3
	ds_read2st64_b32 v[68:69], v103 offset0:4 offset1:5
	;; [unrolled: 1-line block ×3, first 2 shown]
	s_waitcnt lgkmcnt(0)
	s_barrier
	ds_write2_b64 v102, v[14:15], v[16:17] offset1:1
	ds_write2_b64 v102, v[10:11], v[12:13] offset0:2 offset1:3
	ds_write2_b64 v102, v[6:7], v[8:9] offset0:4 offset1:5
	;; [unrolled: 1-line block ×3, first 2 shown]
	; wave barrier
	ds_read2st64_b64 v[18:21], v101 offset1:1
	ds_read2st64_b64 v[22:25], v101 offset0:2 offset1:3
	ds_read2st64_b64 v[26:29], v101 offset0:4 offset1:5
	;; [unrolled: 1-line block ×3, first 2 shown]
	s_waitcnt lgkmcnt(0)
	s_barrier
	s_load_dword s28, s[50:51], 0xc
	s_getpc_b64 s[26:27]
	s_add_u32 s26, s26, _ZN7rocprim17ROCPRIM_400000_NS16block_radix_sortIiLj128ELj8ElLj1ELj1ELj0ELNS0_26block_radix_rank_algorithmE1ELNS0_18block_padding_hintE2ELNS0_4arch9wavefront6targetE1EE19radix_bits_per_passE@rel32@lo+4
	s_addc_u32 s27, s27, _ZN7rocprim17ROCPRIM_400000_NS16block_radix_sortIiLj128ELj8ElLj1ELj1ELj0ELNS0_26block_radix_rank_algorithmE1ELNS0_18block_padding_hintE2ELNS0_4arch9wavefront6targetE1EE19radix_bits_per_passE@rel32@hi+12
	s_load_dword s52, s[26:27], 0x0
	v_cmp_lt_i32_e32 vcc, v92, v98
	v_and_b32_e32 v108, 60, v93
	s_waitcnt lgkmcnt(0)
	s_lshr_b32 s26, s28, 16
	s_and_b32 s27, s28, 0xffff
	v_mad_u32_u24 v0, v100, s26, v99
	v_mad_u64_u32 v[0:1], s[26:27], v0, s27, v[38:39]
	v_lshrrev_b32_e32 v106, 6, v0
	v_or_b32_e32 v0, 63, v97
	v_cmp_eq_u32_e64 s[38:39], v0, v38
	v_cndmask_b32_e32 v0, v92, v90, vcc
	v_or_b32_e32 v105, 8, v89
	v_cmp_eq_u32_e64 s[26:27], 0, v95
	v_cmp_lt_u32_e64 s[28:29], 1, v95
	v_cmp_lt_u32_e64 s[30:31], 3, v95
	;; [unrolled: 1-line block ×3, first 2 shown]
	v_cmp_eq_u32_e64 s[36:37], 0, v96
	v_lshlrev_b32_e32 v107, 2, v0
	v_cmp_eq_u32_e64 s[40:41], 0, v94
	v_add_u32_e32 v109, -4, v108
	v_lshlrev_b32_e32 v110, 2, v91
	v_lshlrev_b32_e32 v111, 3, v91
	s_mov_b32 s53, 32
	v_mov_b32_e32 v62, 0
	s_branch .LBB122_32
.LBB122_31:                             ;   in Loop: Header=BB122_32 Depth=1
	v_lshlrev_b32_e32 v18, 2, v63
	s_barrier
	ds_write_b32 v18, v119
	v_lshlrev_b32_e32 v18, 2, v121
	ds_write_b32 v18, v118
	v_lshlrev_b32_e32 v18, 2, v122
	;; [unrolled: 2-line block ×8, first 2 shown]
	s_waitcnt lgkmcnt(0)
	s_barrier
	ds_read2st64_b32 v[64:65], v110 offset1:1
	ds_read2st64_b32 v[66:67], v110 offset0:2 offset1:3
	ds_read2st64_b32 v[68:69], v110 offset0:4 offset1:5
	;; [unrolled: 1-line block ×3, first 2 shown]
	s_waitcnt lgkmcnt(0)
	s_barrier
	ds_write_b64 v18, v[60:61]
	v_lshlrev_b32_e32 v18, 3, v121
	ds_write_b64 v18, v[58:59]
	v_lshlrev_b32_e32 v18, 3, v122
	;; [unrolled: 2-line block ×7, first 2 shown]
	ds_write_b64 v18, v[0:1]
	s_waitcnt lgkmcnt(0)
	s_barrier
	ds_read2st64_b64 v[18:21], v111 offset1:1
	ds_read2st64_b64 v[22:25], v111 offset0:2 offset1:3
	ds_read2st64_b64 v[26:29], v111 offset0:4 offset1:5
	;; [unrolled: 1-line block ×3, first 2 shown]
	s_add_i32 s49, s49, 8
	s_add_i32 s53, s53, -8
	s_waitcnt lgkmcnt(0)
	s_barrier
	s_cbranch_execz .LBB122_56
.LBB122_32:                             ; =>This Inner Loop Header: Depth=1
	s_min_u32 s42, s52, s53
	v_mov_b32_e32 v119, v64
	s_lshl_b32 s42, -1, s42
	v_pk_mov_b32 v[60:61], v[18:19], v[18:19] op_sel:[0,1]
	s_not_b32 s54, s42
	v_lshrrev_b32_e32 v18, s49, v119
	v_and_b32_e32 v18, s54, v18
	v_lshl_add_u32 v19, v18, 1, v106
	v_pk_mov_b32 v[56:57], v[22:23], v[22:23] op_sel:[0,1]
	v_lshl_add_u32 v22, v19, 2, 8
	v_and_b32_e32 v19, 1, v18
	v_pk_mov_b32 v[58:59], v[20:21], v[20:21] op_sel:[0,1]
	v_add_co_u32_e32 v20, vcc, -1, v19
	v_addc_co_u32_e64 v21, s[42:43], 0, -1, vcc
	v_cmp_ne_u32_e32 vcc, 0, v19
	v_lshlrev_b32_e32 v63, 30, v18
	v_xor_b32_e32 v19, vcc_hi, v21
	v_not_b32_e32 v21, v63
	v_xor_b32_e32 v20, vcc_lo, v20
	v_cmp_gt_i64_e32 vcc, 0, v[62:63]
	v_ashrrev_i32_e32 v21, 31, v21
	v_and_b32_e32 v20, exec_lo, v20
	v_xor_b32_e32 v23, vcc_hi, v21
	v_xor_b32_e32 v21, vcc_lo, v21
	v_lshlrev_b32_e32 v63, 29, v18
	v_and_b32_e32 v20, v20, v21
	v_not_b32_e32 v21, v63
	v_and_b32_e32 v19, exec_hi, v19
	v_cmp_gt_i64_e32 vcc, 0, v[62:63]
	v_ashrrev_i32_e32 v21, 31, v21
	v_and_b32_e32 v19, v19, v23
	v_xor_b32_e32 v23, vcc_hi, v21
	v_xor_b32_e32 v21, vcc_lo, v21
	v_lshlrev_b32_e32 v63, 28, v18
	v_and_b32_e32 v20, v20, v21
	v_not_b32_e32 v21, v63
	v_cmp_gt_i64_e32 vcc, 0, v[62:63]
	v_ashrrev_i32_e32 v21, 31, v21
	v_and_b32_e32 v19, v19, v23
	v_xor_b32_e32 v23, vcc_hi, v21
	v_xor_b32_e32 v21, vcc_lo, v21
	v_lshlrev_b32_e32 v63, 27, v18
	v_and_b32_e32 v20, v20, v21
	v_not_b32_e32 v21, v63
	;; [unrolled: 8-line block ×3, first 2 shown]
	v_cmp_gt_i64_e32 vcc, 0, v[62:63]
	v_ashrrev_i32_e32 v21, 31, v21
	v_and_b32_e32 v19, v19, v23
	v_xor_b32_e32 v23, vcc_hi, v21
	v_xor_b32_e32 v21, vcc_lo, v21
	v_lshlrev_b32_e32 v63, 25, v18
	v_and_b32_e32 v20, v20, v21
	v_cmp_gt_i64_e32 vcc, 0, v[62:63]
	v_not_b32_e32 v21, v63
	v_lshlrev_b32_e32 v63, 24, v18
	v_ashrrev_i32_e32 v21, 31, v21
	v_not_b32_e32 v18, v63
	v_and_b32_e32 v19, v19, v23
	v_xor_b32_e32 v23, vcc_hi, v21
	v_xor_b32_e32 v21, vcc_lo, v21
	v_cmp_gt_i64_e32 vcc, 0, v[62:63]
	v_ashrrev_i32_e32 v18, 31, v18
	v_and_b32_e32 v20, v20, v21
	v_xor_b32_e32 v21, vcc_hi, v18
	v_xor_b32_e32 v18, vcc_lo, v18
	v_and_b32_e32 v19, v19, v23
	v_and_b32_e32 v18, v20, v18
	;; [unrolled: 1-line block ×3, first 2 shown]
	v_mbcnt_lo_u32_b32 v20, v18, 0
	v_mbcnt_hi_u32_b32 v23, v19, v20
	v_cmp_eq_u32_e32 vcc, 0, v23
	v_cmp_ne_u64_e64 s[42:43], 0, v[18:19]
	v_mov_b32_e32 v112, v71
	v_mov_b32_e32 v113, v70
	v_mov_b32_e32 v114, v69
	v_mov_b32_e32 v115, v68
	v_mov_b32_e32 v116, v67
	v_mov_b32_e32 v117, v66
	v_mov_b32_e32 v118, v65
	v_pk_mov_b32 v[0:1], v[32:33], v[32:33] op_sel:[0,1]
	v_pk_mov_b32 v[48:49], v[30:31], v[30:31] op_sel:[0,1]
	;; [unrolled: 1-line block ×5, first 2 shown]
	s_and_b64 s[56:57], s[42:43], vcc
	ds_write2_b32 v89, v62, v62 offset0:2 offset1:3
	ds_write2_b32 v105, v62, v62 offset0:2 offset1:3
	s_waitcnt lgkmcnt(0)
	s_barrier
	s_waitcnt lgkmcnt(0)
	; wave barrier
	s_and_saveexec_b64 s[42:43], s[56:57]
	s_cbranch_execz .LBB122_34
; %bb.33:                               ;   in Loop: Header=BB122_32 Depth=1
	v_bcnt_u32_b32 v18, v18, 0
	v_bcnt_u32_b32 v18, v19, v18
	ds_write_b32 v22, v18
.LBB122_34:                             ;   in Loop: Header=BB122_32 Depth=1
	s_or_b64 exec, exec, s[42:43]
	v_lshrrev_b32_e32 v18, s49, v118
	v_and_b32_e32 v18, s54, v18
	v_lshlrev_b32_e32 v19, 1, v18
	v_add_lshl_u32 v19, v19, v106, 2
	; wave barrier
	v_add_u32_e32 v25, 8, v19
	ds_read_b32 v24, v19 offset:8
	v_and_b32_e32 v19, 1, v18
	v_add_co_u32_e32 v20, vcc, -1, v19
	v_addc_co_u32_e64 v21, s[42:43], 0, -1, vcc
	v_cmp_ne_u32_e32 vcc, 0, v19
	v_lshlrev_b32_e32 v63, 30, v18
	v_xor_b32_e32 v19, vcc_hi, v21
	v_not_b32_e32 v21, v63
	v_xor_b32_e32 v20, vcc_lo, v20
	v_cmp_gt_i64_e32 vcc, 0, v[62:63]
	v_ashrrev_i32_e32 v21, 31, v21
	v_and_b32_e32 v20, exec_lo, v20
	v_xor_b32_e32 v26, vcc_hi, v21
	v_xor_b32_e32 v21, vcc_lo, v21
	v_lshlrev_b32_e32 v63, 29, v18
	v_and_b32_e32 v20, v20, v21
	v_not_b32_e32 v21, v63
	v_and_b32_e32 v19, exec_hi, v19
	v_cmp_gt_i64_e32 vcc, 0, v[62:63]
	v_ashrrev_i32_e32 v21, 31, v21
	v_and_b32_e32 v19, v19, v26
	v_xor_b32_e32 v26, vcc_hi, v21
	v_xor_b32_e32 v21, vcc_lo, v21
	v_lshlrev_b32_e32 v63, 28, v18
	v_and_b32_e32 v20, v20, v21
	v_not_b32_e32 v21, v63
	v_cmp_gt_i64_e32 vcc, 0, v[62:63]
	v_ashrrev_i32_e32 v21, 31, v21
	v_and_b32_e32 v19, v19, v26
	v_xor_b32_e32 v26, vcc_hi, v21
	v_xor_b32_e32 v21, vcc_lo, v21
	v_lshlrev_b32_e32 v63, 27, v18
	v_and_b32_e32 v20, v20, v21
	v_not_b32_e32 v21, v63
	;; [unrolled: 8-line block ×3, first 2 shown]
	v_cmp_gt_i64_e32 vcc, 0, v[62:63]
	v_ashrrev_i32_e32 v21, 31, v21
	v_and_b32_e32 v19, v19, v26
	v_xor_b32_e32 v26, vcc_hi, v21
	v_xor_b32_e32 v21, vcc_lo, v21
	v_lshlrev_b32_e32 v63, 25, v18
	v_and_b32_e32 v20, v20, v21
	v_cmp_gt_i64_e32 vcc, 0, v[62:63]
	v_not_b32_e32 v21, v63
	v_lshlrev_b32_e32 v63, 24, v18
	v_ashrrev_i32_e32 v21, 31, v21
	v_not_b32_e32 v18, v63
	v_and_b32_e32 v19, v19, v26
	v_xor_b32_e32 v26, vcc_hi, v21
	v_xor_b32_e32 v21, vcc_lo, v21
	v_cmp_gt_i64_e32 vcc, 0, v[62:63]
	v_ashrrev_i32_e32 v18, 31, v18
	v_and_b32_e32 v20, v20, v21
	v_xor_b32_e32 v21, vcc_hi, v18
	v_xor_b32_e32 v18, vcc_lo, v18
	v_and_b32_e32 v19, v19, v26
	v_and_b32_e32 v18, v20, v18
	;; [unrolled: 1-line block ×3, first 2 shown]
	v_mbcnt_lo_u32_b32 v20, v18, 0
	v_mbcnt_hi_u32_b32 v26, v19, v20
	v_cmp_eq_u32_e32 vcc, 0, v26
	v_cmp_ne_u64_e64 s[42:43], 0, v[18:19]
	s_and_b64 s[56:57], s[42:43], vcc
	; wave barrier
	s_and_saveexec_b64 s[42:43], s[56:57]
	s_cbranch_execz .LBB122_36
; %bb.35:                               ;   in Loop: Header=BB122_32 Depth=1
	v_bcnt_u32_b32 v18, v18, 0
	v_bcnt_u32_b32 v18, v19, v18
	s_waitcnt lgkmcnt(0)
	v_add_u32_e32 v18, v24, v18
	ds_write_b32 v25, v18
.LBB122_36:                             ;   in Loop: Header=BB122_32 Depth=1
	s_or_b64 exec, exec, s[42:43]
	v_lshrrev_b32_e32 v18, s49, v117
	v_and_b32_e32 v18, s54, v18
	v_lshlrev_b32_e32 v19, 1, v18
	v_add_lshl_u32 v19, v19, v106, 2
	; wave barrier
	v_add_u32_e32 v28, 8, v19
	ds_read_b32 v27, v19 offset:8
	v_and_b32_e32 v19, 1, v18
	v_add_co_u32_e32 v20, vcc, -1, v19
	v_addc_co_u32_e64 v21, s[42:43], 0, -1, vcc
	v_cmp_ne_u32_e32 vcc, 0, v19
	v_lshlrev_b32_e32 v63, 30, v18
	v_xor_b32_e32 v19, vcc_hi, v21
	v_not_b32_e32 v21, v63
	v_xor_b32_e32 v20, vcc_lo, v20
	v_cmp_gt_i64_e32 vcc, 0, v[62:63]
	v_ashrrev_i32_e32 v21, 31, v21
	v_and_b32_e32 v20, exec_lo, v20
	v_xor_b32_e32 v29, vcc_hi, v21
	v_xor_b32_e32 v21, vcc_lo, v21
	v_lshlrev_b32_e32 v63, 29, v18
	v_and_b32_e32 v20, v20, v21
	v_not_b32_e32 v21, v63
	v_and_b32_e32 v19, exec_hi, v19
	v_cmp_gt_i64_e32 vcc, 0, v[62:63]
	v_ashrrev_i32_e32 v21, 31, v21
	v_and_b32_e32 v19, v19, v29
	v_xor_b32_e32 v29, vcc_hi, v21
	v_xor_b32_e32 v21, vcc_lo, v21
	v_lshlrev_b32_e32 v63, 28, v18
	v_and_b32_e32 v20, v20, v21
	v_not_b32_e32 v21, v63
	v_cmp_gt_i64_e32 vcc, 0, v[62:63]
	v_ashrrev_i32_e32 v21, 31, v21
	v_and_b32_e32 v19, v19, v29
	v_xor_b32_e32 v29, vcc_hi, v21
	v_xor_b32_e32 v21, vcc_lo, v21
	v_lshlrev_b32_e32 v63, 27, v18
	v_and_b32_e32 v20, v20, v21
	v_not_b32_e32 v21, v63
	;; [unrolled: 8-line block ×3, first 2 shown]
	v_cmp_gt_i64_e32 vcc, 0, v[62:63]
	v_ashrrev_i32_e32 v21, 31, v21
	v_and_b32_e32 v19, v19, v29
	v_xor_b32_e32 v29, vcc_hi, v21
	v_xor_b32_e32 v21, vcc_lo, v21
	v_lshlrev_b32_e32 v63, 25, v18
	v_and_b32_e32 v20, v20, v21
	v_cmp_gt_i64_e32 vcc, 0, v[62:63]
	v_not_b32_e32 v21, v63
	v_lshlrev_b32_e32 v63, 24, v18
	v_ashrrev_i32_e32 v21, 31, v21
	v_not_b32_e32 v18, v63
	v_and_b32_e32 v19, v19, v29
	v_xor_b32_e32 v29, vcc_hi, v21
	v_xor_b32_e32 v21, vcc_lo, v21
	v_cmp_gt_i64_e32 vcc, 0, v[62:63]
	v_ashrrev_i32_e32 v18, 31, v18
	v_and_b32_e32 v20, v20, v21
	v_xor_b32_e32 v21, vcc_hi, v18
	v_xor_b32_e32 v18, vcc_lo, v18
	v_and_b32_e32 v19, v19, v29
	v_and_b32_e32 v18, v20, v18
	;; [unrolled: 1-line block ×3, first 2 shown]
	v_mbcnt_lo_u32_b32 v20, v18, 0
	v_mbcnt_hi_u32_b32 v29, v19, v20
	v_cmp_eq_u32_e32 vcc, 0, v29
	v_cmp_ne_u64_e64 s[42:43], 0, v[18:19]
	s_and_b64 s[56:57], s[42:43], vcc
	; wave barrier
	s_and_saveexec_b64 s[42:43], s[56:57]
	s_cbranch_execz .LBB122_38
; %bb.37:                               ;   in Loop: Header=BB122_32 Depth=1
	v_bcnt_u32_b32 v18, v18, 0
	v_bcnt_u32_b32 v18, v19, v18
	s_waitcnt lgkmcnt(0)
	v_add_u32_e32 v18, v27, v18
	ds_write_b32 v28, v18
.LBB122_38:                             ;   in Loop: Header=BB122_32 Depth=1
	s_or_b64 exec, exec, s[42:43]
	v_lshrrev_b32_e32 v18, s49, v116
	v_and_b32_e32 v18, s54, v18
	v_lshlrev_b32_e32 v19, 1, v18
	v_add_lshl_u32 v19, v19, v106, 2
	; wave barrier
	v_add_u32_e32 v31, 8, v19
	ds_read_b32 v30, v19 offset:8
	v_and_b32_e32 v19, 1, v18
	v_add_co_u32_e32 v20, vcc, -1, v19
	v_addc_co_u32_e64 v21, s[42:43], 0, -1, vcc
	v_cmp_ne_u32_e32 vcc, 0, v19
	v_lshlrev_b32_e32 v63, 30, v18
	v_xor_b32_e32 v19, vcc_hi, v21
	v_not_b32_e32 v21, v63
	v_xor_b32_e32 v20, vcc_lo, v20
	v_cmp_gt_i64_e32 vcc, 0, v[62:63]
	v_ashrrev_i32_e32 v21, 31, v21
	v_and_b32_e32 v20, exec_lo, v20
	v_xor_b32_e32 v32, vcc_hi, v21
	v_xor_b32_e32 v21, vcc_lo, v21
	v_lshlrev_b32_e32 v63, 29, v18
	v_and_b32_e32 v20, v20, v21
	v_not_b32_e32 v21, v63
	v_and_b32_e32 v19, exec_hi, v19
	v_cmp_gt_i64_e32 vcc, 0, v[62:63]
	v_ashrrev_i32_e32 v21, 31, v21
	v_and_b32_e32 v19, v19, v32
	v_xor_b32_e32 v32, vcc_hi, v21
	v_xor_b32_e32 v21, vcc_lo, v21
	v_lshlrev_b32_e32 v63, 28, v18
	v_and_b32_e32 v20, v20, v21
	v_not_b32_e32 v21, v63
	v_cmp_gt_i64_e32 vcc, 0, v[62:63]
	v_ashrrev_i32_e32 v21, 31, v21
	v_and_b32_e32 v19, v19, v32
	v_xor_b32_e32 v32, vcc_hi, v21
	v_xor_b32_e32 v21, vcc_lo, v21
	v_lshlrev_b32_e32 v63, 27, v18
	v_and_b32_e32 v20, v20, v21
	v_not_b32_e32 v21, v63
	;; [unrolled: 8-line block ×3, first 2 shown]
	v_cmp_gt_i64_e32 vcc, 0, v[62:63]
	v_ashrrev_i32_e32 v21, 31, v21
	v_and_b32_e32 v19, v19, v32
	v_xor_b32_e32 v32, vcc_hi, v21
	v_xor_b32_e32 v21, vcc_lo, v21
	v_lshlrev_b32_e32 v63, 25, v18
	v_and_b32_e32 v20, v20, v21
	v_cmp_gt_i64_e32 vcc, 0, v[62:63]
	v_not_b32_e32 v21, v63
	v_lshlrev_b32_e32 v63, 24, v18
	v_ashrrev_i32_e32 v21, 31, v21
	v_not_b32_e32 v18, v63
	v_and_b32_e32 v19, v19, v32
	v_xor_b32_e32 v32, vcc_hi, v21
	v_xor_b32_e32 v21, vcc_lo, v21
	v_cmp_gt_i64_e32 vcc, 0, v[62:63]
	v_ashrrev_i32_e32 v18, 31, v18
	v_and_b32_e32 v20, v20, v21
	v_xor_b32_e32 v21, vcc_hi, v18
	v_xor_b32_e32 v18, vcc_lo, v18
	v_and_b32_e32 v19, v19, v32
	v_and_b32_e32 v18, v20, v18
	;; [unrolled: 1-line block ×3, first 2 shown]
	v_mbcnt_lo_u32_b32 v20, v18, 0
	v_mbcnt_hi_u32_b32 v32, v19, v20
	v_cmp_eq_u32_e32 vcc, 0, v32
	v_cmp_ne_u64_e64 s[42:43], 0, v[18:19]
	s_and_b64 s[56:57], s[42:43], vcc
	; wave barrier
	s_and_saveexec_b64 s[42:43], s[56:57]
	s_cbranch_execz .LBB122_40
; %bb.39:                               ;   in Loop: Header=BB122_32 Depth=1
	v_bcnt_u32_b32 v18, v18, 0
	v_bcnt_u32_b32 v18, v19, v18
	s_waitcnt lgkmcnt(0)
	v_add_u32_e32 v18, v30, v18
	ds_write_b32 v31, v18
.LBB122_40:                             ;   in Loop: Header=BB122_32 Depth=1
	s_or_b64 exec, exec, s[42:43]
	v_lshrrev_b32_e32 v18, s49, v115
	v_and_b32_e32 v18, s54, v18
	v_lshlrev_b32_e32 v19, 1, v18
	v_add_lshl_u32 v19, v19, v106, 2
	; wave barrier
	v_add_u32_e32 v64, 8, v19
	ds_read_b32 v33, v19 offset:8
	v_and_b32_e32 v19, 1, v18
	v_add_co_u32_e32 v20, vcc, -1, v19
	v_addc_co_u32_e64 v21, s[42:43], 0, -1, vcc
	v_cmp_ne_u32_e32 vcc, 0, v19
	v_lshlrev_b32_e32 v63, 30, v18
	v_xor_b32_e32 v19, vcc_hi, v21
	v_not_b32_e32 v21, v63
	v_xor_b32_e32 v20, vcc_lo, v20
	v_cmp_gt_i64_e32 vcc, 0, v[62:63]
	v_ashrrev_i32_e32 v21, 31, v21
	v_and_b32_e32 v19, exec_hi, v19
	v_xor_b32_e32 v63, vcc_hi, v21
	v_and_b32_e32 v20, exec_lo, v20
	v_xor_b32_e32 v21, vcc_lo, v21
	v_and_b32_e32 v19, v19, v63
	v_lshlrev_b32_e32 v63, 29, v18
	v_and_b32_e32 v20, v20, v21
	v_not_b32_e32 v21, v63
	v_cmp_gt_i64_e32 vcc, 0, v[62:63]
	v_ashrrev_i32_e32 v21, 31, v21
	v_xor_b32_e32 v63, vcc_hi, v21
	v_xor_b32_e32 v21, vcc_lo, v21
	v_and_b32_e32 v19, v19, v63
	v_lshlrev_b32_e32 v63, 28, v18
	v_and_b32_e32 v20, v20, v21
	v_not_b32_e32 v21, v63
	v_cmp_gt_i64_e32 vcc, 0, v[62:63]
	v_ashrrev_i32_e32 v21, 31, v21
	v_xor_b32_e32 v63, vcc_hi, v21
	;; [unrolled: 8-line block ×5, first 2 shown]
	v_and_b32_e32 v19, v19, v63
	v_lshlrev_b32_e32 v63, 24, v18
	v_not_b32_e32 v18, v63
	v_xor_b32_e32 v21, vcc_lo, v21
	v_cmp_gt_i64_e32 vcc, 0, v[62:63]
	v_ashrrev_i32_e32 v18, 31, v18
	v_and_b32_e32 v20, v20, v21
	v_xor_b32_e32 v21, vcc_hi, v18
	v_xor_b32_e32 v18, vcc_lo, v18
	v_and_b32_e32 v18, v20, v18
	v_and_b32_e32 v19, v19, v21
	v_mbcnt_lo_u32_b32 v20, v18, 0
	v_mbcnt_hi_u32_b32 v65, v19, v20
	v_cmp_eq_u32_e32 vcc, 0, v65
	v_cmp_ne_u64_e64 s[42:43], 0, v[18:19]
	s_and_b64 s[56:57], s[42:43], vcc
	; wave barrier
	s_and_saveexec_b64 s[42:43], s[56:57]
	s_cbranch_execz .LBB122_42
; %bb.41:                               ;   in Loop: Header=BB122_32 Depth=1
	v_bcnt_u32_b32 v18, v18, 0
	v_bcnt_u32_b32 v18, v19, v18
	s_waitcnt lgkmcnt(0)
	v_add_u32_e32 v18, v33, v18
	ds_write_b32 v64, v18
.LBB122_42:                             ;   in Loop: Header=BB122_32 Depth=1
	s_or_b64 exec, exec, s[42:43]
	v_lshrrev_b32_e32 v18, s49, v114
	v_and_b32_e32 v18, s54, v18
	v_lshlrev_b32_e32 v19, 1, v18
	v_add_lshl_u32 v19, v19, v106, 2
	; wave barrier
	v_add_u32_e32 v67, 8, v19
	ds_read_b32 v66, v19 offset:8
	v_and_b32_e32 v19, 1, v18
	v_add_co_u32_e32 v20, vcc, -1, v19
	v_addc_co_u32_e64 v21, s[42:43], 0, -1, vcc
	v_cmp_ne_u32_e32 vcc, 0, v19
	v_lshlrev_b32_e32 v63, 30, v18
	v_xor_b32_e32 v19, vcc_hi, v21
	v_not_b32_e32 v21, v63
	v_xor_b32_e32 v20, vcc_lo, v20
	v_cmp_gt_i64_e32 vcc, 0, v[62:63]
	v_ashrrev_i32_e32 v21, 31, v21
	v_and_b32_e32 v19, exec_hi, v19
	v_xor_b32_e32 v63, vcc_hi, v21
	v_and_b32_e32 v20, exec_lo, v20
	v_xor_b32_e32 v21, vcc_lo, v21
	v_and_b32_e32 v19, v19, v63
	v_lshlrev_b32_e32 v63, 29, v18
	v_and_b32_e32 v20, v20, v21
	v_not_b32_e32 v21, v63
	v_cmp_gt_i64_e32 vcc, 0, v[62:63]
	v_ashrrev_i32_e32 v21, 31, v21
	v_xor_b32_e32 v63, vcc_hi, v21
	v_xor_b32_e32 v21, vcc_lo, v21
	v_and_b32_e32 v19, v19, v63
	v_lshlrev_b32_e32 v63, 28, v18
	v_and_b32_e32 v20, v20, v21
	v_not_b32_e32 v21, v63
	v_cmp_gt_i64_e32 vcc, 0, v[62:63]
	v_ashrrev_i32_e32 v21, 31, v21
	v_xor_b32_e32 v63, vcc_hi, v21
	;; [unrolled: 8-line block ×5, first 2 shown]
	v_and_b32_e32 v19, v19, v63
	v_lshlrev_b32_e32 v63, 24, v18
	v_not_b32_e32 v18, v63
	v_xor_b32_e32 v21, vcc_lo, v21
	v_cmp_gt_i64_e32 vcc, 0, v[62:63]
	v_ashrrev_i32_e32 v18, 31, v18
	v_and_b32_e32 v20, v20, v21
	v_xor_b32_e32 v21, vcc_hi, v18
	v_xor_b32_e32 v18, vcc_lo, v18
	v_and_b32_e32 v18, v20, v18
	v_and_b32_e32 v19, v19, v21
	v_mbcnt_lo_u32_b32 v20, v18, 0
	v_mbcnt_hi_u32_b32 v68, v19, v20
	v_cmp_eq_u32_e32 vcc, 0, v68
	v_cmp_ne_u64_e64 s[42:43], 0, v[18:19]
	s_and_b64 s[56:57], s[42:43], vcc
	; wave barrier
	s_and_saveexec_b64 s[42:43], s[56:57]
	s_cbranch_execz .LBB122_44
; %bb.43:                               ;   in Loop: Header=BB122_32 Depth=1
	v_bcnt_u32_b32 v18, v18, 0
	v_bcnt_u32_b32 v18, v19, v18
	s_waitcnt lgkmcnt(0)
	v_add_u32_e32 v18, v66, v18
	ds_write_b32 v67, v18
.LBB122_44:                             ;   in Loop: Header=BB122_32 Depth=1
	s_or_b64 exec, exec, s[42:43]
	v_lshrrev_b32_e32 v18, s49, v113
	v_and_b32_e32 v18, s54, v18
	v_lshlrev_b32_e32 v19, 1, v18
	v_add_lshl_u32 v19, v19, v106, 2
	; wave barrier
	v_add_u32_e32 v70, 8, v19
	ds_read_b32 v69, v19 offset:8
	v_and_b32_e32 v19, 1, v18
	v_add_co_u32_e32 v20, vcc, -1, v19
	v_addc_co_u32_e64 v21, s[42:43], 0, -1, vcc
	v_cmp_ne_u32_e32 vcc, 0, v19
	v_lshlrev_b32_e32 v63, 30, v18
	v_xor_b32_e32 v19, vcc_hi, v21
	v_not_b32_e32 v21, v63
	v_xor_b32_e32 v20, vcc_lo, v20
	v_cmp_gt_i64_e32 vcc, 0, v[62:63]
	v_ashrrev_i32_e32 v21, 31, v21
	v_and_b32_e32 v19, exec_hi, v19
	v_xor_b32_e32 v63, vcc_hi, v21
	v_and_b32_e32 v20, exec_lo, v20
	v_xor_b32_e32 v21, vcc_lo, v21
	v_and_b32_e32 v19, v19, v63
	v_lshlrev_b32_e32 v63, 29, v18
	v_and_b32_e32 v20, v20, v21
	v_not_b32_e32 v21, v63
	v_cmp_gt_i64_e32 vcc, 0, v[62:63]
	v_ashrrev_i32_e32 v21, 31, v21
	v_xor_b32_e32 v63, vcc_hi, v21
	v_xor_b32_e32 v21, vcc_lo, v21
	v_and_b32_e32 v19, v19, v63
	v_lshlrev_b32_e32 v63, 28, v18
	v_and_b32_e32 v20, v20, v21
	v_not_b32_e32 v21, v63
	v_cmp_gt_i64_e32 vcc, 0, v[62:63]
	v_ashrrev_i32_e32 v21, 31, v21
	v_xor_b32_e32 v63, vcc_hi, v21
	;; [unrolled: 8-line block ×5, first 2 shown]
	v_and_b32_e32 v19, v19, v63
	v_lshlrev_b32_e32 v63, 24, v18
	v_not_b32_e32 v18, v63
	v_xor_b32_e32 v21, vcc_lo, v21
	v_cmp_gt_i64_e32 vcc, 0, v[62:63]
	v_ashrrev_i32_e32 v18, 31, v18
	v_and_b32_e32 v20, v20, v21
	v_xor_b32_e32 v21, vcc_hi, v18
	v_xor_b32_e32 v18, vcc_lo, v18
	v_and_b32_e32 v18, v20, v18
	v_and_b32_e32 v19, v19, v21
	v_mbcnt_lo_u32_b32 v20, v18, 0
	v_mbcnt_hi_u32_b32 v71, v19, v20
	v_cmp_eq_u32_e32 vcc, 0, v71
	v_cmp_ne_u64_e64 s[42:43], 0, v[18:19]
	s_and_b64 s[56:57], s[42:43], vcc
	; wave barrier
	s_and_saveexec_b64 s[42:43], s[56:57]
	s_cbranch_execz .LBB122_46
; %bb.45:                               ;   in Loop: Header=BB122_32 Depth=1
	v_bcnt_u32_b32 v18, v18, 0
	v_bcnt_u32_b32 v18, v19, v18
	s_waitcnt lgkmcnt(0)
	v_add_u32_e32 v18, v69, v18
	ds_write_b32 v70, v18
.LBB122_46:                             ;   in Loop: Header=BB122_32 Depth=1
	s_or_b64 exec, exec, s[42:43]
	v_lshrrev_b32_e32 v18, s49, v112
	v_and_b32_e32 v18, s54, v18
	v_lshlrev_b32_e32 v19, 1, v18
	v_add_lshl_u32 v19, v19, v106, 2
	; wave barrier
	v_add_u32_e32 v121, 8, v19
	ds_read_b32 v120, v19 offset:8
	v_and_b32_e32 v19, 1, v18
	v_add_co_u32_e32 v20, vcc, -1, v19
	v_addc_co_u32_e64 v21, s[42:43], 0, -1, vcc
	v_cmp_ne_u32_e32 vcc, 0, v19
	v_lshlrev_b32_e32 v63, 30, v18
	v_xor_b32_e32 v19, vcc_hi, v21
	v_not_b32_e32 v21, v63
	v_xor_b32_e32 v20, vcc_lo, v20
	v_cmp_gt_i64_e32 vcc, 0, v[62:63]
	v_ashrrev_i32_e32 v21, 31, v21
	v_and_b32_e32 v19, exec_hi, v19
	v_xor_b32_e32 v63, vcc_hi, v21
	v_and_b32_e32 v20, exec_lo, v20
	v_xor_b32_e32 v21, vcc_lo, v21
	v_and_b32_e32 v19, v19, v63
	v_lshlrev_b32_e32 v63, 29, v18
	v_and_b32_e32 v20, v20, v21
	v_not_b32_e32 v21, v63
	v_cmp_gt_i64_e32 vcc, 0, v[62:63]
	v_ashrrev_i32_e32 v21, 31, v21
	v_xor_b32_e32 v63, vcc_hi, v21
	v_xor_b32_e32 v21, vcc_lo, v21
	v_and_b32_e32 v19, v19, v63
	v_lshlrev_b32_e32 v63, 28, v18
	v_and_b32_e32 v20, v20, v21
	v_not_b32_e32 v21, v63
	v_cmp_gt_i64_e32 vcc, 0, v[62:63]
	v_ashrrev_i32_e32 v21, 31, v21
	v_xor_b32_e32 v63, vcc_hi, v21
	v_xor_b32_e32 v21, vcc_lo, v21
	v_and_b32_e32 v19, v19, v63
	v_lshlrev_b32_e32 v63, 27, v18
	v_and_b32_e32 v20, v20, v21
	v_not_b32_e32 v21, v63
	v_cmp_gt_i64_e32 vcc, 0, v[62:63]
	v_ashrrev_i32_e32 v21, 31, v21
	v_xor_b32_e32 v63, vcc_hi, v21
	v_xor_b32_e32 v21, vcc_lo, v21
	v_and_b32_e32 v19, v19, v63
	v_lshlrev_b32_e32 v63, 26, v18
	v_and_b32_e32 v20, v20, v21
	v_not_b32_e32 v21, v63
	v_cmp_gt_i64_e32 vcc, 0, v[62:63]
	v_ashrrev_i32_e32 v21, 31, v21
	v_xor_b32_e32 v63, vcc_hi, v21
	v_xor_b32_e32 v21, vcc_lo, v21
	v_and_b32_e32 v19, v19, v63
	v_lshlrev_b32_e32 v63, 25, v18
	v_and_b32_e32 v20, v20, v21
	v_not_b32_e32 v21, v63
	v_cmp_gt_i64_e32 vcc, 0, v[62:63]
	v_ashrrev_i32_e32 v21, 31, v21
	v_xor_b32_e32 v63, vcc_hi, v21
	v_and_b32_e32 v19, v19, v63
	v_lshlrev_b32_e32 v63, 24, v18
	v_not_b32_e32 v18, v63
	v_xor_b32_e32 v21, vcc_lo, v21
	v_cmp_gt_i64_e32 vcc, 0, v[62:63]
	v_ashrrev_i32_e32 v18, 31, v18
	v_and_b32_e32 v20, v20, v21
	v_xor_b32_e32 v21, vcc_hi, v18
	v_xor_b32_e32 v18, vcc_lo, v18
	v_and_b32_e32 v18, v20, v18
	v_and_b32_e32 v19, v19, v21
	v_mbcnt_lo_u32_b32 v20, v18, 0
	v_mbcnt_hi_u32_b32 v127, v19, v20
	v_cmp_eq_u32_e32 vcc, 0, v127
	v_cmp_ne_u64_e64 s[42:43], 0, v[18:19]
	s_and_b64 s[54:55], s[42:43], vcc
	; wave barrier
	s_and_saveexec_b64 s[42:43], s[54:55]
	s_cbranch_execz .LBB122_48
; %bb.47:                               ;   in Loop: Header=BB122_32 Depth=1
	v_bcnt_u32_b32 v18, v18, 0
	v_bcnt_u32_b32 v18, v19, v18
	s_waitcnt lgkmcnt(0)
	v_add_u32_e32 v18, v120, v18
	ds_write_b32 v121, v18
.LBB122_48:                             ;   in Loop: Header=BB122_32 Depth=1
	s_or_b64 exec, exec, s[42:43]
	; wave barrier
	s_waitcnt lgkmcnt(0)
	s_barrier
	ds_read2_b32 v[20:21], v89 offset0:2 offset1:3
	ds_read2_b32 v[18:19], v105 offset0:2 offset1:3
	s_waitcnt lgkmcnt(1)
	v_add_u32_e32 v63, v21, v20
	s_waitcnt lgkmcnt(0)
	v_add3_u32 v19, v63, v18, v19
	s_nop 1
	v_mov_b32_dpp v63, v19 row_shr:1 row_mask:0xf bank_mask:0xf
	v_cndmask_b32_e64 v63, v63, 0, s[26:27]
	v_add_u32_e32 v19, v63, v19
	s_nop 1
	v_mov_b32_dpp v63, v19 row_shr:2 row_mask:0xf bank_mask:0xf
	v_cndmask_b32_e64 v63, 0, v63, s[28:29]
	v_add_u32_e32 v19, v19, v63
	s_nop 1
	v_mov_b32_dpp v63, v19 row_shr:4 row_mask:0xf bank_mask:0xf
	v_cndmask_b32_e64 v63, 0, v63, s[30:31]
	v_add_u32_e32 v19, v19, v63
	s_nop 1
	v_mov_b32_dpp v63, v19 row_shr:8 row_mask:0xf bank_mask:0xf
	v_cndmask_b32_e64 v63, 0, v63, s[34:35]
	v_add_u32_e32 v19, v19, v63
	s_nop 1
	v_mov_b32_dpp v63, v19 row_bcast:15 row_mask:0xf bank_mask:0xf
	v_cndmask_b32_e64 v63, v63, 0, s[36:37]
	v_add_u32_e32 v19, v19, v63
	s_nop 1
	v_mov_b32_dpp v63, v19 row_bcast:31 row_mask:0xf bank_mask:0xf
	v_cndmask_b32_e64 v63, 0, v63, s[16:17]
	v_add_u32_e32 v19, v19, v63
	s_and_saveexec_b64 s[42:43], s[38:39]
	s_cbranch_execz .LBB122_50
; %bb.49:                               ;   in Loop: Header=BB122_32 Depth=1
	ds_write_b32 v108, v19
.LBB122_50:                             ;   in Loop: Header=BB122_32 Depth=1
	s_or_b64 exec, exec, s[42:43]
	s_waitcnt lgkmcnt(0)
	s_barrier
	s_and_saveexec_b64 s[42:43], s[18:19]
	s_cbranch_execz .LBB122_52
; %bb.51:                               ;   in Loop: Header=BB122_32 Depth=1
	ds_read_b32 v63, v88
	s_waitcnt lgkmcnt(0)
	s_nop 0
	v_mov_b32_dpp v122, v63 row_shr:1 row_mask:0xf bank_mask:0xf
	v_cndmask_b32_e64 v122, v122, 0, s[40:41]
	v_add_u32_e32 v63, v122, v63
	ds_write_b32 v88, v63
.LBB122_52:                             ;   in Loop: Header=BB122_32 Depth=1
	s_or_b64 exec, exec, s[42:43]
	v_mov_b32_e32 v63, 0
	s_waitcnt lgkmcnt(0)
	s_barrier
	s_and_saveexec_b64 s[42:43], s[20:21]
	s_cbranch_execz .LBB122_54
; %bb.53:                               ;   in Loop: Header=BB122_32 Depth=1
	ds_read_b32 v63, v109
.LBB122_54:                             ;   in Loop: Header=BB122_32 Depth=1
	s_or_b64 exec, exec, s[42:43]
	s_waitcnt lgkmcnt(0)
	v_add_u32_e32 v19, v63, v19
	ds_bpermute_b32 v19, v107, v19
	s_cmp_gt_u32 s49, 23
	s_waitcnt lgkmcnt(0)
	v_cndmask_b32_e64 v19, v19, v63, s[22:23]
	v_cndmask_b32_e64 v19, v19, 0, s[24:25]
	v_add_u32_e32 v20, v19, v20
	v_add_u32_e32 v21, v20, v21
	;; [unrolled: 1-line block ×3, first 2 shown]
	ds_write2_b32 v89, v19, v20 offset0:2 offset1:3
	ds_write2_b32 v105, v21, v18 offset0:2 offset1:3
	s_waitcnt lgkmcnt(0)
	s_barrier
	ds_read_b32 v18, v22
	ds_read_b32 v19, v25
	;; [unrolled: 1-line block ×8, first 2 shown]
	s_waitcnt lgkmcnt(7)
	v_add_u32_e32 v63, v18, v23
	s_waitcnt lgkmcnt(6)
	v_add3_u32 v121, v26, v24, v19
	s_waitcnt lgkmcnt(5)
	v_add3_u32 v122, v29, v27, v20
	s_waitcnt lgkmcnt(4)
	v_add3_u32 v123, v32, v30, v21
	s_waitcnt lgkmcnt(3)
	v_add3_u32 v124, v65, v33, v22
	s_waitcnt lgkmcnt(2)
	v_add3_u32 v125, v68, v66, v25
	s_waitcnt lgkmcnt(1)
	v_add3_u32 v126, v71, v69, v28
	s_waitcnt lgkmcnt(0)
	v_add3_u32 v120, v127, v120, v31
	s_cbranch_scc0 .LBB122_31
; %bb.55:
                                        ; implicit-def: $vgpr71
                                        ; implicit-def: $vgpr69
                                        ; implicit-def: $vgpr67
                                        ; implicit-def: $vgpr65
                                        ; implicit-def: $vgpr32_vgpr33
                                        ; implicit-def: $vgpr28_vgpr29
                                        ; implicit-def: $vgpr24_vgpr25
                                        ; implicit-def: $vgpr20_vgpr21
                                        ; implicit-def: $sgpr49
                                        ; implicit-def: $sgpr53
.LBB122_56:
	v_lshlrev_b32_e32 v18, 2, v63
	s_barrier
	ds_write_b32 v18, v119
	v_lshlrev_b32_e32 v18, 2, v121
	ds_write_b32 v18, v118
	v_lshlrev_b32_e32 v18, 2, v122
	;; [unrolled: 2-line block ×7, first 2 shown]
	v_lshlrev_b32_e32 v22, 2, v87
	ds_write_b32 v18, v112
	s_waitcnt lgkmcnt(0)
	s_barrier
	ds_read2_b32 v[18:19], v22 offset1:1
	ds_read2_b32 v[20:21], v22 offset0:2 offset1:3
	ds_read2_b32 v[66:67], v22 offset0:4 offset1:5
	;; [unrolled: 1-line block ×3, first 2 shown]
	v_lshlrev_b32_e32 v23, 3, v63
	v_lshlrev_b32_e32 v24, 3, v121
	;; [unrolled: 1-line block ×9, first 2 shown]
	s_waitcnt lgkmcnt(3)
	v_xor_b32_e32 v62, 0x80000000, v18
	v_xor_b32_e32 v64, 0x80000000, v19
	s_waitcnt lgkmcnt(2)
	v_xor_b32_e32 v63, 0x80000000, v20
	v_xor_b32_e32 v65, 0x80000000, v21
	s_waitcnt lgkmcnt(0)
	s_barrier
	ds_write_b64 v23, v[60:61]
	ds_write_b64 v24, v[58:59]
	ds_write_b64 v25, v[56:57]
	ds_write_b64 v26, v[54:55]
	ds_write_b64 v27, v[52:53]
	ds_write_b64 v28, v[50:51]
	ds_write_b64 v29, v[48:49]
	ds_write_b64 v30, v[0:1]
	s_waitcnt lgkmcnt(0)
	s_barrier
	ds_read2_b64 v[18:21], v31 offset1:1
	ds_read2_b64 v[22:25], v31 offset0:2 offset1:3
	ds_read2_b64 v[26:29], v31 offset0:4 offset1:5
	;; [unrolled: 1-line block ×3, first 2 shown]
	v_xor_b32_e32 v66, 0x80000000, v66
	v_xor_b32_e32 v0, 0x80000000, v67
	;; [unrolled: 1-line block ×4, first 2 shown]
	s_branch .LBB122_92
.LBB122_57:
	v_mov_b32_e32 v37, 0
	v_lshlrev_b64 v[2:3], 3, v[36:37]
	v_mov_b32_e32 v4, s47
	v_add_co_u32_e32 v2, vcc, s45, v2
	v_addc_co_u32_e32 v3, vcc, v4, v3, vcc
	global_load_dwordx2 v[2:3], v[2:3], off
	v_mov_b32_e32 v4, v37
	v_mov_b32_e32 v5, v37
	;; [unrolled: 1-line block ×14, first 2 shown]
	s_or_b64 exec, exec, s[16:17]
	s_and_saveexec_b64 s[16:17], s[2:3]
	s_cbranch_execz .LBB122_22
.LBB122_58:
	v_mul_lo_u32 v4, v30, s48
	v_mov_b32_e32 v5, 0
	v_lshlrev_b64 v[4:5], 3, v[4:5]
	v_mov_b32_e32 v30, s47
	v_add_co_u32_e32 v4, vcc, s45, v4
	v_addc_co_u32_e32 v5, vcc, v30, v5, vcc
	global_load_dwordx2 v[4:5], v[4:5], off
	s_or_b64 exec, exec, s[16:17]
	s_and_saveexec_b64 s[16:17], s[4:5]
	s_cbranch_execz .LBB122_23
.LBB122_59:
	v_mul_lo_u32 v6, v28, s48
	v_mov_b32_e32 v7, 0
	v_lshlrev_b64 v[6:7], 3, v[6:7]
	v_mov_b32_e32 v28, s47
	v_add_co_u32_e32 v6, vcc, s45, v6
	v_addc_co_u32_e32 v7, vcc, v28, v7, vcc
	global_load_dwordx2 v[6:7], v[6:7], off
	s_or_b64 exec, exec, s[16:17]
	s_and_saveexec_b64 s[16:17], s[6:7]
	s_cbranch_execz .LBB122_24
.LBB122_60:
	v_mul_lo_u32 v8, v26, s48
	v_mov_b32_e32 v9, 0
	v_lshlrev_b64 v[8:9], 3, v[8:9]
	v_mov_b32_e32 v26, s47
	v_add_co_u32_e32 v8, vcc, s45, v8
	v_addc_co_u32_e32 v9, vcc, v26, v9, vcc
	global_load_dwordx2 v[8:9], v[8:9], off
	s_or_b64 exec, exec, s[16:17]
	s_and_saveexec_b64 s[16:17], s[8:9]
	s_cbranch_execz .LBB122_25
.LBB122_61:
	v_mul_lo_u32 v10, v24, s48
	v_mov_b32_e32 v11, 0
	v_lshlrev_b64 v[10:11], 3, v[10:11]
	v_mov_b32_e32 v24, s47
	v_add_co_u32_e32 v10, vcc, s45, v10
	v_addc_co_u32_e32 v11, vcc, v24, v11, vcc
	global_load_dwordx2 v[10:11], v[10:11], off
	s_or_b64 exec, exec, s[16:17]
	s_and_saveexec_b64 s[16:17], s[10:11]
	s_cbranch_execz .LBB122_26
.LBB122_62:
	v_mul_lo_u32 v12, v21, s48
	v_mov_b32_e32 v13, 0
	v_lshlrev_b64 v[12:13], 3, v[12:13]
	v_mov_b32_e32 v21, s47
	v_add_co_u32_e32 v12, vcc, s45, v12
	v_addc_co_u32_e32 v13, vcc, v21, v13, vcc
	global_load_dwordx2 v[12:13], v[12:13], off
	s_or_b64 exec, exec, s[16:17]
	s_and_saveexec_b64 s[16:17], s[12:13]
	s_cbranch_execz .LBB122_27
.LBB122_63:
	v_mul_lo_u32 v14, v19, s48
	v_mov_b32_e32 v15, 0
	v_lshlrev_b64 v[14:15], 3, v[14:15]
	v_mov_b32_e32 v19, s47
	v_add_co_u32_e32 v14, vcc, s45, v14
	v_addc_co_u32_e32 v15, vcc, v19, v15, vcc
	global_load_dwordx2 v[14:15], v[14:15], off
	s_or_b64 exec, exec, s[16:17]
	s_xor_b64 s[16:17], s[34:35], -1
	s_and_saveexec_b64 s[18:19], s[14:15]
	s_cbranch_execnz .LBB122_28
	s_branch .LBB122_29
.LBB122_64:
                                        ; implicit-def: $vgpr48
                                        ; implicit-def: $vgpr1
                                        ; implicit-def: $vgpr0
                                        ; implicit-def: $vgpr66
                                        ; implicit-def: $vgpr65
                                        ; implicit-def: $vgpr63
                                        ; implicit-def: $vgpr64
                                        ; implicit-def: $vgpr62
                                        ; implicit-def: $vgpr32_vgpr33
                                        ; implicit-def: $vgpr28_vgpr29
                                        ; implicit-def: $vgpr24_vgpr25
                                        ; implicit-def: $vgpr20_vgpr21
	s_cbranch_execz .LBB122_92
; %bb.65:
	v_xor_b32_e32 v0, 0x7fffffff, v47
	v_xor_b32_e32 v1, 0x7fffffff, v46
	s_waitcnt lgkmcnt(3)
	v_xor_b32_e32 v18, 0x7fffffff, v45
	v_xor_b32_e32 v19, 0x7fffffff, v44
	v_xor_b32_e32 v20, 0x7fffffff, v43
	v_xor_b32_e32 v21, 0x7fffffff, v42
	s_waitcnt lgkmcnt(2)
	v_xor_b32_e32 v22, 0x7fffffff, v41
	v_xor_b32_e32 v23, 0x7fffffff, v40
	ds_write2_b32 v104, v1, v0 offset1:1
	ds_write2_b32 v104, v19, v18 offset0:2 offset1:3
	ds_write2_b32 v104, v21, v20 offset0:4 offset1:5
	;; [unrolled: 1-line block ×3, first 2 shown]
	; wave barrier
	ds_read2st64_b32 v[40:41], v103 offset1:1
	ds_read2st64_b32 v[42:43], v103 offset0:2 offset1:3
	ds_read2st64_b32 v[44:45], v103 offset0:4 offset1:5
	;; [unrolled: 1-line block ×3, first 2 shown]
	s_waitcnt lgkmcnt(0)
	s_barrier
	ds_write2_b64 v102, v[14:15], v[16:17] offset1:1
	ds_write2_b64 v102, v[10:11], v[12:13] offset0:2 offset1:3
	ds_write2_b64 v102, v[6:7], v[8:9] offset0:4 offset1:5
	;; [unrolled: 1-line block ×3, first 2 shown]
	; wave barrier
	ds_read2st64_b64 v[0:3], v101 offset1:1
	ds_read2st64_b64 v[4:7], v101 offset0:2 offset1:3
	ds_read2st64_b64 v[8:11], v101 offset0:4 offset1:5
	;; [unrolled: 1-line block ×3, first 2 shown]
	s_waitcnt lgkmcnt(0)
	s_barrier
	s_load_dword s18, s[50:51], 0xc
	s_getpc_b64 s[16:17]
	s_add_u32 s16, s16, _ZN7rocprim17ROCPRIM_400000_NS16block_radix_sortIiLj128ELj8ElLj1ELj1ELj0ELNS0_26block_radix_rank_algorithmE1ELNS0_18block_padding_hintE2ELNS0_4arch9wavefront6targetE1EE19radix_bits_per_passE@rel32@lo+4
	s_addc_u32 s17, s17, _ZN7rocprim17ROCPRIM_400000_NS16block_radix_sortIiLj128ELj8ElLj1ELj1ELj0ELNS0_26block_radix_rank_algorithmE1ELNS0_18block_padding_hintE2ELNS0_4arch9wavefront6targetE1EE19radix_bits_per_passE@rel32@hi+12
	s_load_dword s49, s[16:17], 0x0
	v_cmp_lt_i32_e32 vcc, v92, v98
	v_cmp_gt_u32_e64 s[30:31], 2, v38
	s_waitcnt lgkmcnt(0)
	s_lshr_b32 s16, s18, 16
	s_and_b32 s17, s18, 0xffff
	v_mad_u32_u24 v16, v100, s16, v99
	v_mad_u64_u32 v[16:17], s[16:17], v16, s17, v[38:39]
	v_lshrrev_b32_e32 v49, 6, v16
	v_or_b32_e32 v16, 63, v97
	v_cmp_eq_u32_e64 s[28:29], v16, v38
	v_cmp_lt_u32_e64 s[34:35], 63, v38
	v_cndmask_b32_e32 v16, v92, v90, vcc
	v_cmp_eq_u32_e64 s[38:39], 0, v38
	v_and_b32_e32 v38, 60, v93
	v_or_b32_e32 v48, 8, v89
	s_mov_b32 s50, 0
	v_cmp_eq_u32_e64 s[16:17], 0, v95
	v_cmp_lt_u32_e64 s[18:19], 1, v95
	v_cmp_lt_u32_e64 s[20:21], 3, v95
	;; [unrolled: 1-line block ×3, first 2 shown]
	v_cmp_eq_u32_e64 s[24:25], 0, v96
	v_cmp_lt_u32_e64 s[26:27], 31, v90
	v_lshlrev_b32_e32 v50, 2, v16
	v_cmp_eq_u32_e64 s[36:37], 0, v90
	v_cmp_eq_u32_e64 s[40:41], 0, v94
	v_add_u32_e32 v51, -4, v38
	v_lshlrev_b32_e32 v52, 2, v91
	v_lshlrev_b32_e32 v53, 3, v91
	s_mov_b32 s51, 32
	v_mov_b32_e32 v32, 0
	s_branch .LBB122_67
.LBB122_66:                             ;   in Loop: Header=BB122_67 Depth=1
	v_lshlrev_b32_e32 v0, 2, v33
	s_barrier
	ds_write_b32 v0, v61
	v_lshlrev_b32_e32 v0, 2, v63
	ds_write_b32 v0, v60
	v_lshlrev_b32_e32 v0, 2, v64
	;; [unrolled: 2-line block ×8, first 2 shown]
	s_waitcnt lgkmcnt(0)
	s_barrier
	ds_read2st64_b32 v[40:41], v52 offset1:1
	ds_read2st64_b32 v[42:43], v52 offset0:2 offset1:3
	ds_read2st64_b32 v[44:45], v52 offset0:4 offset1:5
	;; [unrolled: 1-line block ×3, first 2 shown]
	s_waitcnt lgkmcnt(0)
	s_barrier
	ds_write_b64 v0, v[30:31]
	v_lshlrev_b32_e32 v0, 3, v63
	ds_write_b64 v0, v[28:29]
	v_lshlrev_b32_e32 v0, 3, v64
	;; [unrolled: 2-line block ×7, first 2 shown]
	ds_write_b64 v0, v[16:17]
	s_waitcnt lgkmcnt(0)
	s_barrier
	ds_read2st64_b64 v[0:3], v53 offset1:1
	ds_read2st64_b64 v[4:7], v53 offset0:2 offset1:3
	ds_read2st64_b64 v[8:11], v53 offset0:4 offset1:5
	;; [unrolled: 1-line block ×3, first 2 shown]
	s_add_i32 s50, s50, 8
	s_add_i32 s51, s51, -8
	s_waitcnt lgkmcnt(0)
	s_barrier
	s_cbranch_execz .LBB122_91
.LBB122_67:                             ; =>This Inner Loop Header: Depth=1
	s_min_u32 s42, s49, s51
	v_mov_b32_e32 v61, v40
	s_lshl_b32 s42, -1, s42
	v_pk_mov_b32 v[30:31], v[0:1], v[0:1] op_sel:[0,1]
	s_not_b32 s52, s42
	v_lshrrev_b32_e32 v0, s50, v61
	v_and_b32_e32 v0, s52, v0
	v_lshl_add_u32 v1, v0, 1, v49
	v_pk_mov_b32 v[26:27], v[4:5], v[4:5] op_sel:[0,1]
	v_lshl_add_u32 v4, v1, 2, 8
	v_and_b32_e32 v1, 1, v0
	v_pk_mov_b32 v[28:29], v[2:3], v[2:3] op_sel:[0,1]
	v_add_co_u32_e32 v2, vcc, -1, v1
	v_addc_co_u32_e64 v3, s[42:43], 0, -1, vcc
	v_cmp_ne_u32_e32 vcc, 0, v1
	v_lshlrev_b32_e32 v33, 30, v0
	v_xor_b32_e32 v1, vcc_hi, v3
	v_not_b32_e32 v3, v33
	v_xor_b32_e32 v2, vcc_lo, v2
	v_cmp_gt_i64_e32 vcc, 0, v[32:33]
	v_ashrrev_i32_e32 v3, 31, v3
	v_and_b32_e32 v2, exec_lo, v2
	v_xor_b32_e32 v5, vcc_hi, v3
	v_xor_b32_e32 v3, vcc_lo, v3
	v_lshlrev_b32_e32 v33, 29, v0
	v_and_b32_e32 v2, v2, v3
	v_not_b32_e32 v3, v33
	v_and_b32_e32 v1, exec_hi, v1
	v_cmp_gt_i64_e32 vcc, 0, v[32:33]
	v_ashrrev_i32_e32 v3, 31, v3
	v_and_b32_e32 v1, v1, v5
	v_xor_b32_e32 v5, vcc_hi, v3
	v_xor_b32_e32 v3, vcc_lo, v3
	v_lshlrev_b32_e32 v33, 28, v0
	v_and_b32_e32 v2, v2, v3
	v_not_b32_e32 v3, v33
	v_cmp_gt_i64_e32 vcc, 0, v[32:33]
	v_ashrrev_i32_e32 v3, 31, v3
	v_and_b32_e32 v1, v1, v5
	v_xor_b32_e32 v5, vcc_hi, v3
	v_xor_b32_e32 v3, vcc_lo, v3
	v_lshlrev_b32_e32 v33, 27, v0
	v_and_b32_e32 v2, v2, v3
	v_not_b32_e32 v3, v33
	v_cmp_gt_i64_e32 vcc, 0, v[32:33]
	v_ashrrev_i32_e32 v3, 31, v3
	v_and_b32_e32 v1, v1, v5
	v_xor_b32_e32 v5, vcc_hi, v3
	v_xor_b32_e32 v3, vcc_lo, v3
	v_lshlrev_b32_e32 v33, 26, v0
	v_and_b32_e32 v2, v2, v3
	v_not_b32_e32 v3, v33
	v_cmp_gt_i64_e32 vcc, 0, v[32:33]
	v_ashrrev_i32_e32 v3, 31, v3
	v_and_b32_e32 v1, v1, v5
	v_xor_b32_e32 v5, vcc_hi, v3
	v_xor_b32_e32 v3, vcc_lo, v3
	v_lshlrev_b32_e32 v33, 25, v0
	v_and_b32_e32 v2, v2, v3
	v_cmp_gt_i64_e32 vcc, 0, v[32:33]
	v_not_b32_e32 v3, v33
	v_lshlrev_b32_e32 v33, 24, v0
	v_ashrrev_i32_e32 v3, 31, v3
	v_not_b32_e32 v0, v33
	v_and_b32_e32 v1, v1, v5
	v_xor_b32_e32 v5, vcc_hi, v3
	v_xor_b32_e32 v3, vcc_lo, v3
	v_cmp_gt_i64_e32 vcc, 0, v[32:33]
	v_ashrrev_i32_e32 v0, 31, v0
	v_and_b32_e32 v2, v2, v3
	v_xor_b32_e32 v3, vcc_hi, v0
	v_xor_b32_e32 v0, vcc_lo, v0
	v_and_b32_e32 v1, v1, v5
	v_and_b32_e32 v0, v2, v0
	;; [unrolled: 1-line block ×3, first 2 shown]
	v_mbcnt_lo_u32_b32 v2, v0, 0
	v_mbcnt_hi_u32_b32 v5, v1, v2
	v_cmp_eq_u32_e32 vcc, 0, v5
	v_cmp_ne_u64_e64 s[42:43], 0, v[0:1]
	v_mov_b32_e32 v54, v47
	v_mov_b32_e32 v55, v46
	;; [unrolled: 1-line block ×7, first 2 shown]
	v_pk_mov_b32 v[16:17], v[14:15], v[14:15] op_sel:[0,1]
	v_pk_mov_b32 v[18:19], v[12:13], v[12:13] op_sel:[0,1]
	;; [unrolled: 1-line block ×5, first 2 shown]
	s_and_b64 s[54:55], s[42:43], vcc
	ds_write2_b32 v89, v32, v32 offset0:2 offset1:3
	ds_write2_b32 v48, v32, v32 offset0:2 offset1:3
	s_waitcnt lgkmcnt(0)
	s_barrier
	s_waitcnt lgkmcnt(0)
	; wave barrier
	s_and_saveexec_b64 s[42:43], s[54:55]
	s_cbranch_execz .LBB122_69
; %bb.68:                               ;   in Loop: Header=BB122_67 Depth=1
	v_bcnt_u32_b32 v0, v0, 0
	v_bcnt_u32_b32 v0, v1, v0
	ds_write_b32 v4, v0
.LBB122_69:                             ;   in Loop: Header=BB122_67 Depth=1
	s_or_b64 exec, exec, s[42:43]
	v_lshrrev_b32_e32 v0, s50, v60
	v_and_b32_e32 v0, s52, v0
	v_lshlrev_b32_e32 v1, 1, v0
	v_add_lshl_u32 v1, v1, v49, 2
	; wave barrier
	v_add_u32_e32 v7, 8, v1
	ds_read_b32 v6, v1 offset:8
	v_and_b32_e32 v1, 1, v0
	v_add_co_u32_e32 v2, vcc, -1, v1
	v_addc_co_u32_e64 v3, s[42:43], 0, -1, vcc
	v_cmp_ne_u32_e32 vcc, 0, v1
	v_lshlrev_b32_e32 v33, 30, v0
	v_xor_b32_e32 v1, vcc_hi, v3
	v_not_b32_e32 v3, v33
	v_xor_b32_e32 v2, vcc_lo, v2
	v_cmp_gt_i64_e32 vcc, 0, v[32:33]
	v_ashrrev_i32_e32 v3, 31, v3
	v_and_b32_e32 v2, exec_lo, v2
	v_xor_b32_e32 v8, vcc_hi, v3
	v_xor_b32_e32 v3, vcc_lo, v3
	v_lshlrev_b32_e32 v33, 29, v0
	v_and_b32_e32 v2, v2, v3
	v_not_b32_e32 v3, v33
	v_and_b32_e32 v1, exec_hi, v1
	v_cmp_gt_i64_e32 vcc, 0, v[32:33]
	v_ashrrev_i32_e32 v3, 31, v3
	v_and_b32_e32 v1, v1, v8
	v_xor_b32_e32 v8, vcc_hi, v3
	v_xor_b32_e32 v3, vcc_lo, v3
	v_lshlrev_b32_e32 v33, 28, v0
	v_and_b32_e32 v2, v2, v3
	v_not_b32_e32 v3, v33
	v_cmp_gt_i64_e32 vcc, 0, v[32:33]
	v_ashrrev_i32_e32 v3, 31, v3
	v_and_b32_e32 v1, v1, v8
	v_xor_b32_e32 v8, vcc_hi, v3
	v_xor_b32_e32 v3, vcc_lo, v3
	v_lshlrev_b32_e32 v33, 27, v0
	v_and_b32_e32 v2, v2, v3
	v_not_b32_e32 v3, v33
	;; [unrolled: 8-line block ×3, first 2 shown]
	v_cmp_gt_i64_e32 vcc, 0, v[32:33]
	v_ashrrev_i32_e32 v3, 31, v3
	v_and_b32_e32 v1, v1, v8
	v_xor_b32_e32 v8, vcc_hi, v3
	v_xor_b32_e32 v3, vcc_lo, v3
	v_lshlrev_b32_e32 v33, 25, v0
	v_and_b32_e32 v2, v2, v3
	v_cmp_gt_i64_e32 vcc, 0, v[32:33]
	v_not_b32_e32 v3, v33
	v_lshlrev_b32_e32 v33, 24, v0
	v_ashrrev_i32_e32 v3, 31, v3
	v_not_b32_e32 v0, v33
	v_and_b32_e32 v1, v1, v8
	v_xor_b32_e32 v8, vcc_hi, v3
	v_xor_b32_e32 v3, vcc_lo, v3
	v_cmp_gt_i64_e32 vcc, 0, v[32:33]
	v_ashrrev_i32_e32 v0, 31, v0
	v_and_b32_e32 v2, v2, v3
	v_xor_b32_e32 v3, vcc_hi, v0
	v_xor_b32_e32 v0, vcc_lo, v0
	v_and_b32_e32 v1, v1, v8
	v_and_b32_e32 v0, v2, v0
	;; [unrolled: 1-line block ×3, first 2 shown]
	v_mbcnt_lo_u32_b32 v2, v0, 0
	v_mbcnt_hi_u32_b32 v8, v1, v2
	v_cmp_eq_u32_e32 vcc, 0, v8
	v_cmp_ne_u64_e64 s[42:43], 0, v[0:1]
	s_and_b64 s[54:55], s[42:43], vcc
	; wave barrier
	s_and_saveexec_b64 s[42:43], s[54:55]
	s_cbranch_execz .LBB122_71
; %bb.70:                               ;   in Loop: Header=BB122_67 Depth=1
	v_bcnt_u32_b32 v0, v0, 0
	v_bcnt_u32_b32 v0, v1, v0
	s_waitcnt lgkmcnt(0)
	v_add_u32_e32 v0, v6, v0
	ds_write_b32 v7, v0
.LBB122_71:                             ;   in Loop: Header=BB122_67 Depth=1
	s_or_b64 exec, exec, s[42:43]
	v_lshrrev_b32_e32 v0, s50, v59
	v_and_b32_e32 v0, s52, v0
	v_lshlrev_b32_e32 v1, 1, v0
	v_add_lshl_u32 v1, v1, v49, 2
	; wave barrier
	v_add_u32_e32 v10, 8, v1
	ds_read_b32 v9, v1 offset:8
	v_and_b32_e32 v1, 1, v0
	v_add_co_u32_e32 v2, vcc, -1, v1
	v_addc_co_u32_e64 v3, s[42:43], 0, -1, vcc
	v_cmp_ne_u32_e32 vcc, 0, v1
	v_lshlrev_b32_e32 v33, 30, v0
	v_xor_b32_e32 v1, vcc_hi, v3
	v_not_b32_e32 v3, v33
	v_xor_b32_e32 v2, vcc_lo, v2
	v_cmp_gt_i64_e32 vcc, 0, v[32:33]
	v_ashrrev_i32_e32 v3, 31, v3
	v_and_b32_e32 v2, exec_lo, v2
	v_xor_b32_e32 v11, vcc_hi, v3
	v_xor_b32_e32 v3, vcc_lo, v3
	v_lshlrev_b32_e32 v33, 29, v0
	v_and_b32_e32 v2, v2, v3
	v_not_b32_e32 v3, v33
	v_and_b32_e32 v1, exec_hi, v1
	v_cmp_gt_i64_e32 vcc, 0, v[32:33]
	v_ashrrev_i32_e32 v3, 31, v3
	v_and_b32_e32 v1, v1, v11
	v_xor_b32_e32 v11, vcc_hi, v3
	v_xor_b32_e32 v3, vcc_lo, v3
	v_lshlrev_b32_e32 v33, 28, v0
	v_and_b32_e32 v2, v2, v3
	v_not_b32_e32 v3, v33
	v_cmp_gt_i64_e32 vcc, 0, v[32:33]
	v_ashrrev_i32_e32 v3, 31, v3
	v_and_b32_e32 v1, v1, v11
	v_xor_b32_e32 v11, vcc_hi, v3
	v_xor_b32_e32 v3, vcc_lo, v3
	v_lshlrev_b32_e32 v33, 27, v0
	v_and_b32_e32 v2, v2, v3
	v_not_b32_e32 v3, v33
	v_cmp_gt_i64_e32 vcc, 0, v[32:33]
	v_ashrrev_i32_e32 v3, 31, v3
	v_and_b32_e32 v1, v1, v11
	v_xor_b32_e32 v11, vcc_hi, v3
	v_xor_b32_e32 v3, vcc_lo, v3
	v_lshlrev_b32_e32 v33, 26, v0
	v_and_b32_e32 v2, v2, v3
	v_not_b32_e32 v3, v33
	v_cmp_gt_i64_e32 vcc, 0, v[32:33]
	v_ashrrev_i32_e32 v3, 31, v3
	v_and_b32_e32 v1, v1, v11
	v_xor_b32_e32 v11, vcc_hi, v3
	v_xor_b32_e32 v3, vcc_lo, v3
	v_lshlrev_b32_e32 v33, 25, v0
	v_and_b32_e32 v2, v2, v3
	v_cmp_gt_i64_e32 vcc, 0, v[32:33]
	v_not_b32_e32 v3, v33
	v_lshlrev_b32_e32 v33, 24, v0
	v_ashrrev_i32_e32 v3, 31, v3
	v_not_b32_e32 v0, v33
	v_and_b32_e32 v1, v1, v11
	v_xor_b32_e32 v11, vcc_hi, v3
	v_xor_b32_e32 v3, vcc_lo, v3
	v_cmp_gt_i64_e32 vcc, 0, v[32:33]
	v_ashrrev_i32_e32 v0, 31, v0
	v_and_b32_e32 v2, v2, v3
	v_xor_b32_e32 v3, vcc_hi, v0
	v_xor_b32_e32 v0, vcc_lo, v0
	v_and_b32_e32 v1, v1, v11
	v_and_b32_e32 v0, v2, v0
	v_and_b32_e32 v1, v1, v3
	v_mbcnt_lo_u32_b32 v2, v0, 0
	v_mbcnt_hi_u32_b32 v11, v1, v2
	v_cmp_eq_u32_e32 vcc, 0, v11
	v_cmp_ne_u64_e64 s[42:43], 0, v[0:1]
	s_and_b64 s[54:55], s[42:43], vcc
	; wave barrier
	s_and_saveexec_b64 s[42:43], s[54:55]
	s_cbranch_execz .LBB122_73
; %bb.72:                               ;   in Loop: Header=BB122_67 Depth=1
	v_bcnt_u32_b32 v0, v0, 0
	v_bcnt_u32_b32 v0, v1, v0
	s_waitcnt lgkmcnt(0)
	v_add_u32_e32 v0, v9, v0
	ds_write_b32 v10, v0
.LBB122_73:                             ;   in Loop: Header=BB122_67 Depth=1
	s_or_b64 exec, exec, s[42:43]
	v_lshrrev_b32_e32 v0, s50, v58
	v_and_b32_e32 v0, s52, v0
	v_lshlrev_b32_e32 v1, 1, v0
	v_add_lshl_u32 v1, v1, v49, 2
	; wave barrier
	v_add_u32_e32 v13, 8, v1
	ds_read_b32 v12, v1 offset:8
	v_and_b32_e32 v1, 1, v0
	v_add_co_u32_e32 v2, vcc, -1, v1
	v_addc_co_u32_e64 v3, s[42:43], 0, -1, vcc
	v_cmp_ne_u32_e32 vcc, 0, v1
	v_lshlrev_b32_e32 v33, 30, v0
	v_xor_b32_e32 v1, vcc_hi, v3
	v_not_b32_e32 v3, v33
	v_xor_b32_e32 v2, vcc_lo, v2
	v_cmp_gt_i64_e32 vcc, 0, v[32:33]
	v_ashrrev_i32_e32 v3, 31, v3
	v_and_b32_e32 v2, exec_lo, v2
	v_xor_b32_e32 v14, vcc_hi, v3
	v_xor_b32_e32 v3, vcc_lo, v3
	v_lshlrev_b32_e32 v33, 29, v0
	v_and_b32_e32 v2, v2, v3
	v_not_b32_e32 v3, v33
	v_and_b32_e32 v1, exec_hi, v1
	v_cmp_gt_i64_e32 vcc, 0, v[32:33]
	v_ashrrev_i32_e32 v3, 31, v3
	v_and_b32_e32 v1, v1, v14
	v_xor_b32_e32 v14, vcc_hi, v3
	v_xor_b32_e32 v3, vcc_lo, v3
	v_lshlrev_b32_e32 v33, 28, v0
	v_and_b32_e32 v2, v2, v3
	v_not_b32_e32 v3, v33
	v_cmp_gt_i64_e32 vcc, 0, v[32:33]
	v_ashrrev_i32_e32 v3, 31, v3
	v_and_b32_e32 v1, v1, v14
	v_xor_b32_e32 v14, vcc_hi, v3
	v_xor_b32_e32 v3, vcc_lo, v3
	v_lshlrev_b32_e32 v33, 27, v0
	v_and_b32_e32 v2, v2, v3
	v_not_b32_e32 v3, v33
	;; [unrolled: 8-line block ×3, first 2 shown]
	v_cmp_gt_i64_e32 vcc, 0, v[32:33]
	v_ashrrev_i32_e32 v3, 31, v3
	v_and_b32_e32 v1, v1, v14
	v_xor_b32_e32 v14, vcc_hi, v3
	v_xor_b32_e32 v3, vcc_lo, v3
	v_lshlrev_b32_e32 v33, 25, v0
	v_and_b32_e32 v2, v2, v3
	v_cmp_gt_i64_e32 vcc, 0, v[32:33]
	v_not_b32_e32 v3, v33
	v_lshlrev_b32_e32 v33, 24, v0
	v_ashrrev_i32_e32 v3, 31, v3
	v_not_b32_e32 v0, v33
	v_and_b32_e32 v1, v1, v14
	v_xor_b32_e32 v14, vcc_hi, v3
	v_xor_b32_e32 v3, vcc_lo, v3
	v_cmp_gt_i64_e32 vcc, 0, v[32:33]
	v_ashrrev_i32_e32 v0, 31, v0
	v_and_b32_e32 v2, v2, v3
	v_xor_b32_e32 v3, vcc_hi, v0
	v_xor_b32_e32 v0, vcc_lo, v0
	v_and_b32_e32 v1, v1, v14
	v_and_b32_e32 v0, v2, v0
	;; [unrolled: 1-line block ×3, first 2 shown]
	v_mbcnt_lo_u32_b32 v2, v0, 0
	v_mbcnt_hi_u32_b32 v14, v1, v2
	v_cmp_eq_u32_e32 vcc, 0, v14
	v_cmp_ne_u64_e64 s[42:43], 0, v[0:1]
	s_and_b64 s[54:55], s[42:43], vcc
	; wave barrier
	s_and_saveexec_b64 s[42:43], s[54:55]
	s_cbranch_execz .LBB122_75
; %bb.74:                               ;   in Loop: Header=BB122_67 Depth=1
	v_bcnt_u32_b32 v0, v0, 0
	v_bcnt_u32_b32 v0, v1, v0
	s_waitcnt lgkmcnt(0)
	v_add_u32_e32 v0, v12, v0
	ds_write_b32 v13, v0
.LBB122_75:                             ;   in Loop: Header=BB122_67 Depth=1
	s_or_b64 exec, exec, s[42:43]
	v_lshrrev_b32_e32 v0, s50, v57
	v_and_b32_e32 v0, s52, v0
	v_lshlrev_b32_e32 v1, 1, v0
	v_add_lshl_u32 v1, v1, v49, 2
	; wave barrier
	v_add_u32_e32 v40, 8, v1
	ds_read_b32 v15, v1 offset:8
	v_and_b32_e32 v1, 1, v0
	v_add_co_u32_e32 v2, vcc, -1, v1
	v_addc_co_u32_e64 v3, s[42:43], 0, -1, vcc
	v_cmp_ne_u32_e32 vcc, 0, v1
	v_lshlrev_b32_e32 v33, 30, v0
	v_xor_b32_e32 v1, vcc_hi, v3
	v_not_b32_e32 v3, v33
	v_xor_b32_e32 v2, vcc_lo, v2
	v_cmp_gt_i64_e32 vcc, 0, v[32:33]
	v_ashrrev_i32_e32 v3, 31, v3
	v_and_b32_e32 v1, exec_hi, v1
	v_xor_b32_e32 v33, vcc_hi, v3
	v_and_b32_e32 v2, exec_lo, v2
	v_xor_b32_e32 v3, vcc_lo, v3
	v_and_b32_e32 v1, v1, v33
	v_lshlrev_b32_e32 v33, 29, v0
	v_and_b32_e32 v2, v2, v3
	v_not_b32_e32 v3, v33
	v_cmp_gt_i64_e32 vcc, 0, v[32:33]
	v_ashrrev_i32_e32 v3, 31, v3
	v_xor_b32_e32 v33, vcc_hi, v3
	v_xor_b32_e32 v3, vcc_lo, v3
	v_and_b32_e32 v1, v1, v33
	v_lshlrev_b32_e32 v33, 28, v0
	v_and_b32_e32 v2, v2, v3
	v_not_b32_e32 v3, v33
	v_cmp_gt_i64_e32 vcc, 0, v[32:33]
	v_ashrrev_i32_e32 v3, 31, v3
	v_xor_b32_e32 v33, vcc_hi, v3
	;; [unrolled: 8-line block ×5, first 2 shown]
	v_and_b32_e32 v1, v1, v33
	v_lshlrev_b32_e32 v33, 24, v0
	v_not_b32_e32 v0, v33
	v_xor_b32_e32 v3, vcc_lo, v3
	v_cmp_gt_i64_e32 vcc, 0, v[32:33]
	v_ashrrev_i32_e32 v0, 31, v0
	v_and_b32_e32 v2, v2, v3
	v_xor_b32_e32 v3, vcc_hi, v0
	v_xor_b32_e32 v0, vcc_lo, v0
	v_and_b32_e32 v0, v2, v0
	v_and_b32_e32 v1, v1, v3
	v_mbcnt_lo_u32_b32 v2, v0, 0
	v_mbcnt_hi_u32_b32 v41, v1, v2
	v_cmp_eq_u32_e32 vcc, 0, v41
	v_cmp_ne_u64_e64 s[42:43], 0, v[0:1]
	s_and_b64 s[54:55], s[42:43], vcc
	; wave barrier
	s_and_saveexec_b64 s[42:43], s[54:55]
	s_cbranch_execz .LBB122_77
; %bb.76:                               ;   in Loop: Header=BB122_67 Depth=1
	v_bcnt_u32_b32 v0, v0, 0
	v_bcnt_u32_b32 v0, v1, v0
	s_waitcnt lgkmcnt(0)
	v_add_u32_e32 v0, v15, v0
	ds_write_b32 v40, v0
.LBB122_77:                             ;   in Loop: Header=BB122_67 Depth=1
	s_or_b64 exec, exec, s[42:43]
	v_lshrrev_b32_e32 v0, s50, v56
	v_and_b32_e32 v0, s52, v0
	v_lshlrev_b32_e32 v1, 1, v0
	v_add_lshl_u32 v1, v1, v49, 2
	; wave barrier
	v_add_u32_e32 v43, 8, v1
	ds_read_b32 v42, v1 offset:8
	v_and_b32_e32 v1, 1, v0
	v_add_co_u32_e32 v2, vcc, -1, v1
	v_addc_co_u32_e64 v3, s[42:43], 0, -1, vcc
	v_cmp_ne_u32_e32 vcc, 0, v1
	v_lshlrev_b32_e32 v33, 30, v0
	v_xor_b32_e32 v1, vcc_hi, v3
	v_not_b32_e32 v3, v33
	v_xor_b32_e32 v2, vcc_lo, v2
	v_cmp_gt_i64_e32 vcc, 0, v[32:33]
	v_ashrrev_i32_e32 v3, 31, v3
	v_and_b32_e32 v1, exec_hi, v1
	v_xor_b32_e32 v33, vcc_hi, v3
	v_and_b32_e32 v2, exec_lo, v2
	v_xor_b32_e32 v3, vcc_lo, v3
	v_and_b32_e32 v1, v1, v33
	v_lshlrev_b32_e32 v33, 29, v0
	v_and_b32_e32 v2, v2, v3
	v_not_b32_e32 v3, v33
	v_cmp_gt_i64_e32 vcc, 0, v[32:33]
	v_ashrrev_i32_e32 v3, 31, v3
	v_xor_b32_e32 v33, vcc_hi, v3
	v_xor_b32_e32 v3, vcc_lo, v3
	v_and_b32_e32 v1, v1, v33
	v_lshlrev_b32_e32 v33, 28, v0
	v_and_b32_e32 v2, v2, v3
	v_not_b32_e32 v3, v33
	v_cmp_gt_i64_e32 vcc, 0, v[32:33]
	v_ashrrev_i32_e32 v3, 31, v3
	v_xor_b32_e32 v33, vcc_hi, v3
	;; [unrolled: 8-line block ×5, first 2 shown]
	v_and_b32_e32 v1, v1, v33
	v_lshlrev_b32_e32 v33, 24, v0
	v_not_b32_e32 v0, v33
	v_xor_b32_e32 v3, vcc_lo, v3
	v_cmp_gt_i64_e32 vcc, 0, v[32:33]
	v_ashrrev_i32_e32 v0, 31, v0
	v_and_b32_e32 v2, v2, v3
	v_xor_b32_e32 v3, vcc_hi, v0
	v_xor_b32_e32 v0, vcc_lo, v0
	v_and_b32_e32 v0, v2, v0
	v_and_b32_e32 v1, v1, v3
	v_mbcnt_lo_u32_b32 v2, v0, 0
	v_mbcnt_hi_u32_b32 v44, v1, v2
	v_cmp_eq_u32_e32 vcc, 0, v44
	v_cmp_ne_u64_e64 s[42:43], 0, v[0:1]
	s_and_b64 s[54:55], s[42:43], vcc
	; wave barrier
	s_and_saveexec_b64 s[42:43], s[54:55]
	s_cbranch_execz .LBB122_79
; %bb.78:                               ;   in Loop: Header=BB122_67 Depth=1
	v_bcnt_u32_b32 v0, v0, 0
	v_bcnt_u32_b32 v0, v1, v0
	s_waitcnt lgkmcnt(0)
	v_add_u32_e32 v0, v42, v0
	ds_write_b32 v43, v0
.LBB122_79:                             ;   in Loop: Header=BB122_67 Depth=1
	s_or_b64 exec, exec, s[42:43]
	v_lshrrev_b32_e32 v0, s50, v55
	v_and_b32_e32 v0, s52, v0
	v_lshlrev_b32_e32 v1, 1, v0
	v_add_lshl_u32 v1, v1, v49, 2
	; wave barrier
	v_add_u32_e32 v46, 8, v1
	ds_read_b32 v45, v1 offset:8
	v_and_b32_e32 v1, 1, v0
	v_add_co_u32_e32 v2, vcc, -1, v1
	v_addc_co_u32_e64 v3, s[42:43], 0, -1, vcc
	v_cmp_ne_u32_e32 vcc, 0, v1
	v_lshlrev_b32_e32 v33, 30, v0
	v_xor_b32_e32 v1, vcc_hi, v3
	v_not_b32_e32 v3, v33
	v_xor_b32_e32 v2, vcc_lo, v2
	v_cmp_gt_i64_e32 vcc, 0, v[32:33]
	v_ashrrev_i32_e32 v3, 31, v3
	v_and_b32_e32 v1, exec_hi, v1
	v_xor_b32_e32 v33, vcc_hi, v3
	v_and_b32_e32 v2, exec_lo, v2
	v_xor_b32_e32 v3, vcc_lo, v3
	v_and_b32_e32 v1, v1, v33
	v_lshlrev_b32_e32 v33, 29, v0
	v_and_b32_e32 v2, v2, v3
	v_not_b32_e32 v3, v33
	v_cmp_gt_i64_e32 vcc, 0, v[32:33]
	v_ashrrev_i32_e32 v3, 31, v3
	v_xor_b32_e32 v33, vcc_hi, v3
	v_xor_b32_e32 v3, vcc_lo, v3
	v_and_b32_e32 v1, v1, v33
	v_lshlrev_b32_e32 v33, 28, v0
	v_and_b32_e32 v2, v2, v3
	v_not_b32_e32 v3, v33
	v_cmp_gt_i64_e32 vcc, 0, v[32:33]
	v_ashrrev_i32_e32 v3, 31, v3
	v_xor_b32_e32 v33, vcc_hi, v3
	;; [unrolled: 8-line block ×5, first 2 shown]
	v_and_b32_e32 v1, v1, v33
	v_lshlrev_b32_e32 v33, 24, v0
	v_not_b32_e32 v0, v33
	v_xor_b32_e32 v3, vcc_lo, v3
	v_cmp_gt_i64_e32 vcc, 0, v[32:33]
	v_ashrrev_i32_e32 v0, 31, v0
	v_and_b32_e32 v2, v2, v3
	v_xor_b32_e32 v3, vcc_hi, v0
	v_xor_b32_e32 v0, vcc_lo, v0
	v_and_b32_e32 v0, v2, v0
	v_and_b32_e32 v1, v1, v3
	v_mbcnt_lo_u32_b32 v2, v0, 0
	v_mbcnt_hi_u32_b32 v47, v1, v2
	v_cmp_eq_u32_e32 vcc, 0, v47
	v_cmp_ne_u64_e64 s[42:43], 0, v[0:1]
	s_and_b64 s[54:55], s[42:43], vcc
	; wave barrier
	s_and_saveexec_b64 s[42:43], s[54:55]
	s_cbranch_execz .LBB122_81
; %bb.80:                               ;   in Loop: Header=BB122_67 Depth=1
	v_bcnt_u32_b32 v0, v0, 0
	v_bcnt_u32_b32 v0, v1, v0
	s_waitcnt lgkmcnt(0)
	v_add_u32_e32 v0, v45, v0
	ds_write_b32 v46, v0
.LBB122_81:                             ;   in Loop: Header=BB122_67 Depth=1
	s_or_b64 exec, exec, s[42:43]
	v_lshrrev_b32_e32 v0, s50, v54
	v_and_b32_e32 v0, s52, v0
	v_lshlrev_b32_e32 v1, 1, v0
	v_add_lshl_u32 v1, v1, v49, 2
	; wave barrier
	v_add_u32_e32 v63, 8, v1
	ds_read_b32 v62, v1 offset:8
	v_and_b32_e32 v1, 1, v0
	v_add_co_u32_e32 v2, vcc, -1, v1
	v_addc_co_u32_e64 v3, s[42:43], 0, -1, vcc
	v_cmp_ne_u32_e32 vcc, 0, v1
	v_lshlrev_b32_e32 v33, 30, v0
	v_xor_b32_e32 v1, vcc_hi, v3
	v_not_b32_e32 v3, v33
	v_xor_b32_e32 v2, vcc_lo, v2
	v_cmp_gt_i64_e32 vcc, 0, v[32:33]
	v_ashrrev_i32_e32 v3, 31, v3
	v_and_b32_e32 v1, exec_hi, v1
	v_xor_b32_e32 v33, vcc_hi, v3
	v_and_b32_e32 v2, exec_lo, v2
	v_xor_b32_e32 v3, vcc_lo, v3
	v_and_b32_e32 v1, v1, v33
	v_lshlrev_b32_e32 v33, 29, v0
	v_and_b32_e32 v2, v2, v3
	v_not_b32_e32 v3, v33
	v_cmp_gt_i64_e32 vcc, 0, v[32:33]
	v_ashrrev_i32_e32 v3, 31, v3
	v_xor_b32_e32 v33, vcc_hi, v3
	v_xor_b32_e32 v3, vcc_lo, v3
	v_and_b32_e32 v1, v1, v33
	v_lshlrev_b32_e32 v33, 28, v0
	v_and_b32_e32 v2, v2, v3
	v_not_b32_e32 v3, v33
	v_cmp_gt_i64_e32 vcc, 0, v[32:33]
	v_ashrrev_i32_e32 v3, 31, v3
	v_xor_b32_e32 v33, vcc_hi, v3
	;; [unrolled: 8-line block ×5, first 2 shown]
	v_and_b32_e32 v1, v1, v33
	v_lshlrev_b32_e32 v33, 24, v0
	v_not_b32_e32 v0, v33
	v_xor_b32_e32 v3, vcc_lo, v3
	v_cmp_gt_i64_e32 vcc, 0, v[32:33]
	v_ashrrev_i32_e32 v0, 31, v0
	v_and_b32_e32 v2, v2, v3
	v_xor_b32_e32 v3, vcc_hi, v0
	v_xor_b32_e32 v0, vcc_lo, v0
	v_and_b32_e32 v0, v2, v0
	v_and_b32_e32 v1, v1, v3
	v_mbcnt_lo_u32_b32 v2, v0, 0
	v_mbcnt_hi_u32_b32 v69, v1, v2
	v_cmp_eq_u32_e32 vcc, 0, v69
	v_cmp_ne_u64_e64 s[42:43], 0, v[0:1]
	s_and_b64 s[52:53], s[42:43], vcc
	; wave barrier
	s_and_saveexec_b64 s[42:43], s[52:53]
	s_cbranch_execz .LBB122_83
; %bb.82:                               ;   in Loop: Header=BB122_67 Depth=1
	v_bcnt_u32_b32 v0, v0, 0
	v_bcnt_u32_b32 v0, v1, v0
	s_waitcnt lgkmcnt(0)
	v_add_u32_e32 v0, v62, v0
	ds_write_b32 v63, v0
.LBB122_83:                             ;   in Loop: Header=BB122_67 Depth=1
	s_or_b64 exec, exec, s[42:43]
	; wave barrier
	s_waitcnt lgkmcnt(0)
	s_barrier
	ds_read2_b32 v[2:3], v89 offset0:2 offset1:3
	ds_read2_b32 v[0:1], v48 offset0:2 offset1:3
	s_waitcnt lgkmcnt(1)
	v_add_u32_e32 v33, v3, v2
	s_waitcnt lgkmcnt(0)
	v_add3_u32 v1, v33, v0, v1
	s_nop 1
	v_mov_b32_dpp v33, v1 row_shr:1 row_mask:0xf bank_mask:0xf
	v_cndmask_b32_e64 v33, v33, 0, s[16:17]
	v_add_u32_e32 v1, v33, v1
	s_nop 1
	v_mov_b32_dpp v33, v1 row_shr:2 row_mask:0xf bank_mask:0xf
	v_cndmask_b32_e64 v33, 0, v33, s[18:19]
	v_add_u32_e32 v1, v1, v33
	;; [unrolled: 4-line block ×4, first 2 shown]
	s_nop 1
	v_mov_b32_dpp v33, v1 row_bcast:15 row_mask:0xf bank_mask:0xf
	v_cndmask_b32_e64 v33, v33, 0, s[24:25]
	v_add_u32_e32 v1, v1, v33
	s_nop 1
	v_mov_b32_dpp v33, v1 row_bcast:31 row_mask:0xf bank_mask:0xf
	v_cndmask_b32_e64 v33, 0, v33, s[26:27]
	v_add_u32_e32 v1, v1, v33
	s_and_saveexec_b64 s[42:43], s[28:29]
	s_cbranch_execz .LBB122_85
; %bb.84:                               ;   in Loop: Header=BB122_67 Depth=1
	ds_write_b32 v38, v1
.LBB122_85:                             ;   in Loop: Header=BB122_67 Depth=1
	s_or_b64 exec, exec, s[42:43]
	s_waitcnt lgkmcnt(0)
	s_barrier
	s_and_saveexec_b64 s[42:43], s[30:31]
	s_cbranch_execz .LBB122_87
; %bb.86:                               ;   in Loop: Header=BB122_67 Depth=1
	ds_read_b32 v33, v88
	s_waitcnt lgkmcnt(0)
	s_nop 0
	v_mov_b32_dpp v64, v33 row_shr:1 row_mask:0xf bank_mask:0xf
	v_cndmask_b32_e64 v64, v64, 0, s[40:41]
	v_add_u32_e32 v33, v64, v33
	ds_write_b32 v88, v33
.LBB122_87:                             ;   in Loop: Header=BB122_67 Depth=1
	s_or_b64 exec, exec, s[42:43]
	v_mov_b32_e32 v33, 0
	s_waitcnt lgkmcnt(0)
	s_barrier
	s_and_saveexec_b64 s[42:43], s[34:35]
	s_cbranch_execz .LBB122_89
; %bb.88:                               ;   in Loop: Header=BB122_67 Depth=1
	ds_read_b32 v33, v51
.LBB122_89:                             ;   in Loop: Header=BB122_67 Depth=1
	s_or_b64 exec, exec, s[42:43]
	s_waitcnt lgkmcnt(0)
	v_add_u32_e32 v1, v33, v1
	ds_bpermute_b32 v1, v50, v1
	s_cmp_gt_u32 s50, 23
	s_waitcnt lgkmcnt(0)
	v_cndmask_b32_e64 v1, v1, v33, s[36:37]
	v_cndmask_b32_e64 v1, v1, 0, s[38:39]
	v_add_u32_e32 v2, v1, v2
	v_add_u32_e32 v3, v2, v3
	;; [unrolled: 1-line block ×3, first 2 shown]
	ds_write2_b32 v89, v1, v2 offset0:2 offset1:3
	ds_write2_b32 v48, v3, v0 offset0:2 offset1:3
	s_waitcnt lgkmcnt(0)
	s_barrier
	ds_read_b32 v0, v4
	ds_read_b32 v1, v7
	;; [unrolled: 1-line block ×8, first 2 shown]
	s_waitcnt lgkmcnt(7)
	v_add_u32_e32 v33, v0, v5
	s_waitcnt lgkmcnt(6)
	v_add3_u32 v63, v8, v6, v1
	s_waitcnt lgkmcnt(5)
	v_add3_u32 v64, v11, v9, v2
	;; [unrolled: 2-line block ×7, first 2 shown]
	s_cbranch_scc0 .LBB122_66
; %bb.90:
                                        ; implicit-def: $vgpr47
                                        ; implicit-def: $vgpr45
                                        ; implicit-def: $vgpr43
                                        ; implicit-def: $vgpr41
                                        ; implicit-def: $vgpr14_vgpr15
                                        ; implicit-def: $vgpr10_vgpr11
                                        ; implicit-def: $vgpr6_vgpr7
                                        ; implicit-def: $vgpr2_vgpr3
                                        ; implicit-def: $sgpr50
                                        ; implicit-def: $sgpr51
.LBB122_91:
	v_lshlrev_b32_e32 v0, 2, v33
	s_barrier
	ds_write_b32 v0, v61
	v_lshlrev_b32_e32 v0, 2, v63
	ds_write_b32 v0, v60
	v_lshlrev_b32_e32 v0, 2, v64
	;; [unrolled: 2-line block ×7, first 2 shown]
	v_lshlrev_b32_e32 v6, 2, v87
	v_lshlrev_b32_e32 v8, 3, v33
	;; [unrolled: 1-line block ×3, first 2 shown]
	ds_write_b32 v0, v54
	s_waitcnt lgkmcnt(0)
	s_barrier
	v_lshlrev_b32_e32 v9, 3, v63
	v_lshlrev_b32_e32 v10, 3, v64
	;; [unrolled: 1-line block ×7, first 2 shown]
	ds_read2_b32 v[0:1], v6 offset1:1
	ds_read2_b32 v[2:3], v6 offset0:2 offset1:3
	ds_read2_b32 v[4:5], v6 offset0:4 offset1:5
	;; [unrolled: 1-line block ×3, first 2 shown]
	s_waitcnt lgkmcnt(0)
	s_barrier
	ds_write_b64 v8, v[30:31]
	ds_write_b64 v9, v[28:29]
	;; [unrolled: 1-line block ×8, first 2 shown]
	s_waitcnt lgkmcnt(0)
	s_barrier
	ds_read2_b64 v[18:21], v32 offset1:1
	ds_read2_b64 v[22:25], v32 offset0:2 offset1:3
	ds_read2_b64 v[26:29], v32 offset0:4 offset1:5
	;; [unrolled: 1-line block ×3, first 2 shown]
	v_xor_b32_e32 v62, 0x7fffffff, v0
	v_xor_b32_e32 v64, 0x7fffffff, v1
	;; [unrolled: 1-line block ×8, first 2 shown]
.LBB122_92:
	s_waitcnt lgkmcnt(0)
	s_barrier
	ds_write2_b32 v78, v62, v64 offset1:1
	ds_write2_b32 v78, v63, v65 offset0:2 offset1:3
	ds_write2_b32 v78, v66, v0 offset0:4 offset1:5
	;; [unrolled: 1-line block ×3, first 2 shown]
	s_waitcnt lgkmcnt(0)
	s_barrier
	ds_read_b32 v8, v35 offset:512
	ds_read_b32 v7, v72 offset:1024
	;; [unrolled: 1-line block ×7, first 2 shown]
	v_mov_b32_e32 v35, 0
	v_lshlrev_b64 v[0:1], 2, v[34:35]
	v_mov_b32_e32 v9, s44
	v_add_co_u32_e32 v0, vcc, s33, v0
	v_addc_co_u32_e32 v1, vcc, v9, v1, vcc
	s_and_saveexec_b64 s[16:17], s[0:1]
	s_cbranch_execnz .LBB122_111
; %bb.93:
	s_or_b64 exec, exec, s[16:17]
	s_and_saveexec_b64 s[16:17], s[2:3]
	s_cbranch_execnz .LBB122_112
.LBB122_94:
	s_or_b64 exec, exec, s[16:17]
	s_and_saveexec_b64 s[16:17], s[4:5]
	s_cbranch_execnz .LBB122_113
.LBB122_95:
	s_or_b64 exec, exec, s[16:17]
	s_and_saveexec_b64 s[16:17], s[6:7]
	s_cbranch_execnz .LBB122_114
.LBB122_96:
	s_or_b64 exec, exec, s[16:17]
	s_and_saveexec_b64 s[16:17], s[8:9]
	s_cbranch_execnz .LBB122_115
.LBB122_97:
	s_or_b64 exec, exec, s[16:17]
	s_and_saveexec_b64 s[16:17], s[10:11]
	s_cbranch_execnz .LBB122_116
.LBB122_98:
	s_or_b64 exec, exec, s[16:17]
	s_and_saveexec_b64 s[16:17], s[12:13]
	s_cbranch_execnz .LBB122_117
.LBB122_99:
	s_or_b64 exec, exec, s[16:17]
	s_and_saveexec_b64 s[16:17], s[14:15]
	s_cbranch_execz .LBB122_101
.LBB122_100:
	s_mul_i32 s18, s46, 0x380
	s_mov_b32 s19, 0
	s_lshl_b64 s[18:19], s[18:19], 2
	s_waitcnt lgkmcnt(1)
	v_mov_b32_e32 v3, s19
	v_add_co_u32_e32 v0, vcc, s18, v0
	v_addc_co_u32_e32 v1, vcc, v1, v3, vcc
	s_waitcnt lgkmcnt(0)
	global_store_dword v[0:1], v2, off
.LBB122_101:
	s_or_b64 exec, exec, s[16:17]
	s_waitcnt lgkmcnt(0)
	s_barrier
	ds_write2_b64 v86, v[18:19], v[20:21] offset1:1
	ds_write2_b64 v86, v[22:23], v[24:25] offset0:2 offset1:3
	ds_write2_b64 v86, v[26:27], v[28:29] offset0:4 offset1:5
	;; [unrolled: 1-line block ×3, first 2 shown]
	s_waitcnt lgkmcnt(0)
	s_barrier
	ds_read_b64 v[14:15], v37 offset:1024
	ds_read_b64 v[12:13], v80 offset:2048
	;; [unrolled: 1-line block ×7, first 2 shown]
	v_mov_b32_e32 v37, 0
	v_lshlrev_b64 v[2:3], 3, v[36:37]
	v_mov_b32_e32 v16, s47
	v_add_co_u32_e32 v2, vcc, s45, v2
	v_addc_co_u32_e32 v3, vcc, v16, v3, vcc
	s_and_saveexec_b64 s[16:17], s[0:1]
	s_cbranch_execnz .LBB122_118
; %bb.102:
	s_or_b64 exec, exec, s[16:17]
	s_and_saveexec_b64 s[0:1], s[2:3]
	s_cbranch_execnz .LBB122_119
.LBB122_103:
	s_or_b64 exec, exec, s[0:1]
	s_and_saveexec_b64 s[0:1], s[4:5]
	s_cbranch_execnz .LBB122_120
.LBB122_104:
	s_or_b64 exec, exec, s[0:1]
	s_and_saveexec_b64 s[0:1], s[6:7]
	s_cbranch_execnz .LBB122_121
.LBB122_105:
	s_or_b64 exec, exec, s[0:1]
	s_and_saveexec_b64 s[0:1], s[8:9]
	s_cbranch_execnz .LBB122_122
.LBB122_106:
	s_or_b64 exec, exec, s[0:1]
	s_and_saveexec_b64 s[0:1], s[10:11]
	s_cbranch_execnz .LBB122_123
.LBB122_107:
	s_or_b64 exec, exec, s[0:1]
	s_and_saveexec_b64 s[0:1], s[12:13]
	s_cbranch_execnz .LBB122_124
.LBB122_108:
	s_or_b64 exec, exec, s[0:1]
	s_and_saveexec_b64 s[0:1], s[14:15]
	s_cbranch_execz .LBB122_110
.LBB122_109:
	s_mul_i32 s0, s48, 0x380
	s_mov_b32 s1, 0
	s_lshl_b64 s[0:1], s[0:1], 3
	s_waitcnt lgkmcnt(1)
	v_mov_b32_e32 v4, s1
	v_add_co_u32_e32 v2, vcc, s0, v2
	v_addc_co_u32_e32 v3, vcc, v3, v4, vcc
	s_waitcnt lgkmcnt(0)
	global_store_dwordx2 v[2:3], v[0:1], off
.LBB122_110:
	s_endpgm
.LBB122_111:
	ds_read_b32 v9, v39
	s_waitcnt lgkmcnt(0)
	global_store_dword v[0:1], v9, off
	s_or_b64 exec, exec, s[16:17]
	s_and_saveexec_b64 s[16:17], s[2:3]
	s_cbranch_execz .LBB122_94
.LBB122_112:
	s_lshl_b32 s18, s46, 7
	s_mov_b32 s19, 0
	s_lshl_b64 s[18:19], s[18:19], 2
	v_mov_b32_e32 v9, s19
	v_add_co_u32_e32 v10, vcc, s18, v0
	v_addc_co_u32_e32 v11, vcc, v1, v9, vcc
	s_waitcnt lgkmcnt(6)
	global_store_dword v[10:11], v8, off
	s_or_b64 exec, exec, s[16:17]
	s_and_saveexec_b64 s[16:17], s[4:5]
	s_cbranch_execz .LBB122_95
.LBB122_113:
	s_lshl_b32 s18, s46, 8
	s_mov_b32 s19, 0
	s_lshl_b64 s[18:19], s[18:19], 2
	v_mov_b32_e32 v9, s19
	s_waitcnt lgkmcnt(6)
	v_add_co_u32_e32 v8, vcc, s18, v0
	v_addc_co_u32_e32 v9, vcc, v1, v9, vcc
	s_waitcnt lgkmcnt(5)
	global_store_dword v[8:9], v7, off
	s_or_b64 exec, exec, s[16:17]
	s_and_saveexec_b64 s[16:17], s[6:7]
	s_cbranch_execz .LBB122_96
.LBB122_114:
	s_mul_i32 s18, s46, 0x180
	s_mov_b32 s19, 0
	s_lshl_b64 s[18:19], s[18:19], 2
	s_waitcnt lgkmcnt(5)
	v_mov_b32_e32 v7, s19
	v_add_co_u32_e32 v8, vcc, s18, v0
	v_addc_co_u32_e32 v9, vcc, v1, v7, vcc
	s_waitcnt lgkmcnt(4)
	global_store_dword v[8:9], v6, off
	s_or_b64 exec, exec, s[16:17]
	s_and_saveexec_b64 s[16:17], s[8:9]
	s_cbranch_execz .LBB122_97
.LBB122_115:
	s_lshl_b32 s18, s46, 9
	s_mov_b32 s19, 0
	s_lshl_b64 s[18:19], s[18:19], 2
	s_waitcnt lgkmcnt(5)
	v_mov_b32_e32 v7, s19
	s_waitcnt lgkmcnt(4)
	v_add_co_u32_e32 v6, vcc, s18, v0
	v_addc_co_u32_e32 v7, vcc, v1, v7, vcc
	s_waitcnt lgkmcnt(3)
	global_store_dword v[6:7], v5, off
	s_or_b64 exec, exec, s[16:17]
	s_and_saveexec_b64 s[16:17], s[10:11]
	s_cbranch_execz .LBB122_98
.LBB122_116:
	s_mul_i32 s18, s46, 0x280
	s_mov_b32 s19, 0
	s_lshl_b64 s[18:19], s[18:19], 2
	s_waitcnt lgkmcnt(3)
	v_mov_b32_e32 v5, s19
	v_add_co_u32_e32 v6, vcc, s18, v0
	v_addc_co_u32_e32 v7, vcc, v1, v5, vcc
	s_waitcnt lgkmcnt(2)
	global_store_dword v[6:7], v4, off
	s_or_b64 exec, exec, s[16:17]
	s_and_saveexec_b64 s[16:17], s[12:13]
	s_cbranch_execz .LBB122_99
.LBB122_117:
	s_mul_i32 s18, s46, 0x300
	s_mov_b32 s19, 0
	s_lshl_b64 s[18:19], s[18:19], 2
	s_waitcnt lgkmcnt(3)
	v_mov_b32_e32 v5, s19
	s_waitcnt lgkmcnt(2)
	v_add_co_u32_e32 v4, vcc, s18, v0
	v_addc_co_u32_e32 v5, vcc, v1, v5, vcc
	s_waitcnt lgkmcnt(1)
	global_store_dword v[4:5], v3, off
	s_or_b64 exec, exec, s[16:17]
	s_and_saveexec_b64 s[16:17], s[14:15]
	s_cbranch_execnz .LBB122_100
	s_branch .LBB122_101
.LBB122_118:
	ds_read_b64 v[16:17], v79
	s_waitcnt lgkmcnt(0)
	global_store_dwordx2 v[2:3], v[16:17], off
	s_or_b64 exec, exec, s[16:17]
	s_and_saveexec_b64 s[0:1], s[2:3]
	s_cbranch_execz .LBB122_103
.LBB122_119:
	s_lshl_b32 s2, s48, 7
	s_mov_b32 s3, 0
	s_lshl_b64 s[2:3], s[2:3], 3
	v_mov_b32_e32 v17, s3
	v_add_co_u32_e32 v16, vcc, s2, v2
	v_addc_co_u32_e32 v17, vcc, v3, v17, vcc
	s_waitcnt lgkmcnt(6)
	global_store_dwordx2 v[16:17], v[14:15], off
	s_or_b64 exec, exec, s[0:1]
	s_and_saveexec_b64 s[0:1], s[4:5]
	s_cbranch_execz .LBB122_104
.LBB122_120:
	s_lshl_b32 s2, s48, 8
	s_mov_b32 s3, 0
	s_lshl_b64 s[2:3], s[2:3], 3
	s_waitcnt lgkmcnt(6)
	v_mov_b32_e32 v15, s3
	v_add_co_u32_e32 v14, vcc, s2, v2
	v_addc_co_u32_e32 v15, vcc, v3, v15, vcc
	s_waitcnt lgkmcnt(5)
	global_store_dwordx2 v[14:15], v[12:13], off
	s_or_b64 exec, exec, s[0:1]
	s_and_saveexec_b64 s[0:1], s[6:7]
	s_cbranch_execz .LBB122_105
.LBB122_121:
	s_mul_i32 s2, s48, 0x180
	s_mov_b32 s3, 0
	s_lshl_b64 s[2:3], s[2:3], 3
	s_waitcnt lgkmcnt(5)
	v_mov_b32_e32 v13, s3
	v_add_co_u32_e32 v12, vcc, s2, v2
	v_addc_co_u32_e32 v13, vcc, v3, v13, vcc
	s_waitcnt lgkmcnt(4)
	global_store_dwordx2 v[12:13], v[10:11], off
	s_or_b64 exec, exec, s[0:1]
	s_and_saveexec_b64 s[0:1], s[8:9]
	s_cbranch_execz .LBB122_106
.LBB122_122:
	s_lshl_b32 s2, s48, 9
	s_mov_b32 s3, 0
	s_lshl_b64 s[2:3], s[2:3], 3
	s_waitcnt lgkmcnt(4)
	v_mov_b32_e32 v11, s3
	v_add_co_u32_e32 v10, vcc, s2, v2
	v_addc_co_u32_e32 v11, vcc, v3, v11, vcc
	s_waitcnt lgkmcnt(3)
	global_store_dwordx2 v[10:11], v[8:9], off
	s_or_b64 exec, exec, s[0:1]
	s_and_saveexec_b64 s[0:1], s[10:11]
	s_cbranch_execz .LBB122_107
.LBB122_123:
	s_mul_i32 s2, s48, 0x280
	s_mov_b32 s3, 0
	s_lshl_b64 s[2:3], s[2:3], 3
	s_waitcnt lgkmcnt(3)
	v_mov_b32_e32 v9, s3
	v_add_co_u32_e32 v8, vcc, s2, v2
	v_addc_co_u32_e32 v9, vcc, v3, v9, vcc
	s_waitcnt lgkmcnt(2)
	global_store_dwordx2 v[8:9], v[6:7], off
	s_or_b64 exec, exec, s[0:1]
	s_and_saveexec_b64 s[0:1], s[12:13]
	s_cbranch_execz .LBB122_108
.LBB122_124:
	s_mul_i32 s2, s48, 0x300
	s_mov_b32 s3, 0
	s_lshl_b64 s[2:3], s[2:3], 3
	s_waitcnt lgkmcnt(2)
	v_mov_b32_e32 v7, s3
	v_add_co_u32_e32 v6, vcc, s2, v2
	v_addc_co_u32_e32 v7, vcc, v3, v7, vcc
	s_waitcnt lgkmcnt(1)
	global_store_dwordx2 v[6:7], v[4:5], off
	s_or_b64 exec, exec, s[0:1]
	s_and_saveexec_b64 s[0:1], s[14:15]
	s_cbranch_execnz .LBB122_109
	s_branch .LBB122_110
	.section	.rodata,"a",@progbits
	.p2align	6, 0x0
	.amdhsa_kernel _ZN2at6native18radixSortKVInPlaceILin2ELin1ELi128ELi8EiljEEvNS_4cuda6detail10TensorInfoIT3_T5_EES6_S6_S6_NS4_IT4_S6_EES6_b
		.amdhsa_group_segment_fixed_size 8448
		.amdhsa_private_segment_fixed_size 0
		.amdhsa_kernarg_size 712
		.amdhsa_user_sgpr_count 6
		.amdhsa_user_sgpr_private_segment_buffer 1
		.amdhsa_user_sgpr_dispatch_ptr 0
		.amdhsa_user_sgpr_queue_ptr 0
		.amdhsa_user_sgpr_kernarg_segment_ptr 1
		.amdhsa_user_sgpr_dispatch_id 0
		.amdhsa_user_sgpr_flat_scratch_init 0
		.amdhsa_user_sgpr_kernarg_preload_length 0
		.amdhsa_user_sgpr_kernarg_preload_offset 0
		.amdhsa_user_sgpr_private_segment_size 0
		.amdhsa_uses_dynamic_stack 0
		.amdhsa_system_sgpr_private_segment_wavefront_offset 0
		.amdhsa_system_sgpr_workgroup_id_x 1
		.amdhsa_system_sgpr_workgroup_id_y 1
		.amdhsa_system_sgpr_workgroup_id_z 1
		.amdhsa_system_sgpr_workgroup_info 0
		.amdhsa_system_vgpr_workitem_id 2
		.amdhsa_next_free_vgpr 128
		.amdhsa_next_free_sgpr 58
		.amdhsa_accum_offset 128
		.amdhsa_reserve_vcc 1
		.amdhsa_reserve_flat_scratch 0
		.amdhsa_float_round_mode_32 0
		.amdhsa_float_round_mode_16_64 0
		.amdhsa_float_denorm_mode_32 3
		.amdhsa_float_denorm_mode_16_64 3
		.amdhsa_dx10_clamp 1
		.amdhsa_ieee_mode 1
		.amdhsa_fp16_overflow 0
		.amdhsa_tg_split 0
		.amdhsa_exception_fp_ieee_invalid_op 0
		.amdhsa_exception_fp_denorm_src 0
		.amdhsa_exception_fp_ieee_div_zero 0
		.amdhsa_exception_fp_ieee_overflow 0
		.amdhsa_exception_fp_ieee_underflow 0
		.amdhsa_exception_fp_ieee_inexact 0
		.amdhsa_exception_int_div_zero 0
	.end_amdhsa_kernel
	.section	.text._ZN2at6native18radixSortKVInPlaceILin2ELin1ELi128ELi8EiljEEvNS_4cuda6detail10TensorInfoIT3_T5_EES6_S6_S6_NS4_IT4_S6_EES6_b,"axG",@progbits,_ZN2at6native18radixSortKVInPlaceILin2ELin1ELi128ELi8EiljEEvNS_4cuda6detail10TensorInfoIT3_T5_EES6_S6_S6_NS4_IT4_S6_EES6_b,comdat
.Lfunc_end122:
	.size	_ZN2at6native18radixSortKVInPlaceILin2ELin1ELi128ELi8EiljEEvNS_4cuda6detail10TensorInfoIT3_T5_EES6_S6_S6_NS4_IT4_S6_EES6_b, .Lfunc_end122-_ZN2at6native18radixSortKVInPlaceILin2ELin1ELi128ELi8EiljEEvNS_4cuda6detail10TensorInfoIT3_T5_EES6_S6_S6_NS4_IT4_S6_EES6_b
                                        ; -- End function
	.section	.AMDGPU.csdata,"",@progbits
; Kernel info:
; codeLenInByte = 12896
; NumSgprs: 62
; NumVgprs: 128
; NumAgprs: 0
; TotalNumVgprs: 128
; ScratchSize: 0
; MemoryBound: 0
; FloatMode: 240
; IeeeMode: 1
; LDSByteSize: 8448 bytes/workgroup (compile time only)
; SGPRBlocks: 7
; VGPRBlocks: 15
; NumSGPRsForWavesPerEU: 62
; NumVGPRsForWavesPerEU: 128
; AccumOffset: 128
; Occupancy: 4
; WaveLimiterHint : 1
; COMPUTE_PGM_RSRC2:SCRATCH_EN: 0
; COMPUTE_PGM_RSRC2:USER_SGPR: 6
; COMPUTE_PGM_RSRC2:TRAP_HANDLER: 0
; COMPUTE_PGM_RSRC2:TGID_X_EN: 1
; COMPUTE_PGM_RSRC2:TGID_Y_EN: 1
; COMPUTE_PGM_RSRC2:TGID_Z_EN: 1
; COMPUTE_PGM_RSRC2:TIDIG_COMP_CNT: 2
; COMPUTE_PGM_RSRC3_GFX90A:ACCUM_OFFSET: 31
; COMPUTE_PGM_RSRC3_GFX90A:TG_SPLIT: 0
	.section	.text._ZN2at6native18radixSortKVInPlaceILin2ELin1ELi32ELi4EiljEEvNS_4cuda6detail10TensorInfoIT3_T5_EES6_S6_S6_NS4_IT4_S6_EES6_b,"axG",@progbits,_ZN2at6native18radixSortKVInPlaceILin2ELin1ELi32ELi4EiljEEvNS_4cuda6detail10TensorInfoIT3_T5_EES6_S6_S6_NS4_IT4_S6_EES6_b,comdat
	.protected	_ZN2at6native18radixSortKVInPlaceILin2ELin1ELi32ELi4EiljEEvNS_4cuda6detail10TensorInfoIT3_T5_EES6_S6_S6_NS4_IT4_S6_EES6_b ; -- Begin function _ZN2at6native18radixSortKVInPlaceILin2ELin1ELi32ELi4EiljEEvNS_4cuda6detail10TensorInfoIT3_T5_EES6_S6_S6_NS4_IT4_S6_EES6_b
	.globl	_ZN2at6native18radixSortKVInPlaceILin2ELin1ELi32ELi4EiljEEvNS_4cuda6detail10TensorInfoIT3_T5_EES6_S6_S6_NS4_IT4_S6_EES6_b
	.p2align	8
	.type	_ZN2at6native18radixSortKVInPlaceILin2ELin1ELi32ELi4EiljEEvNS_4cuda6detail10TensorInfoIT3_T5_EES6_S6_S6_NS4_IT4_S6_EES6_b,@function
_ZN2at6native18radixSortKVInPlaceILin2ELin1ELi32ELi4EiljEEvNS_4cuda6detail10TensorInfoIT3_T5_EES6_S6_S6_NS4_IT4_S6_EES6_b: ; @_ZN2at6native18radixSortKVInPlaceILin2ELin1ELi32ELi4EiljEEvNS_4cuda6detail10TensorInfoIT3_T5_EES6_S6_S6_NS4_IT4_S6_EES6_b
; %bb.0:
	s_load_dwordx2 s[0:1], s[4:5], 0x1c8
	s_load_dwordx4 s[24:27], s[4:5], 0xd8
	s_waitcnt lgkmcnt(0)
	s_mul_i32 s1, s1, s8
	s_add_i32 s1, s1, s7
	s_mul_i32 s0, s1, s0
	s_add_i32 s6, s0, s6
	s_cmp_ge_u32 s6, s24
	s_cbranch_scc1 .LBB123_60
; %bb.1:
	s_load_dword s2, s[4:5], 0x1b8
	s_load_dwordx2 s[0:1], s[4:5], 0x0
	s_add_u32 s12, s4, 0xe8
	s_addc_u32 s13, s5, 0
	s_mov_b32 s11, 0
	s_waitcnt lgkmcnt(0)
	s_cmp_lt_i32 s2, 2
	s_mov_b32 s10, s6
	s_cbranch_scc1 .LBB123_4
; %bb.2:
	s_add_i32 s10, s2, -1
	s_add_i32 s7, s2, 1
	s_lshl_b64 s[2:3], s[10:11], 2
	s_add_u32 s2, s2, s12
	s_addc_u32 s3, s3, s13
	s_add_u32 s2, s2, 8
	s_addc_u32 s3, s3, 0
	s_mov_b32 s10, s6
.LBB123_3:                              ; =>This Inner Loop Header: Depth=1
	s_load_dword s8, s[2:3], 0x0
	s_load_dword s14, s[2:3], 0x64
	s_mov_b32 s9, s10
	s_waitcnt lgkmcnt(0)
	v_cvt_f32_u32_e32 v1, s8
	s_sub_i32 s10, 0, s8
	v_rcp_iflag_f32_e32 v1, v1
	v_mul_f32_e32 v1, 0x4f7ffffe, v1
	v_cvt_u32_f32_e32 v1, v1
	v_readfirstlane_b32 s15, v1
	s_mul_i32 s10, s10, s15
	s_mul_hi_u32 s10, s15, s10
	s_add_i32 s15, s15, s10
	s_mul_hi_u32 s10, s9, s15
	s_mul_i32 s15, s10, s8
	s_sub_i32 s15, s9, s15
	s_add_i32 s16, s10, 1
	s_sub_i32 s17, s15, s8
	s_cmp_ge_u32 s15, s8
	s_cselect_b32 s10, s16, s10
	s_cselect_b32 s15, s17, s15
	s_add_i32 s16, s10, 1
	s_cmp_ge_u32 s15, s8
	s_cselect_b32 s10, s16, s10
	s_mul_i32 s8, s10, s8
	s_sub_i32 s8, s9, s8
	s_mul_i32 s8, s14, s8
	s_add_i32 s7, s7, -1
	s_add_i32 s11, s8, s11
	s_add_u32 s2, s2, -4
	s_addc_u32 s3, s3, -1
	s_cmp_gt_u32 s7, 2
	s_cbranch_scc1 .LBB123_3
.LBB123_4:
	s_load_dword s2, s[4:5], 0x6c
	s_load_dwordx2 s[28:29], s[4:5], 0x1c0
	s_mov_b32 s3, 0
	v_mul_lo_u32 v22, v0, s26
	s_waitcnt lgkmcnt(0)
	s_mul_i32 s2, s2, s6
	s_bitcmp1_b32 s29, 0
	s_cselect_b64 s[8:9], -1, 0
	s_brev_b32 s6, 1
	s_and_b64 s[4:5], s[8:9], exec
	s_cselect_b32 s4, s6, 0x7fffffff
	s_lshl_b64 s[2:3], s[2:3], 2
	s_mov_b32 s5, s4
	s_add_u32 s27, s0, s2
	s_mov_b32 s6, s4
	s_mov_b32 s7, s4
	v_pk_mov_b32 v[2:3], s[4:5], s[4:5] op_sel:[0,1]
	s_addc_u32 s29, s1, s3
	v_cmp_gt_u32_e64 s[0:1], s25, v0
	v_pk_mov_b32 v[4:5], s[6:7], s[6:7] op_sel:[0,1]
	v_mov_b32_e32 v6, s4
	s_and_saveexec_b64 s[2:3], s[0:1]
	s_cbranch_execz .LBB123_6
; %bb.5:
	v_mov_b32_e32 v23, 0
	v_lshlrev_b64 v[2:3], 2, v[22:23]
	v_mov_b32_e32 v1, s29
	v_add_co_u32_e32 v2, vcc, s27, v2
	v_addc_co_u32_e32 v3, vcc, v1, v3, vcc
	global_load_dword v6, v[2:3], off
	v_pk_mov_b32 v[2:3], s[4:5], s[4:5] op_sel:[0,1]
	v_pk_mov_b32 v[4:5], s[6:7], s[6:7] op_sel:[0,1]
                                        ; kill: def $vgpr2 killed $vgpr6 killed $exec
.LBB123_6:
	s_or_b64 exec, exec, s[2:3]
	v_or_b32_e32 v1, 32, v0
	v_cmp_gt_u32_e64 s[2:3], s25, v1
	s_and_saveexec_b64 s[4:5], s[2:3]
	s_cbranch_execz .LBB123_8
; %bb.7:
	v_mul_lo_u32 v2, v1, s26
	v_mov_b32_e32 v3, 0
	v_lshlrev_b64 v[2:3], 2, v[2:3]
	v_mov_b32_e32 v7, s29
	v_add_co_u32_e32 v2, vcc, s27, v2
	v_addc_co_u32_e32 v3, vcc, v7, v3, vcc
	global_load_dword v3, v[2:3], off
.LBB123_8:
	s_or_b64 exec, exec, s[4:5]
	s_load_dwordx2 s[14:15], s[12:13], 0x0
	v_or_b32_e32 v11, 64, v0
	v_cmp_gt_u32_e64 s[4:5], s25, v11
	s_and_saveexec_b64 s[6:7], s[4:5]
	s_cbranch_execz .LBB123_10
; %bb.9:
	v_mul_lo_u32 v8, v11, s26
	v_mov_b32_e32 v9, 0
	v_lshlrev_b64 v[8:9], 2, v[8:9]
	v_mov_b32_e32 v2, s29
	v_add_co_u32_e32 v8, vcc, s27, v8
	v_addc_co_u32_e32 v9, vcc, v2, v9, vcc
	global_load_dword v4, v[8:9], off
.LBB123_10:
	s_or_b64 exec, exec, s[6:7]
	s_load_dword s16, s[12:13], 0x6c
	v_or_b32_e32 v10, 0x60, v0
	v_cmp_gt_u32_e64 s[6:7], s25, v10
	s_and_saveexec_b64 s[12:13], s[6:7]
	s_cbranch_execz .LBB123_12
; %bb.11:
	v_mul_lo_u32 v8, v10, s26
	v_mov_b32_e32 v9, 0
	v_lshlrev_b64 v[8:9], 2, v[8:9]
	v_mov_b32_e32 v2, s29
	v_add_co_u32_e32 v8, vcc, s27, v8
	v_addc_co_u32_e32 v9, vcc, v2, v9, vcc
	global_load_dword v5, v[8:9], off
.LBB123_12:
	s_or_b64 exec, exec, s[12:13]
	v_lshrrev_b32_e32 v2, 5, v1
	v_add_u32_e32 v15, v2, v0
	v_lshrrev_b32_e32 v2, 5, v11
	v_add_u32_e32 v13, v2, v0
	v_lshrrev_b32_e32 v2, 5, v10
	v_lshlrev_b32_e32 v38, 2, v0
	v_add_u32_e32 v12, v2, v0
	v_lshrrev_b32_e32 v2, 3, v0
	v_or_b32_e32 v14, v2, v38
	s_waitcnt lgkmcnt(0)
	s_mul_i32 s10, s16, s10
	v_lshlrev_b32_e32 v23, 2, v15
	v_lshlrev_b32_e32 v39, 2, v13
	;; [unrolled: 1-line block ×4, first 2 shown]
	s_add_i32 s12, s10, s11
	s_mov_b32 s13, 0
	s_waitcnt vmcnt(0)
	ds_write_b32 v38, v6
	ds_write_b32 v23, v3 offset:128
	ds_write_b32 v39, v4 offset:256
	ds_write_b32 v40, v5 offset:384
	s_waitcnt lgkmcnt(0)
	; wave barrier
	s_waitcnt lgkmcnt(0)
	ds_read2_b32 v[28:29], v41 offset1:1
	ds_read2_b32 v[26:27], v41 offset0:2 offset1:3
	s_lshl_b64 s[10:11], s[12:13], 3
	s_add_u32 s33, s14, s10
	s_mov_b32 s12, s13
	s_addc_u32 s38, s15, s11
	s_mov_b32 s14, s13
	s_mov_b32 s15, s13
	;; [unrolled: 1-line block ×6, first 2 shown]
	v_pk_mov_b32 v[2:3], s[12:13], s[12:13] op_sel:[0,1]
	v_pk_mov_b32 v[4:5], s[14:15], s[14:15] op_sel:[0,1]
	;; [unrolled: 1-line block ×4, first 2 shown]
	v_pk_mov_b32 v[2:3], 0, 0
	v_mul_lo_u32 v24, v0, s28
	s_waitcnt lgkmcnt(0)
	; wave barrier
	s_waitcnt lgkmcnt(0)
	s_and_saveexec_b64 s[10:11], s[0:1]
	s_cbranch_execnz .LBB123_32
; %bb.13:
	s_or_b64 exec, exec, s[10:11]
	s_and_saveexec_b64 s[10:11], s[2:3]
	s_cbranch_execnz .LBB123_33
.LBB123_14:
	s_or_b64 exec, exec, s[10:11]
	s_and_saveexec_b64 s[10:11], s[4:5]
	s_cbranch_execnz .LBB123_34
.LBB123_15:
	s_or_b64 exec, exec, s[10:11]
	s_xor_b64 s[24:25], s[8:9], -1
	s_and_saveexec_b64 s[8:9], s[6:7]
	s_cbranch_execz .LBB123_17
.LBB123_16:
	v_mul_lo_u32 v8, v10, s28
	v_mov_b32_e32 v9, 0
	v_lshlrev_b64 v[8:9], 3, v[8:9]
	v_mov_b32_e32 v10, s38
	v_add_co_u32_e32 v8, vcc, s33, v8
	v_addc_co_u32_e32 v9, vcc, v10, v9, vcc
	global_load_dwordx2 v[8:9], v[8:9], off
.LBB123_17:
	s_or_b64 exec, exec, s[8:9]
	v_mbcnt_lo_u32_b32 v10, -1, 0
	v_mbcnt_hi_u32_b32 v10, -1, v10
	v_lshlrev_b32_e32 v42, 3, v0
	v_lshlrev_b32_e32 v25, 3, v15
	;; [unrolled: 1-line block ×5, first 2 shown]
	s_getpc_b64 s[8:9]
	s_add_u32 s8, s8, _ZN7rocprim17ROCPRIM_400000_NS16block_radix_sortIiLj32ELj4ElLj1ELj1ELj0ELNS0_26block_radix_rank_algorithmE1ELNS0_18block_padding_hintE2ELNS0_4arch9wavefront6targetE1EE19radix_bits_per_passE@rel32@lo+4
	s_addc_u32 s9, s9, _ZN7rocprim17ROCPRIM_400000_NS16block_radix_sortIiLj32ELj4ElLj1ELj1ELj0ELNS0_26block_radix_rank_algorithmE1ELNS0_18block_padding_hintE2ELNS0_4arch9wavefront6targetE1EE19radix_bits_per_passE@rel32@hi+12
	v_and_b32_e32 v11, 15, v10
	s_waitcnt vmcnt(0)
	ds_write_b64 v42, v[2:3]
	ds_write_b64 v25, v[4:5] offset:256
	ds_write_b64 v43, v[6:7] offset:512
	;; [unrolled: 1-line block ×3, first 2 shown]
	s_waitcnt lgkmcnt(0)
	; wave barrier
	s_waitcnt lgkmcnt(0)
	ds_read2_b64 v[2:5], v45 offset1:1
	ds_read2_b64 v[6:9], v45 offset0:2 offset1:3
	s_load_dword s39, s[8:9], 0x0
	v_cmp_eq_u32_e64 s[10:11], 0, v11
	v_cmp_lt_u32_e64 s[12:13], 1, v11
	v_cmp_lt_u32_e64 s[14:15], 3, v11
	;; [unrolled: 1-line block ×3, first 2 shown]
	v_and_b32_e32 v11, 16, v10
	v_cmp_eq_u32_e64 s[18:19], 0, v11
	v_add_u32_e32 v11, -1, v10
	v_and_b32_e32 v12, 0x60, v10
	v_cmp_lt_i32_e32 vcc, v11, v12
	s_movk_i32 s8, 0x100
	v_cndmask_b32_e32 v11, v11, v10, vcc
	v_cmp_gt_u32_e64 s[8:9], s8, v0
	v_lshlrev_b32_e32 v48, 5, v0
	s_mov_b32 s40, 0
	v_cmp_eq_u32_e64 s[20:21], 31, v0
	v_lshlrev_b32_e32 v49, 2, v11
	v_cmp_eq_u32_e64 s[22:23], 0, v10
	v_lshlrev_b32_e32 v47, 2, v38
	v_lshlrev_b32_e32 v46, 3, v38
	s_and_b64 vcc, exec, s[24:25]
	v_add_u32_e64 v50, 7, 2
	s_waitcnt lgkmcnt(0)
	; wave barrier
	s_waitcnt lgkmcnt(0)
	s_cbranch_vccz .LBB123_35
; %bb.18:
	v_xor_b32_e32 v34, 0x80000000, v28
	v_xor_b32_e32 v35, 0x80000000, v29
	;; [unrolled: 1-line block ×4, first 2 shown]
	v_and_b32_e32 v51, 14, v50
	v_mov_b32_e32 v52, 0
	s_movk_i32 s41, 0xe0
	v_pk_mov_b32 v[10:11], v[2:3], v[2:3] op_sel:[0,1]
	v_pk_mov_b32 v[12:13], v[4:5], v[4:5] op_sel:[0,1]
	;; [unrolled: 1-line block ×4, first 2 shown]
	s_branch .LBB123_20
.LBB123_19:                             ;   in Loop: Header=BB123_20 Depth=1
	v_lshlrev_b32_e32 v10, 2, v57
	s_waitcnt lgkmcnt(0)
	; wave barrier
	ds_write_b32 v10, v56
	v_lshlrev_b32_e32 v10, 2, v58
	ds_write_b32 v10, v55
	v_lshlrev_b32_e32 v10, 2, v59
	;; [unrolled: 2-line block ×4, first 2 shown]
	s_waitcnt lgkmcnt(0)
	; wave barrier
	s_waitcnt lgkmcnt(0)
	ds_read2_b32 v[34:35], v47 offset1:1
	ds_read2_b32 v[36:37], v47 offset0:2 offset1:3
	s_waitcnt lgkmcnt(0)
	; wave barrier
	s_waitcnt lgkmcnt(0)
	ds_write_b64 v10, v[32:33]
	v_lshlrev_b32_e32 v10, 3, v58
	ds_write_b64 v10, v[30:31]
	v_lshlrev_b32_e32 v10, 3, v59
	;; [unrolled: 2-line block ×3, first 2 shown]
	ds_write_b64 v10, v[18:19]
	s_waitcnt lgkmcnt(0)
	; wave barrier
	s_waitcnt lgkmcnt(0)
	ds_read2_b64 v[10:13], v46 offset1:1
	ds_read2_b64 v[14:17], v46 offset0:2 offset1:3
	s_add_i32 s40, s40, 4
	s_waitcnt lgkmcnt(0)
	; wave barrier
	s_waitcnt lgkmcnt(0)
	s_cbranch_execz .LBB123_31
.LBB123_20:                             ; =>This Loop Header: Depth=1
                                        ;     Child Loop BB123_23 Depth 2
	v_mov_b32_e32 v53, v37
	v_mov_b32_e32 v54, v36
	;; [unrolled: 1-line block ×4, first 2 shown]
	v_pk_mov_b32 v[18:19], v[16:17], v[16:17] op_sel:[0,1]
	v_pk_mov_b32 v[20:21], v[14:15], v[14:15] op_sel:[0,1]
	;; [unrolled: 1-line block ×4, first 2 shown]
	s_and_saveexec_b64 s[24:25], s[8:9]
	s_cbranch_execz .LBB123_27
; %bb.21:                               ;   in Loop: Header=BB123_20 Depth=1
	s_mov_b32 s42, 0
	s_mov_b64 s[30:31], 0
	v_pk_mov_b32 v[10:11], v[0:1], v[0:1] op_sel:[0,1]
	s_branch .LBB123_23
.LBB123_22:                             ;   in Loop: Header=BB123_23 Depth=2
	s_or_b64 exec, exec, s[36:37]
	s_add_i32 s42, s42, 2
	v_cmp_eq_u32_e32 vcc, s42, v51
	v_add_u32_e32 v11, 64, v11
	s_or_b64 s[30:31], vcc, s[30:31]
	v_add_u32_e32 v10, 64, v10
	s_andn2_b64 exec, exec, s[30:31]
	s_cbranch_execz .LBB123_27
.LBB123_23:                             ;   Parent Loop BB123_20 Depth=1
                                        ; =>  This Inner Loop Header: Depth=2
	s_or_b32 s34, s42, 1
	v_cmp_le_u32_e64 s[34:35], s34, 7
	v_cmp_le_u32_e64 s[44:45], s42, 7
	s_and_saveexec_b64 s[36:37], s[44:45]
	s_cbranch_execz .LBB123_25
; %bb.24:                               ;   in Loop: Header=BB123_23 Depth=2
	v_lshlrev_b32_e32 v12, 2, v10
	ds_write_b32 v12, v52
.LBB123_25:                             ;   in Loop: Header=BB123_23 Depth=2
	s_or_b64 exec, exec, s[36:37]
	s_and_saveexec_b64 s[36:37], s[34:35]
	s_cbranch_execz .LBB123_22
; %bb.26:                               ;   in Loop: Header=BB123_23 Depth=2
	v_lshlrev_b32_e32 v12, 2, v11
	ds_write_b32 v12, v52
	s_branch .LBB123_22
.LBB123_27:                             ;   in Loop: Header=BB123_20 Depth=1
	s_or_b64 exec, exec, s[24:25]
	s_sub_i32 s24, 32, s40
	s_min_u32 s24, s39, s24
	s_lshl_b32 s24, -1, s24
	s_not_b32 s24, s24
	v_lshrrev_b32_e32 v10, s40, v56
	v_and_b32_e32 v10, s24, v10
	v_lshrrev_b32_e32 v11, 3, v10
	v_lshlrev_b32_e32 v10, 5, v10
	v_and_or_b32 v10, v10, s41, v0
	v_lshlrev_b32_e32 v10, 1, v10
	v_add_lshl_u32 v35, v10, v11, 1
	ds_read_u16 v34, v35
	v_lshrrev_b32_e32 v10, s40, v55
	v_and_b32_e32 v10, s24, v10
	s_waitcnt lgkmcnt(0)
	v_add_u16_e32 v11, 1, v34
	ds_write_b16 v35, v11
	v_lshrrev_b32_e32 v11, 3, v10
	v_lshlrev_b32_e32 v10, 5, v10
	v_and_or_b32 v10, v10, s41, v0
	v_lshlrev_b32_e32 v10, 1, v10
	v_add_lshl_u32 v37, v10, v11, 1
	ds_read_u16 v36, v37
	s_waitcnt lgkmcnt(0)
	v_add_u16_e32 v10, 1, v36
	ds_write_b16 v37, v10
	v_lshrrev_b32_e32 v10, s40, v54
	v_and_b32_e32 v10, s24, v10
	v_lshrrev_b32_e32 v11, 3, v10
	v_lshlrev_b32_e32 v10, 5, v10
	v_and_or_b32 v10, v10, s41, v0
	v_lshlrev_b32_e32 v10, 1, v10
	v_add_lshl_u32 v57, v10, v11, 1
	ds_read_u16 v59, v57
	s_waitcnt lgkmcnt(0)
	v_add_u16_e32 v10, 1, v59
	ds_write_b16 v57, v10
	v_lshrrev_b32_e32 v10, s40, v53
	v_and_b32_e32 v10, s24, v10
	v_lshrrev_b32_e32 v11, 3, v10
	v_lshlrev_b32_e32 v10, 5, v10
	v_and_or_b32 v10, v10, s41, v0
	v_lshlrev_b32_e32 v10, 1, v10
	v_add_lshl_u32 v58, v10, v11, 1
	ds_read_u16 v60, v58
	s_waitcnt lgkmcnt(0)
	v_add_u16_e32 v10, 1, v60
	ds_write_b16 v58, v10
	s_waitcnt lgkmcnt(0)
	; wave barrier
	s_waitcnt lgkmcnt(0)
	ds_read2_b32 v[16:17], v48 offset1:1
	ds_read2_b32 v[14:15], v48 offset0:2 offset1:3
	ds_read2_b32 v[10:11], v48 offset0:4 offset1:5
	ds_read2_b32 v[12:13], v48 offset0:6 offset1:7
	s_waitcnt lgkmcnt(3)
	v_add_u32_e32 v61, v17, v16
	s_waitcnt lgkmcnt(2)
	v_add3_u32 v61, v61, v14, v15
	s_waitcnt lgkmcnt(1)
	v_add3_u32 v61, v61, v10, v11
	;; [unrolled: 2-line block ×3, first 2 shown]
	s_nop 1
	v_mov_b32_dpp v61, v13 row_shr:1 row_mask:0xf bank_mask:0xf
	v_cndmask_b32_e64 v61, v61, 0, s[10:11]
	v_add_u32_e32 v13, v61, v13
	s_nop 1
	v_mov_b32_dpp v61, v13 row_shr:2 row_mask:0xf bank_mask:0xf
	v_cndmask_b32_e64 v61, 0, v61, s[12:13]
	v_add_u32_e32 v13, v13, v61
	s_nop 1
	v_mov_b32_dpp v61, v13 row_shr:4 row_mask:0xf bank_mask:0xf
	v_cndmask_b32_e64 v61, 0, v61, s[14:15]
	v_add_u32_e32 v13, v13, v61
	s_nop 1
	v_mov_b32_dpp v61, v13 row_shr:8 row_mask:0xf bank_mask:0xf
	v_cndmask_b32_e64 v61, 0, v61, s[16:17]
	v_add_u32_e32 v13, v13, v61
	s_nop 1
	v_mov_b32_dpp v61, v13 row_bcast:15 row_mask:0xf bank_mask:0xf
	v_cndmask_b32_e64 v61, v61, 0, s[18:19]
	v_add_u32_e32 v13, v13, v61
	s_and_saveexec_b64 s[24:25], s[20:21]
	s_cbranch_execz .LBB123_29
; %bb.28:                               ;   in Loop: Header=BB123_20 Depth=1
	ds_write_b32 v52, v13 offset:1024
.LBB123_29:                             ;   in Loop: Header=BB123_20 Depth=1
	s_or_b64 exec, exec, s[24:25]
	ds_bpermute_b32 v13, v49, v13
	s_waitcnt lgkmcnt(0)
	; wave barrier
	s_waitcnt lgkmcnt(0)
	ds_read_b32 v61, v52 offset:1024
	s_cmp_gt_u32 s40, 27
	v_cndmask_b32_e64 v13, v13, 0, s[22:23]
	s_waitcnt lgkmcnt(0)
	v_lshl_add_u32 v13, v61, 16, v13
	v_add_u32_e32 v16, v13, v16
	v_add_u32_e32 v17, v16, v17
	ds_write2_b32 v48, v13, v16 offset1:1
	v_add_u32_e32 v13, v17, v14
	v_add_u32_e32 v14, v13, v15
	;; [unrolled: 1-line block ×5, first 2 shown]
	ds_write2_b32 v48, v17, v13 offset0:2 offset1:3
	ds_write2_b32 v48, v14, v10 offset0:4 offset1:5
	;; [unrolled: 1-line block ×3, first 2 shown]
	s_waitcnt lgkmcnt(0)
	; wave barrier
	s_waitcnt lgkmcnt(0)
	ds_read_u16 v10, v35
	ds_read_u16 v11, v37
	;; [unrolled: 1-line block ×4, first 2 shown]
	s_waitcnt lgkmcnt(3)
	v_add_u32_sdwa v57, v10, v34 dst_sel:DWORD dst_unused:UNUSED_PAD src0_sel:DWORD src1_sel:WORD_0
	s_waitcnt lgkmcnt(2)
	v_add_u32_sdwa v58, v11, v36 dst_sel:DWORD dst_unused:UNUSED_PAD src0_sel:DWORD src1_sel:WORD_0
	;; [unrolled: 2-line block ×4, first 2 shown]
	s_cbranch_scc0 .LBB123_19
; %bb.30:
                                        ; implicit-def: $vgpr37
                                        ; implicit-def: $vgpr35
                                        ; implicit-def: $vgpr16_vgpr17
                                        ; implicit-def: $vgpr12_vgpr13
                                        ; implicit-def: $sgpr40
.LBB123_31:
	v_lshlrev_b32_e32 v10, 2, v57
	s_waitcnt lgkmcnt(0)
	; wave barrier
	ds_write_b32 v10, v56
	v_lshlrev_b32_e32 v10, 2, v58
	ds_write_b32 v10, v55
	v_lshlrev_b32_e32 v10, 2, v59
	;; [unrolled: 2-line block ×4, first 2 shown]
	v_lshlrev_b32_e32 v11, 3, v58
	v_lshlrev_b32_e32 v12, 3, v59
	;; [unrolled: 1-line block ×3, first 2 shown]
	s_waitcnt lgkmcnt(0)
	; wave barrier
	s_waitcnt lgkmcnt(0)
	ds_read2_b32 v[34:35], v47 offset1:1
	ds_read2_b32 v[36:37], v47 offset0:2 offset1:3
	s_waitcnt lgkmcnt(0)
	; wave barrier
	s_waitcnt lgkmcnt(0)
	ds_write_b64 v10, v[32:33]
	ds_write_b64 v11, v[30:31]
	;; [unrolled: 1-line block ×4, first 2 shown]
	s_waitcnt lgkmcnt(0)
	; wave barrier
	s_waitcnt lgkmcnt(0)
	ds_read2_b64 v[10:13], v46 offset1:1
	ds_read2_b64 v[14:17], v46 offset0:2 offset1:3
	v_xor_b32_e32 v21, 0x80000000, v37
	v_xor_b32_e32 v20, 0x80000000, v36
	;; [unrolled: 1-line block ×4, first 2 shown]
	s_branch .LBB123_50
.LBB123_32:
	v_mov_b32_e32 v25, 0
	v_lshlrev_b64 v[2:3], 3, v[24:25]
	v_mov_b32_e32 v4, s38
	v_add_co_u32_e32 v2, vcc, s33, v2
	v_addc_co_u32_e32 v3, vcc, v4, v3, vcc
	global_load_dwordx2 v[2:3], v[2:3], off
	v_mov_b32_e32 v4, v25
	v_mov_b32_e32 v5, v25
	v_mov_b32_e32 v6, v25
	v_mov_b32_e32 v7, v25
	v_mov_b32_e32 v8, v25
	v_mov_b32_e32 v9, v25
	s_or_b64 exec, exec, s[10:11]
	s_and_saveexec_b64 s[10:11], s[2:3]
	s_cbranch_execz .LBB123_14
.LBB123_33:
	v_mul_lo_u32 v4, v1, s28
	v_mov_b32_e32 v5, 0
	v_lshlrev_b64 v[4:5], 3, v[4:5]
	v_mov_b32_e32 v16, s38
	v_add_co_u32_e32 v4, vcc, s33, v4
	v_addc_co_u32_e32 v5, vcc, v16, v5, vcc
	global_load_dwordx2 v[4:5], v[4:5], off
	s_or_b64 exec, exec, s[10:11]
	s_and_saveexec_b64 s[10:11], s[4:5]
	s_cbranch_execz .LBB123_15
.LBB123_34:
	v_mul_lo_u32 v6, v11, s28
	v_mov_b32_e32 v7, 0
	v_lshlrev_b64 v[6:7], 3, v[6:7]
	v_mov_b32_e32 v11, s38
	v_add_co_u32_e32 v6, vcc, s33, v6
	v_addc_co_u32_e32 v7, vcc, v11, v7, vcc
	global_load_dwordx2 v[6:7], v[6:7], off
	s_or_b64 exec, exec, s[10:11]
	s_xor_b64 s[24:25], s[8:9], -1
	s_and_saveexec_b64 s[8:9], s[6:7]
	s_cbranch_execnz .LBB123_16
	s_branch .LBB123_17
.LBB123_35:
                                        ; implicit-def: $vgpr16_vgpr17
                                        ; implicit-def: $vgpr12_vgpr13
                                        ; implicit-def: $vgpr18_vgpr19_vgpr20_vgpr21
	s_cbranch_execz .LBB123_50
; %bb.36:
	v_xor_b32_e32 v18, 0x7fffffff, v28
	v_xor_b32_e32 v19, 0x7fffffff, v29
	;; [unrolled: 1-line block ×4, first 2 shown]
	v_and_b32_e32 v26, 14, v50
	s_mov_b32 s41, 0
	v_mov_b32_e32 v27, 0
	s_movk_i32 s40, 0xe0
	s_branch .LBB123_38
.LBB123_37:                             ;   in Loop: Header=BB123_38 Depth=1
	v_lshlrev_b32_e32 v2, 2, v32
	s_waitcnt lgkmcnt(0)
	; wave barrier
	ds_write_b32 v2, v31
	v_lshlrev_b32_e32 v2, 2, v33
	ds_write_b32 v2, v30
	v_lshlrev_b32_e32 v2, 2, v34
	;; [unrolled: 2-line block ×4, first 2 shown]
	s_waitcnt lgkmcnt(0)
	; wave barrier
	s_waitcnt lgkmcnt(0)
	ds_read2_b32 v[18:19], v47 offset1:1
	ds_read2_b32 v[20:21], v47 offset0:2 offset1:3
	s_waitcnt lgkmcnt(0)
	; wave barrier
	s_waitcnt lgkmcnt(0)
	ds_write_b64 v2, v[16:17]
	v_lshlrev_b32_e32 v2, 3, v33
	ds_write_b64 v2, v[14:15]
	v_lshlrev_b32_e32 v2, 3, v34
	;; [unrolled: 2-line block ×3, first 2 shown]
	ds_write_b64 v2, v[10:11]
	s_waitcnt lgkmcnt(0)
	; wave barrier
	s_waitcnt lgkmcnt(0)
	ds_read2_b64 v[2:5], v46 offset1:1
	ds_read2_b64 v[6:9], v46 offset0:2 offset1:3
	s_add_i32 s41, s41, 4
	s_waitcnt lgkmcnt(0)
	; wave barrier
	s_waitcnt lgkmcnt(0)
	s_cbranch_execz .LBB123_49
.LBB123_38:                             ; =>This Loop Header: Depth=1
                                        ;     Child Loop BB123_41 Depth 2
	v_mov_b32_e32 v28, v21
	v_mov_b32_e32 v29, v20
	;; [unrolled: 1-line block ×4, first 2 shown]
	s_waitcnt lgkmcnt(1)
	v_pk_mov_b32 v[10:11], v[8:9], v[8:9] op_sel:[0,1]
	v_pk_mov_b32 v[12:13], v[6:7], v[6:7] op_sel:[0,1]
	s_waitcnt lgkmcnt(0)
	v_pk_mov_b32 v[14:15], v[4:5], v[4:5] op_sel:[0,1]
	v_pk_mov_b32 v[16:17], v[2:3], v[2:3] op_sel:[0,1]
	s_and_saveexec_b64 s[24:25], s[8:9]
	s_cbranch_execz .LBB123_45
; %bb.39:                               ;   in Loop: Header=BB123_38 Depth=1
	s_mov_b32 s42, 0
	s_mov_b64 s[30:31], 0
	v_pk_mov_b32 v[2:3], v[0:1], v[0:1] op_sel:[0,1]
	s_branch .LBB123_41
.LBB123_40:                             ;   in Loop: Header=BB123_41 Depth=2
	s_or_b64 exec, exec, s[36:37]
	s_add_i32 s42, s42, 2
	v_cmp_eq_u32_e32 vcc, s42, v26
	v_add_u32_e32 v3, 64, v3
	s_or_b64 s[30:31], vcc, s[30:31]
	v_add_u32_e32 v2, 64, v2
	s_andn2_b64 exec, exec, s[30:31]
	s_cbranch_execz .LBB123_45
.LBB123_41:                             ;   Parent Loop BB123_38 Depth=1
                                        ; =>  This Inner Loop Header: Depth=2
	s_or_b32 s34, s42, 1
	v_cmp_le_u32_e64 s[34:35], s34, 7
	v_cmp_le_u32_e64 s[44:45], s42, 7
	s_and_saveexec_b64 s[36:37], s[44:45]
	s_cbranch_execz .LBB123_43
; %bb.42:                               ;   in Loop: Header=BB123_41 Depth=2
	v_lshlrev_b32_e32 v4, 2, v2
	ds_write_b32 v4, v27
.LBB123_43:                             ;   in Loop: Header=BB123_41 Depth=2
	s_or_b64 exec, exec, s[36:37]
	s_and_saveexec_b64 s[36:37], s[34:35]
	s_cbranch_execz .LBB123_40
; %bb.44:                               ;   in Loop: Header=BB123_41 Depth=2
	v_lshlrev_b32_e32 v4, 2, v3
	ds_write_b32 v4, v27
	s_branch .LBB123_40
.LBB123_45:                             ;   in Loop: Header=BB123_38 Depth=1
	s_or_b64 exec, exec, s[24:25]
	s_sub_i32 s24, 32, s41
	s_min_u32 s24, s39, s24
	s_lshl_b32 s24, -1, s24
	s_not_b32 s24, s24
	v_lshrrev_b32_e32 v2, s41, v31
	v_and_b32_e32 v2, s24, v2
	v_lshrrev_b32_e32 v3, 3, v2
	v_lshlrev_b32_e32 v2, 5, v2
	v_and_or_b32 v2, v2, s40, v0
	v_lshlrev_b32_e32 v2, 1, v2
	v_add_lshl_u32 v19, v2, v3, 1
	ds_read_u16 v18, v19
	v_lshrrev_b32_e32 v2, s41, v30
	v_and_b32_e32 v2, s24, v2
	s_waitcnt lgkmcnt(0)
	v_add_u16_e32 v3, 1, v18
	ds_write_b16 v19, v3
	v_lshrrev_b32_e32 v3, 3, v2
	v_lshlrev_b32_e32 v2, 5, v2
	v_and_or_b32 v2, v2, s40, v0
	v_lshlrev_b32_e32 v2, 1, v2
	v_add_lshl_u32 v21, v2, v3, 1
	ds_read_u16 v20, v21
	s_waitcnt lgkmcnt(0)
	v_add_u16_e32 v2, 1, v20
	ds_write_b16 v21, v2
	v_lshrrev_b32_e32 v2, s41, v29
	v_and_b32_e32 v2, s24, v2
	v_lshrrev_b32_e32 v3, 3, v2
	v_lshlrev_b32_e32 v2, 5, v2
	v_and_or_b32 v2, v2, s40, v0
	v_lshlrev_b32_e32 v2, 1, v2
	v_add_lshl_u32 v32, v2, v3, 1
	ds_read_u16 v34, v32
	s_waitcnt lgkmcnt(0)
	v_add_u16_e32 v2, 1, v34
	ds_write_b16 v32, v2
	v_lshrrev_b32_e32 v2, s41, v28
	v_and_b32_e32 v2, s24, v2
	v_lshrrev_b32_e32 v3, 3, v2
	v_lshlrev_b32_e32 v2, 5, v2
	v_and_or_b32 v2, v2, s40, v0
	v_lshlrev_b32_e32 v2, 1, v2
	v_add_lshl_u32 v33, v2, v3, 1
	ds_read_u16 v35, v33
	s_waitcnt lgkmcnt(0)
	v_add_u16_e32 v2, 1, v35
	ds_write_b16 v33, v2
	s_waitcnt lgkmcnt(0)
	; wave barrier
	s_waitcnt lgkmcnt(0)
	ds_read2_b32 v[8:9], v48 offset1:1
	ds_read2_b32 v[6:7], v48 offset0:2 offset1:3
	ds_read2_b32 v[2:3], v48 offset0:4 offset1:5
	;; [unrolled: 1-line block ×3, first 2 shown]
	s_waitcnt lgkmcnt(3)
	v_add_u32_e32 v36, v9, v8
	s_waitcnt lgkmcnt(2)
	v_add3_u32 v36, v36, v6, v7
	s_waitcnt lgkmcnt(1)
	v_add3_u32 v36, v36, v2, v3
	;; [unrolled: 2-line block ×3, first 2 shown]
	s_nop 1
	v_mov_b32_dpp v36, v5 row_shr:1 row_mask:0xf bank_mask:0xf
	v_cndmask_b32_e64 v36, v36, 0, s[10:11]
	v_add_u32_e32 v5, v36, v5
	s_nop 1
	v_mov_b32_dpp v36, v5 row_shr:2 row_mask:0xf bank_mask:0xf
	v_cndmask_b32_e64 v36, 0, v36, s[12:13]
	v_add_u32_e32 v5, v5, v36
	;; [unrolled: 4-line block ×4, first 2 shown]
	s_nop 1
	v_mov_b32_dpp v36, v5 row_bcast:15 row_mask:0xf bank_mask:0xf
	v_cndmask_b32_e64 v36, v36, 0, s[18:19]
	v_add_u32_e32 v5, v5, v36
	s_and_saveexec_b64 s[24:25], s[20:21]
	s_cbranch_execz .LBB123_47
; %bb.46:                               ;   in Loop: Header=BB123_38 Depth=1
	ds_write_b32 v27, v5 offset:1024
.LBB123_47:                             ;   in Loop: Header=BB123_38 Depth=1
	s_or_b64 exec, exec, s[24:25]
	ds_bpermute_b32 v5, v49, v5
	s_waitcnt lgkmcnt(0)
	; wave barrier
	s_waitcnt lgkmcnt(0)
	ds_read_b32 v36, v27 offset:1024
	s_cmp_gt_u32 s41, 27
	v_cndmask_b32_e64 v5, v5, 0, s[22:23]
	s_waitcnt lgkmcnt(0)
	v_lshl_add_u32 v5, v36, 16, v5
	v_add_u32_e32 v8, v5, v8
	v_add_u32_e32 v9, v8, v9
	ds_write2_b32 v48, v5, v8 offset1:1
	v_add_u32_e32 v5, v9, v6
	v_add_u32_e32 v6, v5, v7
	;; [unrolled: 1-line block ×5, first 2 shown]
	ds_write2_b32 v48, v9, v5 offset0:2 offset1:3
	ds_write2_b32 v48, v6, v2 offset0:4 offset1:5
	;; [unrolled: 1-line block ×3, first 2 shown]
	s_waitcnt lgkmcnt(0)
	; wave barrier
	s_waitcnt lgkmcnt(0)
	ds_read_u16 v2, v19
	ds_read_u16 v3, v21
	;; [unrolled: 1-line block ×4, first 2 shown]
	s_waitcnt lgkmcnt(3)
	v_add_u32_sdwa v32, v2, v18 dst_sel:DWORD dst_unused:UNUSED_PAD src0_sel:DWORD src1_sel:WORD_0
	s_waitcnt lgkmcnt(2)
	v_add_u32_sdwa v33, v3, v20 dst_sel:DWORD dst_unused:UNUSED_PAD src0_sel:DWORD src1_sel:WORD_0
	;; [unrolled: 2-line block ×4, first 2 shown]
	s_cbranch_scc0 .LBB123_37
; %bb.48:
                                        ; implicit-def: $vgpr21
                                        ; implicit-def: $vgpr19
                                        ; implicit-def: $vgpr8_vgpr9
                                        ; implicit-def: $vgpr4_vgpr5
                                        ; implicit-def: $sgpr41
.LBB123_49:
	v_lshlrev_b32_e32 v0, 2, v32
	s_waitcnt lgkmcnt(0)
	; wave barrier
	ds_write_b32 v0, v31
	v_lshlrev_b32_e32 v0, 2, v33
	ds_write_b32 v0, v30
	v_lshlrev_b32_e32 v0, 2, v34
	;; [unrolled: 2-line block ×3, first 2 shown]
	v_lshlrev_b32_e32 v4, 3, v32
	ds_write_b32 v0, v28
	s_waitcnt lgkmcnt(0)
	; wave barrier
	s_waitcnt lgkmcnt(0)
	v_lshlrev_b32_e32 v5, 3, v33
	v_lshlrev_b32_e32 v6, 3, v34
	;; [unrolled: 1-line block ×3, first 2 shown]
	ds_read2_b32 v[0:1], v47 offset1:1
	ds_read2_b32 v[2:3], v47 offset0:2 offset1:3
	s_waitcnt lgkmcnt(0)
	; wave barrier
	s_waitcnt lgkmcnt(0)
	ds_write_b64 v4, v[16:17]
	ds_write_b64 v5, v[14:15]
	;; [unrolled: 1-line block ×4, first 2 shown]
	s_waitcnt lgkmcnt(0)
	; wave barrier
	s_waitcnt lgkmcnt(0)
	ds_read2_b64 v[10:13], v46 offset1:1
	ds_read2_b64 v[14:17], v46 offset0:2 offset1:3
	v_xor_b32_e32 v21, 0x7fffffff, v3
	v_xor_b32_e32 v20, 0x7fffffff, v2
	;; [unrolled: 1-line block ×4, first 2 shown]
.LBB123_50:
	s_waitcnt lgkmcnt(0)
	; wave barrier
	s_waitcnt lgkmcnt(0)
	ds_write2_b32 v41, v18, v19 offset1:1
	ds_write2_b32 v41, v20, v21 offset0:2 offset1:3
	s_waitcnt lgkmcnt(0)
	; wave barrier
	s_waitcnt lgkmcnt(0)
	ds_read_b32 v4, v23 offset:128
	ds_read_b32 v3, v39 offset:256
	;; [unrolled: 1-line block ×3, first 2 shown]
	v_mov_b32_e32 v23, 0
	v_lshlrev_b64 v[0:1], 2, v[22:23]
	v_mov_b32_e32 v5, s29
	v_add_co_u32_e32 v0, vcc, s27, v0
	v_addc_co_u32_e32 v1, vcc, v5, v1, vcc
	s_and_saveexec_b64 s[8:9], s[0:1]
	s_cbranch_execnz .LBB123_61
; %bb.51:
	s_or_b64 exec, exec, s[8:9]
	s_and_saveexec_b64 s[8:9], s[2:3]
	s_cbranch_execnz .LBB123_62
.LBB123_52:
	s_or_b64 exec, exec, s[8:9]
	s_and_saveexec_b64 s[8:9], s[4:5]
	s_cbranch_execnz .LBB123_63
.LBB123_53:
	s_or_b64 exec, exec, s[8:9]
	s_and_saveexec_b64 s[8:9], s[6:7]
	s_cbranch_execz .LBB123_55
.LBB123_54:
	s_mul_i32 s10, s26, 0x60
	s_mov_b32 s11, 0
	s_lshl_b64 s[10:11], s[10:11], 2
	s_waitcnt lgkmcnt(1)
	v_mov_b32_e32 v3, s11
	v_add_co_u32_e32 v0, vcc, s10, v0
	v_addc_co_u32_e32 v1, vcc, v1, v3, vcc
	s_waitcnt lgkmcnt(0)
	global_store_dword v[0:1], v2, off
.LBB123_55:
	s_or_b64 exec, exec, s[8:9]
	s_waitcnt lgkmcnt(0)
	; wave barrier
	s_waitcnt lgkmcnt(0)
	ds_write2_b64 v45, v[10:11], v[12:13] offset1:1
	ds_write2_b64 v45, v[14:15], v[16:17] offset0:2 offset1:3
	s_waitcnt lgkmcnt(0)
	; wave barrier
	s_waitcnt lgkmcnt(0)
	ds_read_b64 v[6:7], v25 offset:256
	ds_read_b64 v[4:5], v43 offset:512
	;; [unrolled: 1-line block ×3, first 2 shown]
	v_mov_b32_e32 v25, 0
	v_lshlrev_b64 v[2:3], 3, v[24:25]
	v_mov_b32_e32 v8, s38
	v_add_co_u32_e32 v2, vcc, s33, v2
	v_addc_co_u32_e32 v3, vcc, v8, v3, vcc
	s_and_saveexec_b64 s[8:9], s[0:1]
	s_cbranch_execnz .LBB123_64
; %bb.56:
	s_or_b64 exec, exec, s[8:9]
	s_and_saveexec_b64 s[0:1], s[2:3]
	s_cbranch_execnz .LBB123_65
.LBB123_57:
	s_or_b64 exec, exec, s[0:1]
	s_and_saveexec_b64 s[0:1], s[4:5]
	s_cbranch_execnz .LBB123_66
.LBB123_58:
	s_or_b64 exec, exec, s[0:1]
	s_and_saveexec_b64 s[0:1], s[6:7]
	s_cbranch_execz .LBB123_60
.LBB123_59:
	s_mul_i32 s0, s28, 0x60
	s_mov_b32 s1, 0
	s_lshl_b64 s[0:1], s[0:1], 3
	s_waitcnt lgkmcnt(1)
	v_mov_b32_e32 v4, s1
	v_add_co_u32_e32 v2, vcc, s0, v2
	v_addc_co_u32_e32 v3, vcc, v3, v4, vcc
	s_waitcnt lgkmcnt(0)
	global_store_dwordx2 v[2:3], v[0:1], off
.LBB123_60:
	s_endpgm
.LBB123_61:
	ds_read_b32 v5, v38
	s_waitcnt lgkmcnt(0)
	global_store_dword v[0:1], v5, off
	s_or_b64 exec, exec, s[8:9]
	s_and_saveexec_b64 s[8:9], s[2:3]
	s_cbranch_execz .LBB123_52
.LBB123_62:
	s_lshl_b32 s10, s26, 5
	s_mov_b32 s11, 0
	s_lshl_b64 s[10:11], s[10:11], 2
	v_mov_b32_e32 v5, s11
	v_add_co_u32_e32 v6, vcc, s10, v0
	v_addc_co_u32_e32 v7, vcc, v1, v5, vcc
	s_waitcnt lgkmcnt(2)
	global_store_dword v[6:7], v4, off
	s_or_b64 exec, exec, s[8:9]
	s_and_saveexec_b64 s[8:9], s[4:5]
	s_cbranch_execz .LBB123_53
.LBB123_63:
	s_lshl_b32 s10, s26, 6
	s_mov_b32 s11, 0
	s_lshl_b64 s[10:11], s[10:11], 2
	v_mov_b32_e32 v5, s11
	s_waitcnt lgkmcnt(2)
	v_add_co_u32_e32 v4, vcc, s10, v0
	v_addc_co_u32_e32 v5, vcc, v1, v5, vcc
	s_waitcnt lgkmcnt(1)
	global_store_dword v[4:5], v3, off
	s_or_b64 exec, exec, s[8:9]
	s_and_saveexec_b64 s[8:9], s[6:7]
	s_cbranch_execnz .LBB123_54
	s_branch .LBB123_55
.LBB123_64:
	ds_read_b64 v[8:9], v42
	s_waitcnt lgkmcnt(0)
	global_store_dwordx2 v[2:3], v[8:9], off
	s_or_b64 exec, exec, s[8:9]
	s_and_saveexec_b64 s[0:1], s[2:3]
	s_cbranch_execz .LBB123_57
.LBB123_65:
	s_lshl_b32 s2, s28, 5
	s_mov_b32 s3, 0
	s_lshl_b64 s[2:3], s[2:3], 3
	v_mov_b32_e32 v9, s3
	v_add_co_u32_e32 v8, vcc, s2, v2
	v_addc_co_u32_e32 v9, vcc, v3, v9, vcc
	s_waitcnt lgkmcnt(2)
	global_store_dwordx2 v[8:9], v[6:7], off
	s_or_b64 exec, exec, s[0:1]
	s_and_saveexec_b64 s[0:1], s[4:5]
	s_cbranch_execz .LBB123_58
.LBB123_66:
	s_lshl_b32 s2, s28, 6
	s_mov_b32 s3, 0
	s_lshl_b64 s[2:3], s[2:3], 3
	s_waitcnt lgkmcnt(2)
	v_mov_b32_e32 v7, s3
	v_add_co_u32_e32 v6, vcc, s2, v2
	v_addc_co_u32_e32 v7, vcc, v3, v7, vcc
	s_waitcnt lgkmcnt(1)
	global_store_dwordx2 v[6:7], v[4:5], off
	s_or_b64 exec, exec, s[0:1]
	s_and_saveexec_b64 s[0:1], s[6:7]
	s_cbranch_execnz .LBB123_59
	s_branch .LBB123_60
	.section	.rodata,"a",@progbits
	.p2align	6, 0x0
	.amdhsa_kernel _ZN2at6native18radixSortKVInPlaceILin2ELin1ELi32ELi4EiljEEvNS_4cuda6detail10TensorInfoIT3_T5_EES6_S6_S6_NS4_IT4_S6_EES6_b
		.amdhsa_group_segment_fixed_size 1056
		.amdhsa_private_segment_fixed_size 0
		.amdhsa_kernarg_size 712
		.amdhsa_user_sgpr_count 6
		.amdhsa_user_sgpr_private_segment_buffer 1
		.amdhsa_user_sgpr_dispatch_ptr 0
		.amdhsa_user_sgpr_queue_ptr 0
		.amdhsa_user_sgpr_kernarg_segment_ptr 1
		.amdhsa_user_sgpr_dispatch_id 0
		.amdhsa_user_sgpr_flat_scratch_init 0
		.amdhsa_user_sgpr_kernarg_preload_length 0
		.amdhsa_user_sgpr_kernarg_preload_offset 0
		.amdhsa_user_sgpr_private_segment_size 0
		.amdhsa_uses_dynamic_stack 0
		.amdhsa_system_sgpr_private_segment_wavefront_offset 0
		.amdhsa_system_sgpr_workgroup_id_x 1
		.amdhsa_system_sgpr_workgroup_id_y 1
		.amdhsa_system_sgpr_workgroup_id_z 1
		.amdhsa_system_sgpr_workgroup_info 0
		.amdhsa_system_vgpr_workitem_id 0
		.amdhsa_next_free_vgpr 62
		.amdhsa_next_free_sgpr 46
		.amdhsa_accum_offset 64
		.amdhsa_reserve_vcc 1
		.amdhsa_reserve_flat_scratch 0
		.amdhsa_float_round_mode_32 0
		.amdhsa_float_round_mode_16_64 0
		.amdhsa_float_denorm_mode_32 3
		.amdhsa_float_denorm_mode_16_64 3
		.amdhsa_dx10_clamp 1
		.amdhsa_ieee_mode 1
		.amdhsa_fp16_overflow 0
		.amdhsa_tg_split 0
		.amdhsa_exception_fp_ieee_invalid_op 0
		.amdhsa_exception_fp_denorm_src 0
		.amdhsa_exception_fp_ieee_div_zero 0
		.amdhsa_exception_fp_ieee_overflow 0
		.amdhsa_exception_fp_ieee_underflow 0
		.amdhsa_exception_fp_ieee_inexact 0
		.amdhsa_exception_int_div_zero 0
	.end_amdhsa_kernel
	.section	.text._ZN2at6native18radixSortKVInPlaceILin2ELin1ELi32ELi4EiljEEvNS_4cuda6detail10TensorInfoIT3_T5_EES6_S6_S6_NS4_IT4_S6_EES6_b,"axG",@progbits,_ZN2at6native18radixSortKVInPlaceILin2ELin1ELi32ELi4EiljEEvNS_4cuda6detail10TensorInfoIT3_T5_EES6_S6_S6_NS4_IT4_S6_EES6_b,comdat
.Lfunc_end123:
	.size	_ZN2at6native18radixSortKVInPlaceILin2ELin1ELi32ELi4EiljEEvNS_4cuda6detail10TensorInfoIT3_T5_EES6_S6_S6_NS4_IT4_S6_EES6_b, .Lfunc_end123-_ZN2at6native18radixSortKVInPlaceILin2ELin1ELi32ELi4EiljEEvNS_4cuda6detail10TensorInfoIT3_T5_EES6_S6_S6_NS4_IT4_S6_EES6_b
                                        ; -- End function
	.section	.AMDGPU.csdata,"",@progbits
; Kernel info:
; codeLenInByte = 4616
; NumSgprs: 50
; NumVgprs: 62
; NumAgprs: 0
; TotalNumVgprs: 62
; ScratchSize: 0
; MemoryBound: 0
; FloatMode: 240
; IeeeMode: 1
; LDSByteSize: 1056 bytes/workgroup (compile time only)
; SGPRBlocks: 6
; VGPRBlocks: 7
; NumSGPRsForWavesPerEU: 50
; NumVGPRsForWavesPerEU: 62
; AccumOffset: 64
; Occupancy: 8
; WaveLimiterHint : 1
; COMPUTE_PGM_RSRC2:SCRATCH_EN: 0
; COMPUTE_PGM_RSRC2:USER_SGPR: 6
; COMPUTE_PGM_RSRC2:TRAP_HANDLER: 0
; COMPUTE_PGM_RSRC2:TGID_X_EN: 1
; COMPUTE_PGM_RSRC2:TGID_Y_EN: 1
; COMPUTE_PGM_RSRC2:TGID_Z_EN: 1
; COMPUTE_PGM_RSRC2:TIDIG_COMP_CNT: 0
; COMPUTE_PGM_RSRC3_GFX90A:ACCUM_OFFSET: 15
; COMPUTE_PGM_RSRC3_GFX90A:TG_SPLIT: 0
	.section	.text._ZN2at6native18radixSortKVInPlaceILin2ELin1ELi16ELi2EiljEEvNS_4cuda6detail10TensorInfoIT3_T5_EES6_S6_S6_NS4_IT4_S6_EES6_b,"axG",@progbits,_ZN2at6native18radixSortKVInPlaceILin2ELin1ELi16ELi2EiljEEvNS_4cuda6detail10TensorInfoIT3_T5_EES6_S6_S6_NS4_IT4_S6_EES6_b,comdat
	.protected	_ZN2at6native18radixSortKVInPlaceILin2ELin1ELi16ELi2EiljEEvNS_4cuda6detail10TensorInfoIT3_T5_EES6_S6_S6_NS4_IT4_S6_EES6_b ; -- Begin function _ZN2at6native18radixSortKVInPlaceILin2ELin1ELi16ELi2EiljEEvNS_4cuda6detail10TensorInfoIT3_T5_EES6_S6_S6_NS4_IT4_S6_EES6_b
	.globl	_ZN2at6native18radixSortKVInPlaceILin2ELin1ELi16ELi2EiljEEvNS_4cuda6detail10TensorInfoIT3_T5_EES6_S6_S6_NS4_IT4_S6_EES6_b
	.p2align	8
	.type	_ZN2at6native18radixSortKVInPlaceILin2ELin1ELi16ELi2EiljEEvNS_4cuda6detail10TensorInfoIT3_T5_EES6_S6_S6_NS4_IT4_S6_EES6_b,@function
_ZN2at6native18radixSortKVInPlaceILin2ELin1ELi16ELi2EiljEEvNS_4cuda6detail10TensorInfoIT3_T5_EES6_S6_S6_NS4_IT4_S6_EES6_b: ; @_ZN2at6native18radixSortKVInPlaceILin2ELin1ELi16ELi2EiljEEvNS_4cuda6detail10TensorInfoIT3_T5_EES6_S6_S6_NS4_IT4_S6_EES6_b
; %bb.0:
	s_load_dwordx2 s[0:1], s[4:5], 0x1c8
	s_load_dwordx4 s[16:19], s[4:5], 0xd8
	s_waitcnt lgkmcnt(0)
	s_mul_i32 s1, s1, s8
	s_add_i32 s1, s1, s7
	s_mul_i32 s10, s1, s0
	s_add_i32 s10, s10, s6
	s_cmp_ge_u32 s10, s16
	s_cbranch_scc1 .LBB124_50
; %bb.1:
	s_load_dword s8, s[4:5], 0x1b8
	s_load_dwordx2 s[0:1], s[4:5], 0x0
	s_add_u32 s2, s4, 0xe8
	s_addc_u32 s3, s5, 0
	s_mov_b32 s7, 0
	s_waitcnt lgkmcnt(0)
	s_cmp_lt_i32 s8, 2
	s_mov_b32 s6, s10
	s_cbranch_scc1 .LBB124_4
; %bb.2:
	s_add_i32 s6, s8, -1
	s_add_i32 s11, s8, 1
	s_lshl_b64 s[8:9], s[6:7], 2
	s_add_u32 s6, s8, s2
	s_addc_u32 s9, s9, s3
	s_add_u32 s8, s6, 8
	s_addc_u32 s9, s9, 0
	s_mov_b32 s6, s10
.LBB124_3:                              ; =>This Inner Loop Header: Depth=1
	s_load_dword s12, s[8:9], 0x0
	s_load_dword s14, s[8:9], 0x64
	s_mov_b32 s13, s6
	s_waitcnt lgkmcnt(0)
	v_cvt_f32_u32_e32 v1, s12
	s_sub_i32 s6, 0, s12
	v_rcp_iflag_f32_e32 v1, v1
	v_mul_f32_e32 v1, 0x4f7ffffe, v1
	v_cvt_u32_f32_e32 v1, v1
	v_readfirstlane_b32 s15, v1
	s_mul_i32 s6, s6, s15
	s_mul_hi_u32 s6, s15, s6
	s_add_i32 s15, s15, s6
	s_mul_hi_u32 s6, s13, s15
	s_mul_i32 s15, s6, s12
	s_sub_i32 s15, s13, s15
	s_add_i32 s16, s6, 1
	s_sub_i32 s19, s15, s12
	s_cmp_ge_u32 s15, s12
	s_cselect_b32 s6, s16, s6
	s_cselect_b32 s15, s19, s15
	s_add_i32 s16, s6, 1
	s_cmp_ge_u32 s15, s12
	s_cselect_b32 s6, s16, s6
	s_mul_i32 s12, s6, s12
	s_sub_i32 s12, s13, s12
	s_mul_i32 s12, s14, s12
	s_add_i32 s11, s11, -1
	s_add_i32 s7, s12, s7
	s_add_u32 s8, s8, -4
	s_addc_u32 s9, s9, -1
	s_cmp_gt_u32 s11, 2
	s_cbranch_scc1 .LBB124_3
.LBB124_4:
	s_load_dword s8, s[4:5], 0x6c
	s_load_dwordx2 s[20:21], s[4:5], 0x1c0
	s_brev_b32 s14, 1
	s_mov_b32 s13, 0
	v_mul_lo_u32 v10, v0, s18
	s_waitcnt lgkmcnt(0)
	s_mul_i32 s12, s8, s10
	s_bitcmp1_b32 s21, 0
	s_load_dwordx2 s[8:9], s[2:3], 0x0
	s_cselect_b64 s[4:5], -1, 0
	s_and_b64 s[10:11], s[4:5], exec
	s_cselect_b32 s10, s14, 0x7fffffff
	s_lshl_b64 s[12:13], s[12:13], 2
	s_add_u32 s19, s0, s12
	s_mov_b32 s11, s10
	s_addc_u32 s21, s1, s13
	v_cmp_gt_u32_e64 s[0:1], s17, v0
	v_pk_mov_b32 v[2:3], s[10:11], s[10:11] op_sel:[0,1]
	s_and_saveexec_b64 s[12:13], s[0:1]
	s_cbranch_execz .LBB124_6
; %bb.5:
	v_mov_b32_e32 v11, 0
	v_lshlrev_b64 v[2:3], 2, v[10:11]
	v_mov_b32_e32 v1, s21
	v_add_co_u32_e32 v2, vcc, s19, v2
	v_addc_co_u32_e32 v3, vcc, v1, v3, vcc
	global_load_dword v2, v[2:3], off
	v_mov_b32_e32 v3, s10
.LBB124_6:
	s_or_b64 exec, exec, s[12:13]
	s_load_dword s12, s[2:3], 0x6c
	v_or_b32_e32 v1, 16, v0
	v_cmp_gt_u32_e64 s[2:3], s17, v1
	s_and_saveexec_b64 s[10:11], s[2:3]
	s_cbranch_execz .LBB124_8
; %bb.7:
	v_mul_lo_u32 v4, v1, s18
	v_mov_b32_e32 v5, 0
	v_lshlrev_b64 v[4:5], 2, v[4:5]
	v_mov_b32_e32 v3, s21
	v_add_co_u32_e32 v4, vcc, s19, v4
	v_addc_co_u32_e32 v5, vcc, v3, v5, vcc
	global_load_dword v3, v[4:5], off
.LBB124_8:
	s_or_b64 exec, exec, s[10:11]
	v_lshlrev_b32_e32 v25, 2, v0
	v_lshlrev_b32_e32 v24, 3, v0
	s_waitcnt lgkmcnt(0)
	s_mul_i32 s6, s12, s6
	s_waitcnt vmcnt(0)
	ds_write2_b32 v25, v2, v3 offset1:16
	s_waitcnt lgkmcnt(0)
	; wave barrier
	s_waitcnt lgkmcnt(0)
	ds_read2_b32 v[14:15], v24 offset1:1
	s_add_i32 s12, s6, s7
	s_mov_b32 s13, 0
	s_lshl_b64 s[6:7], s[12:13], 3
	s_mov_b32 s12, s13
	s_add_u32 s30, s8, s6
	s_mov_b32 s14, s13
	s_mov_b32 s15, s13
	v_pk_mov_b32 v[2:3], s[12:13], s[12:13] op_sel:[0,1]
	s_addc_u32 s31, s9, s7
	v_pk_mov_b32 v[4:5], s[14:15], s[14:15] op_sel:[0,1]
	v_pk_mov_b32 v[2:3], 0, 0
	v_mul_lo_u32 v12, v0, s20
	s_waitcnt lgkmcnt(0)
	; wave barrier
	s_waitcnt lgkmcnt(0)
	s_and_saveexec_b64 s[6:7], s[0:1]
	s_cbranch_execz .LBB124_10
; %bb.9:
	v_mov_b32_e32 v13, 0
	v_lshlrev_b64 v[2:3], 3, v[12:13]
	v_mov_b32_e32 v4, s31
	v_add_co_u32_e32 v2, vcc, s30, v2
	v_addc_co_u32_e32 v3, vcc, v4, v3, vcc
	global_load_dwordx2 v[2:3], v[2:3], off
	v_mov_b32_e32 v4, v13
	v_mov_b32_e32 v5, v13
.LBB124_10:
	s_or_b64 exec, exec, s[6:7]
	s_xor_b64 s[22:23], s[4:5], -1
	v_lshlrev_b32_e32 v6, 1, v0
	s_and_saveexec_b64 s[4:5], s[2:3]
	s_cbranch_execz .LBB124_12
; %bb.11:
	v_mul_lo_u32 v4, v1, s20
	v_mov_b32_e32 v5, 0
	v_lshlrev_b64 v[4:5], 3, v[4:5]
	v_mov_b32_e32 v7, s31
	v_add_co_u32_e32 v4, vcc, s30, v4
	v_addc_co_u32_e32 v5, vcc, v7, v5, vcc
	global_load_dwordx2 v[4:5], v[4:5], off
.LBB124_12:
	s_or_b64 exec, exec, s[4:5]
	v_mbcnt_lo_u32_b32 v7, -1, 0
	v_lshlrev_b32_e32 v13, 3, v6
	s_getpc_b64 s[4:5]
	s_add_u32 s4, s4, _ZN7rocprim17ROCPRIM_400000_NS16block_radix_sortIiLj16ELj2ElLj1ELj1ELj0ELNS0_26block_radix_rank_algorithmE1ELNS0_18block_padding_hintE2ELNS0_4arch9wavefront6targetE1EE19radix_bits_per_passE@rel32@lo+4
	s_addc_u32 s5, s5, _ZN7rocprim17ROCPRIM_400000_NS16block_radix_sortIiLj16ELj2ElLj1ELj1ELj0ELNS0_26block_radix_rank_algorithmE1ELNS0_18block_padding_hintE2ELNS0_4arch9wavefront6targetE1EE19radix_bits_per_passE@rel32@hi+12
	v_mbcnt_hi_u32_b32 v7, -1, v7
	s_waitcnt vmcnt(0)
	ds_write2_b64 v24, v[2:3], v[4:5] offset1:16
	s_waitcnt lgkmcnt(0)
	; wave barrier
	s_waitcnt lgkmcnt(0)
	ds_read2_b64 v[2:5], v13 offset1:1
	s_load_dword s33, s[4:5], 0x0
	v_and_b32_e32 v8, 15, v7
	v_cmp_eq_u32_e64 s[6:7], 0, v8
	v_cmp_lt_u32_e64 s[8:9], 1, v8
	v_cmp_lt_u32_e64 s[10:11], 3, v8
	;; [unrolled: 1-line block ×3, first 2 shown]
	v_add_u32_e32 v8, -1, v7
	v_and_b32_e32 v9, 0x70, v7
	v_cmp_lt_i32_e32 vcc, v8, v9
	s_movk_i32 s4, 0x80
	v_cndmask_b32_e32 v8, v8, v7, vcc
	v_cmp_gt_u32_e64 s[4:5], s4, v0
	v_lshlrev_b32_e32 v11, 5, v0
	s_mov_b32 s34, 0
	v_cmp_eq_u32_e64 s[14:15], 15, v0
	s_movk_i32 s35, 0x70
	v_lshlrev_b32_e32 v27, 2, v8
	v_cmp_eq_u32_e64 s[16:17], 0, v7
	v_lshlrev_b32_e32 v26, 2, v6
	s_and_b64 vcc, exec, s[22:23]
	v_add_u32_e64 v28, 7, 2
	s_waitcnt lgkmcnt(0)
	; wave barrier
	s_waitcnt lgkmcnt(0)
	s_cbranch_vccz .LBB124_27
; %bb.13:
	v_xor_b32_e32 v20, 0x80000000, v14
	v_xor_b32_e32 v21, 0x80000000, v15
	v_and_b32_e32 v29, 14, v28
	v_mov_b32_e32 v30, 0
	v_pk_mov_b32 v[6:7], v[2:3], v[2:3] op_sel:[0,1]
	v_pk_mov_b32 v[8:9], v[4:5], v[4:5] op_sel:[0,1]
	s_branch .LBB124_15
.LBB124_14:                             ;   in Loop: Header=BB124_15 Depth=1
	v_lshlrev_b32_e32 v6, 2, v22
	s_waitcnt lgkmcnt(0)
	; wave barrier
	ds_write_b32 v6, v32
	v_lshlrev_b32_e32 v6, 2, v23
	ds_write_b32 v6, v31
	v_lshlrev_b32_e32 v6, 3, v22
	s_waitcnt lgkmcnt(0)
	; wave barrier
	s_waitcnt lgkmcnt(0)
	ds_read2_b32 v[20:21], v26 offset1:1
	s_waitcnt lgkmcnt(0)
	; wave barrier
	s_waitcnt lgkmcnt(0)
	ds_write_b64 v6, v[18:19]
	v_lshlrev_b32_e32 v6, 3, v23
	ds_write_b64 v6, v[16:17]
	s_waitcnt lgkmcnt(0)
	; wave barrier
	s_waitcnt lgkmcnt(0)
	ds_read2_b64 v[6:9], v13 offset1:1
	s_add_i32 s34, s34, 4
	s_waitcnt lgkmcnt(0)
	; wave barrier
	s_waitcnt lgkmcnt(0)
	s_cbranch_execz .LBB124_26
.LBB124_15:                             ; =>This Loop Header: Depth=1
                                        ;     Child Loop BB124_18 Depth 2
	v_mov_b32_e32 v31, v21
	v_mov_b32_e32 v32, v20
	v_pk_mov_b32 v[16:17], v[8:9], v[8:9] op_sel:[0,1]
	v_pk_mov_b32 v[18:19], v[6:7], v[6:7] op_sel:[0,1]
	s_and_saveexec_b64 s[22:23], s[4:5]
	s_cbranch_execz .LBB124_22
; %bb.16:                               ;   in Loop: Header=BB124_15 Depth=1
	s_mov_b32 s36, 0
	s_mov_b64 s[24:25], 0
	v_pk_mov_b32 v[6:7], v[0:1], v[0:1] op_sel:[0,1]
	s_branch .LBB124_18
.LBB124_17:                             ;   in Loop: Header=BB124_18 Depth=2
	s_or_b64 exec, exec, s[28:29]
	s_add_i32 s36, s36, 2
	v_cmp_eq_u32_e32 vcc, s36, v29
	v_add_u32_e32 v7, 32, v7
	s_or_b64 s[24:25], vcc, s[24:25]
	v_add_u32_e32 v6, 32, v6
	s_andn2_b64 exec, exec, s[24:25]
	s_cbranch_execz .LBB124_22
.LBB124_18:                             ;   Parent Loop BB124_15 Depth=1
                                        ; =>  This Inner Loop Header: Depth=2
	s_or_b32 s26, s36, 1
	v_cmp_le_u32_e64 s[26:27], s26, 7
	v_cmp_le_u32_e64 s[38:39], s36, 7
	s_and_saveexec_b64 s[28:29], s[38:39]
	s_cbranch_execz .LBB124_20
; %bb.19:                               ;   in Loop: Header=BB124_18 Depth=2
	v_lshlrev_b32_e32 v8, 2, v6
	ds_write_b32 v8, v30
.LBB124_20:                             ;   in Loop: Header=BB124_18 Depth=2
	s_or_b64 exec, exec, s[28:29]
	s_and_saveexec_b64 s[28:29], s[26:27]
	s_cbranch_execz .LBB124_17
; %bb.21:                               ;   in Loop: Header=BB124_18 Depth=2
	v_lshlrev_b32_e32 v8, 2, v7
	ds_write_b32 v8, v30
	s_branch .LBB124_17
.LBB124_22:                             ;   in Loop: Header=BB124_15 Depth=1
	s_or_b64 exec, exec, s[22:23]
	s_sub_i32 s22, 32, s34
	s_min_u32 s22, s33, s22
	s_lshl_b32 s22, -1, s22
	s_not_b32 s22, s22
	v_lshrrev_b32_e32 v6, s34, v32
	v_and_b32_e32 v6, s22, v6
	v_lshrrev_b32_e32 v7, 3, v6
	v_lshlrev_b32_e32 v6, 4, v6
	v_and_or_b32 v6, v6, s35, v0
	v_lshlrev_b32_e32 v6, 1, v6
	v_add_lshl_u32 v34, v6, v7, 1
	ds_read_u16 v33, v34
	v_lshrrev_b32_e32 v6, s34, v31
	v_and_b32_e32 v6, s22, v6
	s_waitcnt lgkmcnt(0)
	v_add_u16_e32 v7, 1, v33
	ds_write_b16 v34, v7
	v_lshrrev_b32_e32 v7, 3, v6
	v_lshlrev_b32_e32 v6, 4, v6
	v_and_or_b32 v6, v6, s35, v0
	v_lshlrev_b32_e32 v6, 1, v6
	v_add_lshl_u32 v36, v6, v7, 1
	ds_read_u16 v35, v36
	s_waitcnt lgkmcnt(0)
	v_add_u16_e32 v6, 1, v35
	ds_write_b16 v36, v6
	s_waitcnt lgkmcnt(0)
	; wave barrier
	s_waitcnt lgkmcnt(0)
	ds_read2_b32 v[22:23], v11 offset1:1
	ds_read2_b32 v[20:21], v11 offset0:2 offset1:3
	ds_read2_b32 v[6:7], v11 offset0:4 offset1:5
	ds_read2_b32 v[8:9], v11 offset0:6 offset1:7
	s_waitcnt lgkmcnt(3)
	v_add_u32_e32 v37, v23, v22
	s_waitcnt lgkmcnt(2)
	v_add3_u32 v37, v37, v20, v21
	s_waitcnt lgkmcnt(1)
	v_add3_u32 v37, v37, v6, v7
	;; [unrolled: 2-line block ×3, first 2 shown]
	s_nop 1
	v_mov_b32_dpp v37, v9 row_shr:1 row_mask:0xf bank_mask:0xf
	v_cndmask_b32_e64 v37, v37, 0, s[6:7]
	v_add_u32_e32 v9, v37, v9
	s_nop 1
	v_mov_b32_dpp v37, v9 row_shr:2 row_mask:0xf bank_mask:0xf
	v_cndmask_b32_e64 v37, 0, v37, s[8:9]
	v_add_u32_e32 v9, v9, v37
	;; [unrolled: 4-line block ×4, first 2 shown]
	s_and_saveexec_b64 s[22:23], s[14:15]
	s_cbranch_execz .LBB124_24
; %bb.23:                               ;   in Loop: Header=BB124_15 Depth=1
	ds_write_b32 v30, v9 offset:512
.LBB124_24:                             ;   in Loop: Header=BB124_15 Depth=1
	s_or_b64 exec, exec, s[22:23]
	ds_bpermute_b32 v9, v27, v9
	s_waitcnt lgkmcnt(0)
	; wave barrier
	s_waitcnt lgkmcnt(0)
	ds_read_b32 v37, v30 offset:512
	s_cmp_gt_u32 s34, 27
	v_cndmask_b32_e64 v9, v9, 0, s[16:17]
	s_waitcnt lgkmcnt(0)
	v_lshl_add_u32 v9, v37, 16, v9
	v_add_u32_e32 v22, v9, v22
	v_add_u32_e32 v23, v22, v23
	ds_write2_b32 v11, v9, v22 offset1:1
	v_add_u32_e32 v9, v23, v20
	v_add_u32_e32 v20, v9, v21
	;; [unrolled: 1-line block ×5, first 2 shown]
	ds_write2_b32 v11, v23, v9 offset0:2 offset1:3
	ds_write2_b32 v11, v20, v6 offset0:4 offset1:5
	;; [unrolled: 1-line block ×3, first 2 shown]
	s_waitcnt lgkmcnt(0)
	; wave barrier
	s_waitcnt lgkmcnt(0)
	ds_read_u16 v6, v34
	ds_read_u16 v7, v36
	s_waitcnt lgkmcnt(1)
	v_add_u32_sdwa v22, v6, v33 dst_sel:DWORD dst_unused:UNUSED_PAD src0_sel:DWORD src1_sel:WORD_0
	s_waitcnt lgkmcnt(0)
	v_add_u32_sdwa v23, v7, v35 dst_sel:DWORD dst_unused:UNUSED_PAD src0_sel:DWORD src1_sel:WORD_0
	s_cbranch_scc0 .LBB124_14
; %bb.25:
                                        ; implicit-def: $vgpr21
                                        ; implicit-def: $vgpr8_vgpr9
                                        ; implicit-def: $sgpr34
.LBB124_26:
	v_lshlrev_b32_e32 v6, 2, v22
	s_waitcnt lgkmcnt(0)
	; wave barrier
	ds_write_b32 v6, v32
	v_lshlrev_b32_e32 v6, 2, v23
	ds_write_b32 v6, v31
	s_waitcnt lgkmcnt(0)
	; wave barrier
	s_waitcnt lgkmcnt(0)
	v_lshlrev_b32_e32 v6, 3, v22
	v_lshlrev_b32_e32 v7, 3, v23
	ds_read2_b32 v[20:21], v26 offset1:1
	s_waitcnt lgkmcnt(0)
	; wave barrier
	s_waitcnt lgkmcnt(0)
	ds_write_b64 v6, v[18:19]
	ds_write_b64 v7, v[16:17]
	s_waitcnt lgkmcnt(0)
	; wave barrier
	s_waitcnt lgkmcnt(0)
	ds_read2_b64 v[6:9], v13 offset1:1
	v_xor_b32_e32 v17, 0x80000000, v21
	v_xor_b32_e32 v16, 0x80000000, v20
	s_branch .LBB124_42
.LBB124_27:
                                        ; implicit-def: $vgpr8_vgpr9
                                        ; implicit-def: $vgpr16_vgpr17
	s_cbranch_execz .LBB124_42
; %bb.28:
	v_xor_b32_e32 v14, 0x7fffffff, v14
	v_xor_b32_e32 v15, 0x7fffffff, v15
	v_and_b32_e32 v18, 14, v28
	s_mov_b32 s35, 0
	v_mov_b32_e32 v19, 0
	s_movk_i32 s34, 0x70
	s_branch .LBB124_30
.LBB124_29:                             ;   in Loop: Header=BB124_30 Depth=1
	v_lshlrev_b32_e32 v2, 2, v16
	s_waitcnt lgkmcnt(0)
	; wave barrier
	ds_write_b32 v2, v21
	v_lshlrev_b32_e32 v2, 2, v17
	ds_write_b32 v2, v20
	v_lshlrev_b32_e32 v2, 3, v16
	s_waitcnt lgkmcnt(0)
	; wave barrier
	s_waitcnt lgkmcnt(0)
	ds_read2_b32 v[14:15], v26 offset1:1
	s_waitcnt lgkmcnt(0)
	; wave barrier
	s_waitcnt lgkmcnt(0)
	ds_write_b64 v2, v[8:9]
	v_lshlrev_b32_e32 v2, 3, v17
	ds_write_b64 v2, v[6:7]
	s_waitcnt lgkmcnt(0)
	; wave barrier
	s_waitcnt lgkmcnt(0)
	ds_read2_b64 v[2:5], v13 offset1:1
	s_add_i32 s35, s35, 4
	s_waitcnt lgkmcnt(0)
	; wave barrier
	s_waitcnt lgkmcnt(0)
	s_cbranch_execz .LBB124_41
.LBB124_30:                             ; =>This Loop Header: Depth=1
                                        ;     Child Loop BB124_33 Depth 2
	v_mov_b32_e32 v20, v15
	v_mov_b32_e32 v21, v14
	s_waitcnt lgkmcnt(0)
	v_pk_mov_b32 v[6:7], v[4:5], v[4:5] op_sel:[0,1]
	v_pk_mov_b32 v[8:9], v[2:3], v[2:3] op_sel:[0,1]
	s_and_saveexec_b64 s[22:23], s[4:5]
	s_cbranch_execz .LBB124_37
; %bb.31:                               ;   in Loop: Header=BB124_30 Depth=1
	s_mov_b32 s36, 0
	s_mov_b64 s[24:25], 0
	v_pk_mov_b32 v[2:3], v[0:1], v[0:1] op_sel:[0,1]
	s_branch .LBB124_33
.LBB124_32:                             ;   in Loop: Header=BB124_33 Depth=2
	s_or_b64 exec, exec, s[28:29]
	s_add_i32 s36, s36, 2
	v_cmp_eq_u32_e32 vcc, s36, v18
	v_add_u32_e32 v3, 32, v3
	s_or_b64 s[24:25], vcc, s[24:25]
	v_add_u32_e32 v2, 32, v2
	s_andn2_b64 exec, exec, s[24:25]
	s_cbranch_execz .LBB124_37
.LBB124_33:                             ;   Parent Loop BB124_30 Depth=1
                                        ; =>  This Inner Loop Header: Depth=2
	s_or_b32 s26, s36, 1
	v_cmp_le_u32_e64 s[26:27], s26, 7
	v_cmp_le_u32_e64 s[38:39], s36, 7
	s_and_saveexec_b64 s[28:29], s[38:39]
	s_cbranch_execz .LBB124_35
; %bb.34:                               ;   in Loop: Header=BB124_33 Depth=2
	v_lshlrev_b32_e32 v4, 2, v2
	ds_write_b32 v4, v19
.LBB124_35:                             ;   in Loop: Header=BB124_33 Depth=2
	s_or_b64 exec, exec, s[28:29]
	s_and_saveexec_b64 s[28:29], s[26:27]
	s_cbranch_execz .LBB124_32
; %bb.36:                               ;   in Loop: Header=BB124_33 Depth=2
	v_lshlrev_b32_e32 v4, 2, v3
	ds_write_b32 v4, v19
	s_branch .LBB124_32
.LBB124_37:                             ;   in Loop: Header=BB124_30 Depth=1
	s_or_b64 exec, exec, s[22:23]
	s_sub_i32 s22, 32, s35
	s_min_u32 s22, s33, s22
	s_lshl_b32 s22, -1, s22
	s_not_b32 s22, s22
	v_lshrrev_b32_e32 v2, s35, v21
	v_and_b32_e32 v2, s22, v2
	v_lshrrev_b32_e32 v3, 3, v2
	v_lshlrev_b32_e32 v2, 4, v2
	v_and_or_b32 v2, v2, s34, v0
	v_lshlrev_b32_e32 v2, 1, v2
	v_add_lshl_u32 v23, v2, v3, 1
	ds_read_u16 v22, v23
	v_lshrrev_b32_e32 v2, s35, v20
	v_and_b32_e32 v2, s22, v2
	s_waitcnt lgkmcnt(0)
	v_add_u16_e32 v3, 1, v22
	ds_write_b16 v23, v3
	v_lshrrev_b32_e32 v3, 3, v2
	v_lshlrev_b32_e32 v2, 4, v2
	v_and_or_b32 v2, v2, s34, v0
	v_lshlrev_b32_e32 v2, 1, v2
	v_add_lshl_u32 v29, v2, v3, 1
	ds_read_u16 v28, v29
	s_waitcnt lgkmcnt(0)
	v_add_u16_e32 v2, 1, v28
	ds_write_b16 v29, v2
	s_waitcnt lgkmcnt(0)
	; wave barrier
	s_waitcnt lgkmcnt(0)
	ds_read2_b32 v[16:17], v11 offset1:1
	ds_read2_b32 v[14:15], v11 offset0:2 offset1:3
	ds_read2_b32 v[2:3], v11 offset0:4 offset1:5
	;; [unrolled: 1-line block ×3, first 2 shown]
	s_waitcnt lgkmcnt(3)
	v_add_u32_e32 v30, v17, v16
	s_waitcnt lgkmcnt(2)
	v_add3_u32 v30, v30, v14, v15
	s_waitcnt lgkmcnt(1)
	v_add3_u32 v30, v30, v2, v3
	;; [unrolled: 2-line block ×3, first 2 shown]
	s_nop 1
	v_mov_b32_dpp v30, v5 row_shr:1 row_mask:0xf bank_mask:0xf
	v_cndmask_b32_e64 v30, v30, 0, s[6:7]
	v_add_u32_e32 v5, v30, v5
	s_nop 1
	v_mov_b32_dpp v30, v5 row_shr:2 row_mask:0xf bank_mask:0xf
	v_cndmask_b32_e64 v30, 0, v30, s[8:9]
	v_add_u32_e32 v5, v5, v30
	;; [unrolled: 4-line block ×4, first 2 shown]
	s_and_saveexec_b64 s[22:23], s[14:15]
	s_cbranch_execz .LBB124_39
; %bb.38:                               ;   in Loop: Header=BB124_30 Depth=1
	ds_write_b32 v19, v5 offset:512
.LBB124_39:                             ;   in Loop: Header=BB124_30 Depth=1
	s_or_b64 exec, exec, s[22:23]
	ds_bpermute_b32 v5, v27, v5
	s_waitcnt lgkmcnt(0)
	; wave barrier
	s_waitcnt lgkmcnt(0)
	ds_read_b32 v30, v19 offset:512
	s_cmp_gt_u32 s35, 27
	v_cndmask_b32_e64 v5, v5, 0, s[16:17]
	s_waitcnt lgkmcnt(0)
	v_lshl_add_u32 v5, v30, 16, v5
	v_add_u32_e32 v16, v5, v16
	v_add_u32_e32 v17, v16, v17
	ds_write2_b32 v11, v5, v16 offset1:1
	v_add_u32_e32 v5, v17, v14
	v_add_u32_e32 v14, v5, v15
	;; [unrolled: 1-line block ×5, first 2 shown]
	ds_write2_b32 v11, v17, v5 offset0:2 offset1:3
	ds_write2_b32 v11, v14, v2 offset0:4 offset1:5
	;; [unrolled: 1-line block ×3, first 2 shown]
	s_waitcnt lgkmcnt(0)
	; wave barrier
	s_waitcnt lgkmcnt(0)
	ds_read_u16 v2, v23
	ds_read_u16 v3, v29
	s_waitcnt lgkmcnt(1)
	v_add_u32_sdwa v16, v2, v22 dst_sel:DWORD dst_unused:UNUSED_PAD src0_sel:DWORD src1_sel:WORD_0
	s_waitcnt lgkmcnt(0)
	v_add_u32_sdwa v17, v3, v28 dst_sel:DWORD dst_unused:UNUSED_PAD src0_sel:DWORD src1_sel:WORD_0
	s_cbranch_scc0 .LBB124_29
; %bb.40:
                                        ; implicit-def: $vgpr15
                                        ; implicit-def: $vgpr4_vgpr5
                                        ; implicit-def: $sgpr35
.LBB124_41:
	v_lshlrev_b32_e32 v0, 2, v16
	s_waitcnt lgkmcnt(0)
	; wave barrier
	ds_write_b32 v0, v21
	v_lshlrev_b32_e32 v0, 2, v17
	ds_write_b32 v0, v20
	s_waitcnt lgkmcnt(0)
	; wave barrier
	s_waitcnt lgkmcnt(0)
	v_lshlrev_b32_e32 v2, 3, v16
	ds_read2_b32 v[0:1], v26 offset1:1
	v_lshlrev_b32_e32 v3, 3, v17
	s_waitcnt lgkmcnt(0)
	; wave barrier
	s_waitcnt lgkmcnt(0)
	ds_write_b64 v2, v[8:9]
	ds_write_b64 v3, v[6:7]
	s_waitcnt lgkmcnt(0)
	; wave barrier
	s_waitcnt lgkmcnt(0)
	ds_read2_b64 v[6:9], v13 offset1:1
	v_xor_b32_e32 v17, 0x7fffffff, v1
	v_xor_b32_e32 v16, 0x7fffffff, v0
.LBB124_42:
	s_waitcnt lgkmcnt(0)
	; wave barrier
	s_waitcnt lgkmcnt(0)
	ds_write2_b32 v24, v16, v17 offset1:1
	s_waitcnt lgkmcnt(0)
	; wave barrier
	s_waitcnt lgkmcnt(0)
	ds_read_b32 v2, v25 offset:64
	v_mov_b32_e32 v11, 0
	v_lshlrev_b64 v[0:1], 2, v[10:11]
	v_mov_b32_e32 v3, s21
	v_add_co_u32_e32 v0, vcc, s19, v0
	v_addc_co_u32_e32 v1, vcc, v3, v1, vcc
	s_and_saveexec_b64 s[4:5], s[0:1]
	s_cbranch_execz .LBB124_44
; %bb.43:
	ds_read_b32 v3, v25
	s_waitcnt lgkmcnt(0)
	global_store_dword v[0:1], v3, off
.LBB124_44:
	s_or_b64 exec, exec, s[4:5]
	s_and_saveexec_b64 s[4:5], s[2:3]
	s_cbranch_execz .LBB124_46
; %bb.45:
	s_lshl_b32 s6, s18, 4
	s_mov_b32 s7, 0
	s_lshl_b64 s[6:7], s[6:7], 2
	v_mov_b32_e32 v3, s7
	v_add_co_u32_e32 v0, vcc, s6, v0
	v_addc_co_u32_e32 v1, vcc, v1, v3, vcc
	s_waitcnt lgkmcnt(0)
	global_store_dword v[0:1], v2, off
.LBB124_46:
	s_or_b64 exec, exec, s[4:5]
	s_waitcnt lgkmcnt(0)
	; wave barrier
	s_waitcnt lgkmcnt(0)
	ds_write2_b64 v13, v[6:7], v[8:9] offset1:1
	s_waitcnt lgkmcnt(0)
	; wave barrier
	s_waitcnt lgkmcnt(0)
	ds_read_b64 v[0:1], v24 offset:128
	v_mov_b32_e32 v13, 0
	v_lshlrev_b64 v[2:3], 3, v[12:13]
	v_mov_b32_e32 v4, s31
	v_add_co_u32_e32 v2, vcc, s30, v2
	v_addc_co_u32_e32 v3, vcc, v4, v3, vcc
	s_and_saveexec_b64 s[4:5], s[0:1]
	s_cbranch_execz .LBB124_48
; %bb.47:
	ds_read_b64 v[4:5], v24
	s_waitcnt lgkmcnt(0)
	global_store_dwordx2 v[2:3], v[4:5], off
.LBB124_48:
	s_or_b64 exec, exec, s[4:5]
	s_and_saveexec_b64 s[0:1], s[2:3]
	s_cbranch_execz .LBB124_50
; %bb.49:
	s_lshl_b32 s0, s20, 4
	s_mov_b32 s1, 0
	s_lshl_b64 s[0:1], s[0:1], 3
	v_mov_b32_e32 v4, s1
	v_add_co_u32_e32 v2, vcc, s0, v2
	v_addc_co_u32_e32 v3, vcc, v3, v4, vcc
	s_waitcnt lgkmcnt(0)
	global_store_dwordx2 v[2:3], v[0:1], off
.LBB124_50:
	s_endpgm
	.section	.rodata,"a",@progbits
	.p2align	6, 0x0
	.amdhsa_kernel _ZN2at6native18radixSortKVInPlaceILin2ELin1ELi16ELi2EiljEEvNS_4cuda6detail10TensorInfoIT3_T5_EES6_S6_S6_NS4_IT4_S6_EES6_b
		.amdhsa_group_segment_fixed_size 528
		.amdhsa_private_segment_fixed_size 0
		.amdhsa_kernarg_size 712
		.amdhsa_user_sgpr_count 6
		.amdhsa_user_sgpr_private_segment_buffer 1
		.amdhsa_user_sgpr_dispatch_ptr 0
		.amdhsa_user_sgpr_queue_ptr 0
		.amdhsa_user_sgpr_kernarg_segment_ptr 1
		.amdhsa_user_sgpr_dispatch_id 0
		.amdhsa_user_sgpr_flat_scratch_init 0
		.amdhsa_user_sgpr_kernarg_preload_length 0
		.amdhsa_user_sgpr_kernarg_preload_offset 0
		.amdhsa_user_sgpr_private_segment_size 0
		.amdhsa_uses_dynamic_stack 0
		.amdhsa_system_sgpr_private_segment_wavefront_offset 0
		.amdhsa_system_sgpr_workgroup_id_x 1
		.amdhsa_system_sgpr_workgroup_id_y 1
		.amdhsa_system_sgpr_workgroup_id_z 1
		.amdhsa_system_sgpr_workgroup_info 0
		.amdhsa_system_vgpr_workitem_id 0
		.amdhsa_next_free_vgpr 38
		.amdhsa_next_free_sgpr 40
		.amdhsa_accum_offset 40
		.amdhsa_reserve_vcc 1
		.amdhsa_reserve_flat_scratch 0
		.amdhsa_float_round_mode_32 0
		.amdhsa_float_round_mode_16_64 0
		.amdhsa_float_denorm_mode_32 3
		.amdhsa_float_denorm_mode_16_64 3
		.amdhsa_dx10_clamp 1
		.amdhsa_ieee_mode 1
		.amdhsa_fp16_overflow 0
		.amdhsa_tg_split 0
		.amdhsa_exception_fp_ieee_invalid_op 0
		.amdhsa_exception_fp_denorm_src 0
		.amdhsa_exception_fp_ieee_div_zero 0
		.amdhsa_exception_fp_ieee_overflow 0
		.amdhsa_exception_fp_ieee_underflow 0
		.amdhsa_exception_fp_ieee_inexact 0
		.amdhsa_exception_int_div_zero 0
	.end_amdhsa_kernel
	.section	.text._ZN2at6native18radixSortKVInPlaceILin2ELin1ELi16ELi2EiljEEvNS_4cuda6detail10TensorInfoIT3_T5_EES6_S6_S6_NS4_IT4_S6_EES6_b,"axG",@progbits,_ZN2at6native18radixSortKVInPlaceILin2ELin1ELi16ELi2EiljEEvNS_4cuda6detail10TensorInfoIT3_T5_EES6_S6_S6_NS4_IT4_S6_EES6_b,comdat
.Lfunc_end124:
	.size	_ZN2at6native18radixSortKVInPlaceILin2ELin1ELi16ELi2EiljEEvNS_4cuda6detail10TensorInfoIT3_T5_EES6_S6_S6_NS4_IT4_S6_EES6_b, .Lfunc_end124-_ZN2at6native18radixSortKVInPlaceILin2ELin1ELi16ELi2EiljEEvNS_4cuda6detail10TensorInfoIT3_T5_EES6_S6_S6_NS4_IT4_S6_EES6_b
                                        ; -- End function
	.section	.AMDGPU.csdata,"",@progbits
; Kernel info:
; codeLenInByte = 3020
; NumSgprs: 44
; NumVgprs: 38
; NumAgprs: 0
; TotalNumVgprs: 38
; ScratchSize: 0
; MemoryBound: 0
; FloatMode: 240
; IeeeMode: 1
; LDSByteSize: 528 bytes/workgroup (compile time only)
; SGPRBlocks: 5
; VGPRBlocks: 4
; NumSGPRsForWavesPerEU: 44
; NumVGPRsForWavesPerEU: 38
; AccumOffset: 40
; Occupancy: 8
; WaveLimiterHint : 1
; COMPUTE_PGM_RSRC2:SCRATCH_EN: 0
; COMPUTE_PGM_RSRC2:USER_SGPR: 6
; COMPUTE_PGM_RSRC2:TRAP_HANDLER: 0
; COMPUTE_PGM_RSRC2:TGID_X_EN: 1
; COMPUTE_PGM_RSRC2:TGID_Y_EN: 1
; COMPUTE_PGM_RSRC2:TGID_Z_EN: 1
; COMPUTE_PGM_RSRC2:TIDIG_COMP_CNT: 0
; COMPUTE_PGM_RSRC3_GFX90A:ACCUM_OFFSET: 9
; COMPUTE_PGM_RSRC3_GFX90A:TG_SPLIT: 0
	.section	.text._ZN2at6native18radixSortKVInPlaceILi2ELin1ELi512ELi8EiljEEvNS_4cuda6detail10TensorInfoIT3_T5_EES6_S6_S6_NS4_IT4_S6_EES6_b,"axG",@progbits,_ZN2at6native18radixSortKVInPlaceILi2ELin1ELi512ELi8EiljEEvNS_4cuda6detail10TensorInfoIT3_T5_EES6_S6_S6_NS4_IT4_S6_EES6_b,comdat
	.protected	_ZN2at6native18radixSortKVInPlaceILi2ELin1ELi512ELi8EiljEEvNS_4cuda6detail10TensorInfoIT3_T5_EES6_S6_S6_NS4_IT4_S6_EES6_b ; -- Begin function _ZN2at6native18radixSortKVInPlaceILi2ELin1ELi512ELi8EiljEEvNS_4cuda6detail10TensorInfoIT3_T5_EES6_S6_S6_NS4_IT4_S6_EES6_b
	.globl	_ZN2at6native18radixSortKVInPlaceILi2ELin1ELi512ELi8EiljEEvNS_4cuda6detail10TensorInfoIT3_T5_EES6_S6_S6_NS4_IT4_S6_EES6_b
	.p2align	8
	.type	_ZN2at6native18radixSortKVInPlaceILi2ELin1ELi512ELi8EiljEEvNS_4cuda6detail10TensorInfoIT3_T5_EES6_S6_S6_NS4_IT4_S6_EES6_b,@function
_ZN2at6native18radixSortKVInPlaceILi2ELin1ELi512ELi8EiljEEvNS_4cuda6detail10TensorInfoIT3_T5_EES6_S6_S6_NS4_IT4_S6_EES6_b: ; @_ZN2at6native18radixSortKVInPlaceILi2ELin1ELi512ELi8EiljEEvNS_4cuda6detail10TensorInfoIT3_T5_EES6_S6_S6_NS4_IT4_S6_EES6_b
; %bb.0:
	s_load_dwordx2 s[0:1], s[4:5], 0x1c8
	s_load_dwordx4 s[48:51], s[4:5], 0xd8
	s_add_u32 s54, s4, 0x1c8
	s_addc_u32 s55, s5, 0
	s_waitcnt lgkmcnt(0)
	s_mul_i32 s1, s1, s8
	s_add_i32 s1, s1, s7
	s_mul_i32 s8, s1, s0
	s_add_i32 s8, s8, s6
	s_cmp_ge_u32 s8, s48
	s_cbranch_scc1 .LBB125_110
; %bb.1:
	s_load_dword s9, s[4:5], 0xc
	s_load_dwordx2 s[0:1], s[4:5], 0x6c
	s_load_dword s6, s[4:5], 0x1b8
	s_add_u32 s14, s4, 0xe8
	s_load_dwordx2 s[2:3], s[4:5], 0x0
	s_waitcnt lgkmcnt(0)
	v_cvt_f32_u32_e32 v1, s9
	s_addc_u32 s15, s5, 0
	s_sub_i32 s7, 0, s9
	s_mov_b32 s17, 0
	v_rcp_iflag_f32_e32 v1, v1
	s_mov_b32 s16, s8
	v_mul_f32_e32 v1, 0x4f7ffffe, v1
	v_cvt_u32_f32_e32 v1, v1
	v_readfirstlane_b32 s10, v1
	s_mul_i32 s7, s7, s10
	s_mul_hi_u32 s7, s10, s7
	s_add_i32 s10, s10, s7
	s_mul_hi_u32 s10, s8, s10
	s_cmp_lt_i32 s6, 2
	s_cbranch_scc1 .LBB125_4
; %bb.2:
	s_add_i32 s16, s6, -1
	s_add_i32 s11, s6, 1
	s_lshl_b64 s[6:7], s[16:17], 2
	s_add_u32 s6, s6, s14
	s_addc_u32 s7, s7, s15
	s_add_u32 s6, s6, 8
	s_addc_u32 s7, s7, 0
	s_mov_b32 s16, s8
.LBB125_3:                              ; =>This Inner Loop Header: Depth=1
	s_load_dword s12, s[6:7], 0x0
	s_load_dword s18, s[6:7], 0x64
	s_mov_b32 s13, s16
	s_waitcnt lgkmcnt(0)
	v_cvt_f32_u32_e32 v1, s12
	s_sub_i32 s16, 0, s12
	v_rcp_iflag_f32_e32 v1, v1
	v_mul_f32_e32 v1, 0x4f7ffffe, v1
	v_cvt_u32_f32_e32 v1, v1
	v_readfirstlane_b32 s19, v1
	s_mul_i32 s16, s16, s19
	s_mul_hi_u32 s16, s19, s16
	s_add_i32 s19, s19, s16
	s_mul_hi_u32 s16, s13, s19
	s_mul_i32 s19, s16, s12
	s_sub_i32 s19, s13, s19
	s_add_i32 s20, s16, 1
	s_sub_i32 s21, s19, s12
	s_cmp_ge_u32 s19, s12
	s_cselect_b32 s16, s20, s16
	s_cselect_b32 s19, s21, s19
	s_add_i32 s20, s16, 1
	s_cmp_ge_u32 s19, s12
	s_cselect_b32 s16, s20, s16
	s_mul_i32 s12, s16, s12
	s_sub_i32 s12, s13, s12
	s_mul_i32 s12, s18, s12
	s_add_i32 s11, s11, -1
	s_add_i32 s17, s12, s17
	s_add_u32 s6, s6, -4
	s_addc_u32 s7, s7, -1
	s_cmp_gt_u32 s11, 2
	s_cbranch_scc1 .LBB125_3
.LBB125_4:
	s_mul_i32 s6, s10, s9
	s_sub_i32 s6, s8, s6
	s_add_i32 s7, s10, 1
	s_sub_i32 s11, s6, s9
	s_cmp_ge_u32 s6, s9
	s_cselect_b32 s7, s7, s10
	s_cselect_b32 s6, s11, s6
	s_add_i32 s10, s7, 1
	s_cmp_ge_u32 s6, s9
	s_cselect_b32 s6, s10, s7
	s_load_dwordx2 s[52:53], s[4:5], 0x1c0
	s_mul_i32 s7, s6, s9
	s_sub_i32 s4, s8, s7
	s_mul_i32 s4, s4, s1
	s_mul_i32 s0, s6, s0
	s_add_i32 s0, s0, s4
	s_waitcnt lgkmcnt(0)
	s_bitcmp1_b32 s53, 0
	s_cselect_b64 s[34:35], -1, 0
	s_brev_b32 s1, 1
	s_and_b64 s[4:5], s[34:35], exec
	s_cselect_b32 s4, s1, 0x7fffffff
	s_mov_b32 s1, 0
	s_lshl_b64 s[0:1], s[0:1], 2
	s_mov_b32 s5, s4
	s_add_u32 s33, s2, s0
	v_and_b32_e32 v38, 0x3ff, v0
	s_mov_b32 s6, s4
	s_mov_b32 s7, s4
	;; [unrolled: 1-line block ×6, first 2 shown]
	v_pk_mov_b32 v[2:3], s[4:5], s[4:5] op_sel:[0,1]
	s_addc_u32 s48, s3, s1
	v_cmp_gt_u32_e64 s[0:1], s49, v38
	v_pk_mov_b32 v[4:5], s[6:7], s[6:7] op_sel:[0,1]
	v_pk_mov_b32 v[6:7], s[8:9], s[8:9] op_sel:[0,1]
	;; [unrolled: 1-line block ×3, first 2 shown]
	v_mov_b32_e32 v10, s4
	v_mul_lo_u32 v34, v38, s50
	s_and_saveexec_b64 s[2:3], s[0:1]
	s_cbranch_execz .LBB125_6
; %bb.5:
	v_mov_b32_e32 v35, 0
	v_lshlrev_b64 v[2:3], 2, v[34:35]
	v_mov_b32_e32 v1, s48
	v_add_co_u32_e32 v2, vcc, s33, v2
	v_addc_co_u32_e32 v3, vcc, v1, v3, vcc
	global_load_dword v10, v[2:3], off
	v_pk_mov_b32 v[2:3], s[4:5], s[4:5] op_sel:[0,1]
	v_pk_mov_b32 v[4:5], s[6:7], s[6:7] op_sel:[0,1]
	;; [unrolled: 1-line block ×4, first 2 shown]
                                        ; kill: def $vgpr2 killed $vgpr10 killed $exec
.LBB125_6:
	s_or_b64 exec, exec, s[2:3]
	v_add_u32_e32 v30, 0x200, v38
	v_cmp_gt_u32_e64 s[2:3], s49, v30
	s_and_saveexec_b64 s[4:5], s[2:3]
	s_cbranch_execz .LBB125_8
; %bb.7:
	v_mul_lo_u32 v2, v30, s50
	v_mov_b32_e32 v3, 0
	v_lshlrev_b64 v[2:3], 2, v[2:3]
	v_mov_b32_e32 v1, s48
	v_add_co_u32_e32 v2, vcc, s33, v2
	v_addc_co_u32_e32 v3, vcc, v1, v3, vcc
	global_load_dword v3, v[2:3], off
.LBB125_8:
	s_or_b64 exec, exec, s[4:5]
	v_or_b32_e32 v28, 0x400, v38
	v_cmp_gt_u32_e64 s[4:5], s49, v28
	s_and_saveexec_b64 s[6:7], s[4:5]
	s_cbranch_execz .LBB125_10
; %bb.9:
	v_mul_lo_u32 v12, v28, s50
	v_mov_b32_e32 v13, 0
	v_lshlrev_b64 v[12:13], 2, v[12:13]
	v_mov_b32_e32 v1, s48
	v_add_co_u32_e32 v12, vcc, s33, v12
	v_addc_co_u32_e32 v13, vcc, v1, v13, vcc
	global_load_dword v4, v[12:13], off
.LBB125_10:
	s_or_b64 exec, exec, s[6:7]
	v_add_u32_e32 v26, 0x600, v38
	v_cmp_gt_u32_e64 s[6:7], s49, v26
	s_and_saveexec_b64 s[8:9], s[6:7]
	s_cbranch_execz .LBB125_12
; %bb.11:
	v_mul_lo_u32 v12, v26, s50
	v_mov_b32_e32 v13, 0
	v_lshlrev_b64 v[12:13], 2, v[12:13]
	v_mov_b32_e32 v1, s48
	v_add_co_u32_e32 v12, vcc, s33, v12
	v_addc_co_u32_e32 v13, vcc, v1, v13, vcc
	global_load_dword v5, v[12:13], off
.LBB125_12:
	s_or_b64 exec, exec, s[8:9]
	v_or_b32_e32 v24, 0x800, v38
	v_cmp_gt_u32_e64 s[8:9], s49, v24
	s_and_saveexec_b64 s[10:11], s[8:9]
	s_cbranch_execz .LBB125_14
; %bb.13:
	v_mul_lo_u32 v12, v24, s50
	v_mov_b32_e32 v13, 0
	v_lshlrev_b64 v[12:13], 2, v[12:13]
	v_mov_b32_e32 v1, s48
	v_add_co_u32_e32 v12, vcc, s33, v12
	v_addc_co_u32_e32 v13, vcc, v1, v13, vcc
	global_load_dword v6, v[12:13], off
.LBB125_14:
	s_or_b64 exec, exec, s[10:11]
	v_add_u32_e32 v21, 0xa00, v38
	v_cmp_gt_u32_e64 s[10:11], s49, v21
	s_and_saveexec_b64 s[12:13], s[10:11]
	s_cbranch_execz .LBB125_16
; %bb.15:
	v_mul_lo_u32 v12, v21, s50
	v_mov_b32_e32 v13, 0
	v_lshlrev_b64 v[12:13], 2, v[12:13]
	v_mov_b32_e32 v1, s48
	v_add_co_u32_e32 v12, vcc, s33, v12
	v_addc_co_u32_e32 v13, vcc, v1, v13, vcc
	global_load_dword v7, v[12:13], off
.LBB125_16:
	s_or_b64 exec, exec, s[12:13]
	s_load_dwordx2 s[18:19], s[14:15], 0x0
	v_or_b32_e32 v19, 0xc00, v38
	v_cmp_gt_u32_e64 s[12:13], s49, v19
	s_and_saveexec_b64 s[20:21], s[12:13]
	s_cbranch_execz .LBB125_18
; %bb.17:
	v_mul_lo_u32 v12, v19, s50
	v_mov_b32_e32 v13, 0
	v_lshlrev_b64 v[12:13], 2, v[12:13]
	v_mov_b32_e32 v1, s48
	v_add_co_u32_e32 v12, vcc, s33, v12
	v_addc_co_u32_e32 v13, vcc, v1, v13, vcc
	global_load_dword v8, v[12:13], off
.LBB125_18:
	s_or_b64 exec, exec, s[20:21]
	s_load_dword s22, s[14:15], 0x6c
	v_add_u32_e32 v1, 0xe00, v38
	v_cmp_gt_u32_e64 s[14:15], s49, v1
	s_and_saveexec_b64 s[20:21], s[14:15]
	s_cbranch_execz .LBB125_20
; %bb.19:
	v_mul_lo_u32 v12, v1, s50
	v_mov_b32_e32 v13, 0
	v_lshlrev_b64 v[12:13], 2, v[12:13]
	v_mov_b32_e32 v2, s48
	v_add_co_u32_e32 v12, vcc, s33, v12
	v_addc_co_u32_e32 v13, vcc, v2, v13, vcc
	global_load_dword v9, v[12:13], off
.LBB125_20:
	s_or_b64 exec, exec, s[20:21]
	v_lshrrev_b32_e32 v2, 5, v38
	v_add_u32_e32 v32, v2, v38
	v_lshrrev_b32_e32 v2, 5, v30
	v_add_u32_e32 v31, v2, v38
	;; [unrolled: 2-line block ×8, first 2 shown]
	v_lshlrev_b32_e32 v87, 3, v38
	v_lshrrev_b32_e32 v2, 2, v38
	v_add_u32_e32 v22, v2, v87
	v_lshlrev_b32_e32 v39, 2, v32
	v_lshlrev_b32_e32 v35, 2, v31
	;; [unrolled: 1-line block ×9, first 2 shown]
	s_waitcnt vmcnt(0)
	ds_write_b32 v39, v10
	ds_write_b32 v35, v3 offset:2048
	ds_write_b32 v72, v4 offset:4096
	;; [unrolled: 1-line block ×7, first 2 shown]
	s_waitcnt lgkmcnt(0)
	s_barrier
	ds_read2_b32 v[46:47], v78 offset1:1
	ds_read2_b32 v[44:45], v78 offset0:2 offset1:3
	ds_read2_b32 v[42:43], v78 offset0:4 offset1:5
	ds_read2_b32 v[40:41], v78 offset0:6 offset1:7
	s_mul_i32 s16, s22, s16
	s_add_i32 s16, s16, s17
	s_mov_b32 s17, 0
	s_lshl_b64 s[20:21], s[16:17], 3
	s_add_u32 s49, s18, s20
	s_mov_b32 s16, s17
	s_addc_u32 s51, s19, s21
	s_mov_b32 s18, s17
	s_mov_b32 s19, s17
	;; [unrolled: 1-line block ×14, first 2 shown]
	v_pk_mov_b32 v[2:3], s[16:17], s[16:17] op_sel:[0,1]
	v_pk_mov_b32 v[4:5], s[18:19], s[18:19] op_sel:[0,1]
	;; [unrolled: 1-line block ×8, first 2 shown]
	v_pk_mov_b32 v[2:3], 0, 0
	v_mul_lo_u32 v36, v38, s52
	s_waitcnt lgkmcnt(0)
	s_barrier
	s_and_saveexec_b64 s[16:17], s[0:1]
	s_cbranch_execnz .LBB125_57
; %bb.21:
	s_or_b64 exec, exec, s[16:17]
	s_and_saveexec_b64 s[16:17], s[2:3]
	s_cbranch_execnz .LBB125_58
.LBB125_22:
	s_or_b64 exec, exec, s[16:17]
	s_and_saveexec_b64 s[16:17], s[4:5]
	s_cbranch_execnz .LBB125_59
.LBB125_23:
	s_or_b64 exec, exec, s[16:17]
	s_and_saveexec_b64 s[16:17], s[6:7]
	s_cbranch_execnz .LBB125_60
.LBB125_24:
	s_or_b64 exec, exec, s[16:17]
	s_and_saveexec_b64 s[16:17], s[8:9]
	s_cbranch_execnz .LBB125_61
.LBB125_25:
	s_or_b64 exec, exec, s[16:17]
	s_and_saveexec_b64 s[16:17], s[10:11]
	s_cbranch_execnz .LBB125_62
.LBB125_26:
	s_or_b64 exec, exec, s[16:17]
	s_and_saveexec_b64 s[16:17], s[12:13]
	s_cbranch_execnz .LBB125_63
.LBB125_27:
	s_or_b64 exec, exec, s[16:17]
	s_xor_b64 s[16:17], s[34:35], -1
	s_and_saveexec_b64 s[18:19], s[14:15]
	s_cbranch_execz .LBB125_29
.LBB125_28:
	v_mul_lo_u32 v16, v1, s52
	v_mov_b32_e32 v17, 0
	v_lshlrev_b64 v[16:17], 3, v[16:17]
	v_mov_b32_e32 v1, s51
	v_add_co_u32_e32 v16, vcc, s49, v16
	v_addc_co_u32_e32 v17, vcc, v1, v17, vcc
	global_load_dwordx2 v[16:17], v[16:17], off
.LBB125_29:
	s_or_b64 exec, exec, s[18:19]
	v_lshlrev_b32_e32 v79, 3, v32
	v_lshlrev_b32_e32 v37, 3, v31
	;; [unrolled: 1-line block ×9, first 2 shown]
	s_waitcnt vmcnt(0)
	ds_write_b64 v79, v[2:3]
	ds_write_b64 v37, v[4:5] offset:4096
	ds_write_b64 v80, v[6:7] offset:8192
	;; [unrolled: 1-line block ×7, first 2 shown]
	s_waitcnt lgkmcnt(0)
	s_barrier
	ds_read2_b64 v[14:17], v86 offset1:1
	ds_read2_b64 v[10:13], v86 offset0:2 offset1:3
	ds_read2_b64 v[6:9], v86 offset0:4 offset1:5
	;; [unrolled: 1-line block ×3, first 2 shown]
	v_mbcnt_lo_u32_b32 v1, -1, 0
	v_mbcnt_hi_u32_b32 v90, -1, v1
	v_and_b32_e32 v91, 0x3c0, v38
	v_add_u32_e32 v1, v90, v91
	v_lshlrev_b32_e32 v18, 3, v1
	v_lshlrev_b32_e32 v104, 5, v1
	v_and_b32_e32 v1, 0x1e00, v87
	v_or_b32_e32 v19, v90, v1
	s_mov_b32 s53, 0
	v_lshlrev_b32_e32 v103, 2, v19
	s_and_b64 vcc, exec, s[16:17]
	v_bfe_u32 v99, v0, 10, 10
	v_bfe_u32 v100, v0, 20, 10
	v_lshlrev_b32_e32 v102, 3, v18
	v_lshlrev_b32_e32 v101, 3, v19
	;; [unrolled: 1-line block ×4, first 2 shown]
	v_and_b32_e32 v97, 15, v90
	v_and_b32_e32 v98, 16, v90
	v_cmp_lt_u32_e64 s[16:17], 31, v90
	v_cmp_gt_u32_e64 s[18:19], 8, v38
	v_cmp_lt_u32_e64 s[20:21], 63, v38
	v_add_u32_e32 v94, -1, v90
	v_and_b32_e32 v96, 64, v90
	v_cmp_eq_u32_e64 s[22:23], 0, v90
	v_cmp_eq_u32_e64 s[24:25], 0, v38
	v_lshrrev_b32_e32 v95, 4, v38
	v_and_b32_e32 v93, 7, v90
	v_and_or_b32 v92, v90, 63, v1
	s_waitcnt lgkmcnt(0)
	s_barrier
	s_cbranch_vccz .LBB125_64
; %bb.30:
	v_xor_b32_e32 v0, 0x80000000, v47
	v_xor_b32_e32 v1, 0x80000000, v46
	;; [unrolled: 1-line block ×8, first 2 shown]
	ds_write2_b32 v104, v1, v0 offset1:1
	ds_write2_b32 v104, v19, v18 offset0:2 offset1:3
	ds_write2_b32 v104, v21, v20 offset0:4 offset1:5
	;; [unrolled: 1-line block ×3, first 2 shown]
	; wave barrier
	ds_read2st64_b32 v[64:65], v103 offset1:1
	ds_read2st64_b32 v[66:67], v103 offset0:2 offset1:3
	ds_read2st64_b32 v[68:69], v103 offset0:4 offset1:5
	;; [unrolled: 1-line block ×3, first 2 shown]
	s_waitcnt lgkmcnt(0)
	s_barrier
	ds_write2_b64 v102, v[14:15], v[16:17] offset1:1
	ds_write2_b64 v102, v[10:11], v[12:13] offset0:2 offset1:3
	ds_write2_b64 v102, v[6:7], v[8:9] offset0:4 offset1:5
	;; [unrolled: 1-line block ×3, first 2 shown]
	; wave barrier
	ds_read2st64_b64 v[18:21], v101 offset1:1
	ds_read2st64_b64 v[22:25], v101 offset0:2 offset1:3
	ds_read2st64_b64 v[26:29], v101 offset0:4 offset1:5
	;; [unrolled: 1-line block ×3, first 2 shown]
	s_waitcnt lgkmcnt(0)
	s_barrier
	s_load_dword s28, s[54:55], 0xc
	s_getpc_b64 s[26:27]
	s_add_u32 s26, s26, _ZN7rocprim17ROCPRIM_400000_NS16block_radix_sortIiLj512ELj8ElLj1ELj1ELj0ELNS0_26block_radix_rank_algorithmE1ELNS0_18block_padding_hintE2ELNS0_4arch9wavefront6targetE1EE19radix_bits_per_passE@rel32@lo+4
	s_addc_u32 s27, s27, _ZN7rocprim17ROCPRIM_400000_NS16block_radix_sortIiLj512ELj8ElLj1ELj1ELj0ELNS0_26block_radix_rank_algorithmE1ELNS0_18block_padding_hintE2ELNS0_4arch9wavefront6targetE1EE19radix_bits_per_passE@rel32@hi+12
	s_load_dword s56, s[26:27], 0x0
	v_cmp_lt_i32_e32 vcc, v94, v96
	v_and_b32_e32 v108, 60, v95
	s_waitcnt lgkmcnt(0)
	s_lshr_b32 s26, s28, 16
	s_and_b32 s27, s28, 0xffff
	v_mad_u32_u24 v0, v100, s26, v99
	v_mad_u64_u32 v[0:1], s[26:27], v0, s27, v[38:39]
	v_lshrrev_b32_e32 v106, 6, v0
	v_min_u32_e32 v0, 0x1c0, v91
	v_or_b32_e32 v0, 63, v0
	v_cmp_eq_u32_e64 s[38:39], v0, v38
	v_cndmask_b32_e32 v0, v94, v90, vcc
	s_mov_b32 s57, 32
	v_add_u32_e32 v105, 32, v89
	v_cmp_eq_u32_e64 s[26:27], 0, v97
	v_cmp_lt_u32_e64 s[28:29], 1, v97
	v_cmp_lt_u32_e64 s[30:31], 3, v97
	;; [unrolled: 1-line block ×3, first 2 shown]
	v_cmp_eq_u32_e64 s[36:37], 0, v98
	v_lshlrev_b32_e32 v107, 2, v0
	v_cmp_eq_u32_e64 s[40:41], 0, v93
	v_cmp_lt_u32_e64 s[42:43], 1, v93
	v_cmp_lt_u32_e64 s[44:45], 3, v93
	v_add_u32_e32 v109, -4, v108
	v_lshlrev_b32_e32 v110, 2, v92
	v_lshlrev_b32_e32 v111, 3, v92
	v_mov_b32_e32 v62, 0
	s_branch .LBB125_32
.LBB125_31:                             ;   in Loop: Header=BB125_32 Depth=1
	v_lshlrev_b32_e32 v18, 2, v63
	s_barrier
	ds_write_b32 v18, v119
	v_lshlrev_b32_e32 v18, 2, v121
	ds_write_b32 v18, v118
	v_lshlrev_b32_e32 v18, 2, v122
	;; [unrolled: 2-line block ×8, first 2 shown]
	s_waitcnt lgkmcnt(0)
	s_barrier
	ds_read2st64_b32 v[64:65], v110 offset1:1
	ds_read2st64_b32 v[66:67], v110 offset0:2 offset1:3
	ds_read2st64_b32 v[68:69], v110 offset0:4 offset1:5
	;; [unrolled: 1-line block ×3, first 2 shown]
	s_waitcnt lgkmcnt(0)
	s_barrier
	ds_write_b64 v18, v[60:61]
	v_lshlrev_b32_e32 v18, 3, v121
	ds_write_b64 v18, v[58:59]
	v_lshlrev_b32_e32 v18, 3, v122
	;; [unrolled: 2-line block ×7, first 2 shown]
	ds_write_b64 v18, v[0:1]
	s_waitcnt lgkmcnt(0)
	s_barrier
	ds_read2st64_b64 v[18:21], v111 offset1:1
	ds_read2st64_b64 v[22:25], v111 offset0:2 offset1:3
	ds_read2st64_b64 v[26:29], v111 offset0:4 offset1:5
	;; [unrolled: 1-line block ×3, first 2 shown]
	s_add_i32 s53, s53, 8
	s_add_i32 s57, s57, -8
	s_waitcnt lgkmcnt(0)
	s_barrier
	s_cbranch_execz .LBB125_56
.LBB125_32:                             ; =>This Inner Loop Header: Depth=1
	s_min_u32 s46, s56, s57
	v_mov_b32_e32 v119, v64
	s_lshl_b32 s46, -1, s46
	v_pk_mov_b32 v[60:61], v[18:19], v[18:19] op_sel:[0,1]
	s_not_b32 s58, s46
	v_lshrrev_b32_e32 v18, s53, v119
	v_and_b32_e32 v18, s58, v18
	v_lshl_add_u32 v19, v18, 3, v106
	v_pk_mov_b32 v[56:57], v[22:23], v[22:23] op_sel:[0,1]
	v_lshl_add_u32 v22, v19, 2, 32
	v_and_b32_e32 v19, 1, v18
	v_pk_mov_b32 v[58:59], v[20:21], v[20:21] op_sel:[0,1]
	v_add_co_u32_e32 v20, vcc, -1, v19
	v_addc_co_u32_e64 v21, s[46:47], 0, -1, vcc
	v_cmp_ne_u32_e32 vcc, 0, v19
	v_lshlrev_b32_e32 v63, 30, v18
	v_xor_b32_e32 v19, vcc_hi, v21
	v_not_b32_e32 v21, v63
	v_xor_b32_e32 v20, vcc_lo, v20
	v_cmp_gt_i64_e32 vcc, 0, v[62:63]
	v_ashrrev_i32_e32 v21, 31, v21
	v_and_b32_e32 v20, exec_lo, v20
	v_xor_b32_e32 v23, vcc_hi, v21
	v_xor_b32_e32 v21, vcc_lo, v21
	v_lshlrev_b32_e32 v63, 29, v18
	v_and_b32_e32 v20, v20, v21
	v_not_b32_e32 v21, v63
	v_and_b32_e32 v19, exec_hi, v19
	v_cmp_gt_i64_e32 vcc, 0, v[62:63]
	v_ashrrev_i32_e32 v21, 31, v21
	v_and_b32_e32 v19, v19, v23
	v_xor_b32_e32 v23, vcc_hi, v21
	v_xor_b32_e32 v21, vcc_lo, v21
	v_lshlrev_b32_e32 v63, 28, v18
	v_and_b32_e32 v20, v20, v21
	v_not_b32_e32 v21, v63
	v_cmp_gt_i64_e32 vcc, 0, v[62:63]
	v_ashrrev_i32_e32 v21, 31, v21
	v_and_b32_e32 v19, v19, v23
	v_xor_b32_e32 v23, vcc_hi, v21
	v_xor_b32_e32 v21, vcc_lo, v21
	v_lshlrev_b32_e32 v63, 27, v18
	v_and_b32_e32 v20, v20, v21
	v_not_b32_e32 v21, v63
	;; [unrolled: 8-line block ×3, first 2 shown]
	v_cmp_gt_i64_e32 vcc, 0, v[62:63]
	v_ashrrev_i32_e32 v21, 31, v21
	v_and_b32_e32 v19, v19, v23
	v_xor_b32_e32 v23, vcc_hi, v21
	v_xor_b32_e32 v21, vcc_lo, v21
	v_lshlrev_b32_e32 v63, 25, v18
	v_and_b32_e32 v20, v20, v21
	v_cmp_gt_i64_e32 vcc, 0, v[62:63]
	v_not_b32_e32 v21, v63
	v_lshlrev_b32_e32 v63, 24, v18
	v_ashrrev_i32_e32 v21, 31, v21
	v_not_b32_e32 v18, v63
	v_and_b32_e32 v19, v19, v23
	v_xor_b32_e32 v23, vcc_hi, v21
	v_xor_b32_e32 v21, vcc_lo, v21
	v_cmp_gt_i64_e32 vcc, 0, v[62:63]
	v_ashrrev_i32_e32 v18, 31, v18
	v_and_b32_e32 v20, v20, v21
	v_xor_b32_e32 v21, vcc_hi, v18
	v_xor_b32_e32 v18, vcc_lo, v18
	v_and_b32_e32 v19, v19, v23
	v_and_b32_e32 v18, v20, v18
	;; [unrolled: 1-line block ×3, first 2 shown]
	v_mbcnt_lo_u32_b32 v20, v18, 0
	v_mbcnt_hi_u32_b32 v23, v19, v20
	v_cmp_eq_u32_e32 vcc, 0, v23
	v_cmp_ne_u64_e64 s[46:47], 0, v[18:19]
	v_mov_b32_e32 v112, v71
	v_mov_b32_e32 v113, v70
	;; [unrolled: 1-line block ×7, first 2 shown]
	v_pk_mov_b32 v[0:1], v[32:33], v[32:33] op_sel:[0,1]
	v_pk_mov_b32 v[48:49], v[30:31], v[30:31] op_sel:[0,1]
	;; [unrolled: 1-line block ×5, first 2 shown]
	s_and_b64 s[60:61], s[46:47], vcc
	ds_write2_b32 v89, v62, v62 offset0:8 offset1:9
	ds_write2_b32 v105, v62, v62 offset0:2 offset1:3
	s_waitcnt lgkmcnt(0)
	s_barrier
	s_waitcnt lgkmcnt(0)
	; wave barrier
	s_and_saveexec_b64 s[46:47], s[60:61]
	s_cbranch_execz .LBB125_34
; %bb.33:                               ;   in Loop: Header=BB125_32 Depth=1
	v_bcnt_u32_b32 v18, v18, 0
	v_bcnt_u32_b32 v18, v19, v18
	ds_write_b32 v22, v18
.LBB125_34:                             ;   in Loop: Header=BB125_32 Depth=1
	s_or_b64 exec, exec, s[46:47]
	v_lshrrev_b32_e32 v18, s53, v118
	v_and_b32_e32 v18, s58, v18
	v_lshlrev_b32_e32 v19, 3, v18
	v_add_lshl_u32 v19, v19, v106, 2
	; wave barrier
	v_add_u32_e32 v25, 32, v19
	ds_read_b32 v24, v19 offset:32
	v_and_b32_e32 v19, 1, v18
	v_add_co_u32_e32 v20, vcc, -1, v19
	v_addc_co_u32_e64 v21, s[46:47], 0, -1, vcc
	v_cmp_ne_u32_e32 vcc, 0, v19
	v_lshlrev_b32_e32 v63, 30, v18
	v_xor_b32_e32 v19, vcc_hi, v21
	v_not_b32_e32 v21, v63
	v_xor_b32_e32 v20, vcc_lo, v20
	v_cmp_gt_i64_e32 vcc, 0, v[62:63]
	v_ashrrev_i32_e32 v21, 31, v21
	v_and_b32_e32 v20, exec_lo, v20
	v_xor_b32_e32 v26, vcc_hi, v21
	v_xor_b32_e32 v21, vcc_lo, v21
	v_lshlrev_b32_e32 v63, 29, v18
	v_and_b32_e32 v20, v20, v21
	v_not_b32_e32 v21, v63
	v_and_b32_e32 v19, exec_hi, v19
	v_cmp_gt_i64_e32 vcc, 0, v[62:63]
	v_ashrrev_i32_e32 v21, 31, v21
	v_and_b32_e32 v19, v19, v26
	v_xor_b32_e32 v26, vcc_hi, v21
	v_xor_b32_e32 v21, vcc_lo, v21
	v_lshlrev_b32_e32 v63, 28, v18
	v_and_b32_e32 v20, v20, v21
	v_not_b32_e32 v21, v63
	v_cmp_gt_i64_e32 vcc, 0, v[62:63]
	v_ashrrev_i32_e32 v21, 31, v21
	v_and_b32_e32 v19, v19, v26
	v_xor_b32_e32 v26, vcc_hi, v21
	v_xor_b32_e32 v21, vcc_lo, v21
	v_lshlrev_b32_e32 v63, 27, v18
	v_and_b32_e32 v20, v20, v21
	v_not_b32_e32 v21, v63
	;; [unrolled: 8-line block ×3, first 2 shown]
	v_cmp_gt_i64_e32 vcc, 0, v[62:63]
	v_ashrrev_i32_e32 v21, 31, v21
	v_and_b32_e32 v19, v19, v26
	v_xor_b32_e32 v26, vcc_hi, v21
	v_xor_b32_e32 v21, vcc_lo, v21
	v_lshlrev_b32_e32 v63, 25, v18
	v_and_b32_e32 v20, v20, v21
	v_cmp_gt_i64_e32 vcc, 0, v[62:63]
	v_not_b32_e32 v21, v63
	v_lshlrev_b32_e32 v63, 24, v18
	v_ashrrev_i32_e32 v21, 31, v21
	v_not_b32_e32 v18, v63
	v_and_b32_e32 v19, v19, v26
	v_xor_b32_e32 v26, vcc_hi, v21
	v_xor_b32_e32 v21, vcc_lo, v21
	v_cmp_gt_i64_e32 vcc, 0, v[62:63]
	v_ashrrev_i32_e32 v18, 31, v18
	v_and_b32_e32 v20, v20, v21
	v_xor_b32_e32 v21, vcc_hi, v18
	v_xor_b32_e32 v18, vcc_lo, v18
	v_and_b32_e32 v19, v19, v26
	v_and_b32_e32 v18, v20, v18
	;; [unrolled: 1-line block ×3, first 2 shown]
	v_mbcnt_lo_u32_b32 v20, v18, 0
	v_mbcnt_hi_u32_b32 v26, v19, v20
	v_cmp_eq_u32_e32 vcc, 0, v26
	v_cmp_ne_u64_e64 s[46:47], 0, v[18:19]
	s_and_b64 s[60:61], s[46:47], vcc
	; wave barrier
	s_and_saveexec_b64 s[46:47], s[60:61]
	s_cbranch_execz .LBB125_36
; %bb.35:                               ;   in Loop: Header=BB125_32 Depth=1
	v_bcnt_u32_b32 v18, v18, 0
	v_bcnt_u32_b32 v18, v19, v18
	s_waitcnt lgkmcnt(0)
	v_add_u32_e32 v18, v24, v18
	ds_write_b32 v25, v18
.LBB125_36:                             ;   in Loop: Header=BB125_32 Depth=1
	s_or_b64 exec, exec, s[46:47]
	v_lshrrev_b32_e32 v18, s53, v117
	v_and_b32_e32 v18, s58, v18
	v_lshlrev_b32_e32 v19, 3, v18
	v_add_lshl_u32 v19, v19, v106, 2
	; wave barrier
	v_add_u32_e32 v28, 32, v19
	ds_read_b32 v27, v19 offset:32
	v_and_b32_e32 v19, 1, v18
	v_add_co_u32_e32 v20, vcc, -1, v19
	v_addc_co_u32_e64 v21, s[46:47], 0, -1, vcc
	v_cmp_ne_u32_e32 vcc, 0, v19
	v_lshlrev_b32_e32 v63, 30, v18
	v_xor_b32_e32 v19, vcc_hi, v21
	v_not_b32_e32 v21, v63
	v_xor_b32_e32 v20, vcc_lo, v20
	v_cmp_gt_i64_e32 vcc, 0, v[62:63]
	v_ashrrev_i32_e32 v21, 31, v21
	v_and_b32_e32 v20, exec_lo, v20
	v_xor_b32_e32 v29, vcc_hi, v21
	v_xor_b32_e32 v21, vcc_lo, v21
	v_lshlrev_b32_e32 v63, 29, v18
	v_and_b32_e32 v20, v20, v21
	v_not_b32_e32 v21, v63
	v_and_b32_e32 v19, exec_hi, v19
	v_cmp_gt_i64_e32 vcc, 0, v[62:63]
	v_ashrrev_i32_e32 v21, 31, v21
	v_and_b32_e32 v19, v19, v29
	v_xor_b32_e32 v29, vcc_hi, v21
	v_xor_b32_e32 v21, vcc_lo, v21
	v_lshlrev_b32_e32 v63, 28, v18
	v_and_b32_e32 v20, v20, v21
	v_not_b32_e32 v21, v63
	v_cmp_gt_i64_e32 vcc, 0, v[62:63]
	v_ashrrev_i32_e32 v21, 31, v21
	v_and_b32_e32 v19, v19, v29
	v_xor_b32_e32 v29, vcc_hi, v21
	v_xor_b32_e32 v21, vcc_lo, v21
	v_lshlrev_b32_e32 v63, 27, v18
	v_and_b32_e32 v20, v20, v21
	v_not_b32_e32 v21, v63
	;; [unrolled: 8-line block ×3, first 2 shown]
	v_cmp_gt_i64_e32 vcc, 0, v[62:63]
	v_ashrrev_i32_e32 v21, 31, v21
	v_and_b32_e32 v19, v19, v29
	v_xor_b32_e32 v29, vcc_hi, v21
	v_xor_b32_e32 v21, vcc_lo, v21
	v_lshlrev_b32_e32 v63, 25, v18
	v_and_b32_e32 v20, v20, v21
	v_cmp_gt_i64_e32 vcc, 0, v[62:63]
	v_not_b32_e32 v21, v63
	v_lshlrev_b32_e32 v63, 24, v18
	v_ashrrev_i32_e32 v21, 31, v21
	v_not_b32_e32 v18, v63
	v_and_b32_e32 v19, v19, v29
	v_xor_b32_e32 v29, vcc_hi, v21
	v_xor_b32_e32 v21, vcc_lo, v21
	v_cmp_gt_i64_e32 vcc, 0, v[62:63]
	v_ashrrev_i32_e32 v18, 31, v18
	v_and_b32_e32 v20, v20, v21
	v_xor_b32_e32 v21, vcc_hi, v18
	v_xor_b32_e32 v18, vcc_lo, v18
	v_and_b32_e32 v19, v19, v29
	v_and_b32_e32 v18, v20, v18
	;; [unrolled: 1-line block ×3, first 2 shown]
	v_mbcnt_lo_u32_b32 v20, v18, 0
	v_mbcnt_hi_u32_b32 v29, v19, v20
	v_cmp_eq_u32_e32 vcc, 0, v29
	v_cmp_ne_u64_e64 s[46:47], 0, v[18:19]
	s_and_b64 s[60:61], s[46:47], vcc
	; wave barrier
	s_and_saveexec_b64 s[46:47], s[60:61]
	s_cbranch_execz .LBB125_38
; %bb.37:                               ;   in Loop: Header=BB125_32 Depth=1
	v_bcnt_u32_b32 v18, v18, 0
	v_bcnt_u32_b32 v18, v19, v18
	s_waitcnt lgkmcnt(0)
	v_add_u32_e32 v18, v27, v18
	ds_write_b32 v28, v18
.LBB125_38:                             ;   in Loop: Header=BB125_32 Depth=1
	s_or_b64 exec, exec, s[46:47]
	v_lshrrev_b32_e32 v18, s53, v116
	v_and_b32_e32 v18, s58, v18
	v_lshlrev_b32_e32 v19, 3, v18
	v_add_lshl_u32 v19, v19, v106, 2
	; wave barrier
	v_add_u32_e32 v31, 32, v19
	ds_read_b32 v30, v19 offset:32
	v_and_b32_e32 v19, 1, v18
	v_add_co_u32_e32 v20, vcc, -1, v19
	v_addc_co_u32_e64 v21, s[46:47], 0, -1, vcc
	v_cmp_ne_u32_e32 vcc, 0, v19
	v_lshlrev_b32_e32 v63, 30, v18
	v_xor_b32_e32 v19, vcc_hi, v21
	v_not_b32_e32 v21, v63
	v_xor_b32_e32 v20, vcc_lo, v20
	v_cmp_gt_i64_e32 vcc, 0, v[62:63]
	v_ashrrev_i32_e32 v21, 31, v21
	v_and_b32_e32 v20, exec_lo, v20
	v_xor_b32_e32 v32, vcc_hi, v21
	v_xor_b32_e32 v21, vcc_lo, v21
	v_lshlrev_b32_e32 v63, 29, v18
	v_and_b32_e32 v20, v20, v21
	v_not_b32_e32 v21, v63
	v_and_b32_e32 v19, exec_hi, v19
	v_cmp_gt_i64_e32 vcc, 0, v[62:63]
	v_ashrrev_i32_e32 v21, 31, v21
	v_and_b32_e32 v19, v19, v32
	v_xor_b32_e32 v32, vcc_hi, v21
	v_xor_b32_e32 v21, vcc_lo, v21
	v_lshlrev_b32_e32 v63, 28, v18
	v_and_b32_e32 v20, v20, v21
	v_not_b32_e32 v21, v63
	v_cmp_gt_i64_e32 vcc, 0, v[62:63]
	v_ashrrev_i32_e32 v21, 31, v21
	v_and_b32_e32 v19, v19, v32
	v_xor_b32_e32 v32, vcc_hi, v21
	v_xor_b32_e32 v21, vcc_lo, v21
	v_lshlrev_b32_e32 v63, 27, v18
	v_and_b32_e32 v20, v20, v21
	v_not_b32_e32 v21, v63
	;; [unrolled: 8-line block ×3, first 2 shown]
	v_cmp_gt_i64_e32 vcc, 0, v[62:63]
	v_ashrrev_i32_e32 v21, 31, v21
	v_and_b32_e32 v19, v19, v32
	v_xor_b32_e32 v32, vcc_hi, v21
	v_xor_b32_e32 v21, vcc_lo, v21
	v_lshlrev_b32_e32 v63, 25, v18
	v_and_b32_e32 v20, v20, v21
	v_cmp_gt_i64_e32 vcc, 0, v[62:63]
	v_not_b32_e32 v21, v63
	v_lshlrev_b32_e32 v63, 24, v18
	v_ashrrev_i32_e32 v21, 31, v21
	v_not_b32_e32 v18, v63
	v_and_b32_e32 v19, v19, v32
	v_xor_b32_e32 v32, vcc_hi, v21
	v_xor_b32_e32 v21, vcc_lo, v21
	v_cmp_gt_i64_e32 vcc, 0, v[62:63]
	v_ashrrev_i32_e32 v18, 31, v18
	v_and_b32_e32 v20, v20, v21
	v_xor_b32_e32 v21, vcc_hi, v18
	v_xor_b32_e32 v18, vcc_lo, v18
	v_and_b32_e32 v19, v19, v32
	v_and_b32_e32 v18, v20, v18
	;; [unrolled: 1-line block ×3, first 2 shown]
	v_mbcnt_lo_u32_b32 v20, v18, 0
	v_mbcnt_hi_u32_b32 v32, v19, v20
	v_cmp_eq_u32_e32 vcc, 0, v32
	v_cmp_ne_u64_e64 s[46:47], 0, v[18:19]
	s_and_b64 s[60:61], s[46:47], vcc
	; wave barrier
	s_and_saveexec_b64 s[46:47], s[60:61]
	s_cbranch_execz .LBB125_40
; %bb.39:                               ;   in Loop: Header=BB125_32 Depth=1
	v_bcnt_u32_b32 v18, v18, 0
	v_bcnt_u32_b32 v18, v19, v18
	s_waitcnt lgkmcnt(0)
	v_add_u32_e32 v18, v30, v18
	ds_write_b32 v31, v18
.LBB125_40:                             ;   in Loop: Header=BB125_32 Depth=1
	s_or_b64 exec, exec, s[46:47]
	v_lshrrev_b32_e32 v18, s53, v115
	v_and_b32_e32 v18, s58, v18
	v_lshlrev_b32_e32 v19, 3, v18
	v_add_lshl_u32 v19, v19, v106, 2
	; wave barrier
	v_add_u32_e32 v64, 32, v19
	ds_read_b32 v33, v19 offset:32
	v_and_b32_e32 v19, 1, v18
	v_add_co_u32_e32 v20, vcc, -1, v19
	v_addc_co_u32_e64 v21, s[46:47], 0, -1, vcc
	v_cmp_ne_u32_e32 vcc, 0, v19
	v_lshlrev_b32_e32 v63, 30, v18
	v_xor_b32_e32 v19, vcc_hi, v21
	v_not_b32_e32 v21, v63
	v_xor_b32_e32 v20, vcc_lo, v20
	v_cmp_gt_i64_e32 vcc, 0, v[62:63]
	v_ashrrev_i32_e32 v21, 31, v21
	v_and_b32_e32 v19, exec_hi, v19
	v_xor_b32_e32 v63, vcc_hi, v21
	v_and_b32_e32 v20, exec_lo, v20
	v_xor_b32_e32 v21, vcc_lo, v21
	v_and_b32_e32 v19, v19, v63
	v_lshlrev_b32_e32 v63, 29, v18
	v_and_b32_e32 v20, v20, v21
	v_not_b32_e32 v21, v63
	v_cmp_gt_i64_e32 vcc, 0, v[62:63]
	v_ashrrev_i32_e32 v21, 31, v21
	v_xor_b32_e32 v63, vcc_hi, v21
	v_xor_b32_e32 v21, vcc_lo, v21
	v_and_b32_e32 v19, v19, v63
	v_lshlrev_b32_e32 v63, 28, v18
	v_and_b32_e32 v20, v20, v21
	v_not_b32_e32 v21, v63
	v_cmp_gt_i64_e32 vcc, 0, v[62:63]
	v_ashrrev_i32_e32 v21, 31, v21
	v_xor_b32_e32 v63, vcc_hi, v21
	;; [unrolled: 8-line block ×5, first 2 shown]
	v_and_b32_e32 v19, v19, v63
	v_lshlrev_b32_e32 v63, 24, v18
	v_not_b32_e32 v18, v63
	v_xor_b32_e32 v21, vcc_lo, v21
	v_cmp_gt_i64_e32 vcc, 0, v[62:63]
	v_ashrrev_i32_e32 v18, 31, v18
	v_and_b32_e32 v20, v20, v21
	v_xor_b32_e32 v21, vcc_hi, v18
	v_xor_b32_e32 v18, vcc_lo, v18
	v_and_b32_e32 v18, v20, v18
	v_and_b32_e32 v19, v19, v21
	v_mbcnt_lo_u32_b32 v20, v18, 0
	v_mbcnt_hi_u32_b32 v65, v19, v20
	v_cmp_eq_u32_e32 vcc, 0, v65
	v_cmp_ne_u64_e64 s[46:47], 0, v[18:19]
	s_and_b64 s[60:61], s[46:47], vcc
	; wave barrier
	s_and_saveexec_b64 s[46:47], s[60:61]
	s_cbranch_execz .LBB125_42
; %bb.41:                               ;   in Loop: Header=BB125_32 Depth=1
	v_bcnt_u32_b32 v18, v18, 0
	v_bcnt_u32_b32 v18, v19, v18
	s_waitcnt lgkmcnt(0)
	v_add_u32_e32 v18, v33, v18
	ds_write_b32 v64, v18
.LBB125_42:                             ;   in Loop: Header=BB125_32 Depth=1
	s_or_b64 exec, exec, s[46:47]
	v_lshrrev_b32_e32 v18, s53, v114
	v_and_b32_e32 v18, s58, v18
	v_lshlrev_b32_e32 v19, 3, v18
	v_add_lshl_u32 v19, v19, v106, 2
	; wave barrier
	v_add_u32_e32 v67, 32, v19
	ds_read_b32 v66, v19 offset:32
	v_and_b32_e32 v19, 1, v18
	v_add_co_u32_e32 v20, vcc, -1, v19
	v_addc_co_u32_e64 v21, s[46:47], 0, -1, vcc
	v_cmp_ne_u32_e32 vcc, 0, v19
	v_lshlrev_b32_e32 v63, 30, v18
	v_xor_b32_e32 v19, vcc_hi, v21
	v_not_b32_e32 v21, v63
	v_xor_b32_e32 v20, vcc_lo, v20
	v_cmp_gt_i64_e32 vcc, 0, v[62:63]
	v_ashrrev_i32_e32 v21, 31, v21
	v_and_b32_e32 v19, exec_hi, v19
	v_xor_b32_e32 v63, vcc_hi, v21
	v_and_b32_e32 v20, exec_lo, v20
	v_xor_b32_e32 v21, vcc_lo, v21
	v_and_b32_e32 v19, v19, v63
	v_lshlrev_b32_e32 v63, 29, v18
	v_and_b32_e32 v20, v20, v21
	v_not_b32_e32 v21, v63
	v_cmp_gt_i64_e32 vcc, 0, v[62:63]
	v_ashrrev_i32_e32 v21, 31, v21
	v_xor_b32_e32 v63, vcc_hi, v21
	v_xor_b32_e32 v21, vcc_lo, v21
	v_and_b32_e32 v19, v19, v63
	v_lshlrev_b32_e32 v63, 28, v18
	v_and_b32_e32 v20, v20, v21
	v_not_b32_e32 v21, v63
	v_cmp_gt_i64_e32 vcc, 0, v[62:63]
	v_ashrrev_i32_e32 v21, 31, v21
	v_xor_b32_e32 v63, vcc_hi, v21
	;; [unrolled: 8-line block ×5, first 2 shown]
	v_and_b32_e32 v19, v19, v63
	v_lshlrev_b32_e32 v63, 24, v18
	v_not_b32_e32 v18, v63
	v_xor_b32_e32 v21, vcc_lo, v21
	v_cmp_gt_i64_e32 vcc, 0, v[62:63]
	v_ashrrev_i32_e32 v18, 31, v18
	v_and_b32_e32 v20, v20, v21
	v_xor_b32_e32 v21, vcc_hi, v18
	v_xor_b32_e32 v18, vcc_lo, v18
	v_and_b32_e32 v18, v20, v18
	v_and_b32_e32 v19, v19, v21
	v_mbcnt_lo_u32_b32 v20, v18, 0
	v_mbcnt_hi_u32_b32 v68, v19, v20
	v_cmp_eq_u32_e32 vcc, 0, v68
	v_cmp_ne_u64_e64 s[46:47], 0, v[18:19]
	s_and_b64 s[60:61], s[46:47], vcc
	; wave barrier
	s_and_saveexec_b64 s[46:47], s[60:61]
	s_cbranch_execz .LBB125_44
; %bb.43:                               ;   in Loop: Header=BB125_32 Depth=1
	v_bcnt_u32_b32 v18, v18, 0
	v_bcnt_u32_b32 v18, v19, v18
	s_waitcnt lgkmcnt(0)
	v_add_u32_e32 v18, v66, v18
	ds_write_b32 v67, v18
.LBB125_44:                             ;   in Loop: Header=BB125_32 Depth=1
	s_or_b64 exec, exec, s[46:47]
	v_lshrrev_b32_e32 v18, s53, v113
	v_and_b32_e32 v18, s58, v18
	v_lshlrev_b32_e32 v19, 3, v18
	v_add_lshl_u32 v19, v19, v106, 2
	; wave barrier
	v_add_u32_e32 v70, 32, v19
	ds_read_b32 v69, v19 offset:32
	v_and_b32_e32 v19, 1, v18
	v_add_co_u32_e32 v20, vcc, -1, v19
	v_addc_co_u32_e64 v21, s[46:47], 0, -1, vcc
	v_cmp_ne_u32_e32 vcc, 0, v19
	v_lshlrev_b32_e32 v63, 30, v18
	v_xor_b32_e32 v19, vcc_hi, v21
	v_not_b32_e32 v21, v63
	v_xor_b32_e32 v20, vcc_lo, v20
	v_cmp_gt_i64_e32 vcc, 0, v[62:63]
	v_ashrrev_i32_e32 v21, 31, v21
	v_and_b32_e32 v19, exec_hi, v19
	v_xor_b32_e32 v63, vcc_hi, v21
	v_and_b32_e32 v20, exec_lo, v20
	v_xor_b32_e32 v21, vcc_lo, v21
	v_and_b32_e32 v19, v19, v63
	v_lshlrev_b32_e32 v63, 29, v18
	v_and_b32_e32 v20, v20, v21
	v_not_b32_e32 v21, v63
	v_cmp_gt_i64_e32 vcc, 0, v[62:63]
	v_ashrrev_i32_e32 v21, 31, v21
	v_xor_b32_e32 v63, vcc_hi, v21
	v_xor_b32_e32 v21, vcc_lo, v21
	v_and_b32_e32 v19, v19, v63
	v_lshlrev_b32_e32 v63, 28, v18
	v_and_b32_e32 v20, v20, v21
	v_not_b32_e32 v21, v63
	v_cmp_gt_i64_e32 vcc, 0, v[62:63]
	v_ashrrev_i32_e32 v21, 31, v21
	v_xor_b32_e32 v63, vcc_hi, v21
	;; [unrolled: 8-line block ×5, first 2 shown]
	v_and_b32_e32 v19, v19, v63
	v_lshlrev_b32_e32 v63, 24, v18
	v_not_b32_e32 v18, v63
	v_xor_b32_e32 v21, vcc_lo, v21
	v_cmp_gt_i64_e32 vcc, 0, v[62:63]
	v_ashrrev_i32_e32 v18, 31, v18
	v_and_b32_e32 v20, v20, v21
	v_xor_b32_e32 v21, vcc_hi, v18
	v_xor_b32_e32 v18, vcc_lo, v18
	v_and_b32_e32 v18, v20, v18
	v_and_b32_e32 v19, v19, v21
	v_mbcnt_lo_u32_b32 v20, v18, 0
	v_mbcnt_hi_u32_b32 v71, v19, v20
	v_cmp_eq_u32_e32 vcc, 0, v71
	v_cmp_ne_u64_e64 s[46:47], 0, v[18:19]
	s_and_b64 s[60:61], s[46:47], vcc
	; wave barrier
	s_and_saveexec_b64 s[46:47], s[60:61]
	s_cbranch_execz .LBB125_46
; %bb.45:                               ;   in Loop: Header=BB125_32 Depth=1
	v_bcnt_u32_b32 v18, v18, 0
	v_bcnt_u32_b32 v18, v19, v18
	s_waitcnt lgkmcnt(0)
	v_add_u32_e32 v18, v69, v18
	ds_write_b32 v70, v18
.LBB125_46:                             ;   in Loop: Header=BB125_32 Depth=1
	s_or_b64 exec, exec, s[46:47]
	v_lshrrev_b32_e32 v18, s53, v112
	v_and_b32_e32 v18, s58, v18
	v_lshlrev_b32_e32 v19, 3, v18
	v_add_lshl_u32 v19, v19, v106, 2
	; wave barrier
	v_add_u32_e32 v121, 32, v19
	ds_read_b32 v120, v19 offset:32
	v_and_b32_e32 v19, 1, v18
	v_add_co_u32_e32 v20, vcc, -1, v19
	v_addc_co_u32_e64 v21, s[46:47], 0, -1, vcc
	v_cmp_ne_u32_e32 vcc, 0, v19
	v_lshlrev_b32_e32 v63, 30, v18
	v_xor_b32_e32 v19, vcc_hi, v21
	v_not_b32_e32 v21, v63
	v_xor_b32_e32 v20, vcc_lo, v20
	v_cmp_gt_i64_e32 vcc, 0, v[62:63]
	v_ashrrev_i32_e32 v21, 31, v21
	v_and_b32_e32 v19, exec_hi, v19
	v_xor_b32_e32 v63, vcc_hi, v21
	v_and_b32_e32 v20, exec_lo, v20
	v_xor_b32_e32 v21, vcc_lo, v21
	v_and_b32_e32 v19, v19, v63
	v_lshlrev_b32_e32 v63, 29, v18
	v_and_b32_e32 v20, v20, v21
	v_not_b32_e32 v21, v63
	v_cmp_gt_i64_e32 vcc, 0, v[62:63]
	v_ashrrev_i32_e32 v21, 31, v21
	v_xor_b32_e32 v63, vcc_hi, v21
	v_xor_b32_e32 v21, vcc_lo, v21
	v_and_b32_e32 v19, v19, v63
	v_lshlrev_b32_e32 v63, 28, v18
	v_and_b32_e32 v20, v20, v21
	v_not_b32_e32 v21, v63
	v_cmp_gt_i64_e32 vcc, 0, v[62:63]
	v_ashrrev_i32_e32 v21, 31, v21
	v_xor_b32_e32 v63, vcc_hi, v21
	;; [unrolled: 8-line block ×5, first 2 shown]
	v_and_b32_e32 v19, v19, v63
	v_lshlrev_b32_e32 v63, 24, v18
	v_not_b32_e32 v18, v63
	v_xor_b32_e32 v21, vcc_lo, v21
	v_cmp_gt_i64_e32 vcc, 0, v[62:63]
	v_ashrrev_i32_e32 v18, 31, v18
	v_and_b32_e32 v20, v20, v21
	v_xor_b32_e32 v21, vcc_hi, v18
	v_xor_b32_e32 v18, vcc_lo, v18
	v_and_b32_e32 v18, v20, v18
	v_and_b32_e32 v19, v19, v21
	v_mbcnt_lo_u32_b32 v20, v18, 0
	v_mbcnt_hi_u32_b32 v127, v19, v20
	v_cmp_eq_u32_e32 vcc, 0, v127
	v_cmp_ne_u64_e64 s[46:47], 0, v[18:19]
	s_and_b64 s[58:59], s[46:47], vcc
	; wave barrier
	s_and_saveexec_b64 s[46:47], s[58:59]
	s_cbranch_execz .LBB125_48
; %bb.47:                               ;   in Loop: Header=BB125_32 Depth=1
	v_bcnt_u32_b32 v18, v18, 0
	v_bcnt_u32_b32 v18, v19, v18
	s_waitcnt lgkmcnt(0)
	v_add_u32_e32 v18, v120, v18
	ds_write_b32 v121, v18
.LBB125_48:                             ;   in Loop: Header=BB125_32 Depth=1
	s_or_b64 exec, exec, s[46:47]
	; wave barrier
	s_waitcnt lgkmcnt(0)
	s_barrier
	ds_read2_b32 v[20:21], v89 offset0:8 offset1:9
	ds_read2_b32 v[18:19], v105 offset0:2 offset1:3
	s_waitcnt lgkmcnt(1)
	v_add_u32_e32 v63, v21, v20
	s_waitcnt lgkmcnt(0)
	v_add3_u32 v19, v63, v18, v19
	s_nop 1
	v_mov_b32_dpp v63, v19 row_shr:1 row_mask:0xf bank_mask:0xf
	v_cndmask_b32_e64 v63, v63, 0, s[26:27]
	v_add_u32_e32 v19, v63, v19
	s_nop 1
	v_mov_b32_dpp v63, v19 row_shr:2 row_mask:0xf bank_mask:0xf
	v_cndmask_b32_e64 v63, 0, v63, s[28:29]
	v_add_u32_e32 v19, v19, v63
	s_nop 1
	v_mov_b32_dpp v63, v19 row_shr:4 row_mask:0xf bank_mask:0xf
	v_cndmask_b32_e64 v63, 0, v63, s[30:31]
	v_add_u32_e32 v19, v19, v63
	s_nop 1
	v_mov_b32_dpp v63, v19 row_shr:8 row_mask:0xf bank_mask:0xf
	v_cndmask_b32_e64 v63, 0, v63, s[34:35]
	v_add_u32_e32 v19, v19, v63
	s_nop 1
	v_mov_b32_dpp v63, v19 row_bcast:15 row_mask:0xf bank_mask:0xf
	v_cndmask_b32_e64 v63, v63, 0, s[36:37]
	v_add_u32_e32 v19, v19, v63
	s_nop 1
	v_mov_b32_dpp v63, v19 row_bcast:31 row_mask:0xf bank_mask:0xf
	v_cndmask_b32_e64 v63, 0, v63, s[16:17]
	v_add_u32_e32 v19, v19, v63
	s_and_saveexec_b64 s[46:47], s[38:39]
	s_cbranch_execz .LBB125_50
; %bb.49:                               ;   in Loop: Header=BB125_32 Depth=1
	ds_write_b32 v108, v19
.LBB125_50:                             ;   in Loop: Header=BB125_32 Depth=1
	s_or_b64 exec, exec, s[46:47]
	s_waitcnt lgkmcnt(0)
	s_barrier
	s_and_saveexec_b64 s[46:47], s[18:19]
	s_cbranch_execz .LBB125_52
; %bb.51:                               ;   in Loop: Header=BB125_32 Depth=1
	ds_read_b32 v63, v88
	s_waitcnt lgkmcnt(0)
	s_nop 0
	v_mov_b32_dpp v122, v63 row_shr:1 row_mask:0xf bank_mask:0xf
	v_cndmask_b32_e64 v122, v122, 0, s[40:41]
	v_add_u32_e32 v63, v122, v63
	s_nop 1
	v_mov_b32_dpp v122, v63 row_shr:2 row_mask:0xf bank_mask:0xf
	v_cndmask_b32_e64 v122, 0, v122, s[42:43]
	v_add_u32_e32 v63, v63, v122
	;; [unrolled: 4-line block ×3, first 2 shown]
	ds_write_b32 v88, v63
.LBB125_52:                             ;   in Loop: Header=BB125_32 Depth=1
	s_or_b64 exec, exec, s[46:47]
	v_mov_b32_e32 v63, 0
	s_waitcnt lgkmcnt(0)
	s_barrier
	s_and_saveexec_b64 s[46:47], s[20:21]
	s_cbranch_execz .LBB125_54
; %bb.53:                               ;   in Loop: Header=BB125_32 Depth=1
	ds_read_b32 v63, v109
.LBB125_54:                             ;   in Loop: Header=BB125_32 Depth=1
	s_or_b64 exec, exec, s[46:47]
	s_waitcnt lgkmcnt(0)
	v_add_u32_e32 v19, v63, v19
	ds_bpermute_b32 v19, v107, v19
	s_cmp_gt_u32 s53, 23
	s_waitcnt lgkmcnt(0)
	v_cndmask_b32_e64 v19, v19, v63, s[22:23]
	v_cndmask_b32_e64 v19, v19, 0, s[24:25]
	v_add_u32_e32 v20, v19, v20
	v_add_u32_e32 v21, v20, v21
	;; [unrolled: 1-line block ×3, first 2 shown]
	ds_write2_b32 v89, v19, v20 offset0:8 offset1:9
	ds_write2_b32 v105, v21, v18 offset0:2 offset1:3
	s_waitcnt lgkmcnt(0)
	s_barrier
	ds_read_b32 v18, v22
	ds_read_b32 v19, v25
	;; [unrolled: 1-line block ×8, first 2 shown]
	s_waitcnt lgkmcnt(7)
	v_add_u32_e32 v63, v18, v23
	s_waitcnt lgkmcnt(6)
	v_add3_u32 v121, v26, v24, v19
	s_waitcnt lgkmcnt(5)
	v_add3_u32 v122, v29, v27, v20
	;; [unrolled: 2-line block ×7, first 2 shown]
	s_cbranch_scc0 .LBB125_31
; %bb.55:
                                        ; implicit-def: $vgpr71
                                        ; implicit-def: $vgpr69
                                        ; implicit-def: $vgpr67
                                        ; implicit-def: $vgpr65
                                        ; implicit-def: $vgpr32_vgpr33
                                        ; implicit-def: $vgpr28_vgpr29
                                        ; implicit-def: $vgpr24_vgpr25
                                        ; implicit-def: $vgpr20_vgpr21
                                        ; implicit-def: $sgpr53
                                        ; implicit-def: $sgpr57
.LBB125_56:
	v_lshlrev_b32_e32 v18, 2, v63
	s_barrier
	ds_write_b32 v18, v119
	v_lshlrev_b32_e32 v18, 2, v121
	ds_write_b32 v18, v118
	v_lshlrev_b32_e32 v18, 2, v122
	;; [unrolled: 2-line block ×7, first 2 shown]
	v_lshlrev_b32_e32 v22, 2, v87
	ds_write_b32 v18, v112
	s_waitcnt lgkmcnt(0)
	s_barrier
	ds_read2_b32 v[18:19], v22 offset1:1
	ds_read2_b32 v[20:21], v22 offset0:2 offset1:3
	ds_read2_b32 v[66:67], v22 offset0:4 offset1:5
	;; [unrolled: 1-line block ×3, first 2 shown]
	v_lshlrev_b32_e32 v23, 3, v63
	v_lshlrev_b32_e32 v24, 3, v121
	;; [unrolled: 1-line block ×9, first 2 shown]
	s_waitcnt lgkmcnt(3)
	v_xor_b32_e32 v62, 0x80000000, v18
	v_xor_b32_e32 v64, 0x80000000, v19
	s_waitcnt lgkmcnt(2)
	v_xor_b32_e32 v63, 0x80000000, v20
	v_xor_b32_e32 v65, 0x80000000, v21
	s_waitcnt lgkmcnt(0)
	s_barrier
	ds_write_b64 v23, v[60:61]
	ds_write_b64 v24, v[58:59]
	;; [unrolled: 1-line block ×8, first 2 shown]
	s_waitcnt lgkmcnt(0)
	s_barrier
	ds_read2_b64 v[18:21], v31 offset1:1
	ds_read2_b64 v[22:25], v31 offset0:2 offset1:3
	ds_read2_b64 v[26:29], v31 offset0:4 offset1:5
	;; [unrolled: 1-line block ×3, first 2 shown]
	v_xor_b32_e32 v66, 0x80000000, v66
	v_xor_b32_e32 v0, 0x80000000, v67
	;; [unrolled: 1-line block ×4, first 2 shown]
	s_branch .LBB125_92
.LBB125_57:
	v_mov_b32_e32 v37, 0
	v_lshlrev_b64 v[2:3], 3, v[36:37]
	v_mov_b32_e32 v4, s51
	v_add_co_u32_e32 v2, vcc, s49, v2
	v_addc_co_u32_e32 v3, vcc, v4, v3, vcc
	global_load_dwordx2 v[2:3], v[2:3], off
	v_mov_b32_e32 v4, v37
	v_mov_b32_e32 v5, v37
	;; [unrolled: 1-line block ×14, first 2 shown]
	s_or_b64 exec, exec, s[16:17]
	s_and_saveexec_b64 s[16:17], s[2:3]
	s_cbranch_execz .LBB125_22
.LBB125_58:
	v_mul_lo_u32 v4, v30, s52
	v_mov_b32_e32 v5, 0
	v_lshlrev_b64 v[4:5], 3, v[4:5]
	v_mov_b32_e32 v30, s51
	v_add_co_u32_e32 v4, vcc, s49, v4
	v_addc_co_u32_e32 v5, vcc, v30, v5, vcc
	global_load_dwordx2 v[4:5], v[4:5], off
	s_or_b64 exec, exec, s[16:17]
	s_and_saveexec_b64 s[16:17], s[4:5]
	s_cbranch_execz .LBB125_23
.LBB125_59:
	v_mul_lo_u32 v6, v28, s52
	v_mov_b32_e32 v7, 0
	v_lshlrev_b64 v[6:7], 3, v[6:7]
	v_mov_b32_e32 v28, s51
	v_add_co_u32_e32 v6, vcc, s49, v6
	v_addc_co_u32_e32 v7, vcc, v28, v7, vcc
	global_load_dwordx2 v[6:7], v[6:7], off
	s_or_b64 exec, exec, s[16:17]
	s_and_saveexec_b64 s[16:17], s[6:7]
	s_cbranch_execz .LBB125_24
.LBB125_60:
	v_mul_lo_u32 v8, v26, s52
	v_mov_b32_e32 v9, 0
	v_lshlrev_b64 v[8:9], 3, v[8:9]
	v_mov_b32_e32 v26, s51
	v_add_co_u32_e32 v8, vcc, s49, v8
	v_addc_co_u32_e32 v9, vcc, v26, v9, vcc
	global_load_dwordx2 v[8:9], v[8:9], off
	s_or_b64 exec, exec, s[16:17]
	s_and_saveexec_b64 s[16:17], s[8:9]
	s_cbranch_execz .LBB125_25
.LBB125_61:
	v_mul_lo_u32 v10, v24, s52
	v_mov_b32_e32 v11, 0
	v_lshlrev_b64 v[10:11], 3, v[10:11]
	v_mov_b32_e32 v24, s51
	v_add_co_u32_e32 v10, vcc, s49, v10
	v_addc_co_u32_e32 v11, vcc, v24, v11, vcc
	global_load_dwordx2 v[10:11], v[10:11], off
	s_or_b64 exec, exec, s[16:17]
	s_and_saveexec_b64 s[16:17], s[10:11]
	s_cbranch_execz .LBB125_26
.LBB125_62:
	v_mul_lo_u32 v12, v21, s52
	v_mov_b32_e32 v13, 0
	v_lshlrev_b64 v[12:13], 3, v[12:13]
	v_mov_b32_e32 v21, s51
	v_add_co_u32_e32 v12, vcc, s49, v12
	v_addc_co_u32_e32 v13, vcc, v21, v13, vcc
	global_load_dwordx2 v[12:13], v[12:13], off
	s_or_b64 exec, exec, s[16:17]
	s_and_saveexec_b64 s[16:17], s[12:13]
	s_cbranch_execz .LBB125_27
.LBB125_63:
	v_mul_lo_u32 v14, v19, s52
	v_mov_b32_e32 v15, 0
	v_lshlrev_b64 v[14:15], 3, v[14:15]
	v_mov_b32_e32 v19, s51
	v_add_co_u32_e32 v14, vcc, s49, v14
	v_addc_co_u32_e32 v15, vcc, v19, v15, vcc
	global_load_dwordx2 v[14:15], v[14:15], off
	s_or_b64 exec, exec, s[16:17]
	s_xor_b64 s[16:17], s[34:35], -1
	s_and_saveexec_b64 s[18:19], s[14:15]
	s_cbranch_execnz .LBB125_28
	s_branch .LBB125_29
.LBB125_64:
                                        ; implicit-def: $vgpr48
                                        ; implicit-def: $vgpr1
                                        ; implicit-def: $vgpr0
                                        ; implicit-def: $vgpr66
                                        ; implicit-def: $vgpr65
                                        ; implicit-def: $vgpr63
                                        ; implicit-def: $vgpr64
                                        ; implicit-def: $vgpr62
                                        ; implicit-def: $vgpr32_vgpr33
                                        ; implicit-def: $vgpr28_vgpr29
                                        ; implicit-def: $vgpr24_vgpr25
                                        ; implicit-def: $vgpr20_vgpr21
	s_cbranch_execz .LBB125_92
; %bb.65:
	v_xor_b32_e32 v0, 0x7fffffff, v47
	v_xor_b32_e32 v1, 0x7fffffff, v46
	s_waitcnt lgkmcnt(3)
	v_xor_b32_e32 v18, 0x7fffffff, v45
	v_xor_b32_e32 v19, 0x7fffffff, v44
	;; [unrolled: 1-line block ×4, first 2 shown]
	s_waitcnt lgkmcnt(2)
	v_xor_b32_e32 v22, 0x7fffffff, v41
	v_xor_b32_e32 v23, 0x7fffffff, v40
	ds_write2_b32 v104, v1, v0 offset1:1
	ds_write2_b32 v104, v19, v18 offset0:2 offset1:3
	ds_write2_b32 v104, v21, v20 offset0:4 offset1:5
	;; [unrolled: 1-line block ×3, first 2 shown]
	; wave barrier
	ds_read2st64_b32 v[40:41], v103 offset1:1
	ds_read2st64_b32 v[42:43], v103 offset0:2 offset1:3
	ds_read2st64_b32 v[44:45], v103 offset0:4 offset1:5
	;; [unrolled: 1-line block ×3, first 2 shown]
	s_waitcnt lgkmcnt(0)
	s_barrier
	ds_write2_b64 v102, v[14:15], v[16:17] offset1:1
	ds_write2_b64 v102, v[10:11], v[12:13] offset0:2 offset1:3
	ds_write2_b64 v102, v[6:7], v[8:9] offset0:4 offset1:5
	;; [unrolled: 1-line block ×3, first 2 shown]
	; wave barrier
	ds_read2st64_b64 v[0:3], v101 offset1:1
	ds_read2st64_b64 v[4:7], v101 offset0:2 offset1:3
	ds_read2st64_b64 v[8:11], v101 offset0:4 offset1:5
	;; [unrolled: 1-line block ×3, first 2 shown]
	s_waitcnt lgkmcnt(0)
	s_barrier
	s_load_dword s18, s[54:55], 0xc
	s_getpc_b64 s[16:17]
	s_add_u32 s16, s16, _ZN7rocprim17ROCPRIM_400000_NS16block_radix_sortIiLj512ELj8ElLj1ELj1ELj0ELNS0_26block_radix_rank_algorithmE1ELNS0_18block_padding_hintE2ELNS0_4arch9wavefront6targetE1EE19radix_bits_per_passE@rel32@lo+4
	s_addc_u32 s17, s17, _ZN7rocprim17ROCPRIM_400000_NS16block_radix_sortIiLj512ELj8ElLj1ELj1ELj0ELNS0_26block_radix_rank_algorithmE1ELNS0_18block_padding_hintE2ELNS0_4arch9wavefront6targetE1EE19radix_bits_per_passE@rel32@hi+12
	s_load_dword s53, s[16:17], 0x0
	v_cmp_lt_i32_e32 vcc, v94, v96
	v_cmp_gt_u32_e64 s[30:31], 8, v38
	s_waitcnt lgkmcnt(0)
	s_lshr_b32 s16, s18, 16
	s_and_b32 s17, s18, 0xffff
	v_mad_u32_u24 v16, v100, s16, v99
	v_mad_u64_u32 v[16:17], s[16:17], v16, s17, v[38:39]
	v_lshrrev_b32_e32 v49, 6, v16
	v_min_u32_e32 v16, 0x1c0, v91
	v_or_b32_e32 v16, 63, v16
	v_cmp_eq_u32_e64 s[28:29], v16, v38
	v_cmp_lt_u32_e64 s[34:35], 63, v38
	v_cndmask_b32_e32 v16, v94, v90, vcc
	v_cmp_eq_u32_e64 s[38:39], 0, v38
	v_and_b32_e32 v38, 60, v95
	s_mov_b32 s54, 32
	v_add_u32_e32 v48, 32, v89
	s_mov_b32 s55, 0
	v_cmp_eq_u32_e64 s[16:17], 0, v97
	v_cmp_lt_u32_e64 s[18:19], 1, v97
	v_cmp_lt_u32_e64 s[20:21], 3, v97
	;; [unrolled: 1-line block ×3, first 2 shown]
	v_cmp_eq_u32_e64 s[24:25], 0, v98
	v_cmp_lt_u32_e64 s[26:27], 31, v90
	v_lshlrev_b32_e32 v50, 2, v16
	v_cmp_eq_u32_e64 s[36:37], 0, v90
	v_cmp_eq_u32_e64 s[40:41], 0, v93
	v_cmp_lt_u32_e64 s[42:43], 1, v93
	v_cmp_lt_u32_e64 s[44:45], 3, v93
	v_add_u32_e32 v51, -4, v38
	v_lshlrev_b32_e32 v52, 2, v92
	v_lshlrev_b32_e32 v53, 3, v92
	v_mov_b32_e32 v32, 0
	s_branch .LBB125_67
.LBB125_66:                             ;   in Loop: Header=BB125_67 Depth=1
	v_lshlrev_b32_e32 v0, 2, v33
	s_barrier
	ds_write_b32 v0, v61
	v_lshlrev_b32_e32 v0, 2, v63
	ds_write_b32 v0, v60
	v_lshlrev_b32_e32 v0, 2, v64
	;; [unrolled: 2-line block ×8, first 2 shown]
	s_waitcnt lgkmcnt(0)
	s_barrier
	ds_read2st64_b32 v[40:41], v52 offset1:1
	ds_read2st64_b32 v[42:43], v52 offset0:2 offset1:3
	ds_read2st64_b32 v[44:45], v52 offset0:4 offset1:5
	;; [unrolled: 1-line block ×3, first 2 shown]
	s_waitcnt lgkmcnt(0)
	s_barrier
	ds_write_b64 v0, v[30:31]
	v_lshlrev_b32_e32 v0, 3, v63
	ds_write_b64 v0, v[28:29]
	v_lshlrev_b32_e32 v0, 3, v64
	;; [unrolled: 2-line block ×7, first 2 shown]
	ds_write_b64 v0, v[16:17]
	s_waitcnt lgkmcnt(0)
	s_barrier
	ds_read2st64_b64 v[0:3], v53 offset1:1
	ds_read2st64_b64 v[4:7], v53 offset0:2 offset1:3
	ds_read2st64_b64 v[8:11], v53 offset0:4 offset1:5
	;; [unrolled: 1-line block ×3, first 2 shown]
	s_add_i32 s55, s55, 8
	s_add_i32 s54, s54, -8
	s_waitcnt lgkmcnt(0)
	s_barrier
	s_cbranch_execz .LBB125_91
.LBB125_67:                             ; =>This Inner Loop Header: Depth=1
	s_min_u32 s46, s53, s54
	v_mov_b32_e32 v61, v40
	s_lshl_b32 s46, -1, s46
	v_pk_mov_b32 v[30:31], v[0:1], v[0:1] op_sel:[0,1]
	s_not_b32 s56, s46
	v_lshrrev_b32_e32 v0, s55, v61
	v_and_b32_e32 v0, s56, v0
	v_lshl_add_u32 v1, v0, 3, v49
	v_pk_mov_b32 v[26:27], v[4:5], v[4:5] op_sel:[0,1]
	v_lshl_add_u32 v4, v1, 2, 32
	v_and_b32_e32 v1, 1, v0
	v_pk_mov_b32 v[28:29], v[2:3], v[2:3] op_sel:[0,1]
	v_add_co_u32_e32 v2, vcc, -1, v1
	v_addc_co_u32_e64 v3, s[46:47], 0, -1, vcc
	v_cmp_ne_u32_e32 vcc, 0, v1
	v_lshlrev_b32_e32 v33, 30, v0
	v_xor_b32_e32 v1, vcc_hi, v3
	v_not_b32_e32 v3, v33
	v_xor_b32_e32 v2, vcc_lo, v2
	v_cmp_gt_i64_e32 vcc, 0, v[32:33]
	v_ashrrev_i32_e32 v3, 31, v3
	v_and_b32_e32 v2, exec_lo, v2
	v_xor_b32_e32 v5, vcc_hi, v3
	v_xor_b32_e32 v3, vcc_lo, v3
	v_lshlrev_b32_e32 v33, 29, v0
	v_and_b32_e32 v2, v2, v3
	v_not_b32_e32 v3, v33
	v_and_b32_e32 v1, exec_hi, v1
	v_cmp_gt_i64_e32 vcc, 0, v[32:33]
	v_ashrrev_i32_e32 v3, 31, v3
	v_and_b32_e32 v1, v1, v5
	v_xor_b32_e32 v5, vcc_hi, v3
	v_xor_b32_e32 v3, vcc_lo, v3
	v_lshlrev_b32_e32 v33, 28, v0
	v_and_b32_e32 v2, v2, v3
	v_not_b32_e32 v3, v33
	v_cmp_gt_i64_e32 vcc, 0, v[32:33]
	v_ashrrev_i32_e32 v3, 31, v3
	v_and_b32_e32 v1, v1, v5
	v_xor_b32_e32 v5, vcc_hi, v3
	v_xor_b32_e32 v3, vcc_lo, v3
	v_lshlrev_b32_e32 v33, 27, v0
	v_and_b32_e32 v2, v2, v3
	v_not_b32_e32 v3, v33
	;; [unrolled: 8-line block ×3, first 2 shown]
	v_cmp_gt_i64_e32 vcc, 0, v[32:33]
	v_ashrrev_i32_e32 v3, 31, v3
	v_and_b32_e32 v1, v1, v5
	v_xor_b32_e32 v5, vcc_hi, v3
	v_xor_b32_e32 v3, vcc_lo, v3
	v_lshlrev_b32_e32 v33, 25, v0
	v_and_b32_e32 v2, v2, v3
	v_cmp_gt_i64_e32 vcc, 0, v[32:33]
	v_not_b32_e32 v3, v33
	v_lshlrev_b32_e32 v33, 24, v0
	v_ashrrev_i32_e32 v3, 31, v3
	v_not_b32_e32 v0, v33
	v_and_b32_e32 v1, v1, v5
	v_xor_b32_e32 v5, vcc_hi, v3
	v_xor_b32_e32 v3, vcc_lo, v3
	v_cmp_gt_i64_e32 vcc, 0, v[32:33]
	v_ashrrev_i32_e32 v0, 31, v0
	v_and_b32_e32 v2, v2, v3
	v_xor_b32_e32 v3, vcc_hi, v0
	v_xor_b32_e32 v0, vcc_lo, v0
	v_and_b32_e32 v1, v1, v5
	v_and_b32_e32 v0, v2, v0
	;; [unrolled: 1-line block ×3, first 2 shown]
	v_mbcnt_lo_u32_b32 v2, v0, 0
	v_mbcnt_hi_u32_b32 v5, v1, v2
	v_cmp_eq_u32_e32 vcc, 0, v5
	v_cmp_ne_u64_e64 s[46:47], 0, v[0:1]
	v_mov_b32_e32 v54, v47
	v_mov_b32_e32 v55, v46
	;; [unrolled: 1-line block ×7, first 2 shown]
	v_pk_mov_b32 v[16:17], v[14:15], v[14:15] op_sel:[0,1]
	v_pk_mov_b32 v[18:19], v[12:13], v[12:13] op_sel:[0,1]
	;; [unrolled: 1-line block ×5, first 2 shown]
	s_and_b64 s[58:59], s[46:47], vcc
	ds_write2_b32 v89, v32, v32 offset0:8 offset1:9
	ds_write2_b32 v48, v32, v32 offset0:2 offset1:3
	s_waitcnt lgkmcnt(0)
	s_barrier
	s_waitcnt lgkmcnt(0)
	; wave barrier
	s_and_saveexec_b64 s[46:47], s[58:59]
	s_cbranch_execz .LBB125_69
; %bb.68:                               ;   in Loop: Header=BB125_67 Depth=1
	v_bcnt_u32_b32 v0, v0, 0
	v_bcnt_u32_b32 v0, v1, v0
	ds_write_b32 v4, v0
.LBB125_69:                             ;   in Loop: Header=BB125_67 Depth=1
	s_or_b64 exec, exec, s[46:47]
	v_lshrrev_b32_e32 v0, s55, v60
	v_and_b32_e32 v0, s56, v0
	v_lshlrev_b32_e32 v1, 3, v0
	v_add_lshl_u32 v1, v1, v49, 2
	; wave barrier
	v_add_u32_e32 v7, 32, v1
	ds_read_b32 v6, v1 offset:32
	v_and_b32_e32 v1, 1, v0
	v_add_co_u32_e32 v2, vcc, -1, v1
	v_addc_co_u32_e64 v3, s[46:47], 0, -1, vcc
	v_cmp_ne_u32_e32 vcc, 0, v1
	v_lshlrev_b32_e32 v33, 30, v0
	v_xor_b32_e32 v1, vcc_hi, v3
	v_not_b32_e32 v3, v33
	v_xor_b32_e32 v2, vcc_lo, v2
	v_cmp_gt_i64_e32 vcc, 0, v[32:33]
	v_ashrrev_i32_e32 v3, 31, v3
	v_and_b32_e32 v2, exec_lo, v2
	v_xor_b32_e32 v8, vcc_hi, v3
	v_xor_b32_e32 v3, vcc_lo, v3
	v_lshlrev_b32_e32 v33, 29, v0
	v_and_b32_e32 v2, v2, v3
	v_not_b32_e32 v3, v33
	v_and_b32_e32 v1, exec_hi, v1
	v_cmp_gt_i64_e32 vcc, 0, v[32:33]
	v_ashrrev_i32_e32 v3, 31, v3
	v_and_b32_e32 v1, v1, v8
	v_xor_b32_e32 v8, vcc_hi, v3
	v_xor_b32_e32 v3, vcc_lo, v3
	v_lshlrev_b32_e32 v33, 28, v0
	v_and_b32_e32 v2, v2, v3
	v_not_b32_e32 v3, v33
	v_cmp_gt_i64_e32 vcc, 0, v[32:33]
	v_ashrrev_i32_e32 v3, 31, v3
	v_and_b32_e32 v1, v1, v8
	v_xor_b32_e32 v8, vcc_hi, v3
	v_xor_b32_e32 v3, vcc_lo, v3
	v_lshlrev_b32_e32 v33, 27, v0
	v_and_b32_e32 v2, v2, v3
	v_not_b32_e32 v3, v33
	;; [unrolled: 8-line block ×3, first 2 shown]
	v_cmp_gt_i64_e32 vcc, 0, v[32:33]
	v_ashrrev_i32_e32 v3, 31, v3
	v_and_b32_e32 v1, v1, v8
	v_xor_b32_e32 v8, vcc_hi, v3
	v_xor_b32_e32 v3, vcc_lo, v3
	v_lshlrev_b32_e32 v33, 25, v0
	v_and_b32_e32 v2, v2, v3
	v_cmp_gt_i64_e32 vcc, 0, v[32:33]
	v_not_b32_e32 v3, v33
	v_lshlrev_b32_e32 v33, 24, v0
	v_ashrrev_i32_e32 v3, 31, v3
	v_not_b32_e32 v0, v33
	v_and_b32_e32 v1, v1, v8
	v_xor_b32_e32 v8, vcc_hi, v3
	v_xor_b32_e32 v3, vcc_lo, v3
	v_cmp_gt_i64_e32 vcc, 0, v[32:33]
	v_ashrrev_i32_e32 v0, 31, v0
	v_and_b32_e32 v2, v2, v3
	v_xor_b32_e32 v3, vcc_hi, v0
	v_xor_b32_e32 v0, vcc_lo, v0
	v_and_b32_e32 v1, v1, v8
	v_and_b32_e32 v0, v2, v0
	v_and_b32_e32 v1, v1, v3
	v_mbcnt_lo_u32_b32 v2, v0, 0
	v_mbcnt_hi_u32_b32 v8, v1, v2
	v_cmp_eq_u32_e32 vcc, 0, v8
	v_cmp_ne_u64_e64 s[46:47], 0, v[0:1]
	s_and_b64 s[58:59], s[46:47], vcc
	; wave barrier
	s_and_saveexec_b64 s[46:47], s[58:59]
	s_cbranch_execz .LBB125_71
; %bb.70:                               ;   in Loop: Header=BB125_67 Depth=1
	v_bcnt_u32_b32 v0, v0, 0
	v_bcnt_u32_b32 v0, v1, v0
	s_waitcnt lgkmcnt(0)
	v_add_u32_e32 v0, v6, v0
	ds_write_b32 v7, v0
.LBB125_71:                             ;   in Loop: Header=BB125_67 Depth=1
	s_or_b64 exec, exec, s[46:47]
	v_lshrrev_b32_e32 v0, s55, v59
	v_and_b32_e32 v0, s56, v0
	v_lshlrev_b32_e32 v1, 3, v0
	v_add_lshl_u32 v1, v1, v49, 2
	; wave barrier
	v_add_u32_e32 v10, 32, v1
	ds_read_b32 v9, v1 offset:32
	v_and_b32_e32 v1, 1, v0
	v_add_co_u32_e32 v2, vcc, -1, v1
	v_addc_co_u32_e64 v3, s[46:47], 0, -1, vcc
	v_cmp_ne_u32_e32 vcc, 0, v1
	v_lshlrev_b32_e32 v33, 30, v0
	v_xor_b32_e32 v1, vcc_hi, v3
	v_not_b32_e32 v3, v33
	v_xor_b32_e32 v2, vcc_lo, v2
	v_cmp_gt_i64_e32 vcc, 0, v[32:33]
	v_ashrrev_i32_e32 v3, 31, v3
	v_and_b32_e32 v2, exec_lo, v2
	v_xor_b32_e32 v11, vcc_hi, v3
	v_xor_b32_e32 v3, vcc_lo, v3
	v_lshlrev_b32_e32 v33, 29, v0
	v_and_b32_e32 v2, v2, v3
	v_not_b32_e32 v3, v33
	v_and_b32_e32 v1, exec_hi, v1
	v_cmp_gt_i64_e32 vcc, 0, v[32:33]
	v_ashrrev_i32_e32 v3, 31, v3
	v_and_b32_e32 v1, v1, v11
	v_xor_b32_e32 v11, vcc_hi, v3
	v_xor_b32_e32 v3, vcc_lo, v3
	v_lshlrev_b32_e32 v33, 28, v0
	v_and_b32_e32 v2, v2, v3
	v_not_b32_e32 v3, v33
	v_cmp_gt_i64_e32 vcc, 0, v[32:33]
	v_ashrrev_i32_e32 v3, 31, v3
	v_and_b32_e32 v1, v1, v11
	v_xor_b32_e32 v11, vcc_hi, v3
	v_xor_b32_e32 v3, vcc_lo, v3
	v_lshlrev_b32_e32 v33, 27, v0
	v_and_b32_e32 v2, v2, v3
	v_not_b32_e32 v3, v33
	;; [unrolled: 8-line block ×3, first 2 shown]
	v_cmp_gt_i64_e32 vcc, 0, v[32:33]
	v_ashrrev_i32_e32 v3, 31, v3
	v_and_b32_e32 v1, v1, v11
	v_xor_b32_e32 v11, vcc_hi, v3
	v_xor_b32_e32 v3, vcc_lo, v3
	v_lshlrev_b32_e32 v33, 25, v0
	v_and_b32_e32 v2, v2, v3
	v_cmp_gt_i64_e32 vcc, 0, v[32:33]
	v_not_b32_e32 v3, v33
	v_lshlrev_b32_e32 v33, 24, v0
	v_ashrrev_i32_e32 v3, 31, v3
	v_not_b32_e32 v0, v33
	v_and_b32_e32 v1, v1, v11
	v_xor_b32_e32 v11, vcc_hi, v3
	v_xor_b32_e32 v3, vcc_lo, v3
	v_cmp_gt_i64_e32 vcc, 0, v[32:33]
	v_ashrrev_i32_e32 v0, 31, v0
	v_and_b32_e32 v2, v2, v3
	v_xor_b32_e32 v3, vcc_hi, v0
	v_xor_b32_e32 v0, vcc_lo, v0
	v_and_b32_e32 v1, v1, v11
	v_and_b32_e32 v0, v2, v0
	;; [unrolled: 1-line block ×3, first 2 shown]
	v_mbcnt_lo_u32_b32 v2, v0, 0
	v_mbcnt_hi_u32_b32 v11, v1, v2
	v_cmp_eq_u32_e32 vcc, 0, v11
	v_cmp_ne_u64_e64 s[46:47], 0, v[0:1]
	s_and_b64 s[58:59], s[46:47], vcc
	; wave barrier
	s_and_saveexec_b64 s[46:47], s[58:59]
	s_cbranch_execz .LBB125_73
; %bb.72:                               ;   in Loop: Header=BB125_67 Depth=1
	v_bcnt_u32_b32 v0, v0, 0
	v_bcnt_u32_b32 v0, v1, v0
	s_waitcnt lgkmcnt(0)
	v_add_u32_e32 v0, v9, v0
	ds_write_b32 v10, v0
.LBB125_73:                             ;   in Loop: Header=BB125_67 Depth=1
	s_or_b64 exec, exec, s[46:47]
	v_lshrrev_b32_e32 v0, s55, v58
	v_and_b32_e32 v0, s56, v0
	v_lshlrev_b32_e32 v1, 3, v0
	v_add_lshl_u32 v1, v1, v49, 2
	; wave barrier
	v_add_u32_e32 v13, 32, v1
	ds_read_b32 v12, v1 offset:32
	v_and_b32_e32 v1, 1, v0
	v_add_co_u32_e32 v2, vcc, -1, v1
	v_addc_co_u32_e64 v3, s[46:47], 0, -1, vcc
	v_cmp_ne_u32_e32 vcc, 0, v1
	v_lshlrev_b32_e32 v33, 30, v0
	v_xor_b32_e32 v1, vcc_hi, v3
	v_not_b32_e32 v3, v33
	v_xor_b32_e32 v2, vcc_lo, v2
	v_cmp_gt_i64_e32 vcc, 0, v[32:33]
	v_ashrrev_i32_e32 v3, 31, v3
	v_and_b32_e32 v2, exec_lo, v2
	v_xor_b32_e32 v14, vcc_hi, v3
	v_xor_b32_e32 v3, vcc_lo, v3
	v_lshlrev_b32_e32 v33, 29, v0
	v_and_b32_e32 v2, v2, v3
	v_not_b32_e32 v3, v33
	v_and_b32_e32 v1, exec_hi, v1
	v_cmp_gt_i64_e32 vcc, 0, v[32:33]
	v_ashrrev_i32_e32 v3, 31, v3
	v_and_b32_e32 v1, v1, v14
	v_xor_b32_e32 v14, vcc_hi, v3
	v_xor_b32_e32 v3, vcc_lo, v3
	v_lshlrev_b32_e32 v33, 28, v0
	v_and_b32_e32 v2, v2, v3
	v_not_b32_e32 v3, v33
	v_cmp_gt_i64_e32 vcc, 0, v[32:33]
	v_ashrrev_i32_e32 v3, 31, v3
	v_and_b32_e32 v1, v1, v14
	v_xor_b32_e32 v14, vcc_hi, v3
	v_xor_b32_e32 v3, vcc_lo, v3
	v_lshlrev_b32_e32 v33, 27, v0
	v_and_b32_e32 v2, v2, v3
	v_not_b32_e32 v3, v33
	;; [unrolled: 8-line block ×3, first 2 shown]
	v_cmp_gt_i64_e32 vcc, 0, v[32:33]
	v_ashrrev_i32_e32 v3, 31, v3
	v_and_b32_e32 v1, v1, v14
	v_xor_b32_e32 v14, vcc_hi, v3
	v_xor_b32_e32 v3, vcc_lo, v3
	v_lshlrev_b32_e32 v33, 25, v0
	v_and_b32_e32 v2, v2, v3
	v_cmp_gt_i64_e32 vcc, 0, v[32:33]
	v_not_b32_e32 v3, v33
	v_lshlrev_b32_e32 v33, 24, v0
	v_ashrrev_i32_e32 v3, 31, v3
	v_not_b32_e32 v0, v33
	v_and_b32_e32 v1, v1, v14
	v_xor_b32_e32 v14, vcc_hi, v3
	v_xor_b32_e32 v3, vcc_lo, v3
	v_cmp_gt_i64_e32 vcc, 0, v[32:33]
	v_ashrrev_i32_e32 v0, 31, v0
	v_and_b32_e32 v2, v2, v3
	v_xor_b32_e32 v3, vcc_hi, v0
	v_xor_b32_e32 v0, vcc_lo, v0
	v_and_b32_e32 v1, v1, v14
	v_and_b32_e32 v0, v2, v0
	;; [unrolled: 1-line block ×3, first 2 shown]
	v_mbcnt_lo_u32_b32 v2, v0, 0
	v_mbcnt_hi_u32_b32 v14, v1, v2
	v_cmp_eq_u32_e32 vcc, 0, v14
	v_cmp_ne_u64_e64 s[46:47], 0, v[0:1]
	s_and_b64 s[58:59], s[46:47], vcc
	; wave barrier
	s_and_saveexec_b64 s[46:47], s[58:59]
	s_cbranch_execz .LBB125_75
; %bb.74:                               ;   in Loop: Header=BB125_67 Depth=1
	v_bcnt_u32_b32 v0, v0, 0
	v_bcnt_u32_b32 v0, v1, v0
	s_waitcnt lgkmcnt(0)
	v_add_u32_e32 v0, v12, v0
	ds_write_b32 v13, v0
.LBB125_75:                             ;   in Loop: Header=BB125_67 Depth=1
	s_or_b64 exec, exec, s[46:47]
	v_lshrrev_b32_e32 v0, s55, v57
	v_and_b32_e32 v0, s56, v0
	v_lshlrev_b32_e32 v1, 3, v0
	v_add_lshl_u32 v1, v1, v49, 2
	; wave barrier
	v_add_u32_e32 v40, 32, v1
	ds_read_b32 v15, v1 offset:32
	v_and_b32_e32 v1, 1, v0
	v_add_co_u32_e32 v2, vcc, -1, v1
	v_addc_co_u32_e64 v3, s[46:47], 0, -1, vcc
	v_cmp_ne_u32_e32 vcc, 0, v1
	v_lshlrev_b32_e32 v33, 30, v0
	v_xor_b32_e32 v1, vcc_hi, v3
	v_not_b32_e32 v3, v33
	v_xor_b32_e32 v2, vcc_lo, v2
	v_cmp_gt_i64_e32 vcc, 0, v[32:33]
	v_ashrrev_i32_e32 v3, 31, v3
	v_and_b32_e32 v1, exec_hi, v1
	v_xor_b32_e32 v33, vcc_hi, v3
	v_and_b32_e32 v2, exec_lo, v2
	v_xor_b32_e32 v3, vcc_lo, v3
	v_and_b32_e32 v1, v1, v33
	v_lshlrev_b32_e32 v33, 29, v0
	v_and_b32_e32 v2, v2, v3
	v_not_b32_e32 v3, v33
	v_cmp_gt_i64_e32 vcc, 0, v[32:33]
	v_ashrrev_i32_e32 v3, 31, v3
	v_xor_b32_e32 v33, vcc_hi, v3
	v_xor_b32_e32 v3, vcc_lo, v3
	v_and_b32_e32 v1, v1, v33
	v_lshlrev_b32_e32 v33, 28, v0
	v_and_b32_e32 v2, v2, v3
	v_not_b32_e32 v3, v33
	v_cmp_gt_i64_e32 vcc, 0, v[32:33]
	v_ashrrev_i32_e32 v3, 31, v3
	v_xor_b32_e32 v33, vcc_hi, v3
	;; [unrolled: 8-line block ×5, first 2 shown]
	v_and_b32_e32 v1, v1, v33
	v_lshlrev_b32_e32 v33, 24, v0
	v_not_b32_e32 v0, v33
	v_xor_b32_e32 v3, vcc_lo, v3
	v_cmp_gt_i64_e32 vcc, 0, v[32:33]
	v_ashrrev_i32_e32 v0, 31, v0
	v_and_b32_e32 v2, v2, v3
	v_xor_b32_e32 v3, vcc_hi, v0
	v_xor_b32_e32 v0, vcc_lo, v0
	v_and_b32_e32 v0, v2, v0
	v_and_b32_e32 v1, v1, v3
	v_mbcnt_lo_u32_b32 v2, v0, 0
	v_mbcnt_hi_u32_b32 v41, v1, v2
	v_cmp_eq_u32_e32 vcc, 0, v41
	v_cmp_ne_u64_e64 s[46:47], 0, v[0:1]
	s_and_b64 s[58:59], s[46:47], vcc
	; wave barrier
	s_and_saveexec_b64 s[46:47], s[58:59]
	s_cbranch_execz .LBB125_77
; %bb.76:                               ;   in Loop: Header=BB125_67 Depth=1
	v_bcnt_u32_b32 v0, v0, 0
	v_bcnt_u32_b32 v0, v1, v0
	s_waitcnt lgkmcnt(0)
	v_add_u32_e32 v0, v15, v0
	ds_write_b32 v40, v0
.LBB125_77:                             ;   in Loop: Header=BB125_67 Depth=1
	s_or_b64 exec, exec, s[46:47]
	v_lshrrev_b32_e32 v0, s55, v56
	v_and_b32_e32 v0, s56, v0
	v_lshlrev_b32_e32 v1, 3, v0
	v_add_lshl_u32 v1, v1, v49, 2
	; wave barrier
	v_add_u32_e32 v43, 32, v1
	ds_read_b32 v42, v1 offset:32
	v_and_b32_e32 v1, 1, v0
	v_add_co_u32_e32 v2, vcc, -1, v1
	v_addc_co_u32_e64 v3, s[46:47], 0, -1, vcc
	v_cmp_ne_u32_e32 vcc, 0, v1
	v_lshlrev_b32_e32 v33, 30, v0
	v_xor_b32_e32 v1, vcc_hi, v3
	v_not_b32_e32 v3, v33
	v_xor_b32_e32 v2, vcc_lo, v2
	v_cmp_gt_i64_e32 vcc, 0, v[32:33]
	v_ashrrev_i32_e32 v3, 31, v3
	v_and_b32_e32 v1, exec_hi, v1
	v_xor_b32_e32 v33, vcc_hi, v3
	v_and_b32_e32 v2, exec_lo, v2
	v_xor_b32_e32 v3, vcc_lo, v3
	v_and_b32_e32 v1, v1, v33
	v_lshlrev_b32_e32 v33, 29, v0
	v_and_b32_e32 v2, v2, v3
	v_not_b32_e32 v3, v33
	v_cmp_gt_i64_e32 vcc, 0, v[32:33]
	v_ashrrev_i32_e32 v3, 31, v3
	v_xor_b32_e32 v33, vcc_hi, v3
	v_xor_b32_e32 v3, vcc_lo, v3
	v_and_b32_e32 v1, v1, v33
	v_lshlrev_b32_e32 v33, 28, v0
	v_and_b32_e32 v2, v2, v3
	v_not_b32_e32 v3, v33
	v_cmp_gt_i64_e32 vcc, 0, v[32:33]
	v_ashrrev_i32_e32 v3, 31, v3
	v_xor_b32_e32 v33, vcc_hi, v3
	v_xor_b32_e32 v3, vcc_lo, v3
	v_and_b32_e32 v1, v1, v33
	v_lshlrev_b32_e32 v33, 27, v0
	v_and_b32_e32 v2, v2, v3
	v_not_b32_e32 v3, v33
	v_cmp_gt_i64_e32 vcc, 0, v[32:33]
	v_ashrrev_i32_e32 v3, 31, v3
	v_xor_b32_e32 v33, vcc_hi, v3
	v_xor_b32_e32 v3, vcc_lo, v3
	v_and_b32_e32 v1, v1, v33
	v_lshlrev_b32_e32 v33, 26, v0
	v_and_b32_e32 v2, v2, v3
	v_not_b32_e32 v3, v33
	v_cmp_gt_i64_e32 vcc, 0, v[32:33]
	v_ashrrev_i32_e32 v3, 31, v3
	v_xor_b32_e32 v33, vcc_hi, v3
	v_xor_b32_e32 v3, vcc_lo, v3
	v_and_b32_e32 v1, v1, v33
	v_lshlrev_b32_e32 v33, 25, v0
	v_and_b32_e32 v2, v2, v3
	v_not_b32_e32 v3, v33
	v_cmp_gt_i64_e32 vcc, 0, v[32:33]
	v_ashrrev_i32_e32 v3, 31, v3
	v_xor_b32_e32 v33, vcc_hi, v3
	v_and_b32_e32 v1, v1, v33
	v_lshlrev_b32_e32 v33, 24, v0
	v_not_b32_e32 v0, v33
	v_xor_b32_e32 v3, vcc_lo, v3
	v_cmp_gt_i64_e32 vcc, 0, v[32:33]
	v_ashrrev_i32_e32 v0, 31, v0
	v_and_b32_e32 v2, v2, v3
	v_xor_b32_e32 v3, vcc_hi, v0
	v_xor_b32_e32 v0, vcc_lo, v0
	v_and_b32_e32 v0, v2, v0
	v_and_b32_e32 v1, v1, v3
	v_mbcnt_lo_u32_b32 v2, v0, 0
	v_mbcnt_hi_u32_b32 v44, v1, v2
	v_cmp_eq_u32_e32 vcc, 0, v44
	v_cmp_ne_u64_e64 s[46:47], 0, v[0:1]
	s_and_b64 s[58:59], s[46:47], vcc
	; wave barrier
	s_and_saveexec_b64 s[46:47], s[58:59]
	s_cbranch_execz .LBB125_79
; %bb.78:                               ;   in Loop: Header=BB125_67 Depth=1
	v_bcnt_u32_b32 v0, v0, 0
	v_bcnt_u32_b32 v0, v1, v0
	s_waitcnt lgkmcnt(0)
	v_add_u32_e32 v0, v42, v0
	ds_write_b32 v43, v0
.LBB125_79:                             ;   in Loop: Header=BB125_67 Depth=1
	s_or_b64 exec, exec, s[46:47]
	v_lshrrev_b32_e32 v0, s55, v55
	v_and_b32_e32 v0, s56, v0
	v_lshlrev_b32_e32 v1, 3, v0
	v_add_lshl_u32 v1, v1, v49, 2
	; wave barrier
	v_add_u32_e32 v46, 32, v1
	ds_read_b32 v45, v1 offset:32
	v_and_b32_e32 v1, 1, v0
	v_add_co_u32_e32 v2, vcc, -1, v1
	v_addc_co_u32_e64 v3, s[46:47], 0, -1, vcc
	v_cmp_ne_u32_e32 vcc, 0, v1
	v_lshlrev_b32_e32 v33, 30, v0
	v_xor_b32_e32 v1, vcc_hi, v3
	v_not_b32_e32 v3, v33
	v_xor_b32_e32 v2, vcc_lo, v2
	v_cmp_gt_i64_e32 vcc, 0, v[32:33]
	v_ashrrev_i32_e32 v3, 31, v3
	v_and_b32_e32 v1, exec_hi, v1
	v_xor_b32_e32 v33, vcc_hi, v3
	v_and_b32_e32 v2, exec_lo, v2
	v_xor_b32_e32 v3, vcc_lo, v3
	v_and_b32_e32 v1, v1, v33
	v_lshlrev_b32_e32 v33, 29, v0
	v_and_b32_e32 v2, v2, v3
	v_not_b32_e32 v3, v33
	v_cmp_gt_i64_e32 vcc, 0, v[32:33]
	v_ashrrev_i32_e32 v3, 31, v3
	v_xor_b32_e32 v33, vcc_hi, v3
	v_xor_b32_e32 v3, vcc_lo, v3
	v_and_b32_e32 v1, v1, v33
	v_lshlrev_b32_e32 v33, 28, v0
	v_and_b32_e32 v2, v2, v3
	v_not_b32_e32 v3, v33
	v_cmp_gt_i64_e32 vcc, 0, v[32:33]
	v_ashrrev_i32_e32 v3, 31, v3
	v_xor_b32_e32 v33, vcc_hi, v3
	;; [unrolled: 8-line block ×5, first 2 shown]
	v_and_b32_e32 v1, v1, v33
	v_lshlrev_b32_e32 v33, 24, v0
	v_not_b32_e32 v0, v33
	v_xor_b32_e32 v3, vcc_lo, v3
	v_cmp_gt_i64_e32 vcc, 0, v[32:33]
	v_ashrrev_i32_e32 v0, 31, v0
	v_and_b32_e32 v2, v2, v3
	v_xor_b32_e32 v3, vcc_hi, v0
	v_xor_b32_e32 v0, vcc_lo, v0
	v_and_b32_e32 v0, v2, v0
	v_and_b32_e32 v1, v1, v3
	v_mbcnt_lo_u32_b32 v2, v0, 0
	v_mbcnt_hi_u32_b32 v47, v1, v2
	v_cmp_eq_u32_e32 vcc, 0, v47
	v_cmp_ne_u64_e64 s[46:47], 0, v[0:1]
	s_and_b64 s[58:59], s[46:47], vcc
	; wave barrier
	s_and_saveexec_b64 s[46:47], s[58:59]
	s_cbranch_execz .LBB125_81
; %bb.80:                               ;   in Loop: Header=BB125_67 Depth=1
	v_bcnt_u32_b32 v0, v0, 0
	v_bcnt_u32_b32 v0, v1, v0
	s_waitcnt lgkmcnt(0)
	v_add_u32_e32 v0, v45, v0
	ds_write_b32 v46, v0
.LBB125_81:                             ;   in Loop: Header=BB125_67 Depth=1
	s_or_b64 exec, exec, s[46:47]
	v_lshrrev_b32_e32 v0, s55, v54
	v_and_b32_e32 v0, s56, v0
	v_lshlrev_b32_e32 v1, 3, v0
	v_add_lshl_u32 v1, v1, v49, 2
	; wave barrier
	v_add_u32_e32 v63, 32, v1
	ds_read_b32 v62, v1 offset:32
	v_and_b32_e32 v1, 1, v0
	v_add_co_u32_e32 v2, vcc, -1, v1
	v_addc_co_u32_e64 v3, s[46:47], 0, -1, vcc
	v_cmp_ne_u32_e32 vcc, 0, v1
	v_lshlrev_b32_e32 v33, 30, v0
	v_xor_b32_e32 v1, vcc_hi, v3
	v_not_b32_e32 v3, v33
	v_xor_b32_e32 v2, vcc_lo, v2
	v_cmp_gt_i64_e32 vcc, 0, v[32:33]
	v_ashrrev_i32_e32 v3, 31, v3
	v_and_b32_e32 v1, exec_hi, v1
	v_xor_b32_e32 v33, vcc_hi, v3
	v_and_b32_e32 v2, exec_lo, v2
	v_xor_b32_e32 v3, vcc_lo, v3
	v_and_b32_e32 v1, v1, v33
	v_lshlrev_b32_e32 v33, 29, v0
	v_and_b32_e32 v2, v2, v3
	v_not_b32_e32 v3, v33
	v_cmp_gt_i64_e32 vcc, 0, v[32:33]
	v_ashrrev_i32_e32 v3, 31, v3
	v_xor_b32_e32 v33, vcc_hi, v3
	v_xor_b32_e32 v3, vcc_lo, v3
	v_and_b32_e32 v1, v1, v33
	v_lshlrev_b32_e32 v33, 28, v0
	v_and_b32_e32 v2, v2, v3
	v_not_b32_e32 v3, v33
	v_cmp_gt_i64_e32 vcc, 0, v[32:33]
	v_ashrrev_i32_e32 v3, 31, v3
	v_xor_b32_e32 v33, vcc_hi, v3
	;; [unrolled: 8-line block ×5, first 2 shown]
	v_and_b32_e32 v1, v1, v33
	v_lshlrev_b32_e32 v33, 24, v0
	v_not_b32_e32 v0, v33
	v_xor_b32_e32 v3, vcc_lo, v3
	v_cmp_gt_i64_e32 vcc, 0, v[32:33]
	v_ashrrev_i32_e32 v0, 31, v0
	v_and_b32_e32 v2, v2, v3
	v_xor_b32_e32 v3, vcc_hi, v0
	v_xor_b32_e32 v0, vcc_lo, v0
	v_and_b32_e32 v0, v2, v0
	v_and_b32_e32 v1, v1, v3
	v_mbcnt_lo_u32_b32 v2, v0, 0
	v_mbcnt_hi_u32_b32 v69, v1, v2
	v_cmp_eq_u32_e32 vcc, 0, v69
	v_cmp_ne_u64_e64 s[46:47], 0, v[0:1]
	s_and_b64 s[56:57], s[46:47], vcc
	; wave barrier
	s_and_saveexec_b64 s[46:47], s[56:57]
	s_cbranch_execz .LBB125_83
; %bb.82:                               ;   in Loop: Header=BB125_67 Depth=1
	v_bcnt_u32_b32 v0, v0, 0
	v_bcnt_u32_b32 v0, v1, v0
	s_waitcnt lgkmcnt(0)
	v_add_u32_e32 v0, v62, v0
	ds_write_b32 v63, v0
.LBB125_83:                             ;   in Loop: Header=BB125_67 Depth=1
	s_or_b64 exec, exec, s[46:47]
	; wave barrier
	s_waitcnt lgkmcnt(0)
	s_barrier
	ds_read2_b32 v[2:3], v89 offset0:8 offset1:9
	ds_read2_b32 v[0:1], v48 offset0:2 offset1:3
	s_waitcnt lgkmcnt(1)
	v_add_u32_e32 v33, v3, v2
	s_waitcnt lgkmcnt(0)
	v_add3_u32 v1, v33, v0, v1
	s_nop 1
	v_mov_b32_dpp v33, v1 row_shr:1 row_mask:0xf bank_mask:0xf
	v_cndmask_b32_e64 v33, v33, 0, s[16:17]
	v_add_u32_e32 v1, v33, v1
	s_nop 1
	v_mov_b32_dpp v33, v1 row_shr:2 row_mask:0xf bank_mask:0xf
	v_cndmask_b32_e64 v33, 0, v33, s[18:19]
	v_add_u32_e32 v1, v1, v33
	;; [unrolled: 4-line block ×4, first 2 shown]
	s_nop 1
	v_mov_b32_dpp v33, v1 row_bcast:15 row_mask:0xf bank_mask:0xf
	v_cndmask_b32_e64 v33, v33, 0, s[24:25]
	v_add_u32_e32 v1, v1, v33
	s_nop 1
	v_mov_b32_dpp v33, v1 row_bcast:31 row_mask:0xf bank_mask:0xf
	v_cndmask_b32_e64 v33, 0, v33, s[26:27]
	v_add_u32_e32 v1, v1, v33
	s_and_saveexec_b64 s[46:47], s[28:29]
	s_cbranch_execz .LBB125_85
; %bb.84:                               ;   in Loop: Header=BB125_67 Depth=1
	ds_write_b32 v38, v1
.LBB125_85:                             ;   in Loop: Header=BB125_67 Depth=1
	s_or_b64 exec, exec, s[46:47]
	s_waitcnt lgkmcnt(0)
	s_barrier
	s_and_saveexec_b64 s[46:47], s[30:31]
	s_cbranch_execz .LBB125_87
; %bb.86:                               ;   in Loop: Header=BB125_67 Depth=1
	ds_read_b32 v33, v88
	s_waitcnt lgkmcnt(0)
	s_nop 0
	v_mov_b32_dpp v64, v33 row_shr:1 row_mask:0xf bank_mask:0xf
	v_cndmask_b32_e64 v64, v64, 0, s[40:41]
	v_add_u32_e32 v33, v64, v33
	s_nop 1
	v_mov_b32_dpp v64, v33 row_shr:2 row_mask:0xf bank_mask:0xf
	v_cndmask_b32_e64 v64, 0, v64, s[42:43]
	v_add_u32_e32 v33, v33, v64
	;; [unrolled: 4-line block ×3, first 2 shown]
	ds_write_b32 v88, v33
.LBB125_87:                             ;   in Loop: Header=BB125_67 Depth=1
	s_or_b64 exec, exec, s[46:47]
	v_mov_b32_e32 v33, 0
	s_waitcnt lgkmcnt(0)
	s_barrier
	s_and_saveexec_b64 s[46:47], s[34:35]
	s_cbranch_execz .LBB125_89
; %bb.88:                               ;   in Loop: Header=BB125_67 Depth=1
	ds_read_b32 v33, v51
.LBB125_89:                             ;   in Loop: Header=BB125_67 Depth=1
	s_or_b64 exec, exec, s[46:47]
	s_waitcnt lgkmcnt(0)
	v_add_u32_e32 v1, v33, v1
	ds_bpermute_b32 v1, v50, v1
	s_cmp_gt_u32 s55, 23
	s_waitcnt lgkmcnt(0)
	v_cndmask_b32_e64 v1, v1, v33, s[36:37]
	v_cndmask_b32_e64 v1, v1, 0, s[38:39]
	v_add_u32_e32 v2, v1, v2
	v_add_u32_e32 v3, v2, v3
	v_add_u32_e32 v0, v3, v0
	ds_write2_b32 v89, v1, v2 offset0:8 offset1:9
	ds_write2_b32 v48, v3, v0 offset0:2 offset1:3
	s_waitcnt lgkmcnt(0)
	s_barrier
	ds_read_b32 v0, v4
	ds_read_b32 v1, v7
	;; [unrolled: 1-line block ×8, first 2 shown]
	s_waitcnt lgkmcnt(7)
	v_add_u32_e32 v33, v0, v5
	s_waitcnt lgkmcnt(6)
	v_add3_u32 v63, v8, v6, v1
	s_waitcnt lgkmcnt(5)
	v_add3_u32 v64, v11, v9, v2
	;; [unrolled: 2-line block ×7, first 2 shown]
	s_cbranch_scc0 .LBB125_66
; %bb.90:
                                        ; implicit-def: $vgpr47
                                        ; implicit-def: $vgpr45
                                        ; implicit-def: $vgpr43
                                        ; implicit-def: $vgpr41
                                        ; implicit-def: $vgpr14_vgpr15
                                        ; implicit-def: $vgpr10_vgpr11
                                        ; implicit-def: $vgpr6_vgpr7
                                        ; implicit-def: $vgpr2_vgpr3
                                        ; implicit-def: $sgpr55
                                        ; implicit-def: $sgpr54
.LBB125_91:
	v_lshlrev_b32_e32 v0, 2, v33
	s_barrier
	ds_write_b32 v0, v61
	v_lshlrev_b32_e32 v0, 2, v63
	ds_write_b32 v0, v60
	v_lshlrev_b32_e32 v0, 2, v64
	ds_write_b32 v0, v59
	v_lshlrev_b32_e32 v0, 2, v65
	ds_write_b32 v0, v58
	v_lshlrev_b32_e32 v0, 2, v66
	ds_write_b32 v0, v57
	v_lshlrev_b32_e32 v0, 2, v67
	ds_write_b32 v0, v56
	v_lshlrev_b32_e32 v0, 2, v68
	ds_write_b32 v0, v55
	v_lshlrev_b32_e32 v0, 2, v62
	v_lshlrev_b32_e32 v6, 2, v87
	v_lshlrev_b32_e32 v8, 3, v33
	;; [unrolled: 1-line block ×3, first 2 shown]
	ds_write_b32 v0, v54
	s_waitcnt lgkmcnt(0)
	s_barrier
	v_lshlrev_b32_e32 v9, 3, v63
	v_lshlrev_b32_e32 v10, 3, v64
	;; [unrolled: 1-line block ×7, first 2 shown]
	ds_read2_b32 v[0:1], v6 offset1:1
	ds_read2_b32 v[2:3], v6 offset0:2 offset1:3
	ds_read2_b32 v[4:5], v6 offset0:4 offset1:5
	;; [unrolled: 1-line block ×3, first 2 shown]
	s_waitcnt lgkmcnt(0)
	s_barrier
	ds_write_b64 v8, v[30:31]
	ds_write_b64 v9, v[28:29]
	ds_write_b64 v10, v[26:27]
	ds_write_b64 v11, v[24:25]
	ds_write_b64 v12, v[22:23]
	ds_write_b64 v13, v[20:21]
	ds_write_b64 v14, v[18:19]
	ds_write_b64 v15, v[16:17]
	s_waitcnt lgkmcnt(0)
	s_barrier
	ds_read2_b64 v[18:21], v32 offset1:1
	ds_read2_b64 v[22:25], v32 offset0:2 offset1:3
	ds_read2_b64 v[26:29], v32 offset0:4 offset1:5
	;; [unrolled: 1-line block ×3, first 2 shown]
	v_xor_b32_e32 v62, 0x7fffffff, v0
	v_xor_b32_e32 v64, 0x7fffffff, v1
	;; [unrolled: 1-line block ×8, first 2 shown]
.LBB125_92:
	s_waitcnt lgkmcnt(0)
	s_barrier
	ds_write2_b32 v78, v62, v64 offset1:1
	ds_write2_b32 v78, v63, v65 offset0:2 offset1:3
	ds_write2_b32 v78, v66, v0 offset0:4 offset1:5
	;; [unrolled: 1-line block ×3, first 2 shown]
	s_waitcnt lgkmcnt(0)
	s_barrier
	ds_read_b32 v8, v35 offset:2048
	ds_read_b32 v7, v72 offset:4096
	;; [unrolled: 1-line block ×7, first 2 shown]
	v_mov_b32_e32 v35, 0
	v_lshlrev_b64 v[0:1], 2, v[34:35]
	v_mov_b32_e32 v9, s48
	v_add_co_u32_e32 v0, vcc, s33, v0
	v_addc_co_u32_e32 v1, vcc, v9, v1, vcc
	s_and_saveexec_b64 s[16:17], s[0:1]
	s_cbranch_execnz .LBB125_111
; %bb.93:
	s_or_b64 exec, exec, s[16:17]
	s_and_saveexec_b64 s[16:17], s[2:3]
	s_cbranch_execnz .LBB125_112
.LBB125_94:
	s_or_b64 exec, exec, s[16:17]
	s_and_saveexec_b64 s[16:17], s[4:5]
	s_cbranch_execnz .LBB125_113
.LBB125_95:
	s_or_b64 exec, exec, s[16:17]
	s_and_saveexec_b64 s[16:17], s[6:7]
	s_cbranch_execnz .LBB125_114
.LBB125_96:
	s_or_b64 exec, exec, s[16:17]
	s_and_saveexec_b64 s[16:17], s[8:9]
	s_cbranch_execnz .LBB125_115
.LBB125_97:
	s_or_b64 exec, exec, s[16:17]
	s_and_saveexec_b64 s[16:17], s[10:11]
	s_cbranch_execnz .LBB125_116
.LBB125_98:
	s_or_b64 exec, exec, s[16:17]
	s_and_saveexec_b64 s[16:17], s[12:13]
	s_cbranch_execnz .LBB125_117
.LBB125_99:
	s_or_b64 exec, exec, s[16:17]
	s_and_saveexec_b64 s[16:17], s[14:15]
	s_cbranch_execz .LBB125_101
.LBB125_100:
	s_mul_i32 s18, s50, 0xe00
	s_mov_b32 s19, 0
	s_lshl_b64 s[18:19], s[18:19], 2
	s_waitcnt lgkmcnt(1)
	v_mov_b32_e32 v3, s19
	v_add_co_u32_e32 v0, vcc, s18, v0
	v_addc_co_u32_e32 v1, vcc, v1, v3, vcc
	s_waitcnt lgkmcnt(0)
	global_store_dword v[0:1], v2, off
.LBB125_101:
	s_or_b64 exec, exec, s[16:17]
	s_waitcnt lgkmcnt(0)
	s_barrier
	ds_write2_b64 v86, v[18:19], v[20:21] offset1:1
	ds_write2_b64 v86, v[22:23], v[24:25] offset0:2 offset1:3
	ds_write2_b64 v86, v[26:27], v[28:29] offset0:4 offset1:5
	;; [unrolled: 1-line block ×3, first 2 shown]
	s_waitcnt lgkmcnt(0)
	s_barrier
	ds_read_b64 v[14:15], v37 offset:4096
	ds_read_b64 v[12:13], v80 offset:8192
	;; [unrolled: 1-line block ×7, first 2 shown]
	v_mov_b32_e32 v37, 0
	v_lshlrev_b64 v[2:3], 3, v[36:37]
	v_mov_b32_e32 v16, s51
	v_add_co_u32_e32 v2, vcc, s49, v2
	v_addc_co_u32_e32 v3, vcc, v16, v3, vcc
	s_and_saveexec_b64 s[16:17], s[0:1]
	s_cbranch_execnz .LBB125_118
; %bb.102:
	s_or_b64 exec, exec, s[16:17]
	s_and_saveexec_b64 s[0:1], s[2:3]
	s_cbranch_execnz .LBB125_119
.LBB125_103:
	s_or_b64 exec, exec, s[0:1]
	s_and_saveexec_b64 s[0:1], s[4:5]
	s_cbranch_execnz .LBB125_120
.LBB125_104:
	s_or_b64 exec, exec, s[0:1]
	s_and_saveexec_b64 s[0:1], s[6:7]
	s_cbranch_execnz .LBB125_121
.LBB125_105:
	s_or_b64 exec, exec, s[0:1]
	s_and_saveexec_b64 s[0:1], s[8:9]
	s_cbranch_execnz .LBB125_122
.LBB125_106:
	s_or_b64 exec, exec, s[0:1]
	s_and_saveexec_b64 s[0:1], s[10:11]
	s_cbranch_execnz .LBB125_123
.LBB125_107:
	s_or_b64 exec, exec, s[0:1]
	s_and_saveexec_b64 s[0:1], s[12:13]
	s_cbranch_execnz .LBB125_124
.LBB125_108:
	s_or_b64 exec, exec, s[0:1]
	s_and_saveexec_b64 s[0:1], s[14:15]
	s_cbranch_execz .LBB125_110
.LBB125_109:
	s_mul_i32 s0, s52, 0xe00
	s_mov_b32 s1, 0
	s_lshl_b64 s[0:1], s[0:1], 3
	s_waitcnt lgkmcnt(1)
	v_mov_b32_e32 v4, s1
	v_add_co_u32_e32 v2, vcc, s0, v2
	v_addc_co_u32_e32 v3, vcc, v3, v4, vcc
	s_waitcnt lgkmcnt(0)
	global_store_dwordx2 v[2:3], v[0:1], off
.LBB125_110:
	s_endpgm
.LBB125_111:
	ds_read_b32 v9, v39
	s_waitcnt lgkmcnt(0)
	global_store_dword v[0:1], v9, off
	s_or_b64 exec, exec, s[16:17]
	s_and_saveexec_b64 s[16:17], s[2:3]
	s_cbranch_execz .LBB125_94
.LBB125_112:
	s_lshl_b32 s18, s50, 9
	s_mov_b32 s19, 0
	s_lshl_b64 s[18:19], s[18:19], 2
	v_mov_b32_e32 v9, s19
	v_add_co_u32_e32 v10, vcc, s18, v0
	v_addc_co_u32_e32 v11, vcc, v1, v9, vcc
	s_waitcnt lgkmcnt(6)
	global_store_dword v[10:11], v8, off
	s_or_b64 exec, exec, s[16:17]
	s_and_saveexec_b64 s[16:17], s[4:5]
	s_cbranch_execz .LBB125_95
.LBB125_113:
	s_lshl_b32 s18, s50, 10
	s_mov_b32 s19, 0
	s_lshl_b64 s[18:19], s[18:19], 2
	v_mov_b32_e32 v9, s19
	s_waitcnt lgkmcnt(6)
	v_add_co_u32_e32 v8, vcc, s18, v0
	v_addc_co_u32_e32 v9, vcc, v1, v9, vcc
	s_waitcnt lgkmcnt(5)
	global_store_dword v[8:9], v7, off
	s_or_b64 exec, exec, s[16:17]
	s_and_saveexec_b64 s[16:17], s[6:7]
	s_cbranch_execz .LBB125_96
.LBB125_114:
	s_mul_i32 s18, s50, 0x600
	s_mov_b32 s19, 0
	s_lshl_b64 s[18:19], s[18:19], 2
	s_waitcnt lgkmcnt(5)
	v_mov_b32_e32 v7, s19
	v_add_co_u32_e32 v8, vcc, s18, v0
	v_addc_co_u32_e32 v9, vcc, v1, v7, vcc
	s_waitcnt lgkmcnt(4)
	global_store_dword v[8:9], v6, off
	s_or_b64 exec, exec, s[16:17]
	s_and_saveexec_b64 s[16:17], s[8:9]
	s_cbranch_execz .LBB125_97
.LBB125_115:
	s_lshl_b32 s18, s50, 11
	s_mov_b32 s19, 0
	s_lshl_b64 s[18:19], s[18:19], 2
	s_waitcnt lgkmcnt(5)
	v_mov_b32_e32 v7, s19
	s_waitcnt lgkmcnt(4)
	v_add_co_u32_e32 v6, vcc, s18, v0
	v_addc_co_u32_e32 v7, vcc, v1, v7, vcc
	s_waitcnt lgkmcnt(3)
	global_store_dword v[6:7], v5, off
	s_or_b64 exec, exec, s[16:17]
	s_and_saveexec_b64 s[16:17], s[10:11]
	s_cbranch_execz .LBB125_98
.LBB125_116:
	s_mul_i32 s18, s50, 0xa00
	s_mov_b32 s19, 0
	s_lshl_b64 s[18:19], s[18:19], 2
	s_waitcnt lgkmcnt(3)
	v_mov_b32_e32 v5, s19
	v_add_co_u32_e32 v6, vcc, s18, v0
	v_addc_co_u32_e32 v7, vcc, v1, v5, vcc
	s_waitcnt lgkmcnt(2)
	global_store_dword v[6:7], v4, off
	s_or_b64 exec, exec, s[16:17]
	s_and_saveexec_b64 s[16:17], s[12:13]
	s_cbranch_execz .LBB125_99
.LBB125_117:
	s_mul_i32 s18, s50, 0xc00
	s_mov_b32 s19, 0
	s_lshl_b64 s[18:19], s[18:19], 2
	s_waitcnt lgkmcnt(3)
	v_mov_b32_e32 v5, s19
	s_waitcnt lgkmcnt(2)
	v_add_co_u32_e32 v4, vcc, s18, v0
	v_addc_co_u32_e32 v5, vcc, v1, v5, vcc
	s_waitcnt lgkmcnt(1)
	global_store_dword v[4:5], v3, off
	s_or_b64 exec, exec, s[16:17]
	s_and_saveexec_b64 s[16:17], s[14:15]
	s_cbranch_execnz .LBB125_100
	s_branch .LBB125_101
.LBB125_118:
	ds_read_b64 v[16:17], v79
	s_waitcnt lgkmcnt(0)
	global_store_dwordx2 v[2:3], v[16:17], off
	s_or_b64 exec, exec, s[16:17]
	s_and_saveexec_b64 s[0:1], s[2:3]
	s_cbranch_execz .LBB125_103
.LBB125_119:
	s_lshl_b32 s2, s52, 9
	s_mov_b32 s3, 0
	s_lshl_b64 s[2:3], s[2:3], 3
	v_mov_b32_e32 v17, s3
	v_add_co_u32_e32 v16, vcc, s2, v2
	v_addc_co_u32_e32 v17, vcc, v3, v17, vcc
	s_waitcnt lgkmcnt(6)
	global_store_dwordx2 v[16:17], v[14:15], off
	s_or_b64 exec, exec, s[0:1]
	s_and_saveexec_b64 s[0:1], s[4:5]
	s_cbranch_execz .LBB125_104
.LBB125_120:
	s_lshl_b32 s2, s52, 10
	s_mov_b32 s3, 0
	s_lshl_b64 s[2:3], s[2:3], 3
	s_waitcnt lgkmcnt(6)
	v_mov_b32_e32 v15, s3
	v_add_co_u32_e32 v14, vcc, s2, v2
	v_addc_co_u32_e32 v15, vcc, v3, v15, vcc
	s_waitcnt lgkmcnt(5)
	global_store_dwordx2 v[14:15], v[12:13], off
	s_or_b64 exec, exec, s[0:1]
	s_and_saveexec_b64 s[0:1], s[6:7]
	s_cbranch_execz .LBB125_105
.LBB125_121:
	s_mul_i32 s2, s52, 0x600
	s_mov_b32 s3, 0
	s_lshl_b64 s[2:3], s[2:3], 3
	s_waitcnt lgkmcnt(5)
	v_mov_b32_e32 v13, s3
	v_add_co_u32_e32 v12, vcc, s2, v2
	v_addc_co_u32_e32 v13, vcc, v3, v13, vcc
	s_waitcnt lgkmcnt(4)
	global_store_dwordx2 v[12:13], v[10:11], off
	s_or_b64 exec, exec, s[0:1]
	s_and_saveexec_b64 s[0:1], s[8:9]
	s_cbranch_execz .LBB125_106
.LBB125_122:
	s_lshl_b32 s2, s52, 11
	s_mov_b32 s3, 0
	s_lshl_b64 s[2:3], s[2:3], 3
	s_waitcnt lgkmcnt(4)
	v_mov_b32_e32 v11, s3
	v_add_co_u32_e32 v10, vcc, s2, v2
	v_addc_co_u32_e32 v11, vcc, v3, v11, vcc
	s_waitcnt lgkmcnt(3)
	global_store_dwordx2 v[10:11], v[8:9], off
	s_or_b64 exec, exec, s[0:1]
	s_and_saveexec_b64 s[0:1], s[10:11]
	s_cbranch_execz .LBB125_107
.LBB125_123:
	s_mul_i32 s2, s52, 0xa00
	s_mov_b32 s3, 0
	s_lshl_b64 s[2:3], s[2:3], 3
	s_waitcnt lgkmcnt(3)
	v_mov_b32_e32 v9, s3
	v_add_co_u32_e32 v8, vcc, s2, v2
	v_addc_co_u32_e32 v9, vcc, v3, v9, vcc
	s_waitcnt lgkmcnt(2)
	global_store_dwordx2 v[8:9], v[6:7], off
	s_or_b64 exec, exec, s[0:1]
	s_and_saveexec_b64 s[0:1], s[12:13]
	s_cbranch_execz .LBB125_108
.LBB125_124:
	s_mul_i32 s2, s52, 0xc00
	s_mov_b32 s3, 0
	s_lshl_b64 s[2:3], s[2:3], 3
	s_waitcnt lgkmcnt(2)
	v_mov_b32_e32 v7, s3
	v_add_co_u32_e32 v6, vcc, s2, v2
	v_addc_co_u32_e32 v7, vcc, v3, v7, vcc
	s_waitcnt lgkmcnt(1)
	global_store_dwordx2 v[6:7], v[4:5], off
	s_or_b64 exec, exec, s[0:1]
	s_and_saveexec_b64 s[0:1], s[14:15]
	s_cbranch_execnz .LBB125_109
	s_branch .LBB125_110
	.section	.rodata,"a",@progbits
	.p2align	6, 0x0
	.amdhsa_kernel _ZN2at6native18radixSortKVInPlaceILi2ELin1ELi512ELi8EiljEEvNS_4cuda6detail10TensorInfoIT3_T5_EES6_S6_S6_NS4_IT4_S6_EES6_b
		.amdhsa_group_segment_fixed_size 33792
		.amdhsa_private_segment_fixed_size 0
		.amdhsa_kernarg_size 712
		.amdhsa_user_sgpr_count 6
		.amdhsa_user_sgpr_private_segment_buffer 1
		.amdhsa_user_sgpr_dispatch_ptr 0
		.amdhsa_user_sgpr_queue_ptr 0
		.amdhsa_user_sgpr_kernarg_segment_ptr 1
		.amdhsa_user_sgpr_dispatch_id 0
		.amdhsa_user_sgpr_flat_scratch_init 0
		.amdhsa_user_sgpr_kernarg_preload_length 0
		.amdhsa_user_sgpr_kernarg_preload_offset 0
		.amdhsa_user_sgpr_private_segment_size 0
		.amdhsa_uses_dynamic_stack 0
		.amdhsa_system_sgpr_private_segment_wavefront_offset 0
		.amdhsa_system_sgpr_workgroup_id_x 1
		.amdhsa_system_sgpr_workgroup_id_y 1
		.amdhsa_system_sgpr_workgroup_id_z 1
		.amdhsa_system_sgpr_workgroup_info 0
		.amdhsa_system_vgpr_workitem_id 2
		.amdhsa_next_free_vgpr 128
		.amdhsa_next_free_sgpr 62
		.amdhsa_accum_offset 128
		.amdhsa_reserve_vcc 1
		.amdhsa_reserve_flat_scratch 0
		.amdhsa_float_round_mode_32 0
		.amdhsa_float_round_mode_16_64 0
		.amdhsa_float_denorm_mode_32 3
		.amdhsa_float_denorm_mode_16_64 3
		.amdhsa_dx10_clamp 1
		.amdhsa_ieee_mode 1
		.amdhsa_fp16_overflow 0
		.amdhsa_tg_split 0
		.amdhsa_exception_fp_ieee_invalid_op 0
		.amdhsa_exception_fp_denorm_src 0
		.amdhsa_exception_fp_ieee_div_zero 0
		.amdhsa_exception_fp_ieee_overflow 0
		.amdhsa_exception_fp_ieee_underflow 0
		.amdhsa_exception_fp_ieee_inexact 0
		.amdhsa_exception_int_div_zero 0
	.end_amdhsa_kernel
	.section	.text._ZN2at6native18radixSortKVInPlaceILi2ELin1ELi512ELi8EiljEEvNS_4cuda6detail10TensorInfoIT3_T5_EES6_S6_S6_NS4_IT4_S6_EES6_b,"axG",@progbits,_ZN2at6native18radixSortKVInPlaceILi2ELin1ELi512ELi8EiljEEvNS_4cuda6detail10TensorInfoIT3_T5_EES6_S6_S6_NS4_IT4_S6_EES6_b,comdat
.Lfunc_end125:
	.size	_ZN2at6native18radixSortKVInPlaceILi2ELin1ELi512ELi8EiljEEvNS_4cuda6detail10TensorInfoIT3_T5_EES6_S6_S6_NS4_IT4_S6_EES6_b, .Lfunc_end125-_ZN2at6native18radixSortKVInPlaceILi2ELin1ELi512ELi8EiljEEvNS_4cuda6detail10TensorInfoIT3_T5_EES6_S6_S6_NS4_IT4_S6_EES6_b
                                        ; -- End function
	.section	.AMDGPU.csdata,"",@progbits
; Kernel info:
; codeLenInByte = 13144
; NumSgprs: 66
; NumVgprs: 128
; NumAgprs: 0
; TotalNumVgprs: 128
; ScratchSize: 0
; MemoryBound: 0
; FloatMode: 240
; IeeeMode: 1
; LDSByteSize: 33792 bytes/workgroup (compile time only)
; SGPRBlocks: 8
; VGPRBlocks: 15
; NumSGPRsForWavesPerEU: 66
; NumVGPRsForWavesPerEU: 128
; AccumOffset: 128
; Occupancy: 2
; WaveLimiterHint : 1
; COMPUTE_PGM_RSRC2:SCRATCH_EN: 0
; COMPUTE_PGM_RSRC2:USER_SGPR: 6
; COMPUTE_PGM_RSRC2:TRAP_HANDLER: 0
; COMPUTE_PGM_RSRC2:TGID_X_EN: 1
; COMPUTE_PGM_RSRC2:TGID_Y_EN: 1
; COMPUTE_PGM_RSRC2:TGID_Z_EN: 1
; COMPUTE_PGM_RSRC2:TIDIG_COMP_CNT: 2
; COMPUTE_PGM_RSRC3_GFX90A:ACCUM_OFFSET: 31
; COMPUTE_PGM_RSRC3_GFX90A:TG_SPLIT: 0
	.section	.text._ZN2at6native18radixSortKVInPlaceILi2ELin1ELi256ELi8EiljEEvNS_4cuda6detail10TensorInfoIT3_T5_EES6_S6_S6_NS4_IT4_S6_EES6_b,"axG",@progbits,_ZN2at6native18radixSortKVInPlaceILi2ELin1ELi256ELi8EiljEEvNS_4cuda6detail10TensorInfoIT3_T5_EES6_S6_S6_NS4_IT4_S6_EES6_b,comdat
	.protected	_ZN2at6native18radixSortKVInPlaceILi2ELin1ELi256ELi8EiljEEvNS_4cuda6detail10TensorInfoIT3_T5_EES6_S6_S6_NS4_IT4_S6_EES6_b ; -- Begin function _ZN2at6native18radixSortKVInPlaceILi2ELin1ELi256ELi8EiljEEvNS_4cuda6detail10TensorInfoIT3_T5_EES6_S6_S6_NS4_IT4_S6_EES6_b
	.globl	_ZN2at6native18radixSortKVInPlaceILi2ELin1ELi256ELi8EiljEEvNS_4cuda6detail10TensorInfoIT3_T5_EES6_S6_S6_NS4_IT4_S6_EES6_b
	.p2align	8
	.type	_ZN2at6native18radixSortKVInPlaceILi2ELin1ELi256ELi8EiljEEvNS_4cuda6detail10TensorInfoIT3_T5_EES6_S6_S6_NS4_IT4_S6_EES6_b,@function
_ZN2at6native18radixSortKVInPlaceILi2ELin1ELi256ELi8EiljEEvNS_4cuda6detail10TensorInfoIT3_T5_EES6_S6_S6_NS4_IT4_S6_EES6_b: ; @_ZN2at6native18radixSortKVInPlaceILi2ELin1ELi256ELi8EiljEEvNS_4cuda6detail10TensorInfoIT3_T5_EES6_S6_S6_NS4_IT4_S6_EES6_b
; %bb.0:
	s_load_dwordx2 s[0:1], s[4:5], 0x1c8
	s_load_dwordx4 s[44:47], s[4:5], 0xd8
	s_add_u32 s50, s4, 0x1c8
	s_addc_u32 s51, s5, 0
	s_waitcnt lgkmcnt(0)
	s_mul_i32 s1, s1, s8
	s_add_i32 s1, s1, s7
	s_mul_i32 s8, s1, s0
	s_add_i32 s8, s8, s6
	s_cmp_ge_u32 s8, s44
	s_cbranch_scc1 .LBB126_110
; %bb.1:
	s_load_dword s9, s[4:5], 0xc
	s_load_dwordx2 s[0:1], s[4:5], 0x6c
	s_load_dword s6, s[4:5], 0x1b8
	s_add_u32 s14, s4, 0xe8
	s_load_dwordx2 s[2:3], s[4:5], 0x0
	s_waitcnt lgkmcnt(0)
	v_cvt_f32_u32_e32 v1, s9
	s_addc_u32 s15, s5, 0
	s_sub_i32 s7, 0, s9
	s_mov_b32 s17, 0
	v_rcp_iflag_f32_e32 v1, v1
	s_mov_b32 s16, s8
	v_mul_f32_e32 v1, 0x4f7ffffe, v1
	v_cvt_u32_f32_e32 v1, v1
	v_readfirstlane_b32 s10, v1
	s_mul_i32 s7, s7, s10
	s_mul_hi_u32 s7, s10, s7
	s_add_i32 s10, s10, s7
	s_mul_hi_u32 s10, s8, s10
	s_cmp_lt_i32 s6, 2
	s_cbranch_scc1 .LBB126_4
; %bb.2:
	s_add_i32 s16, s6, -1
	s_add_i32 s11, s6, 1
	s_lshl_b64 s[6:7], s[16:17], 2
	s_add_u32 s6, s6, s14
	s_addc_u32 s7, s7, s15
	s_add_u32 s6, s6, 8
	s_addc_u32 s7, s7, 0
	s_mov_b32 s16, s8
.LBB126_3:                              ; =>This Inner Loop Header: Depth=1
	s_load_dword s12, s[6:7], 0x0
	s_load_dword s18, s[6:7], 0x64
	s_mov_b32 s13, s16
	s_waitcnt lgkmcnt(0)
	v_cvt_f32_u32_e32 v1, s12
	s_sub_i32 s16, 0, s12
	v_rcp_iflag_f32_e32 v1, v1
	v_mul_f32_e32 v1, 0x4f7ffffe, v1
	v_cvt_u32_f32_e32 v1, v1
	v_readfirstlane_b32 s19, v1
	s_mul_i32 s16, s16, s19
	s_mul_hi_u32 s16, s19, s16
	s_add_i32 s19, s19, s16
	s_mul_hi_u32 s16, s13, s19
	s_mul_i32 s19, s16, s12
	s_sub_i32 s19, s13, s19
	s_add_i32 s20, s16, 1
	s_sub_i32 s21, s19, s12
	s_cmp_ge_u32 s19, s12
	s_cselect_b32 s16, s20, s16
	s_cselect_b32 s19, s21, s19
	s_add_i32 s20, s16, 1
	s_cmp_ge_u32 s19, s12
	s_cselect_b32 s16, s20, s16
	s_mul_i32 s12, s16, s12
	s_sub_i32 s12, s13, s12
	s_mul_i32 s12, s18, s12
	s_add_i32 s11, s11, -1
	s_add_i32 s17, s12, s17
	s_add_u32 s6, s6, -4
	s_addc_u32 s7, s7, -1
	s_cmp_gt_u32 s11, 2
	s_cbranch_scc1 .LBB126_3
.LBB126_4:
	s_mul_i32 s6, s10, s9
	s_sub_i32 s6, s8, s6
	s_add_i32 s7, s10, 1
	s_sub_i32 s11, s6, s9
	s_cmp_ge_u32 s6, s9
	s_cselect_b32 s7, s7, s10
	s_cselect_b32 s6, s11, s6
	s_add_i32 s10, s7, 1
	s_cmp_ge_u32 s6, s9
	s_cselect_b32 s6, s10, s7
	s_load_dwordx2 s[48:49], s[4:5], 0x1c0
	s_mul_i32 s7, s6, s9
	s_sub_i32 s4, s8, s7
	s_mul_i32 s4, s4, s1
	s_mul_i32 s0, s6, s0
	s_add_i32 s0, s0, s4
	s_waitcnt lgkmcnt(0)
	s_bitcmp1_b32 s49, 0
	s_cselect_b64 s[34:35], -1, 0
	s_brev_b32 s1, 1
	s_and_b64 s[4:5], s[34:35], exec
	s_cselect_b32 s4, s1, 0x7fffffff
	s_mov_b32 s1, 0
	s_lshl_b64 s[0:1], s[0:1], 2
	s_mov_b32 s5, s4
	s_add_u32 s33, s2, s0
	v_and_b32_e32 v38, 0x3ff, v0
	s_mov_b32 s6, s4
	s_mov_b32 s7, s4
	;; [unrolled: 1-line block ×6, first 2 shown]
	v_pk_mov_b32 v[2:3], s[4:5], s[4:5] op_sel:[0,1]
	s_addc_u32 s47, s3, s1
	v_cmp_gt_u32_e64 s[0:1], s45, v38
	v_pk_mov_b32 v[4:5], s[6:7], s[6:7] op_sel:[0,1]
	v_pk_mov_b32 v[6:7], s[8:9], s[8:9] op_sel:[0,1]
	;; [unrolled: 1-line block ×3, first 2 shown]
	v_mov_b32_e32 v10, s4
	v_mul_lo_u32 v34, v38, s46
	s_and_saveexec_b64 s[2:3], s[0:1]
	s_cbranch_execz .LBB126_6
; %bb.5:
	v_mov_b32_e32 v35, 0
	v_lshlrev_b64 v[2:3], 2, v[34:35]
	v_mov_b32_e32 v1, s47
	v_add_co_u32_e32 v2, vcc, s33, v2
	v_addc_co_u32_e32 v3, vcc, v1, v3, vcc
	global_load_dword v10, v[2:3], off
	v_pk_mov_b32 v[2:3], s[4:5], s[4:5] op_sel:[0,1]
	v_pk_mov_b32 v[4:5], s[6:7], s[6:7] op_sel:[0,1]
	;; [unrolled: 1-line block ×4, first 2 shown]
                                        ; kill: def $vgpr2 killed $vgpr10 killed $exec
.LBB126_6:
	s_or_b64 exec, exec, s[2:3]
	v_add_u32_e32 v30, 0x100, v38
	v_cmp_gt_u32_e64 s[2:3], s45, v30
	s_and_saveexec_b64 s[4:5], s[2:3]
	s_cbranch_execz .LBB126_8
; %bb.7:
	v_mul_lo_u32 v2, v30, s46
	v_mov_b32_e32 v3, 0
	v_lshlrev_b64 v[2:3], 2, v[2:3]
	v_mov_b32_e32 v1, s47
	v_add_co_u32_e32 v2, vcc, s33, v2
	v_addc_co_u32_e32 v3, vcc, v1, v3, vcc
	global_load_dword v3, v[2:3], off
.LBB126_8:
	s_or_b64 exec, exec, s[4:5]
	v_add_u32_e32 v28, 0x200, v38
	v_cmp_gt_u32_e64 s[4:5], s45, v28
	s_and_saveexec_b64 s[6:7], s[4:5]
	s_cbranch_execz .LBB126_10
; %bb.9:
	v_mul_lo_u32 v12, v28, s46
	v_mov_b32_e32 v13, 0
	v_lshlrev_b64 v[12:13], 2, v[12:13]
	v_mov_b32_e32 v1, s47
	v_add_co_u32_e32 v12, vcc, s33, v12
	v_addc_co_u32_e32 v13, vcc, v1, v13, vcc
	global_load_dword v4, v[12:13], off
.LBB126_10:
	;; [unrolled: 14-line block ×3, first 2 shown]
	s_or_b64 exec, exec, s[8:9]
	v_or_b32_e32 v24, 0x400, v38
	v_cmp_gt_u32_e64 s[8:9], s45, v24
	s_and_saveexec_b64 s[10:11], s[8:9]
	s_cbranch_execz .LBB126_14
; %bb.13:
	v_mul_lo_u32 v12, v24, s46
	v_mov_b32_e32 v13, 0
	v_lshlrev_b64 v[12:13], 2, v[12:13]
	v_mov_b32_e32 v1, s47
	v_add_co_u32_e32 v12, vcc, s33, v12
	v_addc_co_u32_e32 v13, vcc, v1, v13, vcc
	global_load_dword v6, v[12:13], off
.LBB126_14:
	s_or_b64 exec, exec, s[10:11]
	v_add_u32_e32 v21, 0x500, v38
	v_cmp_gt_u32_e64 s[10:11], s45, v21
	s_and_saveexec_b64 s[12:13], s[10:11]
	s_cbranch_execz .LBB126_16
; %bb.15:
	v_mul_lo_u32 v12, v21, s46
	v_mov_b32_e32 v13, 0
	v_lshlrev_b64 v[12:13], 2, v[12:13]
	v_mov_b32_e32 v1, s47
	v_add_co_u32_e32 v12, vcc, s33, v12
	v_addc_co_u32_e32 v13, vcc, v1, v13, vcc
	global_load_dword v7, v[12:13], off
.LBB126_16:
	s_or_b64 exec, exec, s[12:13]
	s_load_dwordx2 s[18:19], s[14:15], 0x0
	v_add_u32_e32 v19, 0x600, v38
	v_cmp_gt_u32_e64 s[12:13], s45, v19
	s_and_saveexec_b64 s[20:21], s[12:13]
	s_cbranch_execz .LBB126_18
; %bb.17:
	v_mul_lo_u32 v12, v19, s46
	v_mov_b32_e32 v13, 0
	v_lshlrev_b64 v[12:13], 2, v[12:13]
	v_mov_b32_e32 v1, s47
	v_add_co_u32_e32 v12, vcc, s33, v12
	v_addc_co_u32_e32 v13, vcc, v1, v13, vcc
	global_load_dword v8, v[12:13], off
.LBB126_18:
	s_or_b64 exec, exec, s[20:21]
	s_load_dword s22, s[14:15], 0x6c
	v_add_u32_e32 v1, 0x700, v38
	v_cmp_gt_u32_e64 s[14:15], s45, v1
	s_and_saveexec_b64 s[20:21], s[14:15]
	s_cbranch_execz .LBB126_20
; %bb.19:
	v_mul_lo_u32 v12, v1, s46
	v_mov_b32_e32 v13, 0
	v_lshlrev_b64 v[12:13], 2, v[12:13]
	v_mov_b32_e32 v2, s47
	v_add_co_u32_e32 v12, vcc, s33, v12
	v_addc_co_u32_e32 v13, vcc, v2, v13, vcc
	global_load_dword v9, v[12:13], off
.LBB126_20:
	s_or_b64 exec, exec, s[20:21]
	v_lshrrev_b32_e32 v2, 5, v38
	v_add_u32_e32 v32, v2, v38
	v_lshrrev_b32_e32 v2, 5, v30
	v_add_u32_e32 v31, v2, v38
	;; [unrolled: 2-line block ×8, first 2 shown]
	v_lshlrev_b32_e32 v87, 3, v38
	v_lshrrev_b32_e32 v2, 2, v38
	v_add_u32_e32 v22, v2, v87
	v_lshlrev_b32_e32 v39, 2, v32
	v_lshlrev_b32_e32 v35, 2, v31
	;; [unrolled: 1-line block ×9, first 2 shown]
	s_waitcnt vmcnt(0)
	ds_write_b32 v39, v10
	ds_write_b32 v35, v3 offset:1024
	ds_write_b32 v72, v4 offset:2048
	;; [unrolled: 1-line block ×7, first 2 shown]
	s_waitcnt lgkmcnt(0)
	s_barrier
	ds_read2_b32 v[46:47], v78 offset1:1
	ds_read2_b32 v[44:45], v78 offset0:2 offset1:3
	ds_read2_b32 v[42:43], v78 offset0:4 offset1:5
	;; [unrolled: 1-line block ×3, first 2 shown]
	s_mul_i32 s16, s22, s16
	s_add_i32 s16, s16, s17
	s_mov_b32 s17, 0
	s_lshl_b64 s[20:21], s[16:17], 3
	s_add_u32 s49, s18, s20
	s_mov_b32 s16, s17
	s_addc_u32 s52, s19, s21
	s_mov_b32 s18, s17
	s_mov_b32 s19, s17
	;; [unrolled: 1-line block ×14, first 2 shown]
	v_pk_mov_b32 v[2:3], s[16:17], s[16:17] op_sel:[0,1]
	v_pk_mov_b32 v[4:5], s[18:19], s[18:19] op_sel:[0,1]
	;; [unrolled: 1-line block ×8, first 2 shown]
	v_pk_mov_b32 v[2:3], 0, 0
	v_mul_lo_u32 v36, v38, s48
	s_waitcnt lgkmcnt(0)
	s_barrier
	s_and_saveexec_b64 s[16:17], s[0:1]
	s_cbranch_execnz .LBB126_57
; %bb.21:
	s_or_b64 exec, exec, s[16:17]
	s_and_saveexec_b64 s[16:17], s[2:3]
	s_cbranch_execnz .LBB126_58
.LBB126_22:
	s_or_b64 exec, exec, s[16:17]
	s_and_saveexec_b64 s[16:17], s[4:5]
	s_cbranch_execnz .LBB126_59
.LBB126_23:
	s_or_b64 exec, exec, s[16:17]
	s_and_saveexec_b64 s[16:17], s[6:7]
	s_cbranch_execnz .LBB126_60
.LBB126_24:
	s_or_b64 exec, exec, s[16:17]
	s_and_saveexec_b64 s[16:17], s[8:9]
	s_cbranch_execnz .LBB126_61
.LBB126_25:
	s_or_b64 exec, exec, s[16:17]
	s_and_saveexec_b64 s[16:17], s[10:11]
	s_cbranch_execnz .LBB126_62
.LBB126_26:
	s_or_b64 exec, exec, s[16:17]
	s_and_saveexec_b64 s[16:17], s[12:13]
	s_cbranch_execnz .LBB126_63
.LBB126_27:
	s_or_b64 exec, exec, s[16:17]
	s_xor_b64 s[16:17], s[34:35], -1
	s_and_saveexec_b64 s[18:19], s[14:15]
	s_cbranch_execz .LBB126_29
.LBB126_28:
	v_mul_lo_u32 v16, v1, s48
	v_mov_b32_e32 v17, 0
	v_lshlrev_b64 v[16:17], 3, v[16:17]
	v_mov_b32_e32 v1, s52
	v_add_co_u32_e32 v16, vcc, s49, v16
	v_addc_co_u32_e32 v17, vcc, v1, v17, vcc
	global_load_dwordx2 v[16:17], v[16:17], off
.LBB126_29:
	s_or_b64 exec, exec, s[18:19]
	v_lshlrev_b32_e32 v79, 3, v32
	v_lshlrev_b32_e32 v37, 3, v31
	;; [unrolled: 1-line block ×9, first 2 shown]
	s_waitcnt vmcnt(0)
	ds_write_b64 v79, v[2:3]
	ds_write_b64 v37, v[4:5] offset:2048
	ds_write_b64 v80, v[6:7] offset:4096
	;; [unrolled: 1-line block ×7, first 2 shown]
	s_waitcnt lgkmcnt(0)
	s_barrier
	ds_read2_b64 v[14:17], v86 offset1:1
	ds_read2_b64 v[10:13], v86 offset0:2 offset1:3
	ds_read2_b64 v[6:9], v86 offset0:4 offset1:5
	;; [unrolled: 1-line block ×3, first 2 shown]
	v_mbcnt_lo_u32_b32 v1, -1, 0
	v_mbcnt_hi_u32_b32 v90, -1, v1
	v_and_b32_e32 v91, 0x3c0, v38
	v_add_u32_e32 v1, v90, v91
	v_lshlrev_b32_e32 v18, 3, v1
	v_lshlrev_b32_e32 v104, 5, v1
	v_and_b32_e32 v1, 0x1e00, v87
	v_or_b32_e32 v19, v90, v1
	s_mov_b32 s53, 0
	v_lshlrev_b32_e32 v103, 2, v19
	s_and_b64 vcc, exec, s[16:17]
	v_bfe_u32 v99, v0, 10, 10
	v_bfe_u32 v100, v0, 20, 10
	v_lshlrev_b32_e32 v102, 3, v18
	v_lshlrev_b32_e32 v101, 3, v19
	;; [unrolled: 1-line block ×4, first 2 shown]
	v_and_b32_e32 v97, 15, v90
	v_and_b32_e32 v98, 16, v90
	v_cmp_lt_u32_e64 s[16:17], 31, v90
	v_cmp_gt_u32_e64 s[18:19], 4, v38
	v_cmp_lt_u32_e64 s[20:21], 63, v38
	v_add_u32_e32 v94, -1, v90
	v_and_b32_e32 v96, 64, v90
	v_cmp_eq_u32_e64 s[22:23], 0, v90
	v_cmp_eq_u32_e64 s[24:25], 0, v38
	v_lshrrev_b32_e32 v95, 4, v38
	v_and_b32_e32 v93, 3, v90
	v_and_or_b32 v92, v90, 63, v1
	s_waitcnt lgkmcnt(0)
	s_barrier
	s_cbranch_vccz .LBB126_64
; %bb.30:
	v_xor_b32_e32 v0, 0x80000000, v47
	v_xor_b32_e32 v1, 0x80000000, v46
	;; [unrolled: 1-line block ×8, first 2 shown]
	ds_write2_b32 v104, v1, v0 offset1:1
	ds_write2_b32 v104, v19, v18 offset0:2 offset1:3
	ds_write2_b32 v104, v21, v20 offset0:4 offset1:5
	;; [unrolled: 1-line block ×3, first 2 shown]
	; wave barrier
	ds_read2st64_b32 v[64:65], v103 offset1:1
	ds_read2st64_b32 v[66:67], v103 offset0:2 offset1:3
	ds_read2st64_b32 v[68:69], v103 offset0:4 offset1:5
	;; [unrolled: 1-line block ×3, first 2 shown]
	s_waitcnt lgkmcnt(0)
	s_barrier
	ds_write2_b64 v102, v[14:15], v[16:17] offset1:1
	ds_write2_b64 v102, v[10:11], v[12:13] offset0:2 offset1:3
	ds_write2_b64 v102, v[6:7], v[8:9] offset0:4 offset1:5
	;; [unrolled: 1-line block ×3, first 2 shown]
	; wave barrier
	ds_read2st64_b64 v[18:21], v101 offset1:1
	ds_read2st64_b64 v[22:25], v101 offset0:2 offset1:3
	ds_read2st64_b64 v[26:29], v101 offset0:4 offset1:5
	ds_read2st64_b64 v[30:33], v101 offset0:6 offset1:7
	s_waitcnt lgkmcnt(0)
	s_barrier
	s_load_dword s28, s[50:51], 0xc
	s_getpc_b64 s[26:27]
	s_add_u32 s26, s26, _ZN7rocprim17ROCPRIM_400000_NS16block_radix_sortIiLj256ELj8ElLj1ELj1ELj0ELNS0_26block_radix_rank_algorithmE1ELNS0_18block_padding_hintE2ELNS0_4arch9wavefront6targetE1EE19radix_bits_per_passE@rel32@lo+4
	s_addc_u32 s27, s27, _ZN7rocprim17ROCPRIM_400000_NS16block_radix_sortIiLj256ELj8ElLj1ELj1ELj0ELNS0_26block_radix_rank_algorithmE1ELNS0_18block_padding_hintE2ELNS0_4arch9wavefront6targetE1EE19radix_bits_per_passE@rel32@hi+12
	s_load_dword s54, s[26:27], 0x0
	v_cmp_lt_i32_e32 vcc, v94, v96
	v_and_b32_e32 v108, 60, v95
	s_waitcnt lgkmcnt(0)
	s_lshr_b32 s26, s28, 16
	s_and_b32 s27, s28, 0xffff
	v_mad_u32_u24 v0, v100, s26, v99
	v_mad_u64_u32 v[0:1], s[26:27], v0, s27, v[38:39]
	v_lshrrev_b32_e32 v106, 6, v0
	v_min_u32_e32 v0, 0xc0, v91
	v_or_b32_e32 v0, 63, v0
	v_cmp_eq_u32_e64 s[38:39], v0, v38
	v_cndmask_b32_e32 v0, v94, v90, vcc
	v_add_u32_e32 v105, 16, v89
	v_cmp_eq_u32_e64 s[26:27], 0, v97
	v_cmp_lt_u32_e64 s[28:29], 1, v97
	v_cmp_lt_u32_e64 s[30:31], 3, v97
	;; [unrolled: 1-line block ×3, first 2 shown]
	v_cmp_eq_u32_e64 s[36:37], 0, v98
	v_lshlrev_b32_e32 v107, 2, v0
	v_cmp_eq_u32_e64 s[40:41], 0, v93
	v_cmp_lt_u32_e64 s[42:43], 1, v93
	v_add_u32_e32 v109, -4, v108
	v_lshlrev_b32_e32 v110, 2, v92
	v_lshlrev_b32_e32 v111, 3, v92
	s_mov_b32 s55, 32
	v_mov_b32_e32 v62, 0
	s_branch .LBB126_32
.LBB126_31:                             ;   in Loop: Header=BB126_32 Depth=1
	v_lshlrev_b32_e32 v18, 2, v63
	s_barrier
	ds_write_b32 v18, v119
	v_lshlrev_b32_e32 v18, 2, v121
	ds_write_b32 v18, v118
	v_lshlrev_b32_e32 v18, 2, v122
	;; [unrolled: 2-line block ×8, first 2 shown]
	s_waitcnt lgkmcnt(0)
	s_barrier
	ds_read2st64_b32 v[64:65], v110 offset1:1
	ds_read2st64_b32 v[66:67], v110 offset0:2 offset1:3
	ds_read2st64_b32 v[68:69], v110 offset0:4 offset1:5
	;; [unrolled: 1-line block ×3, first 2 shown]
	s_waitcnt lgkmcnt(0)
	s_barrier
	ds_write_b64 v18, v[60:61]
	v_lshlrev_b32_e32 v18, 3, v121
	ds_write_b64 v18, v[58:59]
	v_lshlrev_b32_e32 v18, 3, v122
	;; [unrolled: 2-line block ×7, first 2 shown]
	ds_write_b64 v18, v[0:1]
	s_waitcnt lgkmcnt(0)
	s_barrier
	ds_read2st64_b64 v[18:21], v111 offset1:1
	ds_read2st64_b64 v[22:25], v111 offset0:2 offset1:3
	ds_read2st64_b64 v[26:29], v111 offset0:4 offset1:5
	;; [unrolled: 1-line block ×3, first 2 shown]
	s_add_i32 s53, s53, 8
	s_add_i32 s55, s55, -8
	s_waitcnt lgkmcnt(0)
	s_barrier
	s_cbranch_execz .LBB126_56
.LBB126_32:                             ; =>This Inner Loop Header: Depth=1
	s_min_u32 s44, s54, s55
	v_mov_b32_e32 v119, v64
	s_lshl_b32 s44, -1, s44
	v_pk_mov_b32 v[60:61], v[18:19], v[18:19] op_sel:[0,1]
	s_not_b32 s56, s44
	v_lshrrev_b32_e32 v18, s53, v119
	v_and_b32_e32 v18, s56, v18
	v_lshl_add_u32 v19, v18, 2, v106
	v_pk_mov_b32 v[56:57], v[22:23], v[22:23] op_sel:[0,1]
	v_lshl_add_u32 v22, v19, 2, 16
	v_and_b32_e32 v19, 1, v18
	v_pk_mov_b32 v[58:59], v[20:21], v[20:21] op_sel:[0,1]
	v_add_co_u32_e32 v20, vcc, -1, v19
	v_addc_co_u32_e64 v21, s[44:45], 0, -1, vcc
	v_cmp_ne_u32_e32 vcc, 0, v19
	v_lshlrev_b32_e32 v63, 30, v18
	v_xor_b32_e32 v19, vcc_hi, v21
	v_not_b32_e32 v21, v63
	v_xor_b32_e32 v20, vcc_lo, v20
	v_cmp_gt_i64_e32 vcc, 0, v[62:63]
	v_ashrrev_i32_e32 v21, 31, v21
	v_and_b32_e32 v20, exec_lo, v20
	v_xor_b32_e32 v23, vcc_hi, v21
	v_xor_b32_e32 v21, vcc_lo, v21
	v_lshlrev_b32_e32 v63, 29, v18
	v_and_b32_e32 v20, v20, v21
	v_not_b32_e32 v21, v63
	v_and_b32_e32 v19, exec_hi, v19
	v_cmp_gt_i64_e32 vcc, 0, v[62:63]
	v_ashrrev_i32_e32 v21, 31, v21
	v_and_b32_e32 v19, v19, v23
	v_xor_b32_e32 v23, vcc_hi, v21
	v_xor_b32_e32 v21, vcc_lo, v21
	v_lshlrev_b32_e32 v63, 28, v18
	v_and_b32_e32 v20, v20, v21
	v_not_b32_e32 v21, v63
	v_cmp_gt_i64_e32 vcc, 0, v[62:63]
	v_ashrrev_i32_e32 v21, 31, v21
	v_and_b32_e32 v19, v19, v23
	v_xor_b32_e32 v23, vcc_hi, v21
	v_xor_b32_e32 v21, vcc_lo, v21
	v_lshlrev_b32_e32 v63, 27, v18
	v_and_b32_e32 v20, v20, v21
	v_not_b32_e32 v21, v63
	;; [unrolled: 8-line block ×3, first 2 shown]
	v_cmp_gt_i64_e32 vcc, 0, v[62:63]
	v_ashrrev_i32_e32 v21, 31, v21
	v_and_b32_e32 v19, v19, v23
	v_xor_b32_e32 v23, vcc_hi, v21
	v_xor_b32_e32 v21, vcc_lo, v21
	v_lshlrev_b32_e32 v63, 25, v18
	v_and_b32_e32 v20, v20, v21
	v_cmp_gt_i64_e32 vcc, 0, v[62:63]
	v_not_b32_e32 v21, v63
	v_lshlrev_b32_e32 v63, 24, v18
	v_ashrrev_i32_e32 v21, 31, v21
	v_not_b32_e32 v18, v63
	v_and_b32_e32 v19, v19, v23
	v_xor_b32_e32 v23, vcc_hi, v21
	v_xor_b32_e32 v21, vcc_lo, v21
	v_cmp_gt_i64_e32 vcc, 0, v[62:63]
	v_ashrrev_i32_e32 v18, 31, v18
	v_and_b32_e32 v20, v20, v21
	v_xor_b32_e32 v21, vcc_hi, v18
	v_xor_b32_e32 v18, vcc_lo, v18
	v_and_b32_e32 v19, v19, v23
	v_and_b32_e32 v18, v20, v18
	;; [unrolled: 1-line block ×3, first 2 shown]
	v_mbcnt_lo_u32_b32 v20, v18, 0
	v_mbcnt_hi_u32_b32 v23, v19, v20
	v_cmp_eq_u32_e32 vcc, 0, v23
	v_cmp_ne_u64_e64 s[44:45], 0, v[18:19]
	v_mov_b32_e32 v112, v71
	v_mov_b32_e32 v113, v70
	;; [unrolled: 1-line block ×7, first 2 shown]
	v_pk_mov_b32 v[0:1], v[32:33], v[32:33] op_sel:[0,1]
	v_pk_mov_b32 v[48:49], v[30:31], v[30:31] op_sel:[0,1]
	;; [unrolled: 1-line block ×5, first 2 shown]
	s_and_b64 s[58:59], s[44:45], vcc
	ds_write2_b32 v89, v62, v62 offset0:4 offset1:5
	ds_write2_b32 v105, v62, v62 offset0:2 offset1:3
	s_waitcnt lgkmcnt(0)
	s_barrier
	s_waitcnt lgkmcnt(0)
	; wave barrier
	s_and_saveexec_b64 s[44:45], s[58:59]
	s_cbranch_execz .LBB126_34
; %bb.33:                               ;   in Loop: Header=BB126_32 Depth=1
	v_bcnt_u32_b32 v18, v18, 0
	v_bcnt_u32_b32 v18, v19, v18
	ds_write_b32 v22, v18
.LBB126_34:                             ;   in Loop: Header=BB126_32 Depth=1
	s_or_b64 exec, exec, s[44:45]
	v_lshrrev_b32_e32 v18, s53, v118
	v_and_b32_e32 v18, s56, v18
	v_lshlrev_b32_e32 v19, 2, v18
	v_add_lshl_u32 v19, v19, v106, 2
	; wave barrier
	v_add_u32_e32 v25, 16, v19
	ds_read_b32 v24, v19 offset:16
	v_and_b32_e32 v19, 1, v18
	v_add_co_u32_e32 v20, vcc, -1, v19
	v_addc_co_u32_e64 v21, s[44:45], 0, -1, vcc
	v_cmp_ne_u32_e32 vcc, 0, v19
	v_lshlrev_b32_e32 v63, 30, v18
	v_xor_b32_e32 v19, vcc_hi, v21
	v_not_b32_e32 v21, v63
	v_xor_b32_e32 v20, vcc_lo, v20
	v_cmp_gt_i64_e32 vcc, 0, v[62:63]
	v_ashrrev_i32_e32 v21, 31, v21
	v_and_b32_e32 v20, exec_lo, v20
	v_xor_b32_e32 v26, vcc_hi, v21
	v_xor_b32_e32 v21, vcc_lo, v21
	v_lshlrev_b32_e32 v63, 29, v18
	v_and_b32_e32 v20, v20, v21
	v_not_b32_e32 v21, v63
	v_and_b32_e32 v19, exec_hi, v19
	v_cmp_gt_i64_e32 vcc, 0, v[62:63]
	v_ashrrev_i32_e32 v21, 31, v21
	v_and_b32_e32 v19, v19, v26
	v_xor_b32_e32 v26, vcc_hi, v21
	v_xor_b32_e32 v21, vcc_lo, v21
	v_lshlrev_b32_e32 v63, 28, v18
	v_and_b32_e32 v20, v20, v21
	v_not_b32_e32 v21, v63
	v_cmp_gt_i64_e32 vcc, 0, v[62:63]
	v_ashrrev_i32_e32 v21, 31, v21
	v_and_b32_e32 v19, v19, v26
	v_xor_b32_e32 v26, vcc_hi, v21
	v_xor_b32_e32 v21, vcc_lo, v21
	v_lshlrev_b32_e32 v63, 27, v18
	v_and_b32_e32 v20, v20, v21
	v_not_b32_e32 v21, v63
	v_cmp_gt_i64_e32 vcc, 0, v[62:63]
	v_ashrrev_i32_e32 v21, 31, v21
	v_and_b32_e32 v19, v19, v26
	v_xor_b32_e32 v26, vcc_hi, v21
	v_xor_b32_e32 v21, vcc_lo, v21
	v_lshlrev_b32_e32 v63, 26, v18
	v_and_b32_e32 v20, v20, v21
	v_not_b32_e32 v21, v63
	v_cmp_gt_i64_e32 vcc, 0, v[62:63]
	v_ashrrev_i32_e32 v21, 31, v21
	v_and_b32_e32 v19, v19, v26
	v_xor_b32_e32 v26, vcc_hi, v21
	v_xor_b32_e32 v21, vcc_lo, v21
	v_lshlrev_b32_e32 v63, 25, v18
	v_and_b32_e32 v20, v20, v21
	v_cmp_gt_i64_e32 vcc, 0, v[62:63]
	v_not_b32_e32 v21, v63
	v_lshlrev_b32_e32 v63, 24, v18
	v_ashrrev_i32_e32 v21, 31, v21
	v_not_b32_e32 v18, v63
	v_and_b32_e32 v19, v19, v26
	v_xor_b32_e32 v26, vcc_hi, v21
	v_xor_b32_e32 v21, vcc_lo, v21
	v_cmp_gt_i64_e32 vcc, 0, v[62:63]
	v_ashrrev_i32_e32 v18, 31, v18
	v_and_b32_e32 v20, v20, v21
	v_xor_b32_e32 v21, vcc_hi, v18
	v_xor_b32_e32 v18, vcc_lo, v18
	v_and_b32_e32 v19, v19, v26
	v_and_b32_e32 v18, v20, v18
	;; [unrolled: 1-line block ×3, first 2 shown]
	v_mbcnt_lo_u32_b32 v20, v18, 0
	v_mbcnt_hi_u32_b32 v26, v19, v20
	v_cmp_eq_u32_e32 vcc, 0, v26
	v_cmp_ne_u64_e64 s[44:45], 0, v[18:19]
	s_and_b64 s[58:59], s[44:45], vcc
	; wave barrier
	s_and_saveexec_b64 s[44:45], s[58:59]
	s_cbranch_execz .LBB126_36
; %bb.35:                               ;   in Loop: Header=BB126_32 Depth=1
	v_bcnt_u32_b32 v18, v18, 0
	v_bcnt_u32_b32 v18, v19, v18
	s_waitcnt lgkmcnt(0)
	v_add_u32_e32 v18, v24, v18
	ds_write_b32 v25, v18
.LBB126_36:                             ;   in Loop: Header=BB126_32 Depth=1
	s_or_b64 exec, exec, s[44:45]
	v_lshrrev_b32_e32 v18, s53, v117
	v_and_b32_e32 v18, s56, v18
	v_lshlrev_b32_e32 v19, 2, v18
	v_add_lshl_u32 v19, v19, v106, 2
	; wave barrier
	v_add_u32_e32 v28, 16, v19
	ds_read_b32 v27, v19 offset:16
	v_and_b32_e32 v19, 1, v18
	v_add_co_u32_e32 v20, vcc, -1, v19
	v_addc_co_u32_e64 v21, s[44:45], 0, -1, vcc
	v_cmp_ne_u32_e32 vcc, 0, v19
	v_lshlrev_b32_e32 v63, 30, v18
	v_xor_b32_e32 v19, vcc_hi, v21
	v_not_b32_e32 v21, v63
	v_xor_b32_e32 v20, vcc_lo, v20
	v_cmp_gt_i64_e32 vcc, 0, v[62:63]
	v_ashrrev_i32_e32 v21, 31, v21
	v_and_b32_e32 v20, exec_lo, v20
	v_xor_b32_e32 v29, vcc_hi, v21
	v_xor_b32_e32 v21, vcc_lo, v21
	v_lshlrev_b32_e32 v63, 29, v18
	v_and_b32_e32 v20, v20, v21
	v_not_b32_e32 v21, v63
	v_and_b32_e32 v19, exec_hi, v19
	v_cmp_gt_i64_e32 vcc, 0, v[62:63]
	v_ashrrev_i32_e32 v21, 31, v21
	v_and_b32_e32 v19, v19, v29
	v_xor_b32_e32 v29, vcc_hi, v21
	v_xor_b32_e32 v21, vcc_lo, v21
	v_lshlrev_b32_e32 v63, 28, v18
	v_and_b32_e32 v20, v20, v21
	v_not_b32_e32 v21, v63
	v_cmp_gt_i64_e32 vcc, 0, v[62:63]
	v_ashrrev_i32_e32 v21, 31, v21
	v_and_b32_e32 v19, v19, v29
	v_xor_b32_e32 v29, vcc_hi, v21
	v_xor_b32_e32 v21, vcc_lo, v21
	v_lshlrev_b32_e32 v63, 27, v18
	v_and_b32_e32 v20, v20, v21
	v_not_b32_e32 v21, v63
	;; [unrolled: 8-line block ×3, first 2 shown]
	v_cmp_gt_i64_e32 vcc, 0, v[62:63]
	v_ashrrev_i32_e32 v21, 31, v21
	v_and_b32_e32 v19, v19, v29
	v_xor_b32_e32 v29, vcc_hi, v21
	v_xor_b32_e32 v21, vcc_lo, v21
	v_lshlrev_b32_e32 v63, 25, v18
	v_and_b32_e32 v20, v20, v21
	v_cmp_gt_i64_e32 vcc, 0, v[62:63]
	v_not_b32_e32 v21, v63
	v_lshlrev_b32_e32 v63, 24, v18
	v_ashrrev_i32_e32 v21, 31, v21
	v_not_b32_e32 v18, v63
	v_and_b32_e32 v19, v19, v29
	v_xor_b32_e32 v29, vcc_hi, v21
	v_xor_b32_e32 v21, vcc_lo, v21
	v_cmp_gt_i64_e32 vcc, 0, v[62:63]
	v_ashrrev_i32_e32 v18, 31, v18
	v_and_b32_e32 v20, v20, v21
	v_xor_b32_e32 v21, vcc_hi, v18
	v_xor_b32_e32 v18, vcc_lo, v18
	v_and_b32_e32 v19, v19, v29
	v_and_b32_e32 v18, v20, v18
	;; [unrolled: 1-line block ×3, first 2 shown]
	v_mbcnt_lo_u32_b32 v20, v18, 0
	v_mbcnt_hi_u32_b32 v29, v19, v20
	v_cmp_eq_u32_e32 vcc, 0, v29
	v_cmp_ne_u64_e64 s[44:45], 0, v[18:19]
	s_and_b64 s[58:59], s[44:45], vcc
	; wave barrier
	s_and_saveexec_b64 s[44:45], s[58:59]
	s_cbranch_execz .LBB126_38
; %bb.37:                               ;   in Loop: Header=BB126_32 Depth=1
	v_bcnt_u32_b32 v18, v18, 0
	v_bcnt_u32_b32 v18, v19, v18
	s_waitcnt lgkmcnt(0)
	v_add_u32_e32 v18, v27, v18
	ds_write_b32 v28, v18
.LBB126_38:                             ;   in Loop: Header=BB126_32 Depth=1
	s_or_b64 exec, exec, s[44:45]
	v_lshrrev_b32_e32 v18, s53, v116
	v_and_b32_e32 v18, s56, v18
	v_lshlrev_b32_e32 v19, 2, v18
	v_add_lshl_u32 v19, v19, v106, 2
	; wave barrier
	v_add_u32_e32 v31, 16, v19
	ds_read_b32 v30, v19 offset:16
	v_and_b32_e32 v19, 1, v18
	v_add_co_u32_e32 v20, vcc, -1, v19
	v_addc_co_u32_e64 v21, s[44:45], 0, -1, vcc
	v_cmp_ne_u32_e32 vcc, 0, v19
	v_lshlrev_b32_e32 v63, 30, v18
	v_xor_b32_e32 v19, vcc_hi, v21
	v_not_b32_e32 v21, v63
	v_xor_b32_e32 v20, vcc_lo, v20
	v_cmp_gt_i64_e32 vcc, 0, v[62:63]
	v_ashrrev_i32_e32 v21, 31, v21
	v_and_b32_e32 v20, exec_lo, v20
	v_xor_b32_e32 v32, vcc_hi, v21
	v_xor_b32_e32 v21, vcc_lo, v21
	v_lshlrev_b32_e32 v63, 29, v18
	v_and_b32_e32 v20, v20, v21
	v_not_b32_e32 v21, v63
	v_and_b32_e32 v19, exec_hi, v19
	v_cmp_gt_i64_e32 vcc, 0, v[62:63]
	v_ashrrev_i32_e32 v21, 31, v21
	v_and_b32_e32 v19, v19, v32
	v_xor_b32_e32 v32, vcc_hi, v21
	v_xor_b32_e32 v21, vcc_lo, v21
	v_lshlrev_b32_e32 v63, 28, v18
	v_and_b32_e32 v20, v20, v21
	v_not_b32_e32 v21, v63
	v_cmp_gt_i64_e32 vcc, 0, v[62:63]
	v_ashrrev_i32_e32 v21, 31, v21
	v_and_b32_e32 v19, v19, v32
	v_xor_b32_e32 v32, vcc_hi, v21
	v_xor_b32_e32 v21, vcc_lo, v21
	v_lshlrev_b32_e32 v63, 27, v18
	v_and_b32_e32 v20, v20, v21
	v_not_b32_e32 v21, v63
	;; [unrolled: 8-line block ×3, first 2 shown]
	v_cmp_gt_i64_e32 vcc, 0, v[62:63]
	v_ashrrev_i32_e32 v21, 31, v21
	v_and_b32_e32 v19, v19, v32
	v_xor_b32_e32 v32, vcc_hi, v21
	v_xor_b32_e32 v21, vcc_lo, v21
	v_lshlrev_b32_e32 v63, 25, v18
	v_and_b32_e32 v20, v20, v21
	v_cmp_gt_i64_e32 vcc, 0, v[62:63]
	v_not_b32_e32 v21, v63
	v_lshlrev_b32_e32 v63, 24, v18
	v_ashrrev_i32_e32 v21, 31, v21
	v_not_b32_e32 v18, v63
	v_and_b32_e32 v19, v19, v32
	v_xor_b32_e32 v32, vcc_hi, v21
	v_xor_b32_e32 v21, vcc_lo, v21
	v_cmp_gt_i64_e32 vcc, 0, v[62:63]
	v_ashrrev_i32_e32 v18, 31, v18
	v_and_b32_e32 v20, v20, v21
	v_xor_b32_e32 v21, vcc_hi, v18
	v_xor_b32_e32 v18, vcc_lo, v18
	v_and_b32_e32 v19, v19, v32
	v_and_b32_e32 v18, v20, v18
	;; [unrolled: 1-line block ×3, first 2 shown]
	v_mbcnt_lo_u32_b32 v20, v18, 0
	v_mbcnt_hi_u32_b32 v32, v19, v20
	v_cmp_eq_u32_e32 vcc, 0, v32
	v_cmp_ne_u64_e64 s[44:45], 0, v[18:19]
	s_and_b64 s[58:59], s[44:45], vcc
	; wave barrier
	s_and_saveexec_b64 s[44:45], s[58:59]
	s_cbranch_execz .LBB126_40
; %bb.39:                               ;   in Loop: Header=BB126_32 Depth=1
	v_bcnt_u32_b32 v18, v18, 0
	v_bcnt_u32_b32 v18, v19, v18
	s_waitcnt lgkmcnt(0)
	v_add_u32_e32 v18, v30, v18
	ds_write_b32 v31, v18
.LBB126_40:                             ;   in Loop: Header=BB126_32 Depth=1
	s_or_b64 exec, exec, s[44:45]
	v_lshrrev_b32_e32 v18, s53, v115
	v_and_b32_e32 v18, s56, v18
	v_lshlrev_b32_e32 v19, 2, v18
	v_add_lshl_u32 v19, v19, v106, 2
	; wave barrier
	v_add_u32_e32 v64, 16, v19
	ds_read_b32 v33, v19 offset:16
	v_and_b32_e32 v19, 1, v18
	v_add_co_u32_e32 v20, vcc, -1, v19
	v_addc_co_u32_e64 v21, s[44:45], 0, -1, vcc
	v_cmp_ne_u32_e32 vcc, 0, v19
	v_lshlrev_b32_e32 v63, 30, v18
	v_xor_b32_e32 v19, vcc_hi, v21
	v_not_b32_e32 v21, v63
	v_xor_b32_e32 v20, vcc_lo, v20
	v_cmp_gt_i64_e32 vcc, 0, v[62:63]
	v_ashrrev_i32_e32 v21, 31, v21
	v_and_b32_e32 v19, exec_hi, v19
	v_xor_b32_e32 v63, vcc_hi, v21
	v_and_b32_e32 v20, exec_lo, v20
	v_xor_b32_e32 v21, vcc_lo, v21
	v_and_b32_e32 v19, v19, v63
	v_lshlrev_b32_e32 v63, 29, v18
	v_and_b32_e32 v20, v20, v21
	v_not_b32_e32 v21, v63
	v_cmp_gt_i64_e32 vcc, 0, v[62:63]
	v_ashrrev_i32_e32 v21, 31, v21
	v_xor_b32_e32 v63, vcc_hi, v21
	v_xor_b32_e32 v21, vcc_lo, v21
	v_and_b32_e32 v19, v19, v63
	v_lshlrev_b32_e32 v63, 28, v18
	v_and_b32_e32 v20, v20, v21
	v_not_b32_e32 v21, v63
	v_cmp_gt_i64_e32 vcc, 0, v[62:63]
	v_ashrrev_i32_e32 v21, 31, v21
	v_xor_b32_e32 v63, vcc_hi, v21
	;; [unrolled: 8-line block ×5, first 2 shown]
	v_and_b32_e32 v19, v19, v63
	v_lshlrev_b32_e32 v63, 24, v18
	v_not_b32_e32 v18, v63
	v_xor_b32_e32 v21, vcc_lo, v21
	v_cmp_gt_i64_e32 vcc, 0, v[62:63]
	v_ashrrev_i32_e32 v18, 31, v18
	v_and_b32_e32 v20, v20, v21
	v_xor_b32_e32 v21, vcc_hi, v18
	v_xor_b32_e32 v18, vcc_lo, v18
	v_and_b32_e32 v18, v20, v18
	v_and_b32_e32 v19, v19, v21
	v_mbcnt_lo_u32_b32 v20, v18, 0
	v_mbcnt_hi_u32_b32 v65, v19, v20
	v_cmp_eq_u32_e32 vcc, 0, v65
	v_cmp_ne_u64_e64 s[44:45], 0, v[18:19]
	s_and_b64 s[58:59], s[44:45], vcc
	; wave barrier
	s_and_saveexec_b64 s[44:45], s[58:59]
	s_cbranch_execz .LBB126_42
; %bb.41:                               ;   in Loop: Header=BB126_32 Depth=1
	v_bcnt_u32_b32 v18, v18, 0
	v_bcnt_u32_b32 v18, v19, v18
	s_waitcnt lgkmcnt(0)
	v_add_u32_e32 v18, v33, v18
	ds_write_b32 v64, v18
.LBB126_42:                             ;   in Loop: Header=BB126_32 Depth=1
	s_or_b64 exec, exec, s[44:45]
	v_lshrrev_b32_e32 v18, s53, v114
	v_and_b32_e32 v18, s56, v18
	v_lshlrev_b32_e32 v19, 2, v18
	v_add_lshl_u32 v19, v19, v106, 2
	; wave barrier
	v_add_u32_e32 v67, 16, v19
	ds_read_b32 v66, v19 offset:16
	v_and_b32_e32 v19, 1, v18
	v_add_co_u32_e32 v20, vcc, -1, v19
	v_addc_co_u32_e64 v21, s[44:45], 0, -1, vcc
	v_cmp_ne_u32_e32 vcc, 0, v19
	v_lshlrev_b32_e32 v63, 30, v18
	v_xor_b32_e32 v19, vcc_hi, v21
	v_not_b32_e32 v21, v63
	v_xor_b32_e32 v20, vcc_lo, v20
	v_cmp_gt_i64_e32 vcc, 0, v[62:63]
	v_ashrrev_i32_e32 v21, 31, v21
	v_and_b32_e32 v19, exec_hi, v19
	v_xor_b32_e32 v63, vcc_hi, v21
	v_and_b32_e32 v20, exec_lo, v20
	v_xor_b32_e32 v21, vcc_lo, v21
	v_and_b32_e32 v19, v19, v63
	v_lshlrev_b32_e32 v63, 29, v18
	v_and_b32_e32 v20, v20, v21
	v_not_b32_e32 v21, v63
	v_cmp_gt_i64_e32 vcc, 0, v[62:63]
	v_ashrrev_i32_e32 v21, 31, v21
	v_xor_b32_e32 v63, vcc_hi, v21
	v_xor_b32_e32 v21, vcc_lo, v21
	v_and_b32_e32 v19, v19, v63
	v_lshlrev_b32_e32 v63, 28, v18
	v_and_b32_e32 v20, v20, v21
	v_not_b32_e32 v21, v63
	v_cmp_gt_i64_e32 vcc, 0, v[62:63]
	v_ashrrev_i32_e32 v21, 31, v21
	v_xor_b32_e32 v63, vcc_hi, v21
	;; [unrolled: 8-line block ×5, first 2 shown]
	v_and_b32_e32 v19, v19, v63
	v_lshlrev_b32_e32 v63, 24, v18
	v_not_b32_e32 v18, v63
	v_xor_b32_e32 v21, vcc_lo, v21
	v_cmp_gt_i64_e32 vcc, 0, v[62:63]
	v_ashrrev_i32_e32 v18, 31, v18
	v_and_b32_e32 v20, v20, v21
	v_xor_b32_e32 v21, vcc_hi, v18
	v_xor_b32_e32 v18, vcc_lo, v18
	v_and_b32_e32 v18, v20, v18
	v_and_b32_e32 v19, v19, v21
	v_mbcnt_lo_u32_b32 v20, v18, 0
	v_mbcnt_hi_u32_b32 v68, v19, v20
	v_cmp_eq_u32_e32 vcc, 0, v68
	v_cmp_ne_u64_e64 s[44:45], 0, v[18:19]
	s_and_b64 s[58:59], s[44:45], vcc
	; wave barrier
	s_and_saveexec_b64 s[44:45], s[58:59]
	s_cbranch_execz .LBB126_44
; %bb.43:                               ;   in Loop: Header=BB126_32 Depth=1
	v_bcnt_u32_b32 v18, v18, 0
	v_bcnt_u32_b32 v18, v19, v18
	s_waitcnt lgkmcnt(0)
	v_add_u32_e32 v18, v66, v18
	ds_write_b32 v67, v18
.LBB126_44:                             ;   in Loop: Header=BB126_32 Depth=1
	s_or_b64 exec, exec, s[44:45]
	v_lshrrev_b32_e32 v18, s53, v113
	v_and_b32_e32 v18, s56, v18
	v_lshlrev_b32_e32 v19, 2, v18
	v_add_lshl_u32 v19, v19, v106, 2
	; wave barrier
	v_add_u32_e32 v70, 16, v19
	ds_read_b32 v69, v19 offset:16
	v_and_b32_e32 v19, 1, v18
	v_add_co_u32_e32 v20, vcc, -1, v19
	v_addc_co_u32_e64 v21, s[44:45], 0, -1, vcc
	v_cmp_ne_u32_e32 vcc, 0, v19
	v_lshlrev_b32_e32 v63, 30, v18
	v_xor_b32_e32 v19, vcc_hi, v21
	v_not_b32_e32 v21, v63
	v_xor_b32_e32 v20, vcc_lo, v20
	v_cmp_gt_i64_e32 vcc, 0, v[62:63]
	v_ashrrev_i32_e32 v21, 31, v21
	v_and_b32_e32 v19, exec_hi, v19
	v_xor_b32_e32 v63, vcc_hi, v21
	v_and_b32_e32 v20, exec_lo, v20
	v_xor_b32_e32 v21, vcc_lo, v21
	v_and_b32_e32 v19, v19, v63
	v_lshlrev_b32_e32 v63, 29, v18
	v_and_b32_e32 v20, v20, v21
	v_not_b32_e32 v21, v63
	v_cmp_gt_i64_e32 vcc, 0, v[62:63]
	v_ashrrev_i32_e32 v21, 31, v21
	v_xor_b32_e32 v63, vcc_hi, v21
	v_xor_b32_e32 v21, vcc_lo, v21
	v_and_b32_e32 v19, v19, v63
	v_lshlrev_b32_e32 v63, 28, v18
	v_and_b32_e32 v20, v20, v21
	v_not_b32_e32 v21, v63
	v_cmp_gt_i64_e32 vcc, 0, v[62:63]
	v_ashrrev_i32_e32 v21, 31, v21
	v_xor_b32_e32 v63, vcc_hi, v21
	;; [unrolled: 8-line block ×5, first 2 shown]
	v_and_b32_e32 v19, v19, v63
	v_lshlrev_b32_e32 v63, 24, v18
	v_not_b32_e32 v18, v63
	v_xor_b32_e32 v21, vcc_lo, v21
	v_cmp_gt_i64_e32 vcc, 0, v[62:63]
	v_ashrrev_i32_e32 v18, 31, v18
	v_and_b32_e32 v20, v20, v21
	v_xor_b32_e32 v21, vcc_hi, v18
	v_xor_b32_e32 v18, vcc_lo, v18
	v_and_b32_e32 v18, v20, v18
	v_and_b32_e32 v19, v19, v21
	v_mbcnt_lo_u32_b32 v20, v18, 0
	v_mbcnt_hi_u32_b32 v71, v19, v20
	v_cmp_eq_u32_e32 vcc, 0, v71
	v_cmp_ne_u64_e64 s[44:45], 0, v[18:19]
	s_and_b64 s[58:59], s[44:45], vcc
	; wave barrier
	s_and_saveexec_b64 s[44:45], s[58:59]
	s_cbranch_execz .LBB126_46
; %bb.45:                               ;   in Loop: Header=BB126_32 Depth=1
	v_bcnt_u32_b32 v18, v18, 0
	v_bcnt_u32_b32 v18, v19, v18
	s_waitcnt lgkmcnt(0)
	v_add_u32_e32 v18, v69, v18
	ds_write_b32 v70, v18
.LBB126_46:                             ;   in Loop: Header=BB126_32 Depth=1
	s_or_b64 exec, exec, s[44:45]
	v_lshrrev_b32_e32 v18, s53, v112
	v_and_b32_e32 v18, s56, v18
	v_lshlrev_b32_e32 v19, 2, v18
	v_add_lshl_u32 v19, v19, v106, 2
	; wave barrier
	v_add_u32_e32 v121, 16, v19
	ds_read_b32 v120, v19 offset:16
	v_and_b32_e32 v19, 1, v18
	v_add_co_u32_e32 v20, vcc, -1, v19
	v_addc_co_u32_e64 v21, s[44:45], 0, -1, vcc
	v_cmp_ne_u32_e32 vcc, 0, v19
	v_lshlrev_b32_e32 v63, 30, v18
	v_xor_b32_e32 v19, vcc_hi, v21
	v_not_b32_e32 v21, v63
	v_xor_b32_e32 v20, vcc_lo, v20
	v_cmp_gt_i64_e32 vcc, 0, v[62:63]
	v_ashrrev_i32_e32 v21, 31, v21
	v_and_b32_e32 v19, exec_hi, v19
	v_xor_b32_e32 v63, vcc_hi, v21
	v_and_b32_e32 v20, exec_lo, v20
	v_xor_b32_e32 v21, vcc_lo, v21
	v_and_b32_e32 v19, v19, v63
	v_lshlrev_b32_e32 v63, 29, v18
	v_and_b32_e32 v20, v20, v21
	v_not_b32_e32 v21, v63
	v_cmp_gt_i64_e32 vcc, 0, v[62:63]
	v_ashrrev_i32_e32 v21, 31, v21
	v_xor_b32_e32 v63, vcc_hi, v21
	v_xor_b32_e32 v21, vcc_lo, v21
	v_and_b32_e32 v19, v19, v63
	v_lshlrev_b32_e32 v63, 28, v18
	v_and_b32_e32 v20, v20, v21
	v_not_b32_e32 v21, v63
	v_cmp_gt_i64_e32 vcc, 0, v[62:63]
	v_ashrrev_i32_e32 v21, 31, v21
	v_xor_b32_e32 v63, vcc_hi, v21
	;; [unrolled: 8-line block ×5, first 2 shown]
	v_and_b32_e32 v19, v19, v63
	v_lshlrev_b32_e32 v63, 24, v18
	v_not_b32_e32 v18, v63
	v_xor_b32_e32 v21, vcc_lo, v21
	v_cmp_gt_i64_e32 vcc, 0, v[62:63]
	v_ashrrev_i32_e32 v18, 31, v18
	v_and_b32_e32 v20, v20, v21
	v_xor_b32_e32 v21, vcc_hi, v18
	v_xor_b32_e32 v18, vcc_lo, v18
	v_and_b32_e32 v18, v20, v18
	v_and_b32_e32 v19, v19, v21
	v_mbcnt_lo_u32_b32 v20, v18, 0
	v_mbcnt_hi_u32_b32 v127, v19, v20
	v_cmp_eq_u32_e32 vcc, 0, v127
	v_cmp_ne_u64_e64 s[44:45], 0, v[18:19]
	s_and_b64 s[56:57], s[44:45], vcc
	; wave barrier
	s_and_saveexec_b64 s[44:45], s[56:57]
	s_cbranch_execz .LBB126_48
; %bb.47:                               ;   in Loop: Header=BB126_32 Depth=1
	v_bcnt_u32_b32 v18, v18, 0
	v_bcnt_u32_b32 v18, v19, v18
	s_waitcnt lgkmcnt(0)
	v_add_u32_e32 v18, v120, v18
	ds_write_b32 v121, v18
.LBB126_48:                             ;   in Loop: Header=BB126_32 Depth=1
	s_or_b64 exec, exec, s[44:45]
	; wave barrier
	s_waitcnt lgkmcnt(0)
	s_barrier
	ds_read2_b32 v[20:21], v89 offset0:4 offset1:5
	ds_read2_b32 v[18:19], v105 offset0:2 offset1:3
	s_waitcnt lgkmcnt(1)
	v_add_u32_e32 v63, v21, v20
	s_waitcnt lgkmcnt(0)
	v_add3_u32 v19, v63, v18, v19
	s_nop 1
	v_mov_b32_dpp v63, v19 row_shr:1 row_mask:0xf bank_mask:0xf
	v_cndmask_b32_e64 v63, v63, 0, s[26:27]
	v_add_u32_e32 v19, v63, v19
	s_nop 1
	v_mov_b32_dpp v63, v19 row_shr:2 row_mask:0xf bank_mask:0xf
	v_cndmask_b32_e64 v63, 0, v63, s[28:29]
	v_add_u32_e32 v19, v19, v63
	;; [unrolled: 4-line block ×4, first 2 shown]
	s_nop 1
	v_mov_b32_dpp v63, v19 row_bcast:15 row_mask:0xf bank_mask:0xf
	v_cndmask_b32_e64 v63, v63, 0, s[36:37]
	v_add_u32_e32 v19, v19, v63
	s_nop 1
	v_mov_b32_dpp v63, v19 row_bcast:31 row_mask:0xf bank_mask:0xf
	v_cndmask_b32_e64 v63, 0, v63, s[16:17]
	v_add_u32_e32 v19, v19, v63
	s_and_saveexec_b64 s[44:45], s[38:39]
	s_cbranch_execz .LBB126_50
; %bb.49:                               ;   in Loop: Header=BB126_32 Depth=1
	ds_write_b32 v108, v19
.LBB126_50:                             ;   in Loop: Header=BB126_32 Depth=1
	s_or_b64 exec, exec, s[44:45]
	s_waitcnt lgkmcnt(0)
	s_barrier
	s_and_saveexec_b64 s[44:45], s[18:19]
	s_cbranch_execz .LBB126_52
; %bb.51:                               ;   in Loop: Header=BB126_32 Depth=1
	ds_read_b32 v63, v88
	s_waitcnt lgkmcnt(0)
	s_nop 0
	v_mov_b32_dpp v122, v63 row_shr:1 row_mask:0xf bank_mask:0xf
	v_cndmask_b32_e64 v122, v122, 0, s[40:41]
	v_add_u32_e32 v63, v122, v63
	s_nop 1
	v_mov_b32_dpp v122, v63 row_shr:2 row_mask:0xf bank_mask:0xf
	v_cndmask_b32_e64 v122, 0, v122, s[42:43]
	v_add_u32_e32 v63, v63, v122
	ds_write_b32 v88, v63
.LBB126_52:                             ;   in Loop: Header=BB126_32 Depth=1
	s_or_b64 exec, exec, s[44:45]
	v_mov_b32_e32 v63, 0
	s_waitcnt lgkmcnt(0)
	s_barrier
	s_and_saveexec_b64 s[44:45], s[20:21]
	s_cbranch_execz .LBB126_54
; %bb.53:                               ;   in Loop: Header=BB126_32 Depth=1
	ds_read_b32 v63, v109
.LBB126_54:                             ;   in Loop: Header=BB126_32 Depth=1
	s_or_b64 exec, exec, s[44:45]
	s_waitcnt lgkmcnt(0)
	v_add_u32_e32 v19, v63, v19
	ds_bpermute_b32 v19, v107, v19
	s_cmp_gt_u32 s53, 23
	s_waitcnt lgkmcnt(0)
	v_cndmask_b32_e64 v19, v19, v63, s[22:23]
	v_cndmask_b32_e64 v19, v19, 0, s[24:25]
	v_add_u32_e32 v20, v19, v20
	v_add_u32_e32 v21, v20, v21
	;; [unrolled: 1-line block ×3, first 2 shown]
	ds_write2_b32 v89, v19, v20 offset0:4 offset1:5
	ds_write2_b32 v105, v21, v18 offset0:2 offset1:3
	s_waitcnt lgkmcnt(0)
	s_barrier
	ds_read_b32 v18, v22
	ds_read_b32 v19, v25
	;; [unrolled: 1-line block ×8, first 2 shown]
	s_waitcnt lgkmcnt(7)
	v_add_u32_e32 v63, v18, v23
	s_waitcnt lgkmcnt(6)
	v_add3_u32 v121, v26, v24, v19
	s_waitcnt lgkmcnt(5)
	v_add3_u32 v122, v29, v27, v20
	;; [unrolled: 2-line block ×7, first 2 shown]
	s_cbranch_scc0 .LBB126_31
; %bb.55:
                                        ; implicit-def: $vgpr71
                                        ; implicit-def: $vgpr69
                                        ; implicit-def: $vgpr67
                                        ; implicit-def: $vgpr65
                                        ; implicit-def: $vgpr32_vgpr33
                                        ; implicit-def: $vgpr28_vgpr29
                                        ; implicit-def: $vgpr24_vgpr25
                                        ; implicit-def: $vgpr20_vgpr21
                                        ; implicit-def: $sgpr53
                                        ; implicit-def: $sgpr55
.LBB126_56:
	v_lshlrev_b32_e32 v18, 2, v63
	s_barrier
	ds_write_b32 v18, v119
	v_lshlrev_b32_e32 v18, 2, v121
	ds_write_b32 v18, v118
	v_lshlrev_b32_e32 v18, 2, v122
	;; [unrolled: 2-line block ×7, first 2 shown]
	v_lshlrev_b32_e32 v22, 2, v87
	ds_write_b32 v18, v112
	s_waitcnt lgkmcnt(0)
	s_barrier
	ds_read2_b32 v[18:19], v22 offset1:1
	ds_read2_b32 v[20:21], v22 offset0:2 offset1:3
	ds_read2_b32 v[66:67], v22 offset0:4 offset1:5
	;; [unrolled: 1-line block ×3, first 2 shown]
	v_lshlrev_b32_e32 v23, 3, v63
	v_lshlrev_b32_e32 v24, 3, v121
	;; [unrolled: 1-line block ×9, first 2 shown]
	s_waitcnt lgkmcnt(3)
	v_xor_b32_e32 v62, 0x80000000, v18
	v_xor_b32_e32 v64, 0x80000000, v19
	s_waitcnt lgkmcnt(2)
	v_xor_b32_e32 v63, 0x80000000, v20
	v_xor_b32_e32 v65, 0x80000000, v21
	s_waitcnt lgkmcnt(0)
	s_barrier
	ds_write_b64 v23, v[60:61]
	ds_write_b64 v24, v[58:59]
	;; [unrolled: 1-line block ×8, first 2 shown]
	s_waitcnt lgkmcnt(0)
	s_barrier
	ds_read2_b64 v[18:21], v31 offset1:1
	ds_read2_b64 v[22:25], v31 offset0:2 offset1:3
	ds_read2_b64 v[26:29], v31 offset0:4 offset1:5
	;; [unrolled: 1-line block ×3, first 2 shown]
	v_xor_b32_e32 v66, 0x80000000, v66
	v_xor_b32_e32 v0, 0x80000000, v67
	;; [unrolled: 1-line block ×4, first 2 shown]
	s_branch .LBB126_92
.LBB126_57:
	v_mov_b32_e32 v37, 0
	v_lshlrev_b64 v[2:3], 3, v[36:37]
	v_mov_b32_e32 v4, s52
	v_add_co_u32_e32 v2, vcc, s49, v2
	v_addc_co_u32_e32 v3, vcc, v4, v3, vcc
	global_load_dwordx2 v[2:3], v[2:3], off
	v_mov_b32_e32 v4, v37
	v_mov_b32_e32 v5, v37
	v_mov_b32_e32 v6, v37
	v_mov_b32_e32 v7, v37
	v_mov_b32_e32 v8, v37
	v_mov_b32_e32 v9, v37
	v_mov_b32_e32 v10, v37
	v_mov_b32_e32 v11, v37
	v_mov_b32_e32 v12, v37
	v_mov_b32_e32 v13, v37
	v_mov_b32_e32 v14, v37
	v_mov_b32_e32 v15, v37
	v_mov_b32_e32 v16, v37
	v_mov_b32_e32 v17, v37
	s_or_b64 exec, exec, s[16:17]
	s_and_saveexec_b64 s[16:17], s[2:3]
	s_cbranch_execz .LBB126_22
.LBB126_58:
	v_mul_lo_u32 v4, v30, s48
	v_mov_b32_e32 v5, 0
	v_lshlrev_b64 v[4:5], 3, v[4:5]
	v_mov_b32_e32 v30, s52
	v_add_co_u32_e32 v4, vcc, s49, v4
	v_addc_co_u32_e32 v5, vcc, v30, v5, vcc
	global_load_dwordx2 v[4:5], v[4:5], off
	s_or_b64 exec, exec, s[16:17]
	s_and_saveexec_b64 s[16:17], s[4:5]
	s_cbranch_execz .LBB126_23
.LBB126_59:
	v_mul_lo_u32 v6, v28, s48
	v_mov_b32_e32 v7, 0
	v_lshlrev_b64 v[6:7], 3, v[6:7]
	v_mov_b32_e32 v28, s52
	v_add_co_u32_e32 v6, vcc, s49, v6
	v_addc_co_u32_e32 v7, vcc, v28, v7, vcc
	global_load_dwordx2 v[6:7], v[6:7], off
	s_or_b64 exec, exec, s[16:17]
	s_and_saveexec_b64 s[16:17], s[6:7]
	s_cbranch_execz .LBB126_24
.LBB126_60:
	v_mul_lo_u32 v8, v26, s48
	v_mov_b32_e32 v9, 0
	v_lshlrev_b64 v[8:9], 3, v[8:9]
	v_mov_b32_e32 v26, s52
	v_add_co_u32_e32 v8, vcc, s49, v8
	v_addc_co_u32_e32 v9, vcc, v26, v9, vcc
	global_load_dwordx2 v[8:9], v[8:9], off
	s_or_b64 exec, exec, s[16:17]
	s_and_saveexec_b64 s[16:17], s[8:9]
	s_cbranch_execz .LBB126_25
.LBB126_61:
	v_mul_lo_u32 v10, v24, s48
	v_mov_b32_e32 v11, 0
	v_lshlrev_b64 v[10:11], 3, v[10:11]
	v_mov_b32_e32 v24, s52
	v_add_co_u32_e32 v10, vcc, s49, v10
	v_addc_co_u32_e32 v11, vcc, v24, v11, vcc
	global_load_dwordx2 v[10:11], v[10:11], off
	s_or_b64 exec, exec, s[16:17]
	s_and_saveexec_b64 s[16:17], s[10:11]
	s_cbranch_execz .LBB126_26
.LBB126_62:
	v_mul_lo_u32 v12, v21, s48
	v_mov_b32_e32 v13, 0
	v_lshlrev_b64 v[12:13], 3, v[12:13]
	v_mov_b32_e32 v21, s52
	v_add_co_u32_e32 v12, vcc, s49, v12
	v_addc_co_u32_e32 v13, vcc, v21, v13, vcc
	global_load_dwordx2 v[12:13], v[12:13], off
	s_or_b64 exec, exec, s[16:17]
	s_and_saveexec_b64 s[16:17], s[12:13]
	s_cbranch_execz .LBB126_27
.LBB126_63:
	v_mul_lo_u32 v14, v19, s48
	v_mov_b32_e32 v15, 0
	v_lshlrev_b64 v[14:15], 3, v[14:15]
	v_mov_b32_e32 v19, s52
	v_add_co_u32_e32 v14, vcc, s49, v14
	v_addc_co_u32_e32 v15, vcc, v19, v15, vcc
	global_load_dwordx2 v[14:15], v[14:15], off
	s_or_b64 exec, exec, s[16:17]
	s_xor_b64 s[16:17], s[34:35], -1
	s_and_saveexec_b64 s[18:19], s[14:15]
	s_cbranch_execnz .LBB126_28
	s_branch .LBB126_29
.LBB126_64:
                                        ; implicit-def: $vgpr48
                                        ; implicit-def: $vgpr1
                                        ; implicit-def: $vgpr0
                                        ; implicit-def: $vgpr66
                                        ; implicit-def: $vgpr65
                                        ; implicit-def: $vgpr63
                                        ; implicit-def: $vgpr64
                                        ; implicit-def: $vgpr62
                                        ; implicit-def: $vgpr32_vgpr33
                                        ; implicit-def: $vgpr28_vgpr29
                                        ; implicit-def: $vgpr24_vgpr25
                                        ; implicit-def: $vgpr20_vgpr21
	s_cbranch_execz .LBB126_92
; %bb.65:
	v_xor_b32_e32 v0, 0x7fffffff, v47
	v_xor_b32_e32 v1, 0x7fffffff, v46
	s_waitcnt lgkmcnt(3)
	v_xor_b32_e32 v18, 0x7fffffff, v45
	v_xor_b32_e32 v19, 0x7fffffff, v44
	;; [unrolled: 1-line block ×4, first 2 shown]
	s_waitcnt lgkmcnt(2)
	v_xor_b32_e32 v22, 0x7fffffff, v41
	v_xor_b32_e32 v23, 0x7fffffff, v40
	ds_write2_b32 v104, v1, v0 offset1:1
	ds_write2_b32 v104, v19, v18 offset0:2 offset1:3
	ds_write2_b32 v104, v21, v20 offset0:4 offset1:5
	;; [unrolled: 1-line block ×3, first 2 shown]
	; wave barrier
	ds_read2st64_b32 v[40:41], v103 offset1:1
	ds_read2st64_b32 v[42:43], v103 offset0:2 offset1:3
	ds_read2st64_b32 v[44:45], v103 offset0:4 offset1:5
	;; [unrolled: 1-line block ×3, first 2 shown]
	s_waitcnt lgkmcnt(0)
	s_barrier
	ds_write2_b64 v102, v[14:15], v[16:17] offset1:1
	ds_write2_b64 v102, v[10:11], v[12:13] offset0:2 offset1:3
	ds_write2_b64 v102, v[6:7], v[8:9] offset0:4 offset1:5
	;; [unrolled: 1-line block ×3, first 2 shown]
	; wave barrier
	ds_read2st64_b64 v[0:3], v101 offset1:1
	ds_read2st64_b64 v[4:7], v101 offset0:2 offset1:3
	ds_read2st64_b64 v[8:11], v101 offset0:4 offset1:5
	;; [unrolled: 1-line block ×3, first 2 shown]
	s_waitcnt lgkmcnt(0)
	s_barrier
	s_load_dword s18, s[50:51], 0xc
	s_getpc_b64 s[16:17]
	s_add_u32 s16, s16, _ZN7rocprim17ROCPRIM_400000_NS16block_radix_sortIiLj256ELj8ElLj1ELj1ELj0ELNS0_26block_radix_rank_algorithmE1ELNS0_18block_padding_hintE2ELNS0_4arch9wavefront6targetE1EE19radix_bits_per_passE@rel32@lo+4
	s_addc_u32 s17, s17, _ZN7rocprim17ROCPRIM_400000_NS16block_radix_sortIiLj256ELj8ElLj1ELj1ELj0ELNS0_26block_radix_rank_algorithmE1ELNS0_18block_padding_hintE2ELNS0_4arch9wavefront6targetE1EE19radix_bits_per_passE@rel32@hi+12
	s_load_dword s50, s[16:17], 0x0
	v_cmp_lt_i32_e32 vcc, v94, v96
	v_cmp_gt_u32_e64 s[30:31], 4, v38
	s_waitcnt lgkmcnt(0)
	s_lshr_b32 s16, s18, 16
	s_and_b32 s17, s18, 0xffff
	v_mad_u32_u24 v16, v100, s16, v99
	v_mad_u64_u32 v[16:17], s[16:17], v16, s17, v[38:39]
	v_lshrrev_b32_e32 v49, 6, v16
	v_min_u32_e32 v16, 0xc0, v91
	v_or_b32_e32 v16, 63, v16
	v_cmp_eq_u32_e64 s[28:29], v16, v38
	v_cmp_lt_u32_e64 s[34:35], 63, v38
	v_cndmask_b32_e32 v16, v94, v90, vcc
	v_cmp_eq_u32_e64 s[38:39], 0, v38
	v_and_b32_e32 v38, 60, v95
	v_add_u32_e32 v48, 16, v89
	s_mov_b32 s51, 0
	v_cmp_eq_u32_e64 s[16:17], 0, v97
	v_cmp_lt_u32_e64 s[18:19], 1, v97
	v_cmp_lt_u32_e64 s[20:21], 3, v97
	;; [unrolled: 1-line block ×3, first 2 shown]
	v_cmp_eq_u32_e64 s[24:25], 0, v98
	v_cmp_lt_u32_e64 s[26:27], 31, v90
	v_lshlrev_b32_e32 v50, 2, v16
	v_cmp_eq_u32_e64 s[36:37], 0, v90
	v_cmp_eq_u32_e64 s[40:41], 0, v93
	v_cmp_lt_u32_e64 s[42:43], 1, v93
	v_add_u32_e32 v51, -4, v38
	v_lshlrev_b32_e32 v52, 2, v92
	v_lshlrev_b32_e32 v53, 3, v92
	s_mov_b32 s53, 32
	v_mov_b32_e32 v32, 0
	s_branch .LBB126_67
.LBB126_66:                             ;   in Loop: Header=BB126_67 Depth=1
	v_lshlrev_b32_e32 v0, 2, v33
	s_barrier
	ds_write_b32 v0, v61
	v_lshlrev_b32_e32 v0, 2, v63
	ds_write_b32 v0, v60
	v_lshlrev_b32_e32 v0, 2, v64
	;; [unrolled: 2-line block ×8, first 2 shown]
	s_waitcnt lgkmcnt(0)
	s_barrier
	ds_read2st64_b32 v[40:41], v52 offset1:1
	ds_read2st64_b32 v[42:43], v52 offset0:2 offset1:3
	ds_read2st64_b32 v[44:45], v52 offset0:4 offset1:5
	;; [unrolled: 1-line block ×3, first 2 shown]
	s_waitcnt lgkmcnt(0)
	s_barrier
	ds_write_b64 v0, v[30:31]
	v_lshlrev_b32_e32 v0, 3, v63
	ds_write_b64 v0, v[28:29]
	v_lshlrev_b32_e32 v0, 3, v64
	ds_write_b64 v0, v[26:27]
	v_lshlrev_b32_e32 v0, 3, v65
	ds_write_b64 v0, v[24:25]
	v_lshlrev_b32_e32 v0, 3, v66
	ds_write_b64 v0, v[22:23]
	v_lshlrev_b32_e32 v0, 3, v67
	ds_write_b64 v0, v[20:21]
	v_lshlrev_b32_e32 v0, 3, v68
	ds_write_b64 v0, v[18:19]
	v_lshlrev_b32_e32 v0, 3, v62
	ds_write_b64 v0, v[16:17]
	s_waitcnt lgkmcnt(0)
	s_barrier
	ds_read2st64_b64 v[0:3], v53 offset1:1
	ds_read2st64_b64 v[4:7], v53 offset0:2 offset1:3
	ds_read2st64_b64 v[8:11], v53 offset0:4 offset1:5
	ds_read2st64_b64 v[12:15], v53 offset0:6 offset1:7
	s_add_i32 s51, s51, 8
	s_add_i32 s53, s53, -8
	s_waitcnt lgkmcnt(0)
	s_barrier
	s_cbranch_execz .LBB126_91
.LBB126_67:                             ; =>This Inner Loop Header: Depth=1
	s_min_u32 s44, s50, s53
	v_mov_b32_e32 v61, v40
	s_lshl_b32 s44, -1, s44
	v_pk_mov_b32 v[30:31], v[0:1], v[0:1] op_sel:[0,1]
	s_not_b32 s54, s44
	v_lshrrev_b32_e32 v0, s51, v61
	v_and_b32_e32 v0, s54, v0
	v_lshl_add_u32 v1, v0, 2, v49
	v_pk_mov_b32 v[26:27], v[4:5], v[4:5] op_sel:[0,1]
	v_lshl_add_u32 v4, v1, 2, 16
	v_and_b32_e32 v1, 1, v0
	v_pk_mov_b32 v[28:29], v[2:3], v[2:3] op_sel:[0,1]
	v_add_co_u32_e32 v2, vcc, -1, v1
	v_addc_co_u32_e64 v3, s[44:45], 0, -1, vcc
	v_cmp_ne_u32_e32 vcc, 0, v1
	v_lshlrev_b32_e32 v33, 30, v0
	v_xor_b32_e32 v1, vcc_hi, v3
	v_not_b32_e32 v3, v33
	v_xor_b32_e32 v2, vcc_lo, v2
	v_cmp_gt_i64_e32 vcc, 0, v[32:33]
	v_ashrrev_i32_e32 v3, 31, v3
	v_and_b32_e32 v2, exec_lo, v2
	v_xor_b32_e32 v5, vcc_hi, v3
	v_xor_b32_e32 v3, vcc_lo, v3
	v_lshlrev_b32_e32 v33, 29, v0
	v_and_b32_e32 v2, v2, v3
	v_not_b32_e32 v3, v33
	v_and_b32_e32 v1, exec_hi, v1
	v_cmp_gt_i64_e32 vcc, 0, v[32:33]
	v_ashrrev_i32_e32 v3, 31, v3
	v_and_b32_e32 v1, v1, v5
	v_xor_b32_e32 v5, vcc_hi, v3
	v_xor_b32_e32 v3, vcc_lo, v3
	v_lshlrev_b32_e32 v33, 28, v0
	v_and_b32_e32 v2, v2, v3
	v_not_b32_e32 v3, v33
	v_cmp_gt_i64_e32 vcc, 0, v[32:33]
	v_ashrrev_i32_e32 v3, 31, v3
	v_and_b32_e32 v1, v1, v5
	v_xor_b32_e32 v5, vcc_hi, v3
	v_xor_b32_e32 v3, vcc_lo, v3
	v_lshlrev_b32_e32 v33, 27, v0
	v_and_b32_e32 v2, v2, v3
	v_not_b32_e32 v3, v33
	;; [unrolled: 8-line block ×3, first 2 shown]
	v_cmp_gt_i64_e32 vcc, 0, v[32:33]
	v_ashrrev_i32_e32 v3, 31, v3
	v_and_b32_e32 v1, v1, v5
	v_xor_b32_e32 v5, vcc_hi, v3
	v_xor_b32_e32 v3, vcc_lo, v3
	v_lshlrev_b32_e32 v33, 25, v0
	v_and_b32_e32 v2, v2, v3
	v_cmp_gt_i64_e32 vcc, 0, v[32:33]
	v_not_b32_e32 v3, v33
	v_lshlrev_b32_e32 v33, 24, v0
	v_ashrrev_i32_e32 v3, 31, v3
	v_not_b32_e32 v0, v33
	v_and_b32_e32 v1, v1, v5
	v_xor_b32_e32 v5, vcc_hi, v3
	v_xor_b32_e32 v3, vcc_lo, v3
	v_cmp_gt_i64_e32 vcc, 0, v[32:33]
	v_ashrrev_i32_e32 v0, 31, v0
	v_and_b32_e32 v2, v2, v3
	v_xor_b32_e32 v3, vcc_hi, v0
	v_xor_b32_e32 v0, vcc_lo, v0
	v_and_b32_e32 v1, v1, v5
	v_and_b32_e32 v0, v2, v0
	;; [unrolled: 1-line block ×3, first 2 shown]
	v_mbcnt_lo_u32_b32 v2, v0, 0
	v_mbcnt_hi_u32_b32 v5, v1, v2
	v_cmp_eq_u32_e32 vcc, 0, v5
	v_cmp_ne_u64_e64 s[44:45], 0, v[0:1]
	v_mov_b32_e32 v54, v47
	v_mov_b32_e32 v55, v46
	;; [unrolled: 1-line block ×7, first 2 shown]
	v_pk_mov_b32 v[16:17], v[14:15], v[14:15] op_sel:[0,1]
	v_pk_mov_b32 v[18:19], v[12:13], v[12:13] op_sel:[0,1]
	v_pk_mov_b32 v[20:21], v[10:11], v[10:11] op_sel:[0,1]
	v_pk_mov_b32 v[22:23], v[8:9], v[8:9] op_sel:[0,1]
	v_pk_mov_b32 v[24:25], v[6:7], v[6:7] op_sel:[0,1]
	s_and_b64 s[56:57], s[44:45], vcc
	ds_write2_b32 v89, v32, v32 offset0:4 offset1:5
	ds_write2_b32 v48, v32, v32 offset0:2 offset1:3
	s_waitcnt lgkmcnt(0)
	s_barrier
	s_waitcnt lgkmcnt(0)
	; wave barrier
	s_and_saveexec_b64 s[44:45], s[56:57]
	s_cbranch_execz .LBB126_69
; %bb.68:                               ;   in Loop: Header=BB126_67 Depth=1
	v_bcnt_u32_b32 v0, v0, 0
	v_bcnt_u32_b32 v0, v1, v0
	ds_write_b32 v4, v0
.LBB126_69:                             ;   in Loop: Header=BB126_67 Depth=1
	s_or_b64 exec, exec, s[44:45]
	v_lshrrev_b32_e32 v0, s51, v60
	v_and_b32_e32 v0, s54, v0
	v_lshlrev_b32_e32 v1, 2, v0
	v_add_lshl_u32 v1, v1, v49, 2
	; wave barrier
	v_add_u32_e32 v7, 16, v1
	ds_read_b32 v6, v1 offset:16
	v_and_b32_e32 v1, 1, v0
	v_add_co_u32_e32 v2, vcc, -1, v1
	v_addc_co_u32_e64 v3, s[44:45], 0, -1, vcc
	v_cmp_ne_u32_e32 vcc, 0, v1
	v_lshlrev_b32_e32 v33, 30, v0
	v_xor_b32_e32 v1, vcc_hi, v3
	v_not_b32_e32 v3, v33
	v_xor_b32_e32 v2, vcc_lo, v2
	v_cmp_gt_i64_e32 vcc, 0, v[32:33]
	v_ashrrev_i32_e32 v3, 31, v3
	v_and_b32_e32 v2, exec_lo, v2
	v_xor_b32_e32 v8, vcc_hi, v3
	v_xor_b32_e32 v3, vcc_lo, v3
	v_lshlrev_b32_e32 v33, 29, v0
	v_and_b32_e32 v2, v2, v3
	v_not_b32_e32 v3, v33
	v_and_b32_e32 v1, exec_hi, v1
	v_cmp_gt_i64_e32 vcc, 0, v[32:33]
	v_ashrrev_i32_e32 v3, 31, v3
	v_and_b32_e32 v1, v1, v8
	v_xor_b32_e32 v8, vcc_hi, v3
	v_xor_b32_e32 v3, vcc_lo, v3
	v_lshlrev_b32_e32 v33, 28, v0
	v_and_b32_e32 v2, v2, v3
	v_not_b32_e32 v3, v33
	v_cmp_gt_i64_e32 vcc, 0, v[32:33]
	v_ashrrev_i32_e32 v3, 31, v3
	v_and_b32_e32 v1, v1, v8
	v_xor_b32_e32 v8, vcc_hi, v3
	v_xor_b32_e32 v3, vcc_lo, v3
	v_lshlrev_b32_e32 v33, 27, v0
	v_and_b32_e32 v2, v2, v3
	v_not_b32_e32 v3, v33
	;; [unrolled: 8-line block ×3, first 2 shown]
	v_cmp_gt_i64_e32 vcc, 0, v[32:33]
	v_ashrrev_i32_e32 v3, 31, v3
	v_and_b32_e32 v1, v1, v8
	v_xor_b32_e32 v8, vcc_hi, v3
	v_xor_b32_e32 v3, vcc_lo, v3
	v_lshlrev_b32_e32 v33, 25, v0
	v_and_b32_e32 v2, v2, v3
	v_cmp_gt_i64_e32 vcc, 0, v[32:33]
	v_not_b32_e32 v3, v33
	v_lshlrev_b32_e32 v33, 24, v0
	v_ashrrev_i32_e32 v3, 31, v3
	v_not_b32_e32 v0, v33
	v_and_b32_e32 v1, v1, v8
	v_xor_b32_e32 v8, vcc_hi, v3
	v_xor_b32_e32 v3, vcc_lo, v3
	v_cmp_gt_i64_e32 vcc, 0, v[32:33]
	v_ashrrev_i32_e32 v0, 31, v0
	v_and_b32_e32 v2, v2, v3
	v_xor_b32_e32 v3, vcc_hi, v0
	v_xor_b32_e32 v0, vcc_lo, v0
	v_and_b32_e32 v1, v1, v8
	v_and_b32_e32 v0, v2, v0
	;; [unrolled: 1-line block ×3, first 2 shown]
	v_mbcnt_lo_u32_b32 v2, v0, 0
	v_mbcnt_hi_u32_b32 v8, v1, v2
	v_cmp_eq_u32_e32 vcc, 0, v8
	v_cmp_ne_u64_e64 s[44:45], 0, v[0:1]
	s_and_b64 s[56:57], s[44:45], vcc
	; wave barrier
	s_and_saveexec_b64 s[44:45], s[56:57]
	s_cbranch_execz .LBB126_71
; %bb.70:                               ;   in Loop: Header=BB126_67 Depth=1
	v_bcnt_u32_b32 v0, v0, 0
	v_bcnt_u32_b32 v0, v1, v0
	s_waitcnt lgkmcnt(0)
	v_add_u32_e32 v0, v6, v0
	ds_write_b32 v7, v0
.LBB126_71:                             ;   in Loop: Header=BB126_67 Depth=1
	s_or_b64 exec, exec, s[44:45]
	v_lshrrev_b32_e32 v0, s51, v59
	v_and_b32_e32 v0, s54, v0
	v_lshlrev_b32_e32 v1, 2, v0
	v_add_lshl_u32 v1, v1, v49, 2
	; wave barrier
	v_add_u32_e32 v10, 16, v1
	ds_read_b32 v9, v1 offset:16
	v_and_b32_e32 v1, 1, v0
	v_add_co_u32_e32 v2, vcc, -1, v1
	v_addc_co_u32_e64 v3, s[44:45], 0, -1, vcc
	v_cmp_ne_u32_e32 vcc, 0, v1
	v_lshlrev_b32_e32 v33, 30, v0
	v_xor_b32_e32 v1, vcc_hi, v3
	v_not_b32_e32 v3, v33
	v_xor_b32_e32 v2, vcc_lo, v2
	v_cmp_gt_i64_e32 vcc, 0, v[32:33]
	v_ashrrev_i32_e32 v3, 31, v3
	v_and_b32_e32 v2, exec_lo, v2
	v_xor_b32_e32 v11, vcc_hi, v3
	v_xor_b32_e32 v3, vcc_lo, v3
	v_lshlrev_b32_e32 v33, 29, v0
	v_and_b32_e32 v2, v2, v3
	v_not_b32_e32 v3, v33
	v_and_b32_e32 v1, exec_hi, v1
	v_cmp_gt_i64_e32 vcc, 0, v[32:33]
	v_ashrrev_i32_e32 v3, 31, v3
	v_and_b32_e32 v1, v1, v11
	v_xor_b32_e32 v11, vcc_hi, v3
	v_xor_b32_e32 v3, vcc_lo, v3
	v_lshlrev_b32_e32 v33, 28, v0
	v_and_b32_e32 v2, v2, v3
	v_not_b32_e32 v3, v33
	v_cmp_gt_i64_e32 vcc, 0, v[32:33]
	v_ashrrev_i32_e32 v3, 31, v3
	v_and_b32_e32 v1, v1, v11
	v_xor_b32_e32 v11, vcc_hi, v3
	v_xor_b32_e32 v3, vcc_lo, v3
	v_lshlrev_b32_e32 v33, 27, v0
	v_and_b32_e32 v2, v2, v3
	v_not_b32_e32 v3, v33
	;; [unrolled: 8-line block ×3, first 2 shown]
	v_cmp_gt_i64_e32 vcc, 0, v[32:33]
	v_ashrrev_i32_e32 v3, 31, v3
	v_and_b32_e32 v1, v1, v11
	v_xor_b32_e32 v11, vcc_hi, v3
	v_xor_b32_e32 v3, vcc_lo, v3
	v_lshlrev_b32_e32 v33, 25, v0
	v_and_b32_e32 v2, v2, v3
	v_cmp_gt_i64_e32 vcc, 0, v[32:33]
	v_not_b32_e32 v3, v33
	v_lshlrev_b32_e32 v33, 24, v0
	v_ashrrev_i32_e32 v3, 31, v3
	v_not_b32_e32 v0, v33
	v_and_b32_e32 v1, v1, v11
	v_xor_b32_e32 v11, vcc_hi, v3
	v_xor_b32_e32 v3, vcc_lo, v3
	v_cmp_gt_i64_e32 vcc, 0, v[32:33]
	v_ashrrev_i32_e32 v0, 31, v0
	v_and_b32_e32 v2, v2, v3
	v_xor_b32_e32 v3, vcc_hi, v0
	v_xor_b32_e32 v0, vcc_lo, v0
	v_and_b32_e32 v1, v1, v11
	v_and_b32_e32 v0, v2, v0
	;; [unrolled: 1-line block ×3, first 2 shown]
	v_mbcnt_lo_u32_b32 v2, v0, 0
	v_mbcnt_hi_u32_b32 v11, v1, v2
	v_cmp_eq_u32_e32 vcc, 0, v11
	v_cmp_ne_u64_e64 s[44:45], 0, v[0:1]
	s_and_b64 s[56:57], s[44:45], vcc
	; wave barrier
	s_and_saveexec_b64 s[44:45], s[56:57]
	s_cbranch_execz .LBB126_73
; %bb.72:                               ;   in Loop: Header=BB126_67 Depth=1
	v_bcnt_u32_b32 v0, v0, 0
	v_bcnt_u32_b32 v0, v1, v0
	s_waitcnt lgkmcnt(0)
	v_add_u32_e32 v0, v9, v0
	ds_write_b32 v10, v0
.LBB126_73:                             ;   in Loop: Header=BB126_67 Depth=1
	s_or_b64 exec, exec, s[44:45]
	v_lshrrev_b32_e32 v0, s51, v58
	v_and_b32_e32 v0, s54, v0
	v_lshlrev_b32_e32 v1, 2, v0
	v_add_lshl_u32 v1, v1, v49, 2
	; wave barrier
	v_add_u32_e32 v13, 16, v1
	ds_read_b32 v12, v1 offset:16
	v_and_b32_e32 v1, 1, v0
	v_add_co_u32_e32 v2, vcc, -1, v1
	v_addc_co_u32_e64 v3, s[44:45], 0, -1, vcc
	v_cmp_ne_u32_e32 vcc, 0, v1
	v_lshlrev_b32_e32 v33, 30, v0
	v_xor_b32_e32 v1, vcc_hi, v3
	v_not_b32_e32 v3, v33
	v_xor_b32_e32 v2, vcc_lo, v2
	v_cmp_gt_i64_e32 vcc, 0, v[32:33]
	v_ashrrev_i32_e32 v3, 31, v3
	v_and_b32_e32 v2, exec_lo, v2
	v_xor_b32_e32 v14, vcc_hi, v3
	v_xor_b32_e32 v3, vcc_lo, v3
	v_lshlrev_b32_e32 v33, 29, v0
	v_and_b32_e32 v2, v2, v3
	v_not_b32_e32 v3, v33
	v_and_b32_e32 v1, exec_hi, v1
	v_cmp_gt_i64_e32 vcc, 0, v[32:33]
	v_ashrrev_i32_e32 v3, 31, v3
	v_and_b32_e32 v1, v1, v14
	v_xor_b32_e32 v14, vcc_hi, v3
	v_xor_b32_e32 v3, vcc_lo, v3
	v_lshlrev_b32_e32 v33, 28, v0
	v_and_b32_e32 v2, v2, v3
	v_not_b32_e32 v3, v33
	v_cmp_gt_i64_e32 vcc, 0, v[32:33]
	v_ashrrev_i32_e32 v3, 31, v3
	v_and_b32_e32 v1, v1, v14
	v_xor_b32_e32 v14, vcc_hi, v3
	v_xor_b32_e32 v3, vcc_lo, v3
	v_lshlrev_b32_e32 v33, 27, v0
	v_and_b32_e32 v2, v2, v3
	v_not_b32_e32 v3, v33
	;; [unrolled: 8-line block ×3, first 2 shown]
	v_cmp_gt_i64_e32 vcc, 0, v[32:33]
	v_ashrrev_i32_e32 v3, 31, v3
	v_and_b32_e32 v1, v1, v14
	v_xor_b32_e32 v14, vcc_hi, v3
	v_xor_b32_e32 v3, vcc_lo, v3
	v_lshlrev_b32_e32 v33, 25, v0
	v_and_b32_e32 v2, v2, v3
	v_cmp_gt_i64_e32 vcc, 0, v[32:33]
	v_not_b32_e32 v3, v33
	v_lshlrev_b32_e32 v33, 24, v0
	v_ashrrev_i32_e32 v3, 31, v3
	v_not_b32_e32 v0, v33
	v_and_b32_e32 v1, v1, v14
	v_xor_b32_e32 v14, vcc_hi, v3
	v_xor_b32_e32 v3, vcc_lo, v3
	v_cmp_gt_i64_e32 vcc, 0, v[32:33]
	v_ashrrev_i32_e32 v0, 31, v0
	v_and_b32_e32 v2, v2, v3
	v_xor_b32_e32 v3, vcc_hi, v0
	v_xor_b32_e32 v0, vcc_lo, v0
	v_and_b32_e32 v1, v1, v14
	v_and_b32_e32 v0, v2, v0
	;; [unrolled: 1-line block ×3, first 2 shown]
	v_mbcnt_lo_u32_b32 v2, v0, 0
	v_mbcnt_hi_u32_b32 v14, v1, v2
	v_cmp_eq_u32_e32 vcc, 0, v14
	v_cmp_ne_u64_e64 s[44:45], 0, v[0:1]
	s_and_b64 s[56:57], s[44:45], vcc
	; wave barrier
	s_and_saveexec_b64 s[44:45], s[56:57]
	s_cbranch_execz .LBB126_75
; %bb.74:                               ;   in Loop: Header=BB126_67 Depth=1
	v_bcnt_u32_b32 v0, v0, 0
	v_bcnt_u32_b32 v0, v1, v0
	s_waitcnt lgkmcnt(0)
	v_add_u32_e32 v0, v12, v0
	ds_write_b32 v13, v0
.LBB126_75:                             ;   in Loop: Header=BB126_67 Depth=1
	s_or_b64 exec, exec, s[44:45]
	v_lshrrev_b32_e32 v0, s51, v57
	v_and_b32_e32 v0, s54, v0
	v_lshlrev_b32_e32 v1, 2, v0
	v_add_lshl_u32 v1, v1, v49, 2
	; wave barrier
	v_add_u32_e32 v40, 16, v1
	ds_read_b32 v15, v1 offset:16
	v_and_b32_e32 v1, 1, v0
	v_add_co_u32_e32 v2, vcc, -1, v1
	v_addc_co_u32_e64 v3, s[44:45], 0, -1, vcc
	v_cmp_ne_u32_e32 vcc, 0, v1
	v_lshlrev_b32_e32 v33, 30, v0
	v_xor_b32_e32 v1, vcc_hi, v3
	v_not_b32_e32 v3, v33
	v_xor_b32_e32 v2, vcc_lo, v2
	v_cmp_gt_i64_e32 vcc, 0, v[32:33]
	v_ashrrev_i32_e32 v3, 31, v3
	v_and_b32_e32 v1, exec_hi, v1
	v_xor_b32_e32 v33, vcc_hi, v3
	v_and_b32_e32 v2, exec_lo, v2
	v_xor_b32_e32 v3, vcc_lo, v3
	v_and_b32_e32 v1, v1, v33
	v_lshlrev_b32_e32 v33, 29, v0
	v_and_b32_e32 v2, v2, v3
	v_not_b32_e32 v3, v33
	v_cmp_gt_i64_e32 vcc, 0, v[32:33]
	v_ashrrev_i32_e32 v3, 31, v3
	v_xor_b32_e32 v33, vcc_hi, v3
	v_xor_b32_e32 v3, vcc_lo, v3
	v_and_b32_e32 v1, v1, v33
	v_lshlrev_b32_e32 v33, 28, v0
	v_and_b32_e32 v2, v2, v3
	v_not_b32_e32 v3, v33
	v_cmp_gt_i64_e32 vcc, 0, v[32:33]
	v_ashrrev_i32_e32 v3, 31, v3
	v_xor_b32_e32 v33, vcc_hi, v3
	;; [unrolled: 8-line block ×5, first 2 shown]
	v_and_b32_e32 v1, v1, v33
	v_lshlrev_b32_e32 v33, 24, v0
	v_not_b32_e32 v0, v33
	v_xor_b32_e32 v3, vcc_lo, v3
	v_cmp_gt_i64_e32 vcc, 0, v[32:33]
	v_ashrrev_i32_e32 v0, 31, v0
	v_and_b32_e32 v2, v2, v3
	v_xor_b32_e32 v3, vcc_hi, v0
	v_xor_b32_e32 v0, vcc_lo, v0
	v_and_b32_e32 v0, v2, v0
	v_and_b32_e32 v1, v1, v3
	v_mbcnt_lo_u32_b32 v2, v0, 0
	v_mbcnt_hi_u32_b32 v41, v1, v2
	v_cmp_eq_u32_e32 vcc, 0, v41
	v_cmp_ne_u64_e64 s[44:45], 0, v[0:1]
	s_and_b64 s[56:57], s[44:45], vcc
	; wave barrier
	s_and_saveexec_b64 s[44:45], s[56:57]
	s_cbranch_execz .LBB126_77
; %bb.76:                               ;   in Loop: Header=BB126_67 Depth=1
	v_bcnt_u32_b32 v0, v0, 0
	v_bcnt_u32_b32 v0, v1, v0
	s_waitcnt lgkmcnt(0)
	v_add_u32_e32 v0, v15, v0
	ds_write_b32 v40, v0
.LBB126_77:                             ;   in Loop: Header=BB126_67 Depth=1
	s_or_b64 exec, exec, s[44:45]
	v_lshrrev_b32_e32 v0, s51, v56
	v_and_b32_e32 v0, s54, v0
	v_lshlrev_b32_e32 v1, 2, v0
	v_add_lshl_u32 v1, v1, v49, 2
	; wave barrier
	v_add_u32_e32 v43, 16, v1
	ds_read_b32 v42, v1 offset:16
	v_and_b32_e32 v1, 1, v0
	v_add_co_u32_e32 v2, vcc, -1, v1
	v_addc_co_u32_e64 v3, s[44:45], 0, -1, vcc
	v_cmp_ne_u32_e32 vcc, 0, v1
	v_lshlrev_b32_e32 v33, 30, v0
	v_xor_b32_e32 v1, vcc_hi, v3
	v_not_b32_e32 v3, v33
	v_xor_b32_e32 v2, vcc_lo, v2
	v_cmp_gt_i64_e32 vcc, 0, v[32:33]
	v_ashrrev_i32_e32 v3, 31, v3
	v_and_b32_e32 v1, exec_hi, v1
	v_xor_b32_e32 v33, vcc_hi, v3
	v_and_b32_e32 v2, exec_lo, v2
	v_xor_b32_e32 v3, vcc_lo, v3
	v_and_b32_e32 v1, v1, v33
	v_lshlrev_b32_e32 v33, 29, v0
	v_and_b32_e32 v2, v2, v3
	v_not_b32_e32 v3, v33
	v_cmp_gt_i64_e32 vcc, 0, v[32:33]
	v_ashrrev_i32_e32 v3, 31, v3
	v_xor_b32_e32 v33, vcc_hi, v3
	v_xor_b32_e32 v3, vcc_lo, v3
	v_and_b32_e32 v1, v1, v33
	v_lshlrev_b32_e32 v33, 28, v0
	v_and_b32_e32 v2, v2, v3
	v_not_b32_e32 v3, v33
	v_cmp_gt_i64_e32 vcc, 0, v[32:33]
	v_ashrrev_i32_e32 v3, 31, v3
	v_xor_b32_e32 v33, vcc_hi, v3
	;; [unrolled: 8-line block ×5, first 2 shown]
	v_and_b32_e32 v1, v1, v33
	v_lshlrev_b32_e32 v33, 24, v0
	v_not_b32_e32 v0, v33
	v_xor_b32_e32 v3, vcc_lo, v3
	v_cmp_gt_i64_e32 vcc, 0, v[32:33]
	v_ashrrev_i32_e32 v0, 31, v0
	v_and_b32_e32 v2, v2, v3
	v_xor_b32_e32 v3, vcc_hi, v0
	v_xor_b32_e32 v0, vcc_lo, v0
	v_and_b32_e32 v0, v2, v0
	v_and_b32_e32 v1, v1, v3
	v_mbcnt_lo_u32_b32 v2, v0, 0
	v_mbcnt_hi_u32_b32 v44, v1, v2
	v_cmp_eq_u32_e32 vcc, 0, v44
	v_cmp_ne_u64_e64 s[44:45], 0, v[0:1]
	s_and_b64 s[56:57], s[44:45], vcc
	; wave barrier
	s_and_saveexec_b64 s[44:45], s[56:57]
	s_cbranch_execz .LBB126_79
; %bb.78:                               ;   in Loop: Header=BB126_67 Depth=1
	v_bcnt_u32_b32 v0, v0, 0
	v_bcnt_u32_b32 v0, v1, v0
	s_waitcnt lgkmcnt(0)
	v_add_u32_e32 v0, v42, v0
	ds_write_b32 v43, v0
.LBB126_79:                             ;   in Loop: Header=BB126_67 Depth=1
	s_or_b64 exec, exec, s[44:45]
	v_lshrrev_b32_e32 v0, s51, v55
	v_and_b32_e32 v0, s54, v0
	v_lshlrev_b32_e32 v1, 2, v0
	v_add_lshl_u32 v1, v1, v49, 2
	; wave barrier
	v_add_u32_e32 v46, 16, v1
	ds_read_b32 v45, v1 offset:16
	v_and_b32_e32 v1, 1, v0
	v_add_co_u32_e32 v2, vcc, -1, v1
	v_addc_co_u32_e64 v3, s[44:45], 0, -1, vcc
	v_cmp_ne_u32_e32 vcc, 0, v1
	v_lshlrev_b32_e32 v33, 30, v0
	v_xor_b32_e32 v1, vcc_hi, v3
	v_not_b32_e32 v3, v33
	v_xor_b32_e32 v2, vcc_lo, v2
	v_cmp_gt_i64_e32 vcc, 0, v[32:33]
	v_ashrrev_i32_e32 v3, 31, v3
	v_and_b32_e32 v1, exec_hi, v1
	v_xor_b32_e32 v33, vcc_hi, v3
	v_and_b32_e32 v2, exec_lo, v2
	v_xor_b32_e32 v3, vcc_lo, v3
	v_and_b32_e32 v1, v1, v33
	v_lshlrev_b32_e32 v33, 29, v0
	v_and_b32_e32 v2, v2, v3
	v_not_b32_e32 v3, v33
	v_cmp_gt_i64_e32 vcc, 0, v[32:33]
	v_ashrrev_i32_e32 v3, 31, v3
	v_xor_b32_e32 v33, vcc_hi, v3
	v_xor_b32_e32 v3, vcc_lo, v3
	v_and_b32_e32 v1, v1, v33
	v_lshlrev_b32_e32 v33, 28, v0
	v_and_b32_e32 v2, v2, v3
	v_not_b32_e32 v3, v33
	v_cmp_gt_i64_e32 vcc, 0, v[32:33]
	v_ashrrev_i32_e32 v3, 31, v3
	v_xor_b32_e32 v33, vcc_hi, v3
	;; [unrolled: 8-line block ×5, first 2 shown]
	v_and_b32_e32 v1, v1, v33
	v_lshlrev_b32_e32 v33, 24, v0
	v_not_b32_e32 v0, v33
	v_xor_b32_e32 v3, vcc_lo, v3
	v_cmp_gt_i64_e32 vcc, 0, v[32:33]
	v_ashrrev_i32_e32 v0, 31, v0
	v_and_b32_e32 v2, v2, v3
	v_xor_b32_e32 v3, vcc_hi, v0
	v_xor_b32_e32 v0, vcc_lo, v0
	v_and_b32_e32 v0, v2, v0
	v_and_b32_e32 v1, v1, v3
	v_mbcnt_lo_u32_b32 v2, v0, 0
	v_mbcnt_hi_u32_b32 v47, v1, v2
	v_cmp_eq_u32_e32 vcc, 0, v47
	v_cmp_ne_u64_e64 s[44:45], 0, v[0:1]
	s_and_b64 s[56:57], s[44:45], vcc
	; wave barrier
	s_and_saveexec_b64 s[44:45], s[56:57]
	s_cbranch_execz .LBB126_81
; %bb.80:                               ;   in Loop: Header=BB126_67 Depth=1
	v_bcnt_u32_b32 v0, v0, 0
	v_bcnt_u32_b32 v0, v1, v0
	s_waitcnt lgkmcnt(0)
	v_add_u32_e32 v0, v45, v0
	ds_write_b32 v46, v0
.LBB126_81:                             ;   in Loop: Header=BB126_67 Depth=1
	s_or_b64 exec, exec, s[44:45]
	v_lshrrev_b32_e32 v0, s51, v54
	v_and_b32_e32 v0, s54, v0
	v_lshlrev_b32_e32 v1, 2, v0
	v_add_lshl_u32 v1, v1, v49, 2
	; wave barrier
	v_add_u32_e32 v63, 16, v1
	ds_read_b32 v62, v1 offset:16
	v_and_b32_e32 v1, 1, v0
	v_add_co_u32_e32 v2, vcc, -1, v1
	v_addc_co_u32_e64 v3, s[44:45], 0, -1, vcc
	v_cmp_ne_u32_e32 vcc, 0, v1
	v_lshlrev_b32_e32 v33, 30, v0
	v_xor_b32_e32 v1, vcc_hi, v3
	v_not_b32_e32 v3, v33
	v_xor_b32_e32 v2, vcc_lo, v2
	v_cmp_gt_i64_e32 vcc, 0, v[32:33]
	v_ashrrev_i32_e32 v3, 31, v3
	v_and_b32_e32 v1, exec_hi, v1
	v_xor_b32_e32 v33, vcc_hi, v3
	v_and_b32_e32 v2, exec_lo, v2
	v_xor_b32_e32 v3, vcc_lo, v3
	v_and_b32_e32 v1, v1, v33
	v_lshlrev_b32_e32 v33, 29, v0
	v_and_b32_e32 v2, v2, v3
	v_not_b32_e32 v3, v33
	v_cmp_gt_i64_e32 vcc, 0, v[32:33]
	v_ashrrev_i32_e32 v3, 31, v3
	v_xor_b32_e32 v33, vcc_hi, v3
	v_xor_b32_e32 v3, vcc_lo, v3
	v_and_b32_e32 v1, v1, v33
	v_lshlrev_b32_e32 v33, 28, v0
	v_and_b32_e32 v2, v2, v3
	v_not_b32_e32 v3, v33
	v_cmp_gt_i64_e32 vcc, 0, v[32:33]
	v_ashrrev_i32_e32 v3, 31, v3
	v_xor_b32_e32 v33, vcc_hi, v3
	;; [unrolled: 8-line block ×5, first 2 shown]
	v_and_b32_e32 v1, v1, v33
	v_lshlrev_b32_e32 v33, 24, v0
	v_not_b32_e32 v0, v33
	v_xor_b32_e32 v3, vcc_lo, v3
	v_cmp_gt_i64_e32 vcc, 0, v[32:33]
	v_ashrrev_i32_e32 v0, 31, v0
	v_and_b32_e32 v2, v2, v3
	v_xor_b32_e32 v3, vcc_hi, v0
	v_xor_b32_e32 v0, vcc_lo, v0
	v_and_b32_e32 v0, v2, v0
	v_and_b32_e32 v1, v1, v3
	v_mbcnt_lo_u32_b32 v2, v0, 0
	v_mbcnt_hi_u32_b32 v69, v1, v2
	v_cmp_eq_u32_e32 vcc, 0, v69
	v_cmp_ne_u64_e64 s[44:45], 0, v[0:1]
	s_and_b64 s[54:55], s[44:45], vcc
	; wave barrier
	s_and_saveexec_b64 s[44:45], s[54:55]
	s_cbranch_execz .LBB126_83
; %bb.82:                               ;   in Loop: Header=BB126_67 Depth=1
	v_bcnt_u32_b32 v0, v0, 0
	v_bcnt_u32_b32 v0, v1, v0
	s_waitcnt lgkmcnt(0)
	v_add_u32_e32 v0, v62, v0
	ds_write_b32 v63, v0
.LBB126_83:                             ;   in Loop: Header=BB126_67 Depth=1
	s_or_b64 exec, exec, s[44:45]
	; wave barrier
	s_waitcnt lgkmcnt(0)
	s_barrier
	ds_read2_b32 v[2:3], v89 offset0:4 offset1:5
	ds_read2_b32 v[0:1], v48 offset0:2 offset1:3
	s_waitcnt lgkmcnt(1)
	v_add_u32_e32 v33, v3, v2
	s_waitcnt lgkmcnt(0)
	v_add3_u32 v1, v33, v0, v1
	s_nop 1
	v_mov_b32_dpp v33, v1 row_shr:1 row_mask:0xf bank_mask:0xf
	v_cndmask_b32_e64 v33, v33, 0, s[16:17]
	v_add_u32_e32 v1, v33, v1
	s_nop 1
	v_mov_b32_dpp v33, v1 row_shr:2 row_mask:0xf bank_mask:0xf
	v_cndmask_b32_e64 v33, 0, v33, s[18:19]
	v_add_u32_e32 v1, v1, v33
	;; [unrolled: 4-line block ×4, first 2 shown]
	s_nop 1
	v_mov_b32_dpp v33, v1 row_bcast:15 row_mask:0xf bank_mask:0xf
	v_cndmask_b32_e64 v33, v33, 0, s[24:25]
	v_add_u32_e32 v1, v1, v33
	s_nop 1
	v_mov_b32_dpp v33, v1 row_bcast:31 row_mask:0xf bank_mask:0xf
	v_cndmask_b32_e64 v33, 0, v33, s[26:27]
	v_add_u32_e32 v1, v1, v33
	s_and_saveexec_b64 s[44:45], s[28:29]
	s_cbranch_execz .LBB126_85
; %bb.84:                               ;   in Loop: Header=BB126_67 Depth=1
	ds_write_b32 v38, v1
.LBB126_85:                             ;   in Loop: Header=BB126_67 Depth=1
	s_or_b64 exec, exec, s[44:45]
	s_waitcnt lgkmcnt(0)
	s_barrier
	s_and_saveexec_b64 s[44:45], s[30:31]
	s_cbranch_execz .LBB126_87
; %bb.86:                               ;   in Loop: Header=BB126_67 Depth=1
	ds_read_b32 v33, v88
	s_waitcnt lgkmcnt(0)
	s_nop 0
	v_mov_b32_dpp v64, v33 row_shr:1 row_mask:0xf bank_mask:0xf
	v_cndmask_b32_e64 v64, v64, 0, s[40:41]
	v_add_u32_e32 v33, v64, v33
	s_nop 1
	v_mov_b32_dpp v64, v33 row_shr:2 row_mask:0xf bank_mask:0xf
	v_cndmask_b32_e64 v64, 0, v64, s[42:43]
	v_add_u32_e32 v33, v33, v64
	ds_write_b32 v88, v33
.LBB126_87:                             ;   in Loop: Header=BB126_67 Depth=1
	s_or_b64 exec, exec, s[44:45]
	v_mov_b32_e32 v33, 0
	s_waitcnt lgkmcnt(0)
	s_barrier
	s_and_saveexec_b64 s[44:45], s[34:35]
	s_cbranch_execz .LBB126_89
; %bb.88:                               ;   in Loop: Header=BB126_67 Depth=1
	ds_read_b32 v33, v51
.LBB126_89:                             ;   in Loop: Header=BB126_67 Depth=1
	s_or_b64 exec, exec, s[44:45]
	s_waitcnt lgkmcnt(0)
	v_add_u32_e32 v1, v33, v1
	ds_bpermute_b32 v1, v50, v1
	s_cmp_gt_u32 s51, 23
	s_waitcnt lgkmcnt(0)
	v_cndmask_b32_e64 v1, v1, v33, s[36:37]
	v_cndmask_b32_e64 v1, v1, 0, s[38:39]
	v_add_u32_e32 v2, v1, v2
	v_add_u32_e32 v3, v2, v3
	;; [unrolled: 1-line block ×3, first 2 shown]
	ds_write2_b32 v89, v1, v2 offset0:4 offset1:5
	ds_write2_b32 v48, v3, v0 offset0:2 offset1:3
	s_waitcnt lgkmcnt(0)
	s_barrier
	ds_read_b32 v0, v4
	ds_read_b32 v1, v7
	;; [unrolled: 1-line block ×8, first 2 shown]
	s_waitcnt lgkmcnt(7)
	v_add_u32_e32 v33, v0, v5
	s_waitcnt lgkmcnt(6)
	v_add3_u32 v63, v8, v6, v1
	s_waitcnt lgkmcnt(5)
	v_add3_u32 v64, v11, v9, v2
	;; [unrolled: 2-line block ×7, first 2 shown]
	s_cbranch_scc0 .LBB126_66
; %bb.90:
                                        ; implicit-def: $vgpr47
                                        ; implicit-def: $vgpr45
                                        ; implicit-def: $vgpr43
                                        ; implicit-def: $vgpr41
                                        ; implicit-def: $vgpr14_vgpr15
                                        ; implicit-def: $vgpr10_vgpr11
                                        ; implicit-def: $vgpr6_vgpr7
                                        ; implicit-def: $vgpr2_vgpr3
                                        ; implicit-def: $sgpr51
                                        ; implicit-def: $sgpr53
.LBB126_91:
	v_lshlrev_b32_e32 v0, 2, v33
	s_barrier
	ds_write_b32 v0, v61
	v_lshlrev_b32_e32 v0, 2, v63
	ds_write_b32 v0, v60
	v_lshlrev_b32_e32 v0, 2, v64
	;; [unrolled: 2-line block ×7, first 2 shown]
	v_lshlrev_b32_e32 v6, 2, v87
	v_lshlrev_b32_e32 v8, 3, v33
	;; [unrolled: 1-line block ×3, first 2 shown]
	ds_write_b32 v0, v54
	s_waitcnt lgkmcnt(0)
	s_barrier
	v_lshlrev_b32_e32 v9, 3, v63
	v_lshlrev_b32_e32 v10, 3, v64
	v_lshlrev_b32_e32 v11, 3, v65
	v_lshlrev_b32_e32 v12, 3, v66
	v_lshlrev_b32_e32 v13, 3, v67
	v_lshlrev_b32_e32 v14, 3, v68
	v_lshlrev_b32_e32 v15, 3, v62
	ds_read2_b32 v[0:1], v6 offset1:1
	ds_read2_b32 v[2:3], v6 offset0:2 offset1:3
	ds_read2_b32 v[4:5], v6 offset0:4 offset1:5
	ds_read2_b32 v[6:7], v6 offset0:6 offset1:7
	s_waitcnt lgkmcnt(0)
	s_barrier
	ds_write_b64 v8, v[30:31]
	ds_write_b64 v9, v[28:29]
	;; [unrolled: 1-line block ×8, first 2 shown]
	s_waitcnt lgkmcnt(0)
	s_barrier
	ds_read2_b64 v[18:21], v32 offset1:1
	ds_read2_b64 v[22:25], v32 offset0:2 offset1:3
	ds_read2_b64 v[26:29], v32 offset0:4 offset1:5
	;; [unrolled: 1-line block ×3, first 2 shown]
	v_xor_b32_e32 v62, 0x7fffffff, v0
	v_xor_b32_e32 v64, 0x7fffffff, v1
	;; [unrolled: 1-line block ×8, first 2 shown]
.LBB126_92:
	s_waitcnt lgkmcnt(0)
	s_barrier
	ds_write2_b32 v78, v62, v64 offset1:1
	ds_write2_b32 v78, v63, v65 offset0:2 offset1:3
	ds_write2_b32 v78, v66, v0 offset0:4 offset1:5
	;; [unrolled: 1-line block ×3, first 2 shown]
	s_waitcnt lgkmcnt(0)
	s_barrier
	ds_read_b32 v8, v35 offset:1024
	ds_read_b32 v7, v72 offset:2048
	;; [unrolled: 1-line block ×7, first 2 shown]
	v_mov_b32_e32 v35, 0
	v_lshlrev_b64 v[0:1], 2, v[34:35]
	v_mov_b32_e32 v9, s47
	v_add_co_u32_e32 v0, vcc, s33, v0
	v_addc_co_u32_e32 v1, vcc, v9, v1, vcc
	s_and_saveexec_b64 s[16:17], s[0:1]
	s_cbranch_execnz .LBB126_111
; %bb.93:
	s_or_b64 exec, exec, s[16:17]
	s_and_saveexec_b64 s[16:17], s[2:3]
	s_cbranch_execnz .LBB126_112
.LBB126_94:
	s_or_b64 exec, exec, s[16:17]
	s_and_saveexec_b64 s[16:17], s[4:5]
	s_cbranch_execnz .LBB126_113
.LBB126_95:
	s_or_b64 exec, exec, s[16:17]
	s_and_saveexec_b64 s[16:17], s[6:7]
	s_cbranch_execnz .LBB126_114
.LBB126_96:
	s_or_b64 exec, exec, s[16:17]
	s_and_saveexec_b64 s[16:17], s[8:9]
	s_cbranch_execnz .LBB126_115
.LBB126_97:
	s_or_b64 exec, exec, s[16:17]
	s_and_saveexec_b64 s[16:17], s[10:11]
	s_cbranch_execnz .LBB126_116
.LBB126_98:
	s_or_b64 exec, exec, s[16:17]
	s_and_saveexec_b64 s[16:17], s[12:13]
	s_cbranch_execnz .LBB126_117
.LBB126_99:
	s_or_b64 exec, exec, s[16:17]
	s_and_saveexec_b64 s[16:17], s[14:15]
	s_cbranch_execz .LBB126_101
.LBB126_100:
	s_mul_i32 s18, s46, 0x700
	s_mov_b32 s19, 0
	s_lshl_b64 s[18:19], s[18:19], 2
	s_waitcnt lgkmcnt(1)
	v_mov_b32_e32 v3, s19
	v_add_co_u32_e32 v0, vcc, s18, v0
	v_addc_co_u32_e32 v1, vcc, v1, v3, vcc
	s_waitcnt lgkmcnt(0)
	global_store_dword v[0:1], v2, off
.LBB126_101:
	s_or_b64 exec, exec, s[16:17]
	s_waitcnt lgkmcnt(0)
	s_barrier
	ds_write2_b64 v86, v[18:19], v[20:21] offset1:1
	ds_write2_b64 v86, v[22:23], v[24:25] offset0:2 offset1:3
	ds_write2_b64 v86, v[26:27], v[28:29] offset0:4 offset1:5
	;; [unrolled: 1-line block ×3, first 2 shown]
	s_waitcnt lgkmcnt(0)
	s_barrier
	ds_read_b64 v[14:15], v37 offset:2048
	ds_read_b64 v[12:13], v80 offset:4096
	;; [unrolled: 1-line block ×7, first 2 shown]
	v_mov_b32_e32 v37, 0
	v_lshlrev_b64 v[2:3], 3, v[36:37]
	v_mov_b32_e32 v16, s52
	v_add_co_u32_e32 v2, vcc, s49, v2
	v_addc_co_u32_e32 v3, vcc, v16, v3, vcc
	s_and_saveexec_b64 s[16:17], s[0:1]
	s_cbranch_execnz .LBB126_118
; %bb.102:
	s_or_b64 exec, exec, s[16:17]
	s_and_saveexec_b64 s[0:1], s[2:3]
	s_cbranch_execnz .LBB126_119
.LBB126_103:
	s_or_b64 exec, exec, s[0:1]
	s_and_saveexec_b64 s[0:1], s[4:5]
	s_cbranch_execnz .LBB126_120
.LBB126_104:
	s_or_b64 exec, exec, s[0:1]
	s_and_saveexec_b64 s[0:1], s[6:7]
	s_cbranch_execnz .LBB126_121
.LBB126_105:
	s_or_b64 exec, exec, s[0:1]
	s_and_saveexec_b64 s[0:1], s[8:9]
	s_cbranch_execnz .LBB126_122
.LBB126_106:
	s_or_b64 exec, exec, s[0:1]
	s_and_saveexec_b64 s[0:1], s[10:11]
	s_cbranch_execnz .LBB126_123
.LBB126_107:
	s_or_b64 exec, exec, s[0:1]
	s_and_saveexec_b64 s[0:1], s[12:13]
	s_cbranch_execnz .LBB126_124
.LBB126_108:
	s_or_b64 exec, exec, s[0:1]
	s_and_saveexec_b64 s[0:1], s[14:15]
	s_cbranch_execz .LBB126_110
.LBB126_109:
	s_mul_i32 s0, s48, 0x700
	s_mov_b32 s1, 0
	s_lshl_b64 s[0:1], s[0:1], 3
	s_waitcnt lgkmcnt(1)
	v_mov_b32_e32 v4, s1
	v_add_co_u32_e32 v2, vcc, s0, v2
	v_addc_co_u32_e32 v3, vcc, v3, v4, vcc
	s_waitcnt lgkmcnt(0)
	global_store_dwordx2 v[2:3], v[0:1], off
.LBB126_110:
	s_endpgm
.LBB126_111:
	ds_read_b32 v9, v39
	s_waitcnt lgkmcnt(0)
	global_store_dword v[0:1], v9, off
	s_or_b64 exec, exec, s[16:17]
	s_and_saveexec_b64 s[16:17], s[2:3]
	s_cbranch_execz .LBB126_94
.LBB126_112:
	s_lshl_b32 s18, s46, 8
	s_mov_b32 s19, 0
	s_lshl_b64 s[18:19], s[18:19], 2
	v_mov_b32_e32 v9, s19
	v_add_co_u32_e32 v10, vcc, s18, v0
	v_addc_co_u32_e32 v11, vcc, v1, v9, vcc
	s_waitcnt lgkmcnt(6)
	global_store_dword v[10:11], v8, off
	s_or_b64 exec, exec, s[16:17]
	s_and_saveexec_b64 s[16:17], s[4:5]
	s_cbranch_execz .LBB126_95
.LBB126_113:
	s_lshl_b32 s18, s46, 9
	s_mov_b32 s19, 0
	s_lshl_b64 s[18:19], s[18:19], 2
	v_mov_b32_e32 v9, s19
	s_waitcnt lgkmcnt(6)
	v_add_co_u32_e32 v8, vcc, s18, v0
	v_addc_co_u32_e32 v9, vcc, v1, v9, vcc
	s_waitcnt lgkmcnt(5)
	global_store_dword v[8:9], v7, off
	s_or_b64 exec, exec, s[16:17]
	s_and_saveexec_b64 s[16:17], s[6:7]
	s_cbranch_execz .LBB126_96
.LBB126_114:
	s_mul_i32 s18, s46, 0x300
	s_mov_b32 s19, 0
	s_lshl_b64 s[18:19], s[18:19], 2
	s_waitcnt lgkmcnt(5)
	v_mov_b32_e32 v7, s19
	v_add_co_u32_e32 v8, vcc, s18, v0
	v_addc_co_u32_e32 v9, vcc, v1, v7, vcc
	s_waitcnt lgkmcnt(4)
	global_store_dword v[8:9], v6, off
	s_or_b64 exec, exec, s[16:17]
	s_and_saveexec_b64 s[16:17], s[8:9]
	s_cbranch_execz .LBB126_97
.LBB126_115:
	s_lshl_b32 s18, s46, 10
	s_mov_b32 s19, 0
	s_lshl_b64 s[18:19], s[18:19], 2
	s_waitcnt lgkmcnt(5)
	v_mov_b32_e32 v7, s19
	s_waitcnt lgkmcnt(4)
	v_add_co_u32_e32 v6, vcc, s18, v0
	v_addc_co_u32_e32 v7, vcc, v1, v7, vcc
	s_waitcnt lgkmcnt(3)
	global_store_dword v[6:7], v5, off
	s_or_b64 exec, exec, s[16:17]
	s_and_saveexec_b64 s[16:17], s[10:11]
	s_cbranch_execz .LBB126_98
.LBB126_116:
	s_mul_i32 s18, s46, 0x500
	s_mov_b32 s19, 0
	s_lshl_b64 s[18:19], s[18:19], 2
	s_waitcnt lgkmcnt(3)
	v_mov_b32_e32 v5, s19
	v_add_co_u32_e32 v6, vcc, s18, v0
	v_addc_co_u32_e32 v7, vcc, v1, v5, vcc
	s_waitcnt lgkmcnt(2)
	global_store_dword v[6:7], v4, off
	s_or_b64 exec, exec, s[16:17]
	s_and_saveexec_b64 s[16:17], s[12:13]
	s_cbranch_execz .LBB126_99
.LBB126_117:
	s_mul_i32 s18, s46, 0x600
	s_mov_b32 s19, 0
	s_lshl_b64 s[18:19], s[18:19], 2
	s_waitcnt lgkmcnt(3)
	v_mov_b32_e32 v5, s19
	s_waitcnt lgkmcnt(2)
	v_add_co_u32_e32 v4, vcc, s18, v0
	v_addc_co_u32_e32 v5, vcc, v1, v5, vcc
	s_waitcnt lgkmcnt(1)
	global_store_dword v[4:5], v3, off
	s_or_b64 exec, exec, s[16:17]
	s_and_saveexec_b64 s[16:17], s[14:15]
	s_cbranch_execnz .LBB126_100
	s_branch .LBB126_101
.LBB126_118:
	ds_read_b64 v[16:17], v79
	s_waitcnt lgkmcnt(0)
	global_store_dwordx2 v[2:3], v[16:17], off
	s_or_b64 exec, exec, s[16:17]
	s_and_saveexec_b64 s[0:1], s[2:3]
	s_cbranch_execz .LBB126_103
.LBB126_119:
	s_lshl_b32 s2, s48, 8
	s_mov_b32 s3, 0
	s_lshl_b64 s[2:3], s[2:3], 3
	v_mov_b32_e32 v17, s3
	v_add_co_u32_e32 v16, vcc, s2, v2
	v_addc_co_u32_e32 v17, vcc, v3, v17, vcc
	s_waitcnt lgkmcnt(6)
	global_store_dwordx2 v[16:17], v[14:15], off
	s_or_b64 exec, exec, s[0:1]
	s_and_saveexec_b64 s[0:1], s[4:5]
	s_cbranch_execz .LBB126_104
.LBB126_120:
	s_lshl_b32 s2, s48, 9
	s_mov_b32 s3, 0
	s_lshl_b64 s[2:3], s[2:3], 3
	s_waitcnt lgkmcnt(6)
	v_mov_b32_e32 v15, s3
	v_add_co_u32_e32 v14, vcc, s2, v2
	v_addc_co_u32_e32 v15, vcc, v3, v15, vcc
	s_waitcnt lgkmcnt(5)
	global_store_dwordx2 v[14:15], v[12:13], off
	s_or_b64 exec, exec, s[0:1]
	s_and_saveexec_b64 s[0:1], s[6:7]
	s_cbranch_execz .LBB126_105
.LBB126_121:
	s_mul_i32 s2, s48, 0x300
	s_mov_b32 s3, 0
	s_lshl_b64 s[2:3], s[2:3], 3
	s_waitcnt lgkmcnt(5)
	v_mov_b32_e32 v13, s3
	v_add_co_u32_e32 v12, vcc, s2, v2
	v_addc_co_u32_e32 v13, vcc, v3, v13, vcc
	s_waitcnt lgkmcnt(4)
	global_store_dwordx2 v[12:13], v[10:11], off
	s_or_b64 exec, exec, s[0:1]
	s_and_saveexec_b64 s[0:1], s[8:9]
	s_cbranch_execz .LBB126_106
.LBB126_122:
	s_lshl_b32 s2, s48, 10
	s_mov_b32 s3, 0
	s_lshl_b64 s[2:3], s[2:3], 3
	s_waitcnt lgkmcnt(4)
	v_mov_b32_e32 v11, s3
	v_add_co_u32_e32 v10, vcc, s2, v2
	v_addc_co_u32_e32 v11, vcc, v3, v11, vcc
	s_waitcnt lgkmcnt(3)
	global_store_dwordx2 v[10:11], v[8:9], off
	s_or_b64 exec, exec, s[0:1]
	s_and_saveexec_b64 s[0:1], s[10:11]
	s_cbranch_execz .LBB126_107
.LBB126_123:
	s_mul_i32 s2, s48, 0x500
	s_mov_b32 s3, 0
	s_lshl_b64 s[2:3], s[2:3], 3
	s_waitcnt lgkmcnt(3)
	v_mov_b32_e32 v9, s3
	v_add_co_u32_e32 v8, vcc, s2, v2
	v_addc_co_u32_e32 v9, vcc, v3, v9, vcc
	s_waitcnt lgkmcnt(2)
	global_store_dwordx2 v[8:9], v[6:7], off
	s_or_b64 exec, exec, s[0:1]
	s_and_saveexec_b64 s[0:1], s[12:13]
	s_cbranch_execz .LBB126_108
.LBB126_124:
	s_mul_i32 s2, s48, 0x600
	s_mov_b32 s3, 0
	s_lshl_b64 s[2:3], s[2:3], 3
	s_waitcnt lgkmcnt(2)
	v_mov_b32_e32 v7, s3
	v_add_co_u32_e32 v6, vcc, s2, v2
	v_addc_co_u32_e32 v7, vcc, v3, v7, vcc
	s_waitcnt lgkmcnt(1)
	global_store_dwordx2 v[6:7], v[4:5], off
	s_or_b64 exec, exec, s[0:1]
	s_and_saveexec_b64 s[0:1], s[14:15]
	s_cbranch_execnz .LBB126_109
	s_branch .LBB126_110
	.section	.rodata,"a",@progbits
	.p2align	6, 0x0
	.amdhsa_kernel _ZN2at6native18radixSortKVInPlaceILi2ELin1ELi256ELi8EiljEEvNS_4cuda6detail10TensorInfoIT3_T5_EES6_S6_S6_NS4_IT4_S6_EES6_b
		.amdhsa_group_segment_fixed_size 16896
		.amdhsa_private_segment_fixed_size 0
		.amdhsa_kernarg_size 712
		.amdhsa_user_sgpr_count 6
		.amdhsa_user_sgpr_private_segment_buffer 1
		.amdhsa_user_sgpr_dispatch_ptr 0
		.amdhsa_user_sgpr_queue_ptr 0
		.amdhsa_user_sgpr_kernarg_segment_ptr 1
		.amdhsa_user_sgpr_dispatch_id 0
		.amdhsa_user_sgpr_flat_scratch_init 0
		.amdhsa_user_sgpr_kernarg_preload_length 0
		.amdhsa_user_sgpr_kernarg_preload_offset 0
		.amdhsa_user_sgpr_private_segment_size 0
		.amdhsa_uses_dynamic_stack 0
		.amdhsa_system_sgpr_private_segment_wavefront_offset 0
		.amdhsa_system_sgpr_workgroup_id_x 1
		.amdhsa_system_sgpr_workgroup_id_y 1
		.amdhsa_system_sgpr_workgroup_id_z 1
		.amdhsa_system_sgpr_workgroup_info 0
		.amdhsa_system_vgpr_workitem_id 2
		.amdhsa_next_free_vgpr 128
		.amdhsa_next_free_sgpr 60
		.amdhsa_accum_offset 128
		.amdhsa_reserve_vcc 1
		.amdhsa_reserve_flat_scratch 0
		.amdhsa_float_round_mode_32 0
		.amdhsa_float_round_mode_16_64 0
		.amdhsa_float_denorm_mode_32 3
		.amdhsa_float_denorm_mode_16_64 3
		.amdhsa_dx10_clamp 1
		.amdhsa_ieee_mode 1
		.amdhsa_fp16_overflow 0
		.amdhsa_tg_split 0
		.amdhsa_exception_fp_ieee_invalid_op 0
		.amdhsa_exception_fp_denorm_src 0
		.amdhsa_exception_fp_ieee_div_zero 0
		.amdhsa_exception_fp_ieee_overflow 0
		.amdhsa_exception_fp_ieee_underflow 0
		.amdhsa_exception_fp_ieee_inexact 0
		.amdhsa_exception_int_div_zero 0
	.end_amdhsa_kernel
	.section	.text._ZN2at6native18radixSortKVInPlaceILi2ELin1ELi256ELi8EiljEEvNS_4cuda6detail10TensorInfoIT3_T5_EES6_S6_S6_NS4_IT4_S6_EES6_b,"axG",@progbits,_ZN2at6native18radixSortKVInPlaceILi2ELin1ELi256ELi8EiljEEvNS_4cuda6detail10TensorInfoIT3_T5_EES6_S6_S6_NS4_IT4_S6_EES6_b,comdat
.Lfunc_end126:
	.size	_ZN2at6native18radixSortKVInPlaceILi2ELin1ELi256ELi8EiljEEvNS_4cuda6detail10TensorInfoIT3_T5_EES6_S6_S6_NS4_IT4_S6_EES6_b, .Lfunc_end126-_ZN2at6native18radixSortKVInPlaceILi2ELin1ELi256ELi8EiljEEvNS_4cuda6detail10TensorInfoIT3_T5_EES6_S6_S6_NS4_IT4_S6_EES6_b
                                        ; -- End function
	.section	.AMDGPU.csdata,"",@progbits
; Kernel info:
; codeLenInByte = 13080
; NumSgprs: 64
; NumVgprs: 128
; NumAgprs: 0
; TotalNumVgprs: 128
; ScratchSize: 0
; MemoryBound: 0
; FloatMode: 240
; IeeeMode: 1
; LDSByteSize: 16896 bytes/workgroup (compile time only)
; SGPRBlocks: 7
; VGPRBlocks: 15
; NumSGPRsForWavesPerEU: 64
; NumVGPRsForWavesPerEU: 128
; AccumOffset: 128
; Occupancy: 3
; WaveLimiterHint : 1
; COMPUTE_PGM_RSRC2:SCRATCH_EN: 0
; COMPUTE_PGM_RSRC2:USER_SGPR: 6
; COMPUTE_PGM_RSRC2:TRAP_HANDLER: 0
; COMPUTE_PGM_RSRC2:TGID_X_EN: 1
; COMPUTE_PGM_RSRC2:TGID_Y_EN: 1
; COMPUTE_PGM_RSRC2:TGID_Z_EN: 1
; COMPUTE_PGM_RSRC2:TIDIG_COMP_CNT: 2
; COMPUTE_PGM_RSRC3_GFX90A:ACCUM_OFFSET: 31
; COMPUTE_PGM_RSRC3_GFX90A:TG_SPLIT: 0
	.section	.text._ZN2at6native18radixSortKVInPlaceILi2ELin1ELi128ELi8EiljEEvNS_4cuda6detail10TensorInfoIT3_T5_EES6_S6_S6_NS4_IT4_S6_EES6_b,"axG",@progbits,_ZN2at6native18radixSortKVInPlaceILi2ELin1ELi128ELi8EiljEEvNS_4cuda6detail10TensorInfoIT3_T5_EES6_S6_S6_NS4_IT4_S6_EES6_b,comdat
	.protected	_ZN2at6native18radixSortKVInPlaceILi2ELin1ELi128ELi8EiljEEvNS_4cuda6detail10TensorInfoIT3_T5_EES6_S6_S6_NS4_IT4_S6_EES6_b ; -- Begin function _ZN2at6native18radixSortKVInPlaceILi2ELin1ELi128ELi8EiljEEvNS_4cuda6detail10TensorInfoIT3_T5_EES6_S6_S6_NS4_IT4_S6_EES6_b
	.globl	_ZN2at6native18radixSortKVInPlaceILi2ELin1ELi128ELi8EiljEEvNS_4cuda6detail10TensorInfoIT3_T5_EES6_S6_S6_NS4_IT4_S6_EES6_b
	.p2align	8
	.type	_ZN2at6native18radixSortKVInPlaceILi2ELin1ELi128ELi8EiljEEvNS_4cuda6detail10TensorInfoIT3_T5_EES6_S6_S6_NS4_IT4_S6_EES6_b,@function
_ZN2at6native18radixSortKVInPlaceILi2ELin1ELi128ELi8EiljEEvNS_4cuda6detail10TensorInfoIT3_T5_EES6_S6_S6_NS4_IT4_S6_EES6_b: ; @_ZN2at6native18radixSortKVInPlaceILi2ELin1ELi128ELi8EiljEEvNS_4cuda6detail10TensorInfoIT3_T5_EES6_S6_S6_NS4_IT4_S6_EES6_b
; %bb.0:
	s_load_dwordx2 s[0:1], s[4:5], 0x1c8
	s_load_dwordx4 s[44:47], s[4:5], 0xd8
	s_add_u32 s50, s4, 0x1c8
	s_addc_u32 s51, s5, 0
	s_waitcnt lgkmcnt(0)
	s_mul_i32 s1, s1, s8
	s_add_i32 s1, s1, s7
	s_mul_i32 s8, s1, s0
	s_add_i32 s8, s8, s6
	s_cmp_ge_u32 s8, s44
	s_cbranch_scc1 .LBB127_110
; %bb.1:
	s_load_dword s9, s[4:5], 0xc
	s_load_dwordx2 s[0:1], s[4:5], 0x6c
	s_load_dword s6, s[4:5], 0x1b8
	s_add_u32 s14, s4, 0xe8
	s_load_dwordx2 s[2:3], s[4:5], 0x0
	s_waitcnt lgkmcnt(0)
	v_cvt_f32_u32_e32 v1, s9
	s_addc_u32 s15, s5, 0
	s_sub_i32 s7, 0, s9
	s_mov_b32 s17, 0
	v_rcp_iflag_f32_e32 v1, v1
	s_mov_b32 s16, s8
	v_mul_f32_e32 v1, 0x4f7ffffe, v1
	v_cvt_u32_f32_e32 v1, v1
	v_readfirstlane_b32 s10, v1
	s_mul_i32 s7, s7, s10
	s_mul_hi_u32 s7, s10, s7
	s_add_i32 s10, s10, s7
	s_mul_hi_u32 s10, s8, s10
	s_cmp_lt_i32 s6, 2
	s_cbranch_scc1 .LBB127_4
; %bb.2:
	s_add_i32 s16, s6, -1
	s_add_i32 s11, s6, 1
	s_lshl_b64 s[6:7], s[16:17], 2
	s_add_u32 s6, s6, s14
	s_addc_u32 s7, s7, s15
	s_add_u32 s6, s6, 8
	s_addc_u32 s7, s7, 0
	s_mov_b32 s16, s8
.LBB127_3:                              ; =>This Inner Loop Header: Depth=1
	s_load_dword s12, s[6:7], 0x0
	s_load_dword s18, s[6:7], 0x64
	s_mov_b32 s13, s16
	s_waitcnt lgkmcnt(0)
	v_cvt_f32_u32_e32 v1, s12
	s_sub_i32 s16, 0, s12
	v_rcp_iflag_f32_e32 v1, v1
	v_mul_f32_e32 v1, 0x4f7ffffe, v1
	v_cvt_u32_f32_e32 v1, v1
	v_readfirstlane_b32 s19, v1
	s_mul_i32 s16, s16, s19
	s_mul_hi_u32 s16, s19, s16
	s_add_i32 s19, s19, s16
	s_mul_hi_u32 s16, s13, s19
	s_mul_i32 s19, s16, s12
	s_sub_i32 s19, s13, s19
	s_add_i32 s20, s16, 1
	s_sub_i32 s21, s19, s12
	s_cmp_ge_u32 s19, s12
	s_cselect_b32 s16, s20, s16
	s_cselect_b32 s19, s21, s19
	s_add_i32 s20, s16, 1
	s_cmp_ge_u32 s19, s12
	s_cselect_b32 s16, s20, s16
	s_mul_i32 s12, s16, s12
	s_sub_i32 s12, s13, s12
	s_mul_i32 s12, s18, s12
	s_add_i32 s11, s11, -1
	s_add_i32 s17, s12, s17
	s_add_u32 s6, s6, -4
	s_addc_u32 s7, s7, -1
	s_cmp_gt_u32 s11, 2
	s_cbranch_scc1 .LBB127_3
.LBB127_4:
	s_mul_i32 s6, s10, s9
	s_sub_i32 s6, s8, s6
	s_add_i32 s7, s10, 1
	s_sub_i32 s11, s6, s9
	s_cmp_ge_u32 s6, s9
	s_cselect_b32 s7, s7, s10
	s_cselect_b32 s6, s11, s6
	s_add_i32 s10, s7, 1
	s_cmp_ge_u32 s6, s9
	s_cselect_b32 s6, s10, s7
	s_load_dwordx2 s[48:49], s[4:5], 0x1c0
	s_mul_i32 s7, s6, s9
	s_sub_i32 s4, s8, s7
	s_mul_i32 s4, s4, s1
	s_mul_i32 s0, s6, s0
	s_add_i32 s0, s0, s4
	s_waitcnt lgkmcnt(0)
	s_bitcmp1_b32 s49, 0
	s_cselect_b64 s[34:35], -1, 0
	s_brev_b32 s1, 1
	s_and_b64 s[4:5], s[34:35], exec
	s_cselect_b32 s4, s1, 0x7fffffff
	s_mov_b32 s1, 0
	s_lshl_b64 s[0:1], s[0:1], 2
	s_mov_b32 s5, s4
	s_add_u32 s33, s2, s0
	v_and_b32_e32 v38, 0x3ff, v0
	s_mov_b32 s6, s4
	s_mov_b32 s7, s4
	;; [unrolled: 1-line block ×6, first 2 shown]
	v_pk_mov_b32 v[2:3], s[4:5], s[4:5] op_sel:[0,1]
	s_addc_u32 s44, s3, s1
	v_cmp_gt_u32_e64 s[0:1], s45, v38
	v_pk_mov_b32 v[4:5], s[6:7], s[6:7] op_sel:[0,1]
	v_pk_mov_b32 v[6:7], s[8:9], s[8:9] op_sel:[0,1]
	;; [unrolled: 1-line block ×3, first 2 shown]
	v_mov_b32_e32 v10, s4
	v_mul_lo_u32 v34, v38, s46
	s_and_saveexec_b64 s[2:3], s[0:1]
	s_cbranch_execz .LBB127_6
; %bb.5:
	v_mov_b32_e32 v35, 0
	v_lshlrev_b64 v[2:3], 2, v[34:35]
	v_mov_b32_e32 v1, s44
	v_add_co_u32_e32 v2, vcc, s33, v2
	v_addc_co_u32_e32 v3, vcc, v1, v3, vcc
	global_load_dword v10, v[2:3], off
	v_pk_mov_b32 v[2:3], s[4:5], s[4:5] op_sel:[0,1]
	v_pk_mov_b32 v[4:5], s[6:7], s[6:7] op_sel:[0,1]
	;; [unrolled: 1-line block ×4, first 2 shown]
                                        ; kill: def $vgpr2 killed $vgpr10 killed $exec
.LBB127_6:
	s_or_b64 exec, exec, s[2:3]
	v_add_u32_e32 v30, 0x80, v38
	v_cmp_gt_u32_e64 s[2:3], s45, v30
	s_and_saveexec_b64 s[4:5], s[2:3]
	s_cbranch_execz .LBB127_8
; %bb.7:
	v_mul_lo_u32 v2, v30, s46
	v_mov_b32_e32 v3, 0
	v_lshlrev_b64 v[2:3], 2, v[2:3]
	v_mov_b32_e32 v1, s44
	v_add_co_u32_e32 v2, vcc, s33, v2
	v_addc_co_u32_e32 v3, vcc, v1, v3, vcc
	global_load_dword v3, v[2:3], off
.LBB127_8:
	s_or_b64 exec, exec, s[4:5]
	v_add_u32_e32 v28, 0x100, v38
	v_cmp_gt_u32_e64 s[4:5], s45, v28
	s_and_saveexec_b64 s[6:7], s[4:5]
	s_cbranch_execz .LBB127_10
; %bb.9:
	v_mul_lo_u32 v12, v28, s46
	v_mov_b32_e32 v13, 0
	v_lshlrev_b64 v[12:13], 2, v[12:13]
	v_mov_b32_e32 v1, s44
	v_add_co_u32_e32 v12, vcc, s33, v12
	v_addc_co_u32_e32 v13, vcc, v1, v13, vcc
	global_load_dword v4, v[12:13], off
.LBB127_10:
	;; [unrolled: 14-line block ×5, first 2 shown]
	s_or_b64 exec, exec, s[12:13]
	s_load_dwordx2 s[18:19], s[14:15], 0x0
	v_add_u32_e32 v19, 0x300, v38
	v_cmp_gt_u32_e64 s[12:13], s45, v19
	s_and_saveexec_b64 s[20:21], s[12:13]
	s_cbranch_execz .LBB127_18
; %bb.17:
	v_mul_lo_u32 v12, v19, s46
	v_mov_b32_e32 v13, 0
	v_lshlrev_b64 v[12:13], 2, v[12:13]
	v_mov_b32_e32 v1, s44
	v_add_co_u32_e32 v12, vcc, s33, v12
	v_addc_co_u32_e32 v13, vcc, v1, v13, vcc
	global_load_dword v8, v[12:13], off
.LBB127_18:
	s_or_b64 exec, exec, s[20:21]
	s_load_dword s22, s[14:15], 0x6c
	v_add_u32_e32 v1, 0x380, v38
	v_cmp_gt_u32_e64 s[14:15], s45, v1
	s_and_saveexec_b64 s[20:21], s[14:15]
	s_cbranch_execz .LBB127_20
; %bb.19:
	v_mul_lo_u32 v12, v1, s46
	v_mov_b32_e32 v13, 0
	v_lshlrev_b64 v[12:13], 2, v[12:13]
	v_mov_b32_e32 v2, s44
	v_add_co_u32_e32 v12, vcc, s33, v12
	v_addc_co_u32_e32 v13, vcc, v2, v13, vcc
	global_load_dword v9, v[12:13], off
.LBB127_20:
	s_or_b64 exec, exec, s[20:21]
	v_lshrrev_b32_e32 v2, 5, v38
	v_add_u32_e32 v32, v2, v38
	v_lshrrev_b32_e32 v2, 5, v30
	v_add_u32_e32 v31, v2, v38
	;; [unrolled: 2-line block ×8, first 2 shown]
	v_lshlrev_b32_e32 v87, 3, v38
	v_lshrrev_b32_e32 v2, 2, v38
	v_add_u32_e32 v22, v2, v87
	v_lshlrev_b32_e32 v39, 2, v32
	v_lshlrev_b32_e32 v35, 2, v31
	;; [unrolled: 1-line block ×9, first 2 shown]
	s_waitcnt vmcnt(0)
	ds_write_b32 v39, v10
	ds_write_b32 v35, v3 offset:512
	ds_write_b32 v72, v4 offset:1024
	;; [unrolled: 1-line block ×7, first 2 shown]
	s_waitcnt lgkmcnt(0)
	s_barrier
	ds_read2_b32 v[46:47], v78 offset1:1
	ds_read2_b32 v[44:45], v78 offset0:2 offset1:3
	ds_read2_b32 v[42:43], v78 offset0:4 offset1:5
	;; [unrolled: 1-line block ×3, first 2 shown]
	s_mul_i32 s16, s22, s16
	s_add_i32 s16, s16, s17
	s_mov_b32 s17, 0
	s_lshl_b64 s[20:21], s[16:17], 3
	s_add_u32 s45, s18, s20
	s_mov_b32 s16, s17
	s_addc_u32 s47, s19, s21
	s_mov_b32 s18, s17
	s_mov_b32 s19, s17
	s_mov_b32 s20, s17
	s_mov_b32 s21, s17
	s_mov_b32 s22, s17
	s_mov_b32 s23, s17
	s_mov_b32 s24, s17
	s_mov_b32 s25, s17
	s_mov_b32 s26, s17
	s_mov_b32 s27, s17
	s_mov_b32 s28, s17
	s_mov_b32 s29, s17
	s_mov_b32 s30, s17
	s_mov_b32 s31, s17
	v_pk_mov_b32 v[2:3], s[16:17], s[16:17] op_sel:[0,1]
	v_pk_mov_b32 v[4:5], s[18:19], s[18:19] op_sel:[0,1]
	;; [unrolled: 1-line block ×8, first 2 shown]
	v_pk_mov_b32 v[2:3], 0, 0
	v_mul_lo_u32 v36, v38, s48
	s_waitcnt lgkmcnt(0)
	s_barrier
	s_and_saveexec_b64 s[16:17], s[0:1]
	s_cbranch_execnz .LBB127_57
; %bb.21:
	s_or_b64 exec, exec, s[16:17]
	s_and_saveexec_b64 s[16:17], s[2:3]
	s_cbranch_execnz .LBB127_58
.LBB127_22:
	s_or_b64 exec, exec, s[16:17]
	s_and_saveexec_b64 s[16:17], s[4:5]
	s_cbranch_execnz .LBB127_59
.LBB127_23:
	s_or_b64 exec, exec, s[16:17]
	s_and_saveexec_b64 s[16:17], s[6:7]
	s_cbranch_execnz .LBB127_60
.LBB127_24:
	s_or_b64 exec, exec, s[16:17]
	s_and_saveexec_b64 s[16:17], s[8:9]
	s_cbranch_execnz .LBB127_61
.LBB127_25:
	s_or_b64 exec, exec, s[16:17]
	s_and_saveexec_b64 s[16:17], s[10:11]
	s_cbranch_execnz .LBB127_62
.LBB127_26:
	s_or_b64 exec, exec, s[16:17]
	s_and_saveexec_b64 s[16:17], s[12:13]
	s_cbranch_execnz .LBB127_63
.LBB127_27:
	s_or_b64 exec, exec, s[16:17]
	s_xor_b64 s[16:17], s[34:35], -1
	s_and_saveexec_b64 s[18:19], s[14:15]
	s_cbranch_execz .LBB127_29
.LBB127_28:
	v_mul_lo_u32 v16, v1, s48
	v_mov_b32_e32 v17, 0
	v_lshlrev_b64 v[16:17], 3, v[16:17]
	v_mov_b32_e32 v1, s47
	v_add_co_u32_e32 v16, vcc, s45, v16
	v_addc_co_u32_e32 v17, vcc, v1, v17, vcc
	global_load_dwordx2 v[16:17], v[16:17], off
.LBB127_29:
	s_or_b64 exec, exec, s[18:19]
	v_lshlrev_b32_e32 v79, 3, v32
	v_lshlrev_b32_e32 v37, 3, v31
	;; [unrolled: 1-line block ×9, first 2 shown]
	s_waitcnt vmcnt(0)
	ds_write_b64 v79, v[2:3]
	ds_write_b64 v37, v[4:5] offset:1024
	ds_write_b64 v80, v[6:7] offset:2048
	;; [unrolled: 1-line block ×7, first 2 shown]
	s_waitcnt lgkmcnt(0)
	s_barrier
	ds_read2_b64 v[14:17], v86 offset1:1
	ds_read2_b64 v[10:13], v86 offset0:2 offset1:3
	ds_read2_b64 v[6:9], v86 offset0:4 offset1:5
	;; [unrolled: 1-line block ×3, first 2 shown]
	v_mbcnt_lo_u32_b32 v1, -1, 0
	v_mbcnt_hi_u32_b32 v90, -1, v1
	v_and_b32_e32 v1, 0x3c0, v38
	v_add_u32_e32 v18, v90, v1
	v_lshlrev_b32_e32 v19, 3, v18
	v_lshlrev_b32_e32 v104, 5, v18
	v_and_b32_e32 v18, 0x1e00, v87
	v_or_b32_e32 v20, v90, v18
	s_mov_b32 s49, 0
	v_lshlrev_b32_e32 v103, 2, v20
	s_and_b64 vcc, exec, s[16:17]
	v_bfe_u32 v99, v0, 10, 10
	v_bfe_u32 v100, v0, 20, 10
	v_lshlrev_b32_e32 v102, 3, v19
	v_lshlrev_b32_e32 v101, 3, v20
	;; [unrolled: 1-line block ×4, first 2 shown]
	v_and_b32_e32 v95, 15, v90
	v_and_b32_e32 v96, 16, v90
	v_cmp_lt_u32_e64 s[16:17], 31, v90
	v_min_u32_e32 v97, 64, v1
	v_cmp_gt_u32_e64 s[18:19], 2, v38
	v_cmp_lt_u32_e64 s[20:21], 63, v38
	v_add_u32_e32 v92, -1, v90
	v_and_b32_e32 v98, 64, v90
	v_cmp_eq_u32_e64 s[22:23], 0, v90
	v_cmp_eq_u32_e64 s[24:25], 0, v38
	v_lshrrev_b32_e32 v93, 4, v38
	v_and_b32_e32 v94, 1, v90
	v_and_or_b32 v91, v90, 63, v18
	s_waitcnt lgkmcnt(0)
	s_barrier
	s_cbranch_vccz .LBB127_64
; %bb.30:
	v_xor_b32_e32 v0, 0x80000000, v47
	v_xor_b32_e32 v1, 0x80000000, v46
	;; [unrolled: 1-line block ×8, first 2 shown]
	ds_write2_b32 v104, v1, v0 offset1:1
	ds_write2_b32 v104, v19, v18 offset0:2 offset1:3
	ds_write2_b32 v104, v21, v20 offset0:4 offset1:5
	;; [unrolled: 1-line block ×3, first 2 shown]
	; wave barrier
	ds_read2st64_b32 v[64:65], v103 offset1:1
	ds_read2st64_b32 v[66:67], v103 offset0:2 offset1:3
	ds_read2st64_b32 v[68:69], v103 offset0:4 offset1:5
	;; [unrolled: 1-line block ×3, first 2 shown]
	s_waitcnt lgkmcnt(0)
	s_barrier
	ds_write2_b64 v102, v[14:15], v[16:17] offset1:1
	ds_write2_b64 v102, v[10:11], v[12:13] offset0:2 offset1:3
	ds_write2_b64 v102, v[6:7], v[8:9] offset0:4 offset1:5
	;; [unrolled: 1-line block ×3, first 2 shown]
	; wave barrier
	ds_read2st64_b64 v[18:21], v101 offset1:1
	ds_read2st64_b64 v[22:25], v101 offset0:2 offset1:3
	ds_read2st64_b64 v[26:29], v101 offset0:4 offset1:5
	;; [unrolled: 1-line block ×3, first 2 shown]
	s_waitcnt lgkmcnt(0)
	s_barrier
	s_load_dword s28, s[50:51], 0xc
	s_getpc_b64 s[26:27]
	s_add_u32 s26, s26, _ZN7rocprim17ROCPRIM_400000_NS16block_radix_sortIiLj128ELj8ElLj1ELj1ELj0ELNS0_26block_radix_rank_algorithmE1ELNS0_18block_padding_hintE2ELNS0_4arch9wavefront6targetE1EE19radix_bits_per_passE@rel32@lo+4
	s_addc_u32 s27, s27, _ZN7rocprim17ROCPRIM_400000_NS16block_radix_sortIiLj128ELj8ElLj1ELj1ELj0ELNS0_26block_radix_rank_algorithmE1ELNS0_18block_padding_hintE2ELNS0_4arch9wavefront6targetE1EE19radix_bits_per_passE@rel32@hi+12
	s_load_dword s52, s[26:27], 0x0
	v_cmp_lt_i32_e32 vcc, v92, v98
	v_and_b32_e32 v108, 60, v93
	s_waitcnt lgkmcnt(0)
	s_lshr_b32 s26, s28, 16
	s_and_b32 s27, s28, 0xffff
	v_mad_u32_u24 v0, v100, s26, v99
	v_mad_u64_u32 v[0:1], s[26:27], v0, s27, v[38:39]
	v_lshrrev_b32_e32 v106, 6, v0
	v_or_b32_e32 v0, 63, v97
	v_cmp_eq_u32_e64 s[38:39], v0, v38
	v_cndmask_b32_e32 v0, v92, v90, vcc
	v_or_b32_e32 v105, 8, v89
	v_cmp_eq_u32_e64 s[26:27], 0, v95
	v_cmp_lt_u32_e64 s[28:29], 1, v95
	v_cmp_lt_u32_e64 s[30:31], 3, v95
	;; [unrolled: 1-line block ×3, first 2 shown]
	v_cmp_eq_u32_e64 s[36:37], 0, v96
	v_lshlrev_b32_e32 v107, 2, v0
	v_cmp_eq_u32_e64 s[40:41], 0, v94
	v_add_u32_e32 v109, -4, v108
	v_lshlrev_b32_e32 v110, 2, v91
	v_lshlrev_b32_e32 v111, 3, v91
	s_mov_b32 s53, 32
	v_mov_b32_e32 v62, 0
	s_branch .LBB127_32
.LBB127_31:                             ;   in Loop: Header=BB127_32 Depth=1
	v_lshlrev_b32_e32 v18, 2, v63
	s_barrier
	ds_write_b32 v18, v119
	v_lshlrev_b32_e32 v18, 2, v121
	ds_write_b32 v18, v118
	v_lshlrev_b32_e32 v18, 2, v122
	;; [unrolled: 2-line block ×8, first 2 shown]
	s_waitcnt lgkmcnt(0)
	s_barrier
	ds_read2st64_b32 v[64:65], v110 offset1:1
	ds_read2st64_b32 v[66:67], v110 offset0:2 offset1:3
	ds_read2st64_b32 v[68:69], v110 offset0:4 offset1:5
	;; [unrolled: 1-line block ×3, first 2 shown]
	s_waitcnt lgkmcnt(0)
	s_barrier
	ds_write_b64 v18, v[60:61]
	v_lshlrev_b32_e32 v18, 3, v121
	ds_write_b64 v18, v[58:59]
	v_lshlrev_b32_e32 v18, 3, v122
	;; [unrolled: 2-line block ×7, first 2 shown]
	ds_write_b64 v18, v[0:1]
	s_waitcnt lgkmcnt(0)
	s_barrier
	ds_read2st64_b64 v[18:21], v111 offset1:1
	ds_read2st64_b64 v[22:25], v111 offset0:2 offset1:3
	ds_read2st64_b64 v[26:29], v111 offset0:4 offset1:5
	;; [unrolled: 1-line block ×3, first 2 shown]
	s_add_i32 s49, s49, 8
	s_add_i32 s53, s53, -8
	s_waitcnt lgkmcnt(0)
	s_barrier
	s_cbranch_execz .LBB127_56
.LBB127_32:                             ; =>This Inner Loop Header: Depth=1
	s_min_u32 s42, s52, s53
	v_mov_b32_e32 v119, v64
	s_lshl_b32 s42, -1, s42
	v_pk_mov_b32 v[60:61], v[18:19], v[18:19] op_sel:[0,1]
	s_not_b32 s54, s42
	v_lshrrev_b32_e32 v18, s49, v119
	v_and_b32_e32 v18, s54, v18
	v_lshl_add_u32 v19, v18, 1, v106
	v_pk_mov_b32 v[56:57], v[22:23], v[22:23] op_sel:[0,1]
	v_lshl_add_u32 v22, v19, 2, 8
	v_and_b32_e32 v19, 1, v18
	v_pk_mov_b32 v[58:59], v[20:21], v[20:21] op_sel:[0,1]
	v_add_co_u32_e32 v20, vcc, -1, v19
	v_addc_co_u32_e64 v21, s[42:43], 0, -1, vcc
	v_cmp_ne_u32_e32 vcc, 0, v19
	v_lshlrev_b32_e32 v63, 30, v18
	v_xor_b32_e32 v19, vcc_hi, v21
	v_not_b32_e32 v21, v63
	v_xor_b32_e32 v20, vcc_lo, v20
	v_cmp_gt_i64_e32 vcc, 0, v[62:63]
	v_ashrrev_i32_e32 v21, 31, v21
	v_and_b32_e32 v20, exec_lo, v20
	v_xor_b32_e32 v23, vcc_hi, v21
	v_xor_b32_e32 v21, vcc_lo, v21
	v_lshlrev_b32_e32 v63, 29, v18
	v_and_b32_e32 v20, v20, v21
	v_not_b32_e32 v21, v63
	v_and_b32_e32 v19, exec_hi, v19
	v_cmp_gt_i64_e32 vcc, 0, v[62:63]
	v_ashrrev_i32_e32 v21, 31, v21
	v_and_b32_e32 v19, v19, v23
	v_xor_b32_e32 v23, vcc_hi, v21
	v_xor_b32_e32 v21, vcc_lo, v21
	v_lshlrev_b32_e32 v63, 28, v18
	v_and_b32_e32 v20, v20, v21
	v_not_b32_e32 v21, v63
	v_cmp_gt_i64_e32 vcc, 0, v[62:63]
	v_ashrrev_i32_e32 v21, 31, v21
	v_and_b32_e32 v19, v19, v23
	v_xor_b32_e32 v23, vcc_hi, v21
	v_xor_b32_e32 v21, vcc_lo, v21
	v_lshlrev_b32_e32 v63, 27, v18
	v_and_b32_e32 v20, v20, v21
	v_not_b32_e32 v21, v63
	;; [unrolled: 8-line block ×3, first 2 shown]
	v_cmp_gt_i64_e32 vcc, 0, v[62:63]
	v_ashrrev_i32_e32 v21, 31, v21
	v_and_b32_e32 v19, v19, v23
	v_xor_b32_e32 v23, vcc_hi, v21
	v_xor_b32_e32 v21, vcc_lo, v21
	v_lshlrev_b32_e32 v63, 25, v18
	v_and_b32_e32 v20, v20, v21
	v_cmp_gt_i64_e32 vcc, 0, v[62:63]
	v_not_b32_e32 v21, v63
	v_lshlrev_b32_e32 v63, 24, v18
	v_ashrrev_i32_e32 v21, 31, v21
	v_not_b32_e32 v18, v63
	v_and_b32_e32 v19, v19, v23
	v_xor_b32_e32 v23, vcc_hi, v21
	v_xor_b32_e32 v21, vcc_lo, v21
	v_cmp_gt_i64_e32 vcc, 0, v[62:63]
	v_ashrrev_i32_e32 v18, 31, v18
	v_and_b32_e32 v20, v20, v21
	v_xor_b32_e32 v21, vcc_hi, v18
	v_xor_b32_e32 v18, vcc_lo, v18
	v_and_b32_e32 v19, v19, v23
	v_and_b32_e32 v18, v20, v18
	;; [unrolled: 1-line block ×3, first 2 shown]
	v_mbcnt_lo_u32_b32 v20, v18, 0
	v_mbcnt_hi_u32_b32 v23, v19, v20
	v_cmp_eq_u32_e32 vcc, 0, v23
	v_cmp_ne_u64_e64 s[42:43], 0, v[18:19]
	v_mov_b32_e32 v112, v71
	v_mov_b32_e32 v113, v70
	;; [unrolled: 1-line block ×7, first 2 shown]
	v_pk_mov_b32 v[0:1], v[32:33], v[32:33] op_sel:[0,1]
	v_pk_mov_b32 v[48:49], v[30:31], v[30:31] op_sel:[0,1]
	;; [unrolled: 1-line block ×5, first 2 shown]
	s_and_b64 s[56:57], s[42:43], vcc
	ds_write2_b32 v89, v62, v62 offset0:2 offset1:3
	ds_write2_b32 v105, v62, v62 offset0:2 offset1:3
	s_waitcnt lgkmcnt(0)
	s_barrier
	s_waitcnt lgkmcnt(0)
	; wave barrier
	s_and_saveexec_b64 s[42:43], s[56:57]
	s_cbranch_execz .LBB127_34
; %bb.33:                               ;   in Loop: Header=BB127_32 Depth=1
	v_bcnt_u32_b32 v18, v18, 0
	v_bcnt_u32_b32 v18, v19, v18
	ds_write_b32 v22, v18
.LBB127_34:                             ;   in Loop: Header=BB127_32 Depth=1
	s_or_b64 exec, exec, s[42:43]
	v_lshrrev_b32_e32 v18, s49, v118
	v_and_b32_e32 v18, s54, v18
	v_lshlrev_b32_e32 v19, 1, v18
	v_add_lshl_u32 v19, v19, v106, 2
	; wave barrier
	v_add_u32_e32 v25, 8, v19
	ds_read_b32 v24, v19 offset:8
	v_and_b32_e32 v19, 1, v18
	v_add_co_u32_e32 v20, vcc, -1, v19
	v_addc_co_u32_e64 v21, s[42:43], 0, -1, vcc
	v_cmp_ne_u32_e32 vcc, 0, v19
	v_lshlrev_b32_e32 v63, 30, v18
	v_xor_b32_e32 v19, vcc_hi, v21
	v_not_b32_e32 v21, v63
	v_xor_b32_e32 v20, vcc_lo, v20
	v_cmp_gt_i64_e32 vcc, 0, v[62:63]
	v_ashrrev_i32_e32 v21, 31, v21
	v_and_b32_e32 v20, exec_lo, v20
	v_xor_b32_e32 v26, vcc_hi, v21
	v_xor_b32_e32 v21, vcc_lo, v21
	v_lshlrev_b32_e32 v63, 29, v18
	v_and_b32_e32 v20, v20, v21
	v_not_b32_e32 v21, v63
	v_and_b32_e32 v19, exec_hi, v19
	v_cmp_gt_i64_e32 vcc, 0, v[62:63]
	v_ashrrev_i32_e32 v21, 31, v21
	v_and_b32_e32 v19, v19, v26
	v_xor_b32_e32 v26, vcc_hi, v21
	v_xor_b32_e32 v21, vcc_lo, v21
	v_lshlrev_b32_e32 v63, 28, v18
	v_and_b32_e32 v20, v20, v21
	v_not_b32_e32 v21, v63
	v_cmp_gt_i64_e32 vcc, 0, v[62:63]
	v_ashrrev_i32_e32 v21, 31, v21
	v_and_b32_e32 v19, v19, v26
	v_xor_b32_e32 v26, vcc_hi, v21
	v_xor_b32_e32 v21, vcc_lo, v21
	v_lshlrev_b32_e32 v63, 27, v18
	v_and_b32_e32 v20, v20, v21
	v_not_b32_e32 v21, v63
	;; [unrolled: 8-line block ×3, first 2 shown]
	v_cmp_gt_i64_e32 vcc, 0, v[62:63]
	v_ashrrev_i32_e32 v21, 31, v21
	v_and_b32_e32 v19, v19, v26
	v_xor_b32_e32 v26, vcc_hi, v21
	v_xor_b32_e32 v21, vcc_lo, v21
	v_lshlrev_b32_e32 v63, 25, v18
	v_and_b32_e32 v20, v20, v21
	v_cmp_gt_i64_e32 vcc, 0, v[62:63]
	v_not_b32_e32 v21, v63
	v_lshlrev_b32_e32 v63, 24, v18
	v_ashrrev_i32_e32 v21, 31, v21
	v_not_b32_e32 v18, v63
	v_and_b32_e32 v19, v19, v26
	v_xor_b32_e32 v26, vcc_hi, v21
	v_xor_b32_e32 v21, vcc_lo, v21
	v_cmp_gt_i64_e32 vcc, 0, v[62:63]
	v_ashrrev_i32_e32 v18, 31, v18
	v_and_b32_e32 v20, v20, v21
	v_xor_b32_e32 v21, vcc_hi, v18
	v_xor_b32_e32 v18, vcc_lo, v18
	v_and_b32_e32 v19, v19, v26
	v_and_b32_e32 v18, v20, v18
	;; [unrolled: 1-line block ×3, first 2 shown]
	v_mbcnt_lo_u32_b32 v20, v18, 0
	v_mbcnt_hi_u32_b32 v26, v19, v20
	v_cmp_eq_u32_e32 vcc, 0, v26
	v_cmp_ne_u64_e64 s[42:43], 0, v[18:19]
	s_and_b64 s[56:57], s[42:43], vcc
	; wave barrier
	s_and_saveexec_b64 s[42:43], s[56:57]
	s_cbranch_execz .LBB127_36
; %bb.35:                               ;   in Loop: Header=BB127_32 Depth=1
	v_bcnt_u32_b32 v18, v18, 0
	v_bcnt_u32_b32 v18, v19, v18
	s_waitcnt lgkmcnt(0)
	v_add_u32_e32 v18, v24, v18
	ds_write_b32 v25, v18
.LBB127_36:                             ;   in Loop: Header=BB127_32 Depth=1
	s_or_b64 exec, exec, s[42:43]
	v_lshrrev_b32_e32 v18, s49, v117
	v_and_b32_e32 v18, s54, v18
	v_lshlrev_b32_e32 v19, 1, v18
	v_add_lshl_u32 v19, v19, v106, 2
	; wave barrier
	v_add_u32_e32 v28, 8, v19
	ds_read_b32 v27, v19 offset:8
	v_and_b32_e32 v19, 1, v18
	v_add_co_u32_e32 v20, vcc, -1, v19
	v_addc_co_u32_e64 v21, s[42:43], 0, -1, vcc
	v_cmp_ne_u32_e32 vcc, 0, v19
	v_lshlrev_b32_e32 v63, 30, v18
	v_xor_b32_e32 v19, vcc_hi, v21
	v_not_b32_e32 v21, v63
	v_xor_b32_e32 v20, vcc_lo, v20
	v_cmp_gt_i64_e32 vcc, 0, v[62:63]
	v_ashrrev_i32_e32 v21, 31, v21
	v_and_b32_e32 v20, exec_lo, v20
	v_xor_b32_e32 v29, vcc_hi, v21
	v_xor_b32_e32 v21, vcc_lo, v21
	v_lshlrev_b32_e32 v63, 29, v18
	v_and_b32_e32 v20, v20, v21
	v_not_b32_e32 v21, v63
	v_and_b32_e32 v19, exec_hi, v19
	v_cmp_gt_i64_e32 vcc, 0, v[62:63]
	v_ashrrev_i32_e32 v21, 31, v21
	v_and_b32_e32 v19, v19, v29
	v_xor_b32_e32 v29, vcc_hi, v21
	v_xor_b32_e32 v21, vcc_lo, v21
	v_lshlrev_b32_e32 v63, 28, v18
	v_and_b32_e32 v20, v20, v21
	v_not_b32_e32 v21, v63
	v_cmp_gt_i64_e32 vcc, 0, v[62:63]
	v_ashrrev_i32_e32 v21, 31, v21
	v_and_b32_e32 v19, v19, v29
	v_xor_b32_e32 v29, vcc_hi, v21
	v_xor_b32_e32 v21, vcc_lo, v21
	v_lshlrev_b32_e32 v63, 27, v18
	v_and_b32_e32 v20, v20, v21
	v_not_b32_e32 v21, v63
	;; [unrolled: 8-line block ×3, first 2 shown]
	v_cmp_gt_i64_e32 vcc, 0, v[62:63]
	v_ashrrev_i32_e32 v21, 31, v21
	v_and_b32_e32 v19, v19, v29
	v_xor_b32_e32 v29, vcc_hi, v21
	v_xor_b32_e32 v21, vcc_lo, v21
	v_lshlrev_b32_e32 v63, 25, v18
	v_and_b32_e32 v20, v20, v21
	v_cmp_gt_i64_e32 vcc, 0, v[62:63]
	v_not_b32_e32 v21, v63
	v_lshlrev_b32_e32 v63, 24, v18
	v_ashrrev_i32_e32 v21, 31, v21
	v_not_b32_e32 v18, v63
	v_and_b32_e32 v19, v19, v29
	v_xor_b32_e32 v29, vcc_hi, v21
	v_xor_b32_e32 v21, vcc_lo, v21
	v_cmp_gt_i64_e32 vcc, 0, v[62:63]
	v_ashrrev_i32_e32 v18, 31, v18
	v_and_b32_e32 v20, v20, v21
	v_xor_b32_e32 v21, vcc_hi, v18
	v_xor_b32_e32 v18, vcc_lo, v18
	v_and_b32_e32 v19, v19, v29
	v_and_b32_e32 v18, v20, v18
	;; [unrolled: 1-line block ×3, first 2 shown]
	v_mbcnt_lo_u32_b32 v20, v18, 0
	v_mbcnt_hi_u32_b32 v29, v19, v20
	v_cmp_eq_u32_e32 vcc, 0, v29
	v_cmp_ne_u64_e64 s[42:43], 0, v[18:19]
	s_and_b64 s[56:57], s[42:43], vcc
	; wave barrier
	s_and_saveexec_b64 s[42:43], s[56:57]
	s_cbranch_execz .LBB127_38
; %bb.37:                               ;   in Loop: Header=BB127_32 Depth=1
	v_bcnt_u32_b32 v18, v18, 0
	v_bcnt_u32_b32 v18, v19, v18
	s_waitcnt lgkmcnt(0)
	v_add_u32_e32 v18, v27, v18
	ds_write_b32 v28, v18
.LBB127_38:                             ;   in Loop: Header=BB127_32 Depth=1
	s_or_b64 exec, exec, s[42:43]
	v_lshrrev_b32_e32 v18, s49, v116
	v_and_b32_e32 v18, s54, v18
	v_lshlrev_b32_e32 v19, 1, v18
	v_add_lshl_u32 v19, v19, v106, 2
	; wave barrier
	v_add_u32_e32 v31, 8, v19
	ds_read_b32 v30, v19 offset:8
	v_and_b32_e32 v19, 1, v18
	v_add_co_u32_e32 v20, vcc, -1, v19
	v_addc_co_u32_e64 v21, s[42:43], 0, -1, vcc
	v_cmp_ne_u32_e32 vcc, 0, v19
	v_lshlrev_b32_e32 v63, 30, v18
	v_xor_b32_e32 v19, vcc_hi, v21
	v_not_b32_e32 v21, v63
	v_xor_b32_e32 v20, vcc_lo, v20
	v_cmp_gt_i64_e32 vcc, 0, v[62:63]
	v_ashrrev_i32_e32 v21, 31, v21
	v_and_b32_e32 v20, exec_lo, v20
	v_xor_b32_e32 v32, vcc_hi, v21
	v_xor_b32_e32 v21, vcc_lo, v21
	v_lshlrev_b32_e32 v63, 29, v18
	v_and_b32_e32 v20, v20, v21
	v_not_b32_e32 v21, v63
	v_and_b32_e32 v19, exec_hi, v19
	v_cmp_gt_i64_e32 vcc, 0, v[62:63]
	v_ashrrev_i32_e32 v21, 31, v21
	v_and_b32_e32 v19, v19, v32
	v_xor_b32_e32 v32, vcc_hi, v21
	v_xor_b32_e32 v21, vcc_lo, v21
	v_lshlrev_b32_e32 v63, 28, v18
	v_and_b32_e32 v20, v20, v21
	v_not_b32_e32 v21, v63
	v_cmp_gt_i64_e32 vcc, 0, v[62:63]
	v_ashrrev_i32_e32 v21, 31, v21
	v_and_b32_e32 v19, v19, v32
	v_xor_b32_e32 v32, vcc_hi, v21
	v_xor_b32_e32 v21, vcc_lo, v21
	v_lshlrev_b32_e32 v63, 27, v18
	v_and_b32_e32 v20, v20, v21
	v_not_b32_e32 v21, v63
	;; [unrolled: 8-line block ×3, first 2 shown]
	v_cmp_gt_i64_e32 vcc, 0, v[62:63]
	v_ashrrev_i32_e32 v21, 31, v21
	v_and_b32_e32 v19, v19, v32
	v_xor_b32_e32 v32, vcc_hi, v21
	v_xor_b32_e32 v21, vcc_lo, v21
	v_lshlrev_b32_e32 v63, 25, v18
	v_and_b32_e32 v20, v20, v21
	v_cmp_gt_i64_e32 vcc, 0, v[62:63]
	v_not_b32_e32 v21, v63
	v_lshlrev_b32_e32 v63, 24, v18
	v_ashrrev_i32_e32 v21, 31, v21
	v_not_b32_e32 v18, v63
	v_and_b32_e32 v19, v19, v32
	v_xor_b32_e32 v32, vcc_hi, v21
	v_xor_b32_e32 v21, vcc_lo, v21
	v_cmp_gt_i64_e32 vcc, 0, v[62:63]
	v_ashrrev_i32_e32 v18, 31, v18
	v_and_b32_e32 v20, v20, v21
	v_xor_b32_e32 v21, vcc_hi, v18
	v_xor_b32_e32 v18, vcc_lo, v18
	v_and_b32_e32 v19, v19, v32
	v_and_b32_e32 v18, v20, v18
	;; [unrolled: 1-line block ×3, first 2 shown]
	v_mbcnt_lo_u32_b32 v20, v18, 0
	v_mbcnt_hi_u32_b32 v32, v19, v20
	v_cmp_eq_u32_e32 vcc, 0, v32
	v_cmp_ne_u64_e64 s[42:43], 0, v[18:19]
	s_and_b64 s[56:57], s[42:43], vcc
	; wave barrier
	s_and_saveexec_b64 s[42:43], s[56:57]
	s_cbranch_execz .LBB127_40
; %bb.39:                               ;   in Loop: Header=BB127_32 Depth=1
	v_bcnt_u32_b32 v18, v18, 0
	v_bcnt_u32_b32 v18, v19, v18
	s_waitcnt lgkmcnt(0)
	v_add_u32_e32 v18, v30, v18
	ds_write_b32 v31, v18
.LBB127_40:                             ;   in Loop: Header=BB127_32 Depth=1
	s_or_b64 exec, exec, s[42:43]
	v_lshrrev_b32_e32 v18, s49, v115
	v_and_b32_e32 v18, s54, v18
	v_lshlrev_b32_e32 v19, 1, v18
	v_add_lshl_u32 v19, v19, v106, 2
	; wave barrier
	v_add_u32_e32 v64, 8, v19
	ds_read_b32 v33, v19 offset:8
	v_and_b32_e32 v19, 1, v18
	v_add_co_u32_e32 v20, vcc, -1, v19
	v_addc_co_u32_e64 v21, s[42:43], 0, -1, vcc
	v_cmp_ne_u32_e32 vcc, 0, v19
	v_lshlrev_b32_e32 v63, 30, v18
	v_xor_b32_e32 v19, vcc_hi, v21
	v_not_b32_e32 v21, v63
	v_xor_b32_e32 v20, vcc_lo, v20
	v_cmp_gt_i64_e32 vcc, 0, v[62:63]
	v_ashrrev_i32_e32 v21, 31, v21
	v_and_b32_e32 v19, exec_hi, v19
	v_xor_b32_e32 v63, vcc_hi, v21
	v_and_b32_e32 v20, exec_lo, v20
	v_xor_b32_e32 v21, vcc_lo, v21
	v_and_b32_e32 v19, v19, v63
	v_lshlrev_b32_e32 v63, 29, v18
	v_and_b32_e32 v20, v20, v21
	v_not_b32_e32 v21, v63
	v_cmp_gt_i64_e32 vcc, 0, v[62:63]
	v_ashrrev_i32_e32 v21, 31, v21
	v_xor_b32_e32 v63, vcc_hi, v21
	v_xor_b32_e32 v21, vcc_lo, v21
	v_and_b32_e32 v19, v19, v63
	v_lshlrev_b32_e32 v63, 28, v18
	v_and_b32_e32 v20, v20, v21
	v_not_b32_e32 v21, v63
	v_cmp_gt_i64_e32 vcc, 0, v[62:63]
	v_ashrrev_i32_e32 v21, 31, v21
	v_xor_b32_e32 v63, vcc_hi, v21
	;; [unrolled: 8-line block ×5, first 2 shown]
	v_and_b32_e32 v19, v19, v63
	v_lshlrev_b32_e32 v63, 24, v18
	v_not_b32_e32 v18, v63
	v_xor_b32_e32 v21, vcc_lo, v21
	v_cmp_gt_i64_e32 vcc, 0, v[62:63]
	v_ashrrev_i32_e32 v18, 31, v18
	v_and_b32_e32 v20, v20, v21
	v_xor_b32_e32 v21, vcc_hi, v18
	v_xor_b32_e32 v18, vcc_lo, v18
	v_and_b32_e32 v18, v20, v18
	v_and_b32_e32 v19, v19, v21
	v_mbcnt_lo_u32_b32 v20, v18, 0
	v_mbcnt_hi_u32_b32 v65, v19, v20
	v_cmp_eq_u32_e32 vcc, 0, v65
	v_cmp_ne_u64_e64 s[42:43], 0, v[18:19]
	s_and_b64 s[56:57], s[42:43], vcc
	; wave barrier
	s_and_saveexec_b64 s[42:43], s[56:57]
	s_cbranch_execz .LBB127_42
; %bb.41:                               ;   in Loop: Header=BB127_32 Depth=1
	v_bcnt_u32_b32 v18, v18, 0
	v_bcnt_u32_b32 v18, v19, v18
	s_waitcnt lgkmcnt(0)
	v_add_u32_e32 v18, v33, v18
	ds_write_b32 v64, v18
.LBB127_42:                             ;   in Loop: Header=BB127_32 Depth=1
	s_or_b64 exec, exec, s[42:43]
	v_lshrrev_b32_e32 v18, s49, v114
	v_and_b32_e32 v18, s54, v18
	v_lshlrev_b32_e32 v19, 1, v18
	v_add_lshl_u32 v19, v19, v106, 2
	; wave barrier
	v_add_u32_e32 v67, 8, v19
	ds_read_b32 v66, v19 offset:8
	v_and_b32_e32 v19, 1, v18
	v_add_co_u32_e32 v20, vcc, -1, v19
	v_addc_co_u32_e64 v21, s[42:43], 0, -1, vcc
	v_cmp_ne_u32_e32 vcc, 0, v19
	v_lshlrev_b32_e32 v63, 30, v18
	v_xor_b32_e32 v19, vcc_hi, v21
	v_not_b32_e32 v21, v63
	v_xor_b32_e32 v20, vcc_lo, v20
	v_cmp_gt_i64_e32 vcc, 0, v[62:63]
	v_ashrrev_i32_e32 v21, 31, v21
	v_and_b32_e32 v19, exec_hi, v19
	v_xor_b32_e32 v63, vcc_hi, v21
	v_and_b32_e32 v20, exec_lo, v20
	v_xor_b32_e32 v21, vcc_lo, v21
	v_and_b32_e32 v19, v19, v63
	v_lshlrev_b32_e32 v63, 29, v18
	v_and_b32_e32 v20, v20, v21
	v_not_b32_e32 v21, v63
	v_cmp_gt_i64_e32 vcc, 0, v[62:63]
	v_ashrrev_i32_e32 v21, 31, v21
	v_xor_b32_e32 v63, vcc_hi, v21
	v_xor_b32_e32 v21, vcc_lo, v21
	v_and_b32_e32 v19, v19, v63
	v_lshlrev_b32_e32 v63, 28, v18
	v_and_b32_e32 v20, v20, v21
	v_not_b32_e32 v21, v63
	v_cmp_gt_i64_e32 vcc, 0, v[62:63]
	v_ashrrev_i32_e32 v21, 31, v21
	v_xor_b32_e32 v63, vcc_hi, v21
	;; [unrolled: 8-line block ×5, first 2 shown]
	v_and_b32_e32 v19, v19, v63
	v_lshlrev_b32_e32 v63, 24, v18
	v_not_b32_e32 v18, v63
	v_xor_b32_e32 v21, vcc_lo, v21
	v_cmp_gt_i64_e32 vcc, 0, v[62:63]
	v_ashrrev_i32_e32 v18, 31, v18
	v_and_b32_e32 v20, v20, v21
	v_xor_b32_e32 v21, vcc_hi, v18
	v_xor_b32_e32 v18, vcc_lo, v18
	v_and_b32_e32 v18, v20, v18
	v_and_b32_e32 v19, v19, v21
	v_mbcnt_lo_u32_b32 v20, v18, 0
	v_mbcnt_hi_u32_b32 v68, v19, v20
	v_cmp_eq_u32_e32 vcc, 0, v68
	v_cmp_ne_u64_e64 s[42:43], 0, v[18:19]
	s_and_b64 s[56:57], s[42:43], vcc
	; wave barrier
	s_and_saveexec_b64 s[42:43], s[56:57]
	s_cbranch_execz .LBB127_44
; %bb.43:                               ;   in Loop: Header=BB127_32 Depth=1
	v_bcnt_u32_b32 v18, v18, 0
	v_bcnt_u32_b32 v18, v19, v18
	s_waitcnt lgkmcnt(0)
	v_add_u32_e32 v18, v66, v18
	ds_write_b32 v67, v18
.LBB127_44:                             ;   in Loop: Header=BB127_32 Depth=1
	s_or_b64 exec, exec, s[42:43]
	v_lshrrev_b32_e32 v18, s49, v113
	v_and_b32_e32 v18, s54, v18
	v_lshlrev_b32_e32 v19, 1, v18
	v_add_lshl_u32 v19, v19, v106, 2
	; wave barrier
	v_add_u32_e32 v70, 8, v19
	ds_read_b32 v69, v19 offset:8
	v_and_b32_e32 v19, 1, v18
	v_add_co_u32_e32 v20, vcc, -1, v19
	v_addc_co_u32_e64 v21, s[42:43], 0, -1, vcc
	v_cmp_ne_u32_e32 vcc, 0, v19
	v_lshlrev_b32_e32 v63, 30, v18
	v_xor_b32_e32 v19, vcc_hi, v21
	v_not_b32_e32 v21, v63
	v_xor_b32_e32 v20, vcc_lo, v20
	v_cmp_gt_i64_e32 vcc, 0, v[62:63]
	v_ashrrev_i32_e32 v21, 31, v21
	v_and_b32_e32 v19, exec_hi, v19
	v_xor_b32_e32 v63, vcc_hi, v21
	v_and_b32_e32 v20, exec_lo, v20
	v_xor_b32_e32 v21, vcc_lo, v21
	v_and_b32_e32 v19, v19, v63
	v_lshlrev_b32_e32 v63, 29, v18
	v_and_b32_e32 v20, v20, v21
	v_not_b32_e32 v21, v63
	v_cmp_gt_i64_e32 vcc, 0, v[62:63]
	v_ashrrev_i32_e32 v21, 31, v21
	v_xor_b32_e32 v63, vcc_hi, v21
	v_xor_b32_e32 v21, vcc_lo, v21
	v_and_b32_e32 v19, v19, v63
	v_lshlrev_b32_e32 v63, 28, v18
	v_and_b32_e32 v20, v20, v21
	v_not_b32_e32 v21, v63
	v_cmp_gt_i64_e32 vcc, 0, v[62:63]
	v_ashrrev_i32_e32 v21, 31, v21
	v_xor_b32_e32 v63, vcc_hi, v21
	;; [unrolled: 8-line block ×5, first 2 shown]
	v_and_b32_e32 v19, v19, v63
	v_lshlrev_b32_e32 v63, 24, v18
	v_not_b32_e32 v18, v63
	v_xor_b32_e32 v21, vcc_lo, v21
	v_cmp_gt_i64_e32 vcc, 0, v[62:63]
	v_ashrrev_i32_e32 v18, 31, v18
	v_and_b32_e32 v20, v20, v21
	v_xor_b32_e32 v21, vcc_hi, v18
	v_xor_b32_e32 v18, vcc_lo, v18
	v_and_b32_e32 v18, v20, v18
	v_and_b32_e32 v19, v19, v21
	v_mbcnt_lo_u32_b32 v20, v18, 0
	v_mbcnt_hi_u32_b32 v71, v19, v20
	v_cmp_eq_u32_e32 vcc, 0, v71
	v_cmp_ne_u64_e64 s[42:43], 0, v[18:19]
	s_and_b64 s[56:57], s[42:43], vcc
	; wave barrier
	s_and_saveexec_b64 s[42:43], s[56:57]
	s_cbranch_execz .LBB127_46
; %bb.45:                               ;   in Loop: Header=BB127_32 Depth=1
	v_bcnt_u32_b32 v18, v18, 0
	v_bcnt_u32_b32 v18, v19, v18
	s_waitcnt lgkmcnt(0)
	v_add_u32_e32 v18, v69, v18
	ds_write_b32 v70, v18
.LBB127_46:                             ;   in Loop: Header=BB127_32 Depth=1
	s_or_b64 exec, exec, s[42:43]
	v_lshrrev_b32_e32 v18, s49, v112
	v_and_b32_e32 v18, s54, v18
	v_lshlrev_b32_e32 v19, 1, v18
	v_add_lshl_u32 v19, v19, v106, 2
	; wave barrier
	v_add_u32_e32 v121, 8, v19
	ds_read_b32 v120, v19 offset:8
	v_and_b32_e32 v19, 1, v18
	v_add_co_u32_e32 v20, vcc, -1, v19
	v_addc_co_u32_e64 v21, s[42:43], 0, -1, vcc
	v_cmp_ne_u32_e32 vcc, 0, v19
	v_lshlrev_b32_e32 v63, 30, v18
	v_xor_b32_e32 v19, vcc_hi, v21
	v_not_b32_e32 v21, v63
	v_xor_b32_e32 v20, vcc_lo, v20
	v_cmp_gt_i64_e32 vcc, 0, v[62:63]
	v_ashrrev_i32_e32 v21, 31, v21
	v_and_b32_e32 v19, exec_hi, v19
	v_xor_b32_e32 v63, vcc_hi, v21
	v_and_b32_e32 v20, exec_lo, v20
	v_xor_b32_e32 v21, vcc_lo, v21
	v_and_b32_e32 v19, v19, v63
	v_lshlrev_b32_e32 v63, 29, v18
	v_and_b32_e32 v20, v20, v21
	v_not_b32_e32 v21, v63
	v_cmp_gt_i64_e32 vcc, 0, v[62:63]
	v_ashrrev_i32_e32 v21, 31, v21
	v_xor_b32_e32 v63, vcc_hi, v21
	v_xor_b32_e32 v21, vcc_lo, v21
	v_and_b32_e32 v19, v19, v63
	v_lshlrev_b32_e32 v63, 28, v18
	v_and_b32_e32 v20, v20, v21
	v_not_b32_e32 v21, v63
	v_cmp_gt_i64_e32 vcc, 0, v[62:63]
	v_ashrrev_i32_e32 v21, 31, v21
	v_xor_b32_e32 v63, vcc_hi, v21
	;; [unrolled: 8-line block ×5, first 2 shown]
	v_and_b32_e32 v19, v19, v63
	v_lshlrev_b32_e32 v63, 24, v18
	v_not_b32_e32 v18, v63
	v_xor_b32_e32 v21, vcc_lo, v21
	v_cmp_gt_i64_e32 vcc, 0, v[62:63]
	v_ashrrev_i32_e32 v18, 31, v18
	v_and_b32_e32 v20, v20, v21
	v_xor_b32_e32 v21, vcc_hi, v18
	v_xor_b32_e32 v18, vcc_lo, v18
	v_and_b32_e32 v18, v20, v18
	v_and_b32_e32 v19, v19, v21
	v_mbcnt_lo_u32_b32 v20, v18, 0
	v_mbcnt_hi_u32_b32 v127, v19, v20
	v_cmp_eq_u32_e32 vcc, 0, v127
	v_cmp_ne_u64_e64 s[42:43], 0, v[18:19]
	s_and_b64 s[54:55], s[42:43], vcc
	; wave barrier
	s_and_saveexec_b64 s[42:43], s[54:55]
	s_cbranch_execz .LBB127_48
; %bb.47:                               ;   in Loop: Header=BB127_32 Depth=1
	v_bcnt_u32_b32 v18, v18, 0
	v_bcnt_u32_b32 v18, v19, v18
	s_waitcnt lgkmcnt(0)
	v_add_u32_e32 v18, v120, v18
	ds_write_b32 v121, v18
.LBB127_48:                             ;   in Loop: Header=BB127_32 Depth=1
	s_or_b64 exec, exec, s[42:43]
	; wave barrier
	s_waitcnt lgkmcnt(0)
	s_barrier
	ds_read2_b32 v[20:21], v89 offset0:2 offset1:3
	ds_read2_b32 v[18:19], v105 offset0:2 offset1:3
	s_waitcnt lgkmcnt(1)
	v_add_u32_e32 v63, v21, v20
	s_waitcnt lgkmcnt(0)
	v_add3_u32 v19, v63, v18, v19
	s_nop 1
	v_mov_b32_dpp v63, v19 row_shr:1 row_mask:0xf bank_mask:0xf
	v_cndmask_b32_e64 v63, v63, 0, s[26:27]
	v_add_u32_e32 v19, v63, v19
	s_nop 1
	v_mov_b32_dpp v63, v19 row_shr:2 row_mask:0xf bank_mask:0xf
	v_cndmask_b32_e64 v63, 0, v63, s[28:29]
	v_add_u32_e32 v19, v19, v63
	;; [unrolled: 4-line block ×4, first 2 shown]
	s_nop 1
	v_mov_b32_dpp v63, v19 row_bcast:15 row_mask:0xf bank_mask:0xf
	v_cndmask_b32_e64 v63, v63, 0, s[36:37]
	v_add_u32_e32 v19, v19, v63
	s_nop 1
	v_mov_b32_dpp v63, v19 row_bcast:31 row_mask:0xf bank_mask:0xf
	v_cndmask_b32_e64 v63, 0, v63, s[16:17]
	v_add_u32_e32 v19, v19, v63
	s_and_saveexec_b64 s[42:43], s[38:39]
	s_cbranch_execz .LBB127_50
; %bb.49:                               ;   in Loop: Header=BB127_32 Depth=1
	ds_write_b32 v108, v19
.LBB127_50:                             ;   in Loop: Header=BB127_32 Depth=1
	s_or_b64 exec, exec, s[42:43]
	s_waitcnt lgkmcnt(0)
	s_barrier
	s_and_saveexec_b64 s[42:43], s[18:19]
	s_cbranch_execz .LBB127_52
; %bb.51:                               ;   in Loop: Header=BB127_32 Depth=1
	ds_read_b32 v63, v88
	s_waitcnt lgkmcnt(0)
	s_nop 0
	v_mov_b32_dpp v122, v63 row_shr:1 row_mask:0xf bank_mask:0xf
	v_cndmask_b32_e64 v122, v122, 0, s[40:41]
	v_add_u32_e32 v63, v122, v63
	ds_write_b32 v88, v63
.LBB127_52:                             ;   in Loop: Header=BB127_32 Depth=1
	s_or_b64 exec, exec, s[42:43]
	v_mov_b32_e32 v63, 0
	s_waitcnt lgkmcnt(0)
	s_barrier
	s_and_saveexec_b64 s[42:43], s[20:21]
	s_cbranch_execz .LBB127_54
; %bb.53:                               ;   in Loop: Header=BB127_32 Depth=1
	ds_read_b32 v63, v109
.LBB127_54:                             ;   in Loop: Header=BB127_32 Depth=1
	s_or_b64 exec, exec, s[42:43]
	s_waitcnt lgkmcnt(0)
	v_add_u32_e32 v19, v63, v19
	ds_bpermute_b32 v19, v107, v19
	s_cmp_gt_u32 s49, 23
	s_waitcnt lgkmcnt(0)
	v_cndmask_b32_e64 v19, v19, v63, s[22:23]
	v_cndmask_b32_e64 v19, v19, 0, s[24:25]
	v_add_u32_e32 v20, v19, v20
	v_add_u32_e32 v21, v20, v21
	;; [unrolled: 1-line block ×3, first 2 shown]
	ds_write2_b32 v89, v19, v20 offset0:2 offset1:3
	ds_write2_b32 v105, v21, v18 offset0:2 offset1:3
	s_waitcnt lgkmcnt(0)
	s_barrier
	ds_read_b32 v18, v22
	ds_read_b32 v19, v25
	;; [unrolled: 1-line block ×8, first 2 shown]
	s_waitcnt lgkmcnt(7)
	v_add_u32_e32 v63, v18, v23
	s_waitcnt lgkmcnt(6)
	v_add3_u32 v121, v26, v24, v19
	s_waitcnt lgkmcnt(5)
	v_add3_u32 v122, v29, v27, v20
	;; [unrolled: 2-line block ×7, first 2 shown]
	s_cbranch_scc0 .LBB127_31
; %bb.55:
                                        ; implicit-def: $vgpr71
                                        ; implicit-def: $vgpr69
                                        ; implicit-def: $vgpr67
                                        ; implicit-def: $vgpr65
                                        ; implicit-def: $vgpr32_vgpr33
                                        ; implicit-def: $vgpr28_vgpr29
                                        ; implicit-def: $vgpr24_vgpr25
                                        ; implicit-def: $vgpr20_vgpr21
                                        ; implicit-def: $sgpr49
                                        ; implicit-def: $sgpr53
.LBB127_56:
	v_lshlrev_b32_e32 v18, 2, v63
	s_barrier
	ds_write_b32 v18, v119
	v_lshlrev_b32_e32 v18, 2, v121
	ds_write_b32 v18, v118
	v_lshlrev_b32_e32 v18, 2, v122
	;; [unrolled: 2-line block ×7, first 2 shown]
	v_lshlrev_b32_e32 v22, 2, v87
	ds_write_b32 v18, v112
	s_waitcnt lgkmcnt(0)
	s_barrier
	ds_read2_b32 v[18:19], v22 offset1:1
	ds_read2_b32 v[20:21], v22 offset0:2 offset1:3
	ds_read2_b32 v[66:67], v22 offset0:4 offset1:5
	;; [unrolled: 1-line block ×3, first 2 shown]
	v_lshlrev_b32_e32 v23, 3, v63
	v_lshlrev_b32_e32 v24, 3, v121
	;; [unrolled: 1-line block ×9, first 2 shown]
	s_waitcnt lgkmcnt(3)
	v_xor_b32_e32 v62, 0x80000000, v18
	v_xor_b32_e32 v64, 0x80000000, v19
	s_waitcnt lgkmcnt(2)
	v_xor_b32_e32 v63, 0x80000000, v20
	v_xor_b32_e32 v65, 0x80000000, v21
	s_waitcnt lgkmcnt(0)
	s_barrier
	ds_write_b64 v23, v[60:61]
	ds_write_b64 v24, v[58:59]
	;; [unrolled: 1-line block ×8, first 2 shown]
	s_waitcnt lgkmcnt(0)
	s_barrier
	ds_read2_b64 v[18:21], v31 offset1:1
	ds_read2_b64 v[22:25], v31 offset0:2 offset1:3
	ds_read2_b64 v[26:29], v31 offset0:4 offset1:5
	;; [unrolled: 1-line block ×3, first 2 shown]
	v_xor_b32_e32 v66, 0x80000000, v66
	v_xor_b32_e32 v0, 0x80000000, v67
	;; [unrolled: 1-line block ×4, first 2 shown]
	s_branch .LBB127_92
.LBB127_57:
	v_mov_b32_e32 v37, 0
	v_lshlrev_b64 v[2:3], 3, v[36:37]
	v_mov_b32_e32 v4, s47
	v_add_co_u32_e32 v2, vcc, s45, v2
	v_addc_co_u32_e32 v3, vcc, v4, v3, vcc
	global_load_dwordx2 v[2:3], v[2:3], off
	v_mov_b32_e32 v4, v37
	v_mov_b32_e32 v5, v37
	;; [unrolled: 1-line block ×14, first 2 shown]
	s_or_b64 exec, exec, s[16:17]
	s_and_saveexec_b64 s[16:17], s[2:3]
	s_cbranch_execz .LBB127_22
.LBB127_58:
	v_mul_lo_u32 v4, v30, s48
	v_mov_b32_e32 v5, 0
	v_lshlrev_b64 v[4:5], 3, v[4:5]
	v_mov_b32_e32 v30, s47
	v_add_co_u32_e32 v4, vcc, s45, v4
	v_addc_co_u32_e32 v5, vcc, v30, v5, vcc
	global_load_dwordx2 v[4:5], v[4:5], off
	s_or_b64 exec, exec, s[16:17]
	s_and_saveexec_b64 s[16:17], s[4:5]
	s_cbranch_execz .LBB127_23
.LBB127_59:
	v_mul_lo_u32 v6, v28, s48
	v_mov_b32_e32 v7, 0
	v_lshlrev_b64 v[6:7], 3, v[6:7]
	v_mov_b32_e32 v28, s47
	v_add_co_u32_e32 v6, vcc, s45, v6
	v_addc_co_u32_e32 v7, vcc, v28, v7, vcc
	global_load_dwordx2 v[6:7], v[6:7], off
	s_or_b64 exec, exec, s[16:17]
	s_and_saveexec_b64 s[16:17], s[6:7]
	s_cbranch_execz .LBB127_24
.LBB127_60:
	v_mul_lo_u32 v8, v26, s48
	v_mov_b32_e32 v9, 0
	v_lshlrev_b64 v[8:9], 3, v[8:9]
	v_mov_b32_e32 v26, s47
	v_add_co_u32_e32 v8, vcc, s45, v8
	v_addc_co_u32_e32 v9, vcc, v26, v9, vcc
	global_load_dwordx2 v[8:9], v[8:9], off
	s_or_b64 exec, exec, s[16:17]
	s_and_saveexec_b64 s[16:17], s[8:9]
	s_cbranch_execz .LBB127_25
.LBB127_61:
	v_mul_lo_u32 v10, v24, s48
	v_mov_b32_e32 v11, 0
	v_lshlrev_b64 v[10:11], 3, v[10:11]
	v_mov_b32_e32 v24, s47
	v_add_co_u32_e32 v10, vcc, s45, v10
	v_addc_co_u32_e32 v11, vcc, v24, v11, vcc
	global_load_dwordx2 v[10:11], v[10:11], off
	s_or_b64 exec, exec, s[16:17]
	s_and_saveexec_b64 s[16:17], s[10:11]
	s_cbranch_execz .LBB127_26
.LBB127_62:
	v_mul_lo_u32 v12, v21, s48
	v_mov_b32_e32 v13, 0
	v_lshlrev_b64 v[12:13], 3, v[12:13]
	v_mov_b32_e32 v21, s47
	v_add_co_u32_e32 v12, vcc, s45, v12
	v_addc_co_u32_e32 v13, vcc, v21, v13, vcc
	global_load_dwordx2 v[12:13], v[12:13], off
	s_or_b64 exec, exec, s[16:17]
	s_and_saveexec_b64 s[16:17], s[12:13]
	s_cbranch_execz .LBB127_27
.LBB127_63:
	v_mul_lo_u32 v14, v19, s48
	v_mov_b32_e32 v15, 0
	v_lshlrev_b64 v[14:15], 3, v[14:15]
	v_mov_b32_e32 v19, s47
	v_add_co_u32_e32 v14, vcc, s45, v14
	v_addc_co_u32_e32 v15, vcc, v19, v15, vcc
	global_load_dwordx2 v[14:15], v[14:15], off
	s_or_b64 exec, exec, s[16:17]
	s_xor_b64 s[16:17], s[34:35], -1
	s_and_saveexec_b64 s[18:19], s[14:15]
	s_cbranch_execnz .LBB127_28
	s_branch .LBB127_29
.LBB127_64:
                                        ; implicit-def: $vgpr48
                                        ; implicit-def: $vgpr1
                                        ; implicit-def: $vgpr0
                                        ; implicit-def: $vgpr66
                                        ; implicit-def: $vgpr65
                                        ; implicit-def: $vgpr63
                                        ; implicit-def: $vgpr64
                                        ; implicit-def: $vgpr62
                                        ; implicit-def: $vgpr32_vgpr33
                                        ; implicit-def: $vgpr28_vgpr29
                                        ; implicit-def: $vgpr24_vgpr25
                                        ; implicit-def: $vgpr20_vgpr21
	s_cbranch_execz .LBB127_92
; %bb.65:
	v_xor_b32_e32 v0, 0x7fffffff, v47
	v_xor_b32_e32 v1, 0x7fffffff, v46
	s_waitcnt lgkmcnt(3)
	v_xor_b32_e32 v18, 0x7fffffff, v45
	v_xor_b32_e32 v19, 0x7fffffff, v44
	;; [unrolled: 1-line block ×4, first 2 shown]
	s_waitcnt lgkmcnt(2)
	v_xor_b32_e32 v22, 0x7fffffff, v41
	v_xor_b32_e32 v23, 0x7fffffff, v40
	ds_write2_b32 v104, v1, v0 offset1:1
	ds_write2_b32 v104, v19, v18 offset0:2 offset1:3
	ds_write2_b32 v104, v21, v20 offset0:4 offset1:5
	;; [unrolled: 1-line block ×3, first 2 shown]
	; wave barrier
	ds_read2st64_b32 v[40:41], v103 offset1:1
	ds_read2st64_b32 v[42:43], v103 offset0:2 offset1:3
	ds_read2st64_b32 v[44:45], v103 offset0:4 offset1:5
	;; [unrolled: 1-line block ×3, first 2 shown]
	s_waitcnt lgkmcnt(0)
	s_barrier
	ds_write2_b64 v102, v[14:15], v[16:17] offset1:1
	ds_write2_b64 v102, v[10:11], v[12:13] offset0:2 offset1:3
	ds_write2_b64 v102, v[6:7], v[8:9] offset0:4 offset1:5
	;; [unrolled: 1-line block ×3, first 2 shown]
	; wave barrier
	ds_read2st64_b64 v[0:3], v101 offset1:1
	ds_read2st64_b64 v[4:7], v101 offset0:2 offset1:3
	ds_read2st64_b64 v[8:11], v101 offset0:4 offset1:5
	;; [unrolled: 1-line block ×3, first 2 shown]
	s_waitcnt lgkmcnt(0)
	s_barrier
	s_load_dword s18, s[50:51], 0xc
	s_getpc_b64 s[16:17]
	s_add_u32 s16, s16, _ZN7rocprim17ROCPRIM_400000_NS16block_radix_sortIiLj128ELj8ElLj1ELj1ELj0ELNS0_26block_radix_rank_algorithmE1ELNS0_18block_padding_hintE2ELNS0_4arch9wavefront6targetE1EE19radix_bits_per_passE@rel32@lo+4
	s_addc_u32 s17, s17, _ZN7rocprim17ROCPRIM_400000_NS16block_radix_sortIiLj128ELj8ElLj1ELj1ELj0ELNS0_26block_radix_rank_algorithmE1ELNS0_18block_padding_hintE2ELNS0_4arch9wavefront6targetE1EE19radix_bits_per_passE@rel32@hi+12
	s_load_dword s49, s[16:17], 0x0
	v_cmp_lt_i32_e32 vcc, v92, v98
	v_cmp_gt_u32_e64 s[30:31], 2, v38
	s_waitcnt lgkmcnt(0)
	s_lshr_b32 s16, s18, 16
	s_and_b32 s17, s18, 0xffff
	v_mad_u32_u24 v16, v100, s16, v99
	v_mad_u64_u32 v[16:17], s[16:17], v16, s17, v[38:39]
	v_lshrrev_b32_e32 v49, 6, v16
	v_or_b32_e32 v16, 63, v97
	v_cmp_eq_u32_e64 s[28:29], v16, v38
	v_cmp_lt_u32_e64 s[34:35], 63, v38
	v_cndmask_b32_e32 v16, v92, v90, vcc
	v_cmp_eq_u32_e64 s[38:39], 0, v38
	v_and_b32_e32 v38, 60, v93
	v_or_b32_e32 v48, 8, v89
	s_mov_b32 s50, 0
	v_cmp_eq_u32_e64 s[16:17], 0, v95
	v_cmp_lt_u32_e64 s[18:19], 1, v95
	v_cmp_lt_u32_e64 s[20:21], 3, v95
	;; [unrolled: 1-line block ×3, first 2 shown]
	v_cmp_eq_u32_e64 s[24:25], 0, v96
	v_cmp_lt_u32_e64 s[26:27], 31, v90
	v_lshlrev_b32_e32 v50, 2, v16
	v_cmp_eq_u32_e64 s[36:37], 0, v90
	v_cmp_eq_u32_e64 s[40:41], 0, v94
	v_add_u32_e32 v51, -4, v38
	v_lshlrev_b32_e32 v52, 2, v91
	v_lshlrev_b32_e32 v53, 3, v91
	s_mov_b32 s51, 32
	v_mov_b32_e32 v32, 0
	s_branch .LBB127_67
.LBB127_66:                             ;   in Loop: Header=BB127_67 Depth=1
	v_lshlrev_b32_e32 v0, 2, v33
	s_barrier
	ds_write_b32 v0, v61
	v_lshlrev_b32_e32 v0, 2, v63
	ds_write_b32 v0, v60
	v_lshlrev_b32_e32 v0, 2, v64
	ds_write_b32 v0, v59
	v_lshlrev_b32_e32 v0, 2, v65
	ds_write_b32 v0, v58
	v_lshlrev_b32_e32 v0, 2, v66
	ds_write_b32 v0, v57
	v_lshlrev_b32_e32 v0, 2, v67
	ds_write_b32 v0, v56
	v_lshlrev_b32_e32 v0, 2, v68
	ds_write_b32 v0, v55
	v_lshlrev_b32_e32 v0, 2, v62
	ds_write_b32 v0, v54
	v_lshlrev_b32_e32 v0, 3, v33
	s_waitcnt lgkmcnt(0)
	s_barrier
	ds_read2st64_b32 v[40:41], v52 offset1:1
	ds_read2st64_b32 v[42:43], v52 offset0:2 offset1:3
	ds_read2st64_b32 v[44:45], v52 offset0:4 offset1:5
	;; [unrolled: 1-line block ×3, first 2 shown]
	s_waitcnt lgkmcnt(0)
	s_barrier
	ds_write_b64 v0, v[30:31]
	v_lshlrev_b32_e32 v0, 3, v63
	ds_write_b64 v0, v[28:29]
	v_lshlrev_b32_e32 v0, 3, v64
	;; [unrolled: 2-line block ×7, first 2 shown]
	ds_write_b64 v0, v[16:17]
	s_waitcnt lgkmcnt(0)
	s_barrier
	ds_read2st64_b64 v[0:3], v53 offset1:1
	ds_read2st64_b64 v[4:7], v53 offset0:2 offset1:3
	ds_read2st64_b64 v[8:11], v53 offset0:4 offset1:5
	;; [unrolled: 1-line block ×3, first 2 shown]
	s_add_i32 s50, s50, 8
	s_add_i32 s51, s51, -8
	s_waitcnt lgkmcnt(0)
	s_barrier
	s_cbranch_execz .LBB127_91
.LBB127_67:                             ; =>This Inner Loop Header: Depth=1
	s_min_u32 s42, s49, s51
	v_mov_b32_e32 v61, v40
	s_lshl_b32 s42, -1, s42
	v_pk_mov_b32 v[30:31], v[0:1], v[0:1] op_sel:[0,1]
	s_not_b32 s52, s42
	v_lshrrev_b32_e32 v0, s50, v61
	v_and_b32_e32 v0, s52, v0
	v_lshl_add_u32 v1, v0, 1, v49
	v_pk_mov_b32 v[26:27], v[4:5], v[4:5] op_sel:[0,1]
	v_lshl_add_u32 v4, v1, 2, 8
	v_and_b32_e32 v1, 1, v0
	v_pk_mov_b32 v[28:29], v[2:3], v[2:3] op_sel:[0,1]
	v_add_co_u32_e32 v2, vcc, -1, v1
	v_addc_co_u32_e64 v3, s[42:43], 0, -1, vcc
	v_cmp_ne_u32_e32 vcc, 0, v1
	v_lshlrev_b32_e32 v33, 30, v0
	v_xor_b32_e32 v1, vcc_hi, v3
	v_not_b32_e32 v3, v33
	v_xor_b32_e32 v2, vcc_lo, v2
	v_cmp_gt_i64_e32 vcc, 0, v[32:33]
	v_ashrrev_i32_e32 v3, 31, v3
	v_and_b32_e32 v2, exec_lo, v2
	v_xor_b32_e32 v5, vcc_hi, v3
	v_xor_b32_e32 v3, vcc_lo, v3
	v_lshlrev_b32_e32 v33, 29, v0
	v_and_b32_e32 v2, v2, v3
	v_not_b32_e32 v3, v33
	v_and_b32_e32 v1, exec_hi, v1
	v_cmp_gt_i64_e32 vcc, 0, v[32:33]
	v_ashrrev_i32_e32 v3, 31, v3
	v_and_b32_e32 v1, v1, v5
	v_xor_b32_e32 v5, vcc_hi, v3
	v_xor_b32_e32 v3, vcc_lo, v3
	v_lshlrev_b32_e32 v33, 28, v0
	v_and_b32_e32 v2, v2, v3
	v_not_b32_e32 v3, v33
	v_cmp_gt_i64_e32 vcc, 0, v[32:33]
	v_ashrrev_i32_e32 v3, 31, v3
	v_and_b32_e32 v1, v1, v5
	v_xor_b32_e32 v5, vcc_hi, v3
	v_xor_b32_e32 v3, vcc_lo, v3
	v_lshlrev_b32_e32 v33, 27, v0
	v_and_b32_e32 v2, v2, v3
	v_not_b32_e32 v3, v33
	;; [unrolled: 8-line block ×3, first 2 shown]
	v_cmp_gt_i64_e32 vcc, 0, v[32:33]
	v_ashrrev_i32_e32 v3, 31, v3
	v_and_b32_e32 v1, v1, v5
	v_xor_b32_e32 v5, vcc_hi, v3
	v_xor_b32_e32 v3, vcc_lo, v3
	v_lshlrev_b32_e32 v33, 25, v0
	v_and_b32_e32 v2, v2, v3
	v_cmp_gt_i64_e32 vcc, 0, v[32:33]
	v_not_b32_e32 v3, v33
	v_lshlrev_b32_e32 v33, 24, v0
	v_ashrrev_i32_e32 v3, 31, v3
	v_not_b32_e32 v0, v33
	v_and_b32_e32 v1, v1, v5
	v_xor_b32_e32 v5, vcc_hi, v3
	v_xor_b32_e32 v3, vcc_lo, v3
	v_cmp_gt_i64_e32 vcc, 0, v[32:33]
	v_ashrrev_i32_e32 v0, 31, v0
	v_and_b32_e32 v2, v2, v3
	v_xor_b32_e32 v3, vcc_hi, v0
	v_xor_b32_e32 v0, vcc_lo, v0
	v_and_b32_e32 v1, v1, v5
	v_and_b32_e32 v0, v2, v0
	;; [unrolled: 1-line block ×3, first 2 shown]
	v_mbcnt_lo_u32_b32 v2, v0, 0
	v_mbcnt_hi_u32_b32 v5, v1, v2
	v_cmp_eq_u32_e32 vcc, 0, v5
	v_cmp_ne_u64_e64 s[42:43], 0, v[0:1]
	v_mov_b32_e32 v54, v47
	v_mov_b32_e32 v55, v46
	;; [unrolled: 1-line block ×7, first 2 shown]
	v_pk_mov_b32 v[16:17], v[14:15], v[14:15] op_sel:[0,1]
	v_pk_mov_b32 v[18:19], v[12:13], v[12:13] op_sel:[0,1]
	;; [unrolled: 1-line block ×5, first 2 shown]
	s_and_b64 s[54:55], s[42:43], vcc
	ds_write2_b32 v89, v32, v32 offset0:2 offset1:3
	ds_write2_b32 v48, v32, v32 offset0:2 offset1:3
	s_waitcnt lgkmcnt(0)
	s_barrier
	s_waitcnt lgkmcnt(0)
	; wave barrier
	s_and_saveexec_b64 s[42:43], s[54:55]
	s_cbranch_execz .LBB127_69
; %bb.68:                               ;   in Loop: Header=BB127_67 Depth=1
	v_bcnt_u32_b32 v0, v0, 0
	v_bcnt_u32_b32 v0, v1, v0
	ds_write_b32 v4, v0
.LBB127_69:                             ;   in Loop: Header=BB127_67 Depth=1
	s_or_b64 exec, exec, s[42:43]
	v_lshrrev_b32_e32 v0, s50, v60
	v_and_b32_e32 v0, s52, v0
	v_lshlrev_b32_e32 v1, 1, v0
	v_add_lshl_u32 v1, v1, v49, 2
	; wave barrier
	v_add_u32_e32 v7, 8, v1
	ds_read_b32 v6, v1 offset:8
	v_and_b32_e32 v1, 1, v0
	v_add_co_u32_e32 v2, vcc, -1, v1
	v_addc_co_u32_e64 v3, s[42:43], 0, -1, vcc
	v_cmp_ne_u32_e32 vcc, 0, v1
	v_lshlrev_b32_e32 v33, 30, v0
	v_xor_b32_e32 v1, vcc_hi, v3
	v_not_b32_e32 v3, v33
	v_xor_b32_e32 v2, vcc_lo, v2
	v_cmp_gt_i64_e32 vcc, 0, v[32:33]
	v_ashrrev_i32_e32 v3, 31, v3
	v_and_b32_e32 v2, exec_lo, v2
	v_xor_b32_e32 v8, vcc_hi, v3
	v_xor_b32_e32 v3, vcc_lo, v3
	v_lshlrev_b32_e32 v33, 29, v0
	v_and_b32_e32 v2, v2, v3
	v_not_b32_e32 v3, v33
	v_and_b32_e32 v1, exec_hi, v1
	v_cmp_gt_i64_e32 vcc, 0, v[32:33]
	v_ashrrev_i32_e32 v3, 31, v3
	v_and_b32_e32 v1, v1, v8
	v_xor_b32_e32 v8, vcc_hi, v3
	v_xor_b32_e32 v3, vcc_lo, v3
	v_lshlrev_b32_e32 v33, 28, v0
	v_and_b32_e32 v2, v2, v3
	v_not_b32_e32 v3, v33
	v_cmp_gt_i64_e32 vcc, 0, v[32:33]
	v_ashrrev_i32_e32 v3, 31, v3
	v_and_b32_e32 v1, v1, v8
	v_xor_b32_e32 v8, vcc_hi, v3
	v_xor_b32_e32 v3, vcc_lo, v3
	v_lshlrev_b32_e32 v33, 27, v0
	v_and_b32_e32 v2, v2, v3
	v_not_b32_e32 v3, v33
	v_cmp_gt_i64_e32 vcc, 0, v[32:33]
	v_ashrrev_i32_e32 v3, 31, v3
	v_and_b32_e32 v1, v1, v8
	v_xor_b32_e32 v8, vcc_hi, v3
	v_xor_b32_e32 v3, vcc_lo, v3
	v_lshlrev_b32_e32 v33, 26, v0
	v_and_b32_e32 v2, v2, v3
	v_not_b32_e32 v3, v33
	v_cmp_gt_i64_e32 vcc, 0, v[32:33]
	v_ashrrev_i32_e32 v3, 31, v3
	v_and_b32_e32 v1, v1, v8
	v_xor_b32_e32 v8, vcc_hi, v3
	v_xor_b32_e32 v3, vcc_lo, v3
	v_lshlrev_b32_e32 v33, 25, v0
	v_and_b32_e32 v2, v2, v3
	v_cmp_gt_i64_e32 vcc, 0, v[32:33]
	v_not_b32_e32 v3, v33
	v_lshlrev_b32_e32 v33, 24, v0
	v_ashrrev_i32_e32 v3, 31, v3
	v_not_b32_e32 v0, v33
	v_and_b32_e32 v1, v1, v8
	v_xor_b32_e32 v8, vcc_hi, v3
	v_xor_b32_e32 v3, vcc_lo, v3
	v_cmp_gt_i64_e32 vcc, 0, v[32:33]
	v_ashrrev_i32_e32 v0, 31, v0
	v_and_b32_e32 v2, v2, v3
	v_xor_b32_e32 v3, vcc_hi, v0
	v_xor_b32_e32 v0, vcc_lo, v0
	v_and_b32_e32 v1, v1, v8
	v_and_b32_e32 v0, v2, v0
	;; [unrolled: 1-line block ×3, first 2 shown]
	v_mbcnt_lo_u32_b32 v2, v0, 0
	v_mbcnt_hi_u32_b32 v8, v1, v2
	v_cmp_eq_u32_e32 vcc, 0, v8
	v_cmp_ne_u64_e64 s[42:43], 0, v[0:1]
	s_and_b64 s[54:55], s[42:43], vcc
	; wave barrier
	s_and_saveexec_b64 s[42:43], s[54:55]
	s_cbranch_execz .LBB127_71
; %bb.70:                               ;   in Loop: Header=BB127_67 Depth=1
	v_bcnt_u32_b32 v0, v0, 0
	v_bcnt_u32_b32 v0, v1, v0
	s_waitcnt lgkmcnt(0)
	v_add_u32_e32 v0, v6, v0
	ds_write_b32 v7, v0
.LBB127_71:                             ;   in Loop: Header=BB127_67 Depth=1
	s_or_b64 exec, exec, s[42:43]
	v_lshrrev_b32_e32 v0, s50, v59
	v_and_b32_e32 v0, s52, v0
	v_lshlrev_b32_e32 v1, 1, v0
	v_add_lshl_u32 v1, v1, v49, 2
	; wave barrier
	v_add_u32_e32 v10, 8, v1
	ds_read_b32 v9, v1 offset:8
	v_and_b32_e32 v1, 1, v0
	v_add_co_u32_e32 v2, vcc, -1, v1
	v_addc_co_u32_e64 v3, s[42:43], 0, -1, vcc
	v_cmp_ne_u32_e32 vcc, 0, v1
	v_lshlrev_b32_e32 v33, 30, v0
	v_xor_b32_e32 v1, vcc_hi, v3
	v_not_b32_e32 v3, v33
	v_xor_b32_e32 v2, vcc_lo, v2
	v_cmp_gt_i64_e32 vcc, 0, v[32:33]
	v_ashrrev_i32_e32 v3, 31, v3
	v_and_b32_e32 v2, exec_lo, v2
	v_xor_b32_e32 v11, vcc_hi, v3
	v_xor_b32_e32 v3, vcc_lo, v3
	v_lshlrev_b32_e32 v33, 29, v0
	v_and_b32_e32 v2, v2, v3
	v_not_b32_e32 v3, v33
	v_and_b32_e32 v1, exec_hi, v1
	v_cmp_gt_i64_e32 vcc, 0, v[32:33]
	v_ashrrev_i32_e32 v3, 31, v3
	v_and_b32_e32 v1, v1, v11
	v_xor_b32_e32 v11, vcc_hi, v3
	v_xor_b32_e32 v3, vcc_lo, v3
	v_lshlrev_b32_e32 v33, 28, v0
	v_and_b32_e32 v2, v2, v3
	v_not_b32_e32 v3, v33
	v_cmp_gt_i64_e32 vcc, 0, v[32:33]
	v_ashrrev_i32_e32 v3, 31, v3
	v_and_b32_e32 v1, v1, v11
	v_xor_b32_e32 v11, vcc_hi, v3
	v_xor_b32_e32 v3, vcc_lo, v3
	v_lshlrev_b32_e32 v33, 27, v0
	v_and_b32_e32 v2, v2, v3
	v_not_b32_e32 v3, v33
	;; [unrolled: 8-line block ×3, first 2 shown]
	v_cmp_gt_i64_e32 vcc, 0, v[32:33]
	v_ashrrev_i32_e32 v3, 31, v3
	v_and_b32_e32 v1, v1, v11
	v_xor_b32_e32 v11, vcc_hi, v3
	v_xor_b32_e32 v3, vcc_lo, v3
	v_lshlrev_b32_e32 v33, 25, v0
	v_and_b32_e32 v2, v2, v3
	v_cmp_gt_i64_e32 vcc, 0, v[32:33]
	v_not_b32_e32 v3, v33
	v_lshlrev_b32_e32 v33, 24, v0
	v_ashrrev_i32_e32 v3, 31, v3
	v_not_b32_e32 v0, v33
	v_and_b32_e32 v1, v1, v11
	v_xor_b32_e32 v11, vcc_hi, v3
	v_xor_b32_e32 v3, vcc_lo, v3
	v_cmp_gt_i64_e32 vcc, 0, v[32:33]
	v_ashrrev_i32_e32 v0, 31, v0
	v_and_b32_e32 v2, v2, v3
	v_xor_b32_e32 v3, vcc_hi, v0
	v_xor_b32_e32 v0, vcc_lo, v0
	v_and_b32_e32 v1, v1, v11
	v_and_b32_e32 v0, v2, v0
	;; [unrolled: 1-line block ×3, first 2 shown]
	v_mbcnt_lo_u32_b32 v2, v0, 0
	v_mbcnt_hi_u32_b32 v11, v1, v2
	v_cmp_eq_u32_e32 vcc, 0, v11
	v_cmp_ne_u64_e64 s[42:43], 0, v[0:1]
	s_and_b64 s[54:55], s[42:43], vcc
	; wave barrier
	s_and_saveexec_b64 s[42:43], s[54:55]
	s_cbranch_execz .LBB127_73
; %bb.72:                               ;   in Loop: Header=BB127_67 Depth=1
	v_bcnt_u32_b32 v0, v0, 0
	v_bcnt_u32_b32 v0, v1, v0
	s_waitcnt lgkmcnt(0)
	v_add_u32_e32 v0, v9, v0
	ds_write_b32 v10, v0
.LBB127_73:                             ;   in Loop: Header=BB127_67 Depth=1
	s_or_b64 exec, exec, s[42:43]
	v_lshrrev_b32_e32 v0, s50, v58
	v_and_b32_e32 v0, s52, v0
	v_lshlrev_b32_e32 v1, 1, v0
	v_add_lshl_u32 v1, v1, v49, 2
	; wave barrier
	v_add_u32_e32 v13, 8, v1
	ds_read_b32 v12, v1 offset:8
	v_and_b32_e32 v1, 1, v0
	v_add_co_u32_e32 v2, vcc, -1, v1
	v_addc_co_u32_e64 v3, s[42:43], 0, -1, vcc
	v_cmp_ne_u32_e32 vcc, 0, v1
	v_lshlrev_b32_e32 v33, 30, v0
	v_xor_b32_e32 v1, vcc_hi, v3
	v_not_b32_e32 v3, v33
	v_xor_b32_e32 v2, vcc_lo, v2
	v_cmp_gt_i64_e32 vcc, 0, v[32:33]
	v_ashrrev_i32_e32 v3, 31, v3
	v_and_b32_e32 v2, exec_lo, v2
	v_xor_b32_e32 v14, vcc_hi, v3
	v_xor_b32_e32 v3, vcc_lo, v3
	v_lshlrev_b32_e32 v33, 29, v0
	v_and_b32_e32 v2, v2, v3
	v_not_b32_e32 v3, v33
	v_and_b32_e32 v1, exec_hi, v1
	v_cmp_gt_i64_e32 vcc, 0, v[32:33]
	v_ashrrev_i32_e32 v3, 31, v3
	v_and_b32_e32 v1, v1, v14
	v_xor_b32_e32 v14, vcc_hi, v3
	v_xor_b32_e32 v3, vcc_lo, v3
	v_lshlrev_b32_e32 v33, 28, v0
	v_and_b32_e32 v2, v2, v3
	v_not_b32_e32 v3, v33
	v_cmp_gt_i64_e32 vcc, 0, v[32:33]
	v_ashrrev_i32_e32 v3, 31, v3
	v_and_b32_e32 v1, v1, v14
	v_xor_b32_e32 v14, vcc_hi, v3
	v_xor_b32_e32 v3, vcc_lo, v3
	v_lshlrev_b32_e32 v33, 27, v0
	v_and_b32_e32 v2, v2, v3
	v_not_b32_e32 v3, v33
	;; [unrolled: 8-line block ×3, first 2 shown]
	v_cmp_gt_i64_e32 vcc, 0, v[32:33]
	v_ashrrev_i32_e32 v3, 31, v3
	v_and_b32_e32 v1, v1, v14
	v_xor_b32_e32 v14, vcc_hi, v3
	v_xor_b32_e32 v3, vcc_lo, v3
	v_lshlrev_b32_e32 v33, 25, v0
	v_and_b32_e32 v2, v2, v3
	v_cmp_gt_i64_e32 vcc, 0, v[32:33]
	v_not_b32_e32 v3, v33
	v_lshlrev_b32_e32 v33, 24, v0
	v_ashrrev_i32_e32 v3, 31, v3
	v_not_b32_e32 v0, v33
	v_and_b32_e32 v1, v1, v14
	v_xor_b32_e32 v14, vcc_hi, v3
	v_xor_b32_e32 v3, vcc_lo, v3
	v_cmp_gt_i64_e32 vcc, 0, v[32:33]
	v_ashrrev_i32_e32 v0, 31, v0
	v_and_b32_e32 v2, v2, v3
	v_xor_b32_e32 v3, vcc_hi, v0
	v_xor_b32_e32 v0, vcc_lo, v0
	v_and_b32_e32 v1, v1, v14
	v_and_b32_e32 v0, v2, v0
	;; [unrolled: 1-line block ×3, first 2 shown]
	v_mbcnt_lo_u32_b32 v2, v0, 0
	v_mbcnt_hi_u32_b32 v14, v1, v2
	v_cmp_eq_u32_e32 vcc, 0, v14
	v_cmp_ne_u64_e64 s[42:43], 0, v[0:1]
	s_and_b64 s[54:55], s[42:43], vcc
	; wave barrier
	s_and_saveexec_b64 s[42:43], s[54:55]
	s_cbranch_execz .LBB127_75
; %bb.74:                               ;   in Loop: Header=BB127_67 Depth=1
	v_bcnt_u32_b32 v0, v0, 0
	v_bcnt_u32_b32 v0, v1, v0
	s_waitcnt lgkmcnt(0)
	v_add_u32_e32 v0, v12, v0
	ds_write_b32 v13, v0
.LBB127_75:                             ;   in Loop: Header=BB127_67 Depth=1
	s_or_b64 exec, exec, s[42:43]
	v_lshrrev_b32_e32 v0, s50, v57
	v_and_b32_e32 v0, s52, v0
	v_lshlrev_b32_e32 v1, 1, v0
	v_add_lshl_u32 v1, v1, v49, 2
	; wave barrier
	v_add_u32_e32 v40, 8, v1
	ds_read_b32 v15, v1 offset:8
	v_and_b32_e32 v1, 1, v0
	v_add_co_u32_e32 v2, vcc, -1, v1
	v_addc_co_u32_e64 v3, s[42:43], 0, -1, vcc
	v_cmp_ne_u32_e32 vcc, 0, v1
	v_lshlrev_b32_e32 v33, 30, v0
	v_xor_b32_e32 v1, vcc_hi, v3
	v_not_b32_e32 v3, v33
	v_xor_b32_e32 v2, vcc_lo, v2
	v_cmp_gt_i64_e32 vcc, 0, v[32:33]
	v_ashrrev_i32_e32 v3, 31, v3
	v_and_b32_e32 v1, exec_hi, v1
	v_xor_b32_e32 v33, vcc_hi, v3
	v_and_b32_e32 v2, exec_lo, v2
	v_xor_b32_e32 v3, vcc_lo, v3
	v_and_b32_e32 v1, v1, v33
	v_lshlrev_b32_e32 v33, 29, v0
	v_and_b32_e32 v2, v2, v3
	v_not_b32_e32 v3, v33
	v_cmp_gt_i64_e32 vcc, 0, v[32:33]
	v_ashrrev_i32_e32 v3, 31, v3
	v_xor_b32_e32 v33, vcc_hi, v3
	v_xor_b32_e32 v3, vcc_lo, v3
	v_and_b32_e32 v1, v1, v33
	v_lshlrev_b32_e32 v33, 28, v0
	v_and_b32_e32 v2, v2, v3
	v_not_b32_e32 v3, v33
	v_cmp_gt_i64_e32 vcc, 0, v[32:33]
	v_ashrrev_i32_e32 v3, 31, v3
	v_xor_b32_e32 v33, vcc_hi, v3
	;; [unrolled: 8-line block ×5, first 2 shown]
	v_and_b32_e32 v1, v1, v33
	v_lshlrev_b32_e32 v33, 24, v0
	v_not_b32_e32 v0, v33
	v_xor_b32_e32 v3, vcc_lo, v3
	v_cmp_gt_i64_e32 vcc, 0, v[32:33]
	v_ashrrev_i32_e32 v0, 31, v0
	v_and_b32_e32 v2, v2, v3
	v_xor_b32_e32 v3, vcc_hi, v0
	v_xor_b32_e32 v0, vcc_lo, v0
	v_and_b32_e32 v0, v2, v0
	v_and_b32_e32 v1, v1, v3
	v_mbcnt_lo_u32_b32 v2, v0, 0
	v_mbcnt_hi_u32_b32 v41, v1, v2
	v_cmp_eq_u32_e32 vcc, 0, v41
	v_cmp_ne_u64_e64 s[42:43], 0, v[0:1]
	s_and_b64 s[54:55], s[42:43], vcc
	; wave barrier
	s_and_saveexec_b64 s[42:43], s[54:55]
	s_cbranch_execz .LBB127_77
; %bb.76:                               ;   in Loop: Header=BB127_67 Depth=1
	v_bcnt_u32_b32 v0, v0, 0
	v_bcnt_u32_b32 v0, v1, v0
	s_waitcnt lgkmcnt(0)
	v_add_u32_e32 v0, v15, v0
	ds_write_b32 v40, v0
.LBB127_77:                             ;   in Loop: Header=BB127_67 Depth=1
	s_or_b64 exec, exec, s[42:43]
	v_lshrrev_b32_e32 v0, s50, v56
	v_and_b32_e32 v0, s52, v0
	v_lshlrev_b32_e32 v1, 1, v0
	v_add_lshl_u32 v1, v1, v49, 2
	; wave barrier
	v_add_u32_e32 v43, 8, v1
	ds_read_b32 v42, v1 offset:8
	v_and_b32_e32 v1, 1, v0
	v_add_co_u32_e32 v2, vcc, -1, v1
	v_addc_co_u32_e64 v3, s[42:43], 0, -1, vcc
	v_cmp_ne_u32_e32 vcc, 0, v1
	v_lshlrev_b32_e32 v33, 30, v0
	v_xor_b32_e32 v1, vcc_hi, v3
	v_not_b32_e32 v3, v33
	v_xor_b32_e32 v2, vcc_lo, v2
	v_cmp_gt_i64_e32 vcc, 0, v[32:33]
	v_ashrrev_i32_e32 v3, 31, v3
	v_and_b32_e32 v1, exec_hi, v1
	v_xor_b32_e32 v33, vcc_hi, v3
	v_and_b32_e32 v2, exec_lo, v2
	v_xor_b32_e32 v3, vcc_lo, v3
	v_and_b32_e32 v1, v1, v33
	v_lshlrev_b32_e32 v33, 29, v0
	v_and_b32_e32 v2, v2, v3
	v_not_b32_e32 v3, v33
	v_cmp_gt_i64_e32 vcc, 0, v[32:33]
	v_ashrrev_i32_e32 v3, 31, v3
	v_xor_b32_e32 v33, vcc_hi, v3
	v_xor_b32_e32 v3, vcc_lo, v3
	v_and_b32_e32 v1, v1, v33
	v_lshlrev_b32_e32 v33, 28, v0
	v_and_b32_e32 v2, v2, v3
	v_not_b32_e32 v3, v33
	v_cmp_gt_i64_e32 vcc, 0, v[32:33]
	v_ashrrev_i32_e32 v3, 31, v3
	v_xor_b32_e32 v33, vcc_hi, v3
	;; [unrolled: 8-line block ×5, first 2 shown]
	v_and_b32_e32 v1, v1, v33
	v_lshlrev_b32_e32 v33, 24, v0
	v_not_b32_e32 v0, v33
	v_xor_b32_e32 v3, vcc_lo, v3
	v_cmp_gt_i64_e32 vcc, 0, v[32:33]
	v_ashrrev_i32_e32 v0, 31, v0
	v_and_b32_e32 v2, v2, v3
	v_xor_b32_e32 v3, vcc_hi, v0
	v_xor_b32_e32 v0, vcc_lo, v0
	v_and_b32_e32 v0, v2, v0
	v_and_b32_e32 v1, v1, v3
	v_mbcnt_lo_u32_b32 v2, v0, 0
	v_mbcnt_hi_u32_b32 v44, v1, v2
	v_cmp_eq_u32_e32 vcc, 0, v44
	v_cmp_ne_u64_e64 s[42:43], 0, v[0:1]
	s_and_b64 s[54:55], s[42:43], vcc
	; wave barrier
	s_and_saveexec_b64 s[42:43], s[54:55]
	s_cbranch_execz .LBB127_79
; %bb.78:                               ;   in Loop: Header=BB127_67 Depth=1
	v_bcnt_u32_b32 v0, v0, 0
	v_bcnt_u32_b32 v0, v1, v0
	s_waitcnt lgkmcnt(0)
	v_add_u32_e32 v0, v42, v0
	ds_write_b32 v43, v0
.LBB127_79:                             ;   in Loop: Header=BB127_67 Depth=1
	s_or_b64 exec, exec, s[42:43]
	v_lshrrev_b32_e32 v0, s50, v55
	v_and_b32_e32 v0, s52, v0
	v_lshlrev_b32_e32 v1, 1, v0
	v_add_lshl_u32 v1, v1, v49, 2
	; wave barrier
	v_add_u32_e32 v46, 8, v1
	ds_read_b32 v45, v1 offset:8
	v_and_b32_e32 v1, 1, v0
	v_add_co_u32_e32 v2, vcc, -1, v1
	v_addc_co_u32_e64 v3, s[42:43], 0, -1, vcc
	v_cmp_ne_u32_e32 vcc, 0, v1
	v_lshlrev_b32_e32 v33, 30, v0
	v_xor_b32_e32 v1, vcc_hi, v3
	v_not_b32_e32 v3, v33
	v_xor_b32_e32 v2, vcc_lo, v2
	v_cmp_gt_i64_e32 vcc, 0, v[32:33]
	v_ashrrev_i32_e32 v3, 31, v3
	v_and_b32_e32 v1, exec_hi, v1
	v_xor_b32_e32 v33, vcc_hi, v3
	v_and_b32_e32 v2, exec_lo, v2
	v_xor_b32_e32 v3, vcc_lo, v3
	v_and_b32_e32 v1, v1, v33
	v_lshlrev_b32_e32 v33, 29, v0
	v_and_b32_e32 v2, v2, v3
	v_not_b32_e32 v3, v33
	v_cmp_gt_i64_e32 vcc, 0, v[32:33]
	v_ashrrev_i32_e32 v3, 31, v3
	v_xor_b32_e32 v33, vcc_hi, v3
	v_xor_b32_e32 v3, vcc_lo, v3
	v_and_b32_e32 v1, v1, v33
	v_lshlrev_b32_e32 v33, 28, v0
	v_and_b32_e32 v2, v2, v3
	v_not_b32_e32 v3, v33
	v_cmp_gt_i64_e32 vcc, 0, v[32:33]
	v_ashrrev_i32_e32 v3, 31, v3
	v_xor_b32_e32 v33, vcc_hi, v3
	;; [unrolled: 8-line block ×5, first 2 shown]
	v_and_b32_e32 v1, v1, v33
	v_lshlrev_b32_e32 v33, 24, v0
	v_not_b32_e32 v0, v33
	v_xor_b32_e32 v3, vcc_lo, v3
	v_cmp_gt_i64_e32 vcc, 0, v[32:33]
	v_ashrrev_i32_e32 v0, 31, v0
	v_and_b32_e32 v2, v2, v3
	v_xor_b32_e32 v3, vcc_hi, v0
	v_xor_b32_e32 v0, vcc_lo, v0
	v_and_b32_e32 v0, v2, v0
	v_and_b32_e32 v1, v1, v3
	v_mbcnt_lo_u32_b32 v2, v0, 0
	v_mbcnt_hi_u32_b32 v47, v1, v2
	v_cmp_eq_u32_e32 vcc, 0, v47
	v_cmp_ne_u64_e64 s[42:43], 0, v[0:1]
	s_and_b64 s[54:55], s[42:43], vcc
	; wave barrier
	s_and_saveexec_b64 s[42:43], s[54:55]
	s_cbranch_execz .LBB127_81
; %bb.80:                               ;   in Loop: Header=BB127_67 Depth=1
	v_bcnt_u32_b32 v0, v0, 0
	v_bcnt_u32_b32 v0, v1, v0
	s_waitcnt lgkmcnt(0)
	v_add_u32_e32 v0, v45, v0
	ds_write_b32 v46, v0
.LBB127_81:                             ;   in Loop: Header=BB127_67 Depth=1
	s_or_b64 exec, exec, s[42:43]
	v_lshrrev_b32_e32 v0, s50, v54
	v_and_b32_e32 v0, s52, v0
	v_lshlrev_b32_e32 v1, 1, v0
	v_add_lshl_u32 v1, v1, v49, 2
	; wave barrier
	v_add_u32_e32 v63, 8, v1
	ds_read_b32 v62, v1 offset:8
	v_and_b32_e32 v1, 1, v0
	v_add_co_u32_e32 v2, vcc, -1, v1
	v_addc_co_u32_e64 v3, s[42:43], 0, -1, vcc
	v_cmp_ne_u32_e32 vcc, 0, v1
	v_lshlrev_b32_e32 v33, 30, v0
	v_xor_b32_e32 v1, vcc_hi, v3
	v_not_b32_e32 v3, v33
	v_xor_b32_e32 v2, vcc_lo, v2
	v_cmp_gt_i64_e32 vcc, 0, v[32:33]
	v_ashrrev_i32_e32 v3, 31, v3
	v_and_b32_e32 v1, exec_hi, v1
	v_xor_b32_e32 v33, vcc_hi, v3
	v_and_b32_e32 v2, exec_lo, v2
	v_xor_b32_e32 v3, vcc_lo, v3
	v_and_b32_e32 v1, v1, v33
	v_lshlrev_b32_e32 v33, 29, v0
	v_and_b32_e32 v2, v2, v3
	v_not_b32_e32 v3, v33
	v_cmp_gt_i64_e32 vcc, 0, v[32:33]
	v_ashrrev_i32_e32 v3, 31, v3
	v_xor_b32_e32 v33, vcc_hi, v3
	v_xor_b32_e32 v3, vcc_lo, v3
	v_and_b32_e32 v1, v1, v33
	v_lshlrev_b32_e32 v33, 28, v0
	v_and_b32_e32 v2, v2, v3
	v_not_b32_e32 v3, v33
	v_cmp_gt_i64_e32 vcc, 0, v[32:33]
	v_ashrrev_i32_e32 v3, 31, v3
	v_xor_b32_e32 v33, vcc_hi, v3
	;; [unrolled: 8-line block ×5, first 2 shown]
	v_and_b32_e32 v1, v1, v33
	v_lshlrev_b32_e32 v33, 24, v0
	v_not_b32_e32 v0, v33
	v_xor_b32_e32 v3, vcc_lo, v3
	v_cmp_gt_i64_e32 vcc, 0, v[32:33]
	v_ashrrev_i32_e32 v0, 31, v0
	v_and_b32_e32 v2, v2, v3
	v_xor_b32_e32 v3, vcc_hi, v0
	v_xor_b32_e32 v0, vcc_lo, v0
	v_and_b32_e32 v0, v2, v0
	v_and_b32_e32 v1, v1, v3
	v_mbcnt_lo_u32_b32 v2, v0, 0
	v_mbcnt_hi_u32_b32 v69, v1, v2
	v_cmp_eq_u32_e32 vcc, 0, v69
	v_cmp_ne_u64_e64 s[42:43], 0, v[0:1]
	s_and_b64 s[52:53], s[42:43], vcc
	; wave barrier
	s_and_saveexec_b64 s[42:43], s[52:53]
	s_cbranch_execz .LBB127_83
; %bb.82:                               ;   in Loop: Header=BB127_67 Depth=1
	v_bcnt_u32_b32 v0, v0, 0
	v_bcnt_u32_b32 v0, v1, v0
	s_waitcnt lgkmcnt(0)
	v_add_u32_e32 v0, v62, v0
	ds_write_b32 v63, v0
.LBB127_83:                             ;   in Loop: Header=BB127_67 Depth=1
	s_or_b64 exec, exec, s[42:43]
	; wave barrier
	s_waitcnt lgkmcnt(0)
	s_barrier
	ds_read2_b32 v[2:3], v89 offset0:2 offset1:3
	ds_read2_b32 v[0:1], v48 offset0:2 offset1:3
	s_waitcnt lgkmcnt(1)
	v_add_u32_e32 v33, v3, v2
	s_waitcnt lgkmcnt(0)
	v_add3_u32 v1, v33, v0, v1
	s_nop 1
	v_mov_b32_dpp v33, v1 row_shr:1 row_mask:0xf bank_mask:0xf
	v_cndmask_b32_e64 v33, v33, 0, s[16:17]
	v_add_u32_e32 v1, v33, v1
	s_nop 1
	v_mov_b32_dpp v33, v1 row_shr:2 row_mask:0xf bank_mask:0xf
	v_cndmask_b32_e64 v33, 0, v33, s[18:19]
	v_add_u32_e32 v1, v1, v33
	;; [unrolled: 4-line block ×4, first 2 shown]
	s_nop 1
	v_mov_b32_dpp v33, v1 row_bcast:15 row_mask:0xf bank_mask:0xf
	v_cndmask_b32_e64 v33, v33, 0, s[24:25]
	v_add_u32_e32 v1, v1, v33
	s_nop 1
	v_mov_b32_dpp v33, v1 row_bcast:31 row_mask:0xf bank_mask:0xf
	v_cndmask_b32_e64 v33, 0, v33, s[26:27]
	v_add_u32_e32 v1, v1, v33
	s_and_saveexec_b64 s[42:43], s[28:29]
	s_cbranch_execz .LBB127_85
; %bb.84:                               ;   in Loop: Header=BB127_67 Depth=1
	ds_write_b32 v38, v1
.LBB127_85:                             ;   in Loop: Header=BB127_67 Depth=1
	s_or_b64 exec, exec, s[42:43]
	s_waitcnt lgkmcnt(0)
	s_barrier
	s_and_saveexec_b64 s[42:43], s[30:31]
	s_cbranch_execz .LBB127_87
; %bb.86:                               ;   in Loop: Header=BB127_67 Depth=1
	ds_read_b32 v33, v88
	s_waitcnt lgkmcnt(0)
	s_nop 0
	v_mov_b32_dpp v64, v33 row_shr:1 row_mask:0xf bank_mask:0xf
	v_cndmask_b32_e64 v64, v64, 0, s[40:41]
	v_add_u32_e32 v33, v64, v33
	ds_write_b32 v88, v33
.LBB127_87:                             ;   in Loop: Header=BB127_67 Depth=1
	s_or_b64 exec, exec, s[42:43]
	v_mov_b32_e32 v33, 0
	s_waitcnt lgkmcnt(0)
	s_barrier
	s_and_saveexec_b64 s[42:43], s[34:35]
	s_cbranch_execz .LBB127_89
; %bb.88:                               ;   in Loop: Header=BB127_67 Depth=1
	ds_read_b32 v33, v51
.LBB127_89:                             ;   in Loop: Header=BB127_67 Depth=1
	s_or_b64 exec, exec, s[42:43]
	s_waitcnt lgkmcnt(0)
	v_add_u32_e32 v1, v33, v1
	ds_bpermute_b32 v1, v50, v1
	s_cmp_gt_u32 s50, 23
	s_waitcnt lgkmcnt(0)
	v_cndmask_b32_e64 v1, v1, v33, s[36:37]
	v_cndmask_b32_e64 v1, v1, 0, s[38:39]
	v_add_u32_e32 v2, v1, v2
	v_add_u32_e32 v3, v2, v3
	;; [unrolled: 1-line block ×3, first 2 shown]
	ds_write2_b32 v89, v1, v2 offset0:2 offset1:3
	ds_write2_b32 v48, v3, v0 offset0:2 offset1:3
	s_waitcnt lgkmcnt(0)
	s_barrier
	ds_read_b32 v0, v4
	ds_read_b32 v1, v7
	;; [unrolled: 1-line block ×8, first 2 shown]
	s_waitcnt lgkmcnt(7)
	v_add_u32_e32 v33, v0, v5
	s_waitcnt lgkmcnt(6)
	v_add3_u32 v63, v8, v6, v1
	s_waitcnt lgkmcnt(5)
	v_add3_u32 v64, v11, v9, v2
	;; [unrolled: 2-line block ×7, first 2 shown]
	s_cbranch_scc0 .LBB127_66
; %bb.90:
                                        ; implicit-def: $vgpr47
                                        ; implicit-def: $vgpr45
                                        ; implicit-def: $vgpr43
                                        ; implicit-def: $vgpr41
                                        ; implicit-def: $vgpr14_vgpr15
                                        ; implicit-def: $vgpr10_vgpr11
                                        ; implicit-def: $vgpr6_vgpr7
                                        ; implicit-def: $vgpr2_vgpr3
                                        ; implicit-def: $sgpr50
                                        ; implicit-def: $sgpr51
.LBB127_91:
	v_lshlrev_b32_e32 v0, 2, v33
	s_barrier
	ds_write_b32 v0, v61
	v_lshlrev_b32_e32 v0, 2, v63
	ds_write_b32 v0, v60
	v_lshlrev_b32_e32 v0, 2, v64
	;; [unrolled: 2-line block ×7, first 2 shown]
	v_lshlrev_b32_e32 v6, 2, v87
	v_lshlrev_b32_e32 v8, 3, v33
	;; [unrolled: 1-line block ×3, first 2 shown]
	ds_write_b32 v0, v54
	s_waitcnt lgkmcnt(0)
	s_barrier
	v_lshlrev_b32_e32 v9, 3, v63
	v_lshlrev_b32_e32 v10, 3, v64
	v_lshlrev_b32_e32 v11, 3, v65
	v_lshlrev_b32_e32 v12, 3, v66
	v_lshlrev_b32_e32 v13, 3, v67
	v_lshlrev_b32_e32 v14, 3, v68
	v_lshlrev_b32_e32 v15, 3, v62
	ds_read2_b32 v[0:1], v6 offset1:1
	ds_read2_b32 v[2:3], v6 offset0:2 offset1:3
	ds_read2_b32 v[4:5], v6 offset0:4 offset1:5
	;; [unrolled: 1-line block ×3, first 2 shown]
	s_waitcnt lgkmcnt(0)
	s_barrier
	ds_write_b64 v8, v[30:31]
	ds_write_b64 v9, v[28:29]
	;; [unrolled: 1-line block ×8, first 2 shown]
	s_waitcnt lgkmcnt(0)
	s_barrier
	ds_read2_b64 v[18:21], v32 offset1:1
	ds_read2_b64 v[22:25], v32 offset0:2 offset1:3
	ds_read2_b64 v[26:29], v32 offset0:4 offset1:5
	;; [unrolled: 1-line block ×3, first 2 shown]
	v_xor_b32_e32 v62, 0x7fffffff, v0
	v_xor_b32_e32 v64, 0x7fffffff, v1
	;; [unrolled: 1-line block ×8, first 2 shown]
.LBB127_92:
	s_waitcnt lgkmcnt(0)
	s_barrier
	ds_write2_b32 v78, v62, v64 offset1:1
	ds_write2_b32 v78, v63, v65 offset0:2 offset1:3
	ds_write2_b32 v78, v66, v0 offset0:4 offset1:5
	;; [unrolled: 1-line block ×3, first 2 shown]
	s_waitcnt lgkmcnt(0)
	s_barrier
	ds_read_b32 v8, v35 offset:512
	ds_read_b32 v7, v72 offset:1024
	;; [unrolled: 1-line block ×7, first 2 shown]
	v_mov_b32_e32 v35, 0
	v_lshlrev_b64 v[0:1], 2, v[34:35]
	v_mov_b32_e32 v9, s44
	v_add_co_u32_e32 v0, vcc, s33, v0
	v_addc_co_u32_e32 v1, vcc, v9, v1, vcc
	s_and_saveexec_b64 s[16:17], s[0:1]
	s_cbranch_execnz .LBB127_111
; %bb.93:
	s_or_b64 exec, exec, s[16:17]
	s_and_saveexec_b64 s[16:17], s[2:3]
	s_cbranch_execnz .LBB127_112
.LBB127_94:
	s_or_b64 exec, exec, s[16:17]
	s_and_saveexec_b64 s[16:17], s[4:5]
	s_cbranch_execnz .LBB127_113
.LBB127_95:
	s_or_b64 exec, exec, s[16:17]
	s_and_saveexec_b64 s[16:17], s[6:7]
	s_cbranch_execnz .LBB127_114
.LBB127_96:
	s_or_b64 exec, exec, s[16:17]
	s_and_saveexec_b64 s[16:17], s[8:9]
	s_cbranch_execnz .LBB127_115
.LBB127_97:
	s_or_b64 exec, exec, s[16:17]
	s_and_saveexec_b64 s[16:17], s[10:11]
	s_cbranch_execnz .LBB127_116
.LBB127_98:
	s_or_b64 exec, exec, s[16:17]
	s_and_saveexec_b64 s[16:17], s[12:13]
	s_cbranch_execnz .LBB127_117
.LBB127_99:
	s_or_b64 exec, exec, s[16:17]
	s_and_saveexec_b64 s[16:17], s[14:15]
	s_cbranch_execz .LBB127_101
.LBB127_100:
	s_mul_i32 s18, s46, 0x380
	s_mov_b32 s19, 0
	s_lshl_b64 s[18:19], s[18:19], 2
	s_waitcnt lgkmcnt(1)
	v_mov_b32_e32 v3, s19
	v_add_co_u32_e32 v0, vcc, s18, v0
	v_addc_co_u32_e32 v1, vcc, v1, v3, vcc
	s_waitcnt lgkmcnt(0)
	global_store_dword v[0:1], v2, off
.LBB127_101:
	s_or_b64 exec, exec, s[16:17]
	s_waitcnt lgkmcnt(0)
	s_barrier
	ds_write2_b64 v86, v[18:19], v[20:21] offset1:1
	ds_write2_b64 v86, v[22:23], v[24:25] offset0:2 offset1:3
	ds_write2_b64 v86, v[26:27], v[28:29] offset0:4 offset1:5
	;; [unrolled: 1-line block ×3, first 2 shown]
	s_waitcnt lgkmcnt(0)
	s_barrier
	ds_read_b64 v[14:15], v37 offset:1024
	ds_read_b64 v[12:13], v80 offset:2048
	;; [unrolled: 1-line block ×7, first 2 shown]
	v_mov_b32_e32 v37, 0
	v_lshlrev_b64 v[2:3], 3, v[36:37]
	v_mov_b32_e32 v16, s47
	v_add_co_u32_e32 v2, vcc, s45, v2
	v_addc_co_u32_e32 v3, vcc, v16, v3, vcc
	s_and_saveexec_b64 s[16:17], s[0:1]
	s_cbranch_execnz .LBB127_118
; %bb.102:
	s_or_b64 exec, exec, s[16:17]
	s_and_saveexec_b64 s[0:1], s[2:3]
	s_cbranch_execnz .LBB127_119
.LBB127_103:
	s_or_b64 exec, exec, s[0:1]
	s_and_saveexec_b64 s[0:1], s[4:5]
	s_cbranch_execnz .LBB127_120
.LBB127_104:
	s_or_b64 exec, exec, s[0:1]
	s_and_saveexec_b64 s[0:1], s[6:7]
	s_cbranch_execnz .LBB127_121
.LBB127_105:
	s_or_b64 exec, exec, s[0:1]
	s_and_saveexec_b64 s[0:1], s[8:9]
	s_cbranch_execnz .LBB127_122
.LBB127_106:
	s_or_b64 exec, exec, s[0:1]
	s_and_saveexec_b64 s[0:1], s[10:11]
	s_cbranch_execnz .LBB127_123
.LBB127_107:
	s_or_b64 exec, exec, s[0:1]
	s_and_saveexec_b64 s[0:1], s[12:13]
	s_cbranch_execnz .LBB127_124
.LBB127_108:
	s_or_b64 exec, exec, s[0:1]
	s_and_saveexec_b64 s[0:1], s[14:15]
	s_cbranch_execz .LBB127_110
.LBB127_109:
	s_mul_i32 s0, s48, 0x380
	s_mov_b32 s1, 0
	s_lshl_b64 s[0:1], s[0:1], 3
	s_waitcnt lgkmcnt(1)
	v_mov_b32_e32 v4, s1
	v_add_co_u32_e32 v2, vcc, s0, v2
	v_addc_co_u32_e32 v3, vcc, v3, v4, vcc
	s_waitcnt lgkmcnt(0)
	global_store_dwordx2 v[2:3], v[0:1], off
.LBB127_110:
	s_endpgm
.LBB127_111:
	ds_read_b32 v9, v39
	s_waitcnt lgkmcnt(0)
	global_store_dword v[0:1], v9, off
	s_or_b64 exec, exec, s[16:17]
	s_and_saveexec_b64 s[16:17], s[2:3]
	s_cbranch_execz .LBB127_94
.LBB127_112:
	s_lshl_b32 s18, s46, 7
	s_mov_b32 s19, 0
	s_lshl_b64 s[18:19], s[18:19], 2
	v_mov_b32_e32 v9, s19
	v_add_co_u32_e32 v10, vcc, s18, v0
	v_addc_co_u32_e32 v11, vcc, v1, v9, vcc
	s_waitcnt lgkmcnt(6)
	global_store_dword v[10:11], v8, off
	s_or_b64 exec, exec, s[16:17]
	s_and_saveexec_b64 s[16:17], s[4:5]
	s_cbranch_execz .LBB127_95
.LBB127_113:
	s_lshl_b32 s18, s46, 8
	s_mov_b32 s19, 0
	s_lshl_b64 s[18:19], s[18:19], 2
	v_mov_b32_e32 v9, s19
	s_waitcnt lgkmcnt(6)
	v_add_co_u32_e32 v8, vcc, s18, v0
	v_addc_co_u32_e32 v9, vcc, v1, v9, vcc
	s_waitcnt lgkmcnt(5)
	global_store_dword v[8:9], v7, off
	s_or_b64 exec, exec, s[16:17]
	s_and_saveexec_b64 s[16:17], s[6:7]
	s_cbranch_execz .LBB127_96
.LBB127_114:
	s_mul_i32 s18, s46, 0x180
	s_mov_b32 s19, 0
	s_lshl_b64 s[18:19], s[18:19], 2
	s_waitcnt lgkmcnt(5)
	v_mov_b32_e32 v7, s19
	v_add_co_u32_e32 v8, vcc, s18, v0
	v_addc_co_u32_e32 v9, vcc, v1, v7, vcc
	s_waitcnt lgkmcnt(4)
	global_store_dword v[8:9], v6, off
	s_or_b64 exec, exec, s[16:17]
	s_and_saveexec_b64 s[16:17], s[8:9]
	s_cbranch_execz .LBB127_97
.LBB127_115:
	s_lshl_b32 s18, s46, 9
	s_mov_b32 s19, 0
	s_lshl_b64 s[18:19], s[18:19], 2
	s_waitcnt lgkmcnt(5)
	v_mov_b32_e32 v7, s19
	s_waitcnt lgkmcnt(4)
	v_add_co_u32_e32 v6, vcc, s18, v0
	v_addc_co_u32_e32 v7, vcc, v1, v7, vcc
	s_waitcnt lgkmcnt(3)
	global_store_dword v[6:7], v5, off
	s_or_b64 exec, exec, s[16:17]
	s_and_saveexec_b64 s[16:17], s[10:11]
	s_cbranch_execz .LBB127_98
.LBB127_116:
	s_mul_i32 s18, s46, 0x280
	s_mov_b32 s19, 0
	s_lshl_b64 s[18:19], s[18:19], 2
	s_waitcnt lgkmcnt(3)
	v_mov_b32_e32 v5, s19
	v_add_co_u32_e32 v6, vcc, s18, v0
	v_addc_co_u32_e32 v7, vcc, v1, v5, vcc
	s_waitcnt lgkmcnt(2)
	global_store_dword v[6:7], v4, off
	s_or_b64 exec, exec, s[16:17]
	s_and_saveexec_b64 s[16:17], s[12:13]
	s_cbranch_execz .LBB127_99
.LBB127_117:
	s_mul_i32 s18, s46, 0x300
	s_mov_b32 s19, 0
	s_lshl_b64 s[18:19], s[18:19], 2
	s_waitcnt lgkmcnt(3)
	v_mov_b32_e32 v5, s19
	s_waitcnt lgkmcnt(2)
	v_add_co_u32_e32 v4, vcc, s18, v0
	v_addc_co_u32_e32 v5, vcc, v1, v5, vcc
	s_waitcnt lgkmcnt(1)
	global_store_dword v[4:5], v3, off
	s_or_b64 exec, exec, s[16:17]
	s_and_saveexec_b64 s[16:17], s[14:15]
	s_cbranch_execnz .LBB127_100
	s_branch .LBB127_101
.LBB127_118:
	ds_read_b64 v[16:17], v79
	s_waitcnt lgkmcnt(0)
	global_store_dwordx2 v[2:3], v[16:17], off
	s_or_b64 exec, exec, s[16:17]
	s_and_saveexec_b64 s[0:1], s[2:3]
	s_cbranch_execz .LBB127_103
.LBB127_119:
	s_lshl_b32 s2, s48, 7
	s_mov_b32 s3, 0
	s_lshl_b64 s[2:3], s[2:3], 3
	v_mov_b32_e32 v17, s3
	v_add_co_u32_e32 v16, vcc, s2, v2
	v_addc_co_u32_e32 v17, vcc, v3, v17, vcc
	s_waitcnt lgkmcnt(6)
	global_store_dwordx2 v[16:17], v[14:15], off
	s_or_b64 exec, exec, s[0:1]
	s_and_saveexec_b64 s[0:1], s[4:5]
	s_cbranch_execz .LBB127_104
.LBB127_120:
	s_lshl_b32 s2, s48, 8
	s_mov_b32 s3, 0
	s_lshl_b64 s[2:3], s[2:3], 3
	s_waitcnt lgkmcnt(6)
	v_mov_b32_e32 v15, s3
	v_add_co_u32_e32 v14, vcc, s2, v2
	v_addc_co_u32_e32 v15, vcc, v3, v15, vcc
	s_waitcnt lgkmcnt(5)
	global_store_dwordx2 v[14:15], v[12:13], off
	s_or_b64 exec, exec, s[0:1]
	s_and_saveexec_b64 s[0:1], s[6:7]
	s_cbranch_execz .LBB127_105
.LBB127_121:
	s_mul_i32 s2, s48, 0x180
	s_mov_b32 s3, 0
	s_lshl_b64 s[2:3], s[2:3], 3
	s_waitcnt lgkmcnt(5)
	v_mov_b32_e32 v13, s3
	v_add_co_u32_e32 v12, vcc, s2, v2
	v_addc_co_u32_e32 v13, vcc, v3, v13, vcc
	s_waitcnt lgkmcnt(4)
	global_store_dwordx2 v[12:13], v[10:11], off
	s_or_b64 exec, exec, s[0:1]
	s_and_saveexec_b64 s[0:1], s[8:9]
	s_cbranch_execz .LBB127_106
.LBB127_122:
	s_lshl_b32 s2, s48, 9
	s_mov_b32 s3, 0
	s_lshl_b64 s[2:3], s[2:3], 3
	s_waitcnt lgkmcnt(4)
	v_mov_b32_e32 v11, s3
	v_add_co_u32_e32 v10, vcc, s2, v2
	v_addc_co_u32_e32 v11, vcc, v3, v11, vcc
	s_waitcnt lgkmcnt(3)
	global_store_dwordx2 v[10:11], v[8:9], off
	s_or_b64 exec, exec, s[0:1]
	s_and_saveexec_b64 s[0:1], s[10:11]
	s_cbranch_execz .LBB127_107
.LBB127_123:
	s_mul_i32 s2, s48, 0x280
	s_mov_b32 s3, 0
	s_lshl_b64 s[2:3], s[2:3], 3
	s_waitcnt lgkmcnt(3)
	v_mov_b32_e32 v9, s3
	v_add_co_u32_e32 v8, vcc, s2, v2
	v_addc_co_u32_e32 v9, vcc, v3, v9, vcc
	s_waitcnt lgkmcnt(2)
	global_store_dwordx2 v[8:9], v[6:7], off
	s_or_b64 exec, exec, s[0:1]
	s_and_saveexec_b64 s[0:1], s[12:13]
	s_cbranch_execz .LBB127_108
.LBB127_124:
	s_mul_i32 s2, s48, 0x300
	s_mov_b32 s3, 0
	s_lshl_b64 s[2:3], s[2:3], 3
	s_waitcnt lgkmcnt(2)
	v_mov_b32_e32 v7, s3
	v_add_co_u32_e32 v6, vcc, s2, v2
	v_addc_co_u32_e32 v7, vcc, v3, v7, vcc
	s_waitcnt lgkmcnt(1)
	global_store_dwordx2 v[6:7], v[4:5], off
	s_or_b64 exec, exec, s[0:1]
	s_and_saveexec_b64 s[0:1], s[14:15]
	s_cbranch_execnz .LBB127_109
	s_branch .LBB127_110
	.section	.rodata,"a",@progbits
	.p2align	6, 0x0
	.amdhsa_kernel _ZN2at6native18radixSortKVInPlaceILi2ELin1ELi128ELi8EiljEEvNS_4cuda6detail10TensorInfoIT3_T5_EES6_S6_S6_NS4_IT4_S6_EES6_b
		.amdhsa_group_segment_fixed_size 8448
		.amdhsa_private_segment_fixed_size 0
		.amdhsa_kernarg_size 712
		.amdhsa_user_sgpr_count 6
		.amdhsa_user_sgpr_private_segment_buffer 1
		.amdhsa_user_sgpr_dispatch_ptr 0
		.amdhsa_user_sgpr_queue_ptr 0
		.amdhsa_user_sgpr_kernarg_segment_ptr 1
		.amdhsa_user_sgpr_dispatch_id 0
		.amdhsa_user_sgpr_flat_scratch_init 0
		.amdhsa_user_sgpr_kernarg_preload_length 0
		.amdhsa_user_sgpr_kernarg_preload_offset 0
		.amdhsa_user_sgpr_private_segment_size 0
		.amdhsa_uses_dynamic_stack 0
		.amdhsa_system_sgpr_private_segment_wavefront_offset 0
		.amdhsa_system_sgpr_workgroup_id_x 1
		.amdhsa_system_sgpr_workgroup_id_y 1
		.amdhsa_system_sgpr_workgroup_id_z 1
		.amdhsa_system_sgpr_workgroup_info 0
		.amdhsa_system_vgpr_workitem_id 2
		.amdhsa_next_free_vgpr 128
		.amdhsa_next_free_sgpr 58
		.amdhsa_accum_offset 128
		.amdhsa_reserve_vcc 1
		.amdhsa_reserve_flat_scratch 0
		.amdhsa_float_round_mode_32 0
		.amdhsa_float_round_mode_16_64 0
		.amdhsa_float_denorm_mode_32 3
		.amdhsa_float_denorm_mode_16_64 3
		.amdhsa_dx10_clamp 1
		.amdhsa_ieee_mode 1
		.amdhsa_fp16_overflow 0
		.amdhsa_tg_split 0
		.amdhsa_exception_fp_ieee_invalid_op 0
		.amdhsa_exception_fp_denorm_src 0
		.amdhsa_exception_fp_ieee_div_zero 0
		.amdhsa_exception_fp_ieee_overflow 0
		.amdhsa_exception_fp_ieee_underflow 0
		.amdhsa_exception_fp_ieee_inexact 0
		.amdhsa_exception_int_div_zero 0
	.end_amdhsa_kernel
	.section	.text._ZN2at6native18radixSortKVInPlaceILi2ELin1ELi128ELi8EiljEEvNS_4cuda6detail10TensorInfoIT3_T5_EES6_S6_S6_NS4_IT4_S6_EES6_b,"axG",@progbits,_ZN2at6native18radixSortKVInPlaceILi2ELin1ELi128ELi8EiljEEvNS_4cuda6detail10TensorInfoIT3_T5_EES6_S6_S6_NS4_IT4_S6_EES6_b,comdat
.Lfunc_end127:
	.size	_ZN2at6native18radixSortKVInPlaceILi2ELin1ELi128ELi8EiljEEvNS_4cuda6detail10TensorInfoIT3_T5_EES6_S6_S6_NS4_IT4_S6_EES6_b, .Lfunc_end127-_ZN2at6native18radixSortKVInPlaceILi2ELin1ELi128ELi8EiljEEvNS_4cuda6detail10TensorInfoIT3_T5_EES6_S6_S6_NS4_IT4_S6_EES6_b
                                        ; -- End function
	.section	.AMDGPU.csdata,"",@progbits
; Kernel info:
; codeLenInByte = 13004
; NumSgprs: 62
; NumVgprs: 128
; NumAgprs: 0
; TotalNumVgprs: 128
; ScratchSize: 0
; MemoryBound: 0
; FloatMode: 240
; IeeeMode: 1
; LDSByteSize: 8448 bytes/workgroup (compile time only)
; SGPRBlocks: 7
; VGPRBlocks: 15
; NumSGPRsForWavesPerEU: 62
; NumVGPRsForWavesPerEU: 128
; AccumOffset: 128
; Occupancy: 4
; WaveLimiterHint : 1
; COMPUTE_PGM_RSRC2:SCRATCH_EN: 0
; COMPUTE_PGM_RSRC2:USER_SGPR: 6
; COMPUTE_PGM_RSRC2:TRAP_HANDLER: 0
; COMPUTE_PGM_RSRC2:TGID_X_EN: 1
; COMPUTE_PGM_RSRC2:TGID_Y_EN: 1
; COMPUTE_PGM_RSRC2:TGID_Z_EN: 1
; COMPUTE_PGM_RSRC2:TIDIG_COMP_CNT: 2
; COMPUTE_PGM_RSRC3_GFX90A:ACCUM_OFFSET: 31
; COMPUTE_PGM_RSRC3_GFX90A:TG_SPLIT: 0
	.section	.text._ZN2at6native18radixSortKVInPlaceILi2ELin1ELi32ELi4EiljEEvNS_4cuda6detail10TensorInfoIT3_T5_EES6_S6_S6_NS4_IT4_S6_EES6_b,"axG",@progbits,_ZN2at6native18radixSortKVInPlaceILi2ELin1ELi32ELi4EiljEEvNS_4cuda6detail10TensorInfoIT3_T5_EES6_S6_S6_NS4_IT4_S6_EES6_b,comdat
	.protected	_ZN2at6native18radixSortKVInPlaceILi2ELin1ELi32ELi4EiljEEvNS_4cuda6detail10TensorInfoIT3_T5_EES6_S6_S6_NS4_IT4_S6_EES6_b ; -- Begin function _ZN2at6native18radixSortKVInPlaceILi2ELin1ELi32ELi4EiljEEvNS_4cuda6detail10TensorInfoIT3_T5_EES6_S6_S6_NS4_IT4_S6_EES6_b
	.globl	_ZN2at6native18radixSortKVInPlaceILi2ELin1ELi32ELi4EiljEEvNS_4cuda6detail10TensorInfoIT3_T5_EES6_S6_S6_NS4_IT4_S6_EES6_b
	.p2align	8
	.type	_ZN2at6native18radixSortKVInPlaceILi2ELin1ELi32ELi4EiljEEvNS_4cuda6detail10TensorInfoIT3_T5_EES6_S6_S6_NS4_IT4_S6_EES6_b,@function
_ZN2at6native18radixSortKVInPlaceILi2ELin1ELi32ELi4EiljEEvNS_4cuda6detail10TensorInfoIT3_T5_EES6_S6_S6_NS4_IT4_S6_EES6_b: ; @_ZN2at6native18radixSortKVInPlaceILi2ELin1ELi32ELi4EiljEEvNS_4cuda6detail10TensorInfoIT3_T5_EES6_S6_S6_NS4_IT4_S6_EES6_b
; %bb.0:
	s_load_dwordx2 s[0:1], s[4:5], 0x1c8
	s_load_dwordx4 s[24:27], s[4:5], 0xd8
	s_waitcnt lgkmcnt(0)
	s_mul_i32 s1, s1, s8
	s_add_i32 s1, s1, s7
	s_mul_i32 s8, s1, s0
	s_add_i32 s8, s8, s6
	s_cmp_ge_u32 s8, s24
	s_cbranch_scc1 .LBB128_60
; %bb.1:
	s_load_dword s9, s[4:5], 0xc
	s_load_dwordx2 s[0:1], s[4:5], 0x6c
	s_load_dword s6, s[4:5], 0x1b8
	s_add_u32 s12, s4, 0xe8
	s_load_dwordx2 s[2:3], s[4:5], 0x0
	s_waitcnt lgkmcnt(0)
	v_cvt_f32_u32_e32 v1, s9
	s_addc_u32 s13, s5, 0
	s_sub_i32 s7, 0, s9
	s_mov_b32 s11, 0
	v_rcp_iflag_f32_e32 v1, v1
	v_mul_f32_e32 v1, 0x4f7ffffe, v1
	v_cvt_u32_f32_e32 v1, v1
	v_readfirstlane_b32 s10, v1
	s_mul_i32 s7, s7, s10
	s_mul_hi_u32 s7, s10, s7
	s_add_i32 s10, s10, s7
	s_mul_hi_u32 s14, s8, s10
	s_cmp_lt_i32 s6, 2
	s_mov_b32 s10, s8
	s_cbranch_scc1 .LBB128_4
; %bb.2:
	s_add_i32 s10, s6, -1
	s_add_i32 s15, s6, 1
	s_lshl_b64 s[6:7], s[10:11], 2
	s_add_u32 s6, s6, s12
	s_addc_u32 s7, s7, s13
	s_add_u32 s6, s6, 8
	s_addc_u32 s7, s7, 0
	s_mov_b32 s10, s8
.LBB128_3:                              ; =>This Inner Loop Header: Depth=1
	s_load_dword s16, s[6:7], 0x0
	s_load_dword s18, s[6:7], 0x64
	s_mov_b32 s17, s10
	s_waitcnt lgkmcnt(0)
	v_cvt_f32_u32_e32 v1, s16
	s_sub_i32 s10, 0, s16
	v_rcp_iflag_f32_e32 v1, v1
	v_mul_f32_e32 v1, 0x4f7ffffe, v1
	v_cvt_u32_f32_e32 v1, v1
	v_readfirstlane_b32 s19, v1
	s_mul_i32 s10, s10, s19
	s_mul_hi_u32 s10, s19, s10
	s_add_i32 s19, s19, s10
	s_mul_hi_u32 s10, s17, s19
	s_mul_i32 s19, s10, s16
	s_sub_i32 s19, s17, s19
	s_add_i32 s20, s10, 1
	s_sub_i32 s21, s19, s16
	s_cmp_ge_u32 s19, s16
	s_cselect_b32 s10, s20, s10
	s_cselect_b32 s19, s21, s19
	s_add_i32 s20, s10, 1
	s_cmp_ge_u32 s19, s16
	s_cselect_b32 s10, s20, s10
	s_mul_i32 s16, s10, s16
	s_sub_i32 s16, s17, s16
	s_mul_i32 s16, s18, s16
	s_add_i32 s15, s15, -1
	s_add_i32 s11, s16, s11
	s_add_u32 s6, s6, -4
	s_addc_u32 s7, s7, -1
	s_cmp_gt_u32 s15, 2
	s_cbranch_scc1 .LBB128_3
.LBB128_4:
	s_mul_i32 s6, s14, s9
	s_sub_i32 s6, s8, s6
	s_add_i32 s7, s14, 1
	s_sub_i32 s15, s6, s9
	s_cmp_ge_u32 s6, s9
	s_cselect_b32 s7, s7, s14
	s_cselect_b32 s6, s15, s6
	s_add_i32 s14, s7, 1
	s_cmp_ge_u32 s6, s9
	s_cselect_b32 s6, s14, s7
	s_load_dwordx2 s[28:29], s[4:5], 0x1c0
	s_mul_i32 s7, s6, s9
	s_sub_i32 s4, s8, s7
	s_mul_i32 s4, s4, s1
	s_mul_i32 s0, s6, s0
	s_add_i32 s0, s0, s4
	s_waitcnt lgkmcnt(0)
	s_bitcmp1_b32 s29, 0
	s_cselect_b64 s[8:9], -1, 0
	s_brev_b32 s1, 1
	s_and_b64 s[4:5], s[8:9], exec
	s_cselect_b32 s4, s1, 0x7fffffff
	s_mov_b32 s1, 0
	s_lshl_b64 s[0:1], s[0:1], 2
	s_mov_b32 s5, s4
	s_add_u32 s27, s2, s0
	s_mov_b32 s6, s4
	s_mov_b32 s7, s4
	v_pk_mov_b32 v[2:3], s[4:5], s[4:5] op_sel:[0,1]
	s_addc_u32 s29, s3, s1
	v_cmp_gt_u32_e64 s[0:1], s25, v0
	v_pk_mov_b32 v[4:5], s[6:7], s[6:7] op_sel:[0,1]
	v_mov_b32_e32 v6, s4
	v_mul_lo_u32 v22, v0, s26
	s_and_saveexec_b64 s[2:3], s[0:1]
	s_cbranch_execz .LBB128_6
; %bb.5:
	v_mov_b32_e32 v23, 0
	v_lshlrev_b64 v[2:3], 2, v[22:23]
	v_mov_b32_e32 v1, s29
	v_add_co_u32_e32 v2, vcc, s27, v2
	v_addc_co_u32_e32 v3, vcc, v1, v3, vcc
	global_load_dword v6, v[2:3], off
	v_pk_mov_b32 v[2:3], s[4:5], s[4:5] op_sel:[0,1]
	v_pk_mov_b32 v[4:5], s[6:7], s[6:7] op_sel:[0,1]
                                        ; kill: def $vgpr2 killed $vgpr6 killed $exec
.LBB128_6:
	s_or_b64 exec, exec, s[2:3]
	v_or_b32_e32 v1, 32, v0
	v_cmp_gt_u32_e64 s[2:3], s25, v1
	s_and_saveexec_b64 s[4:5], s[2:3]
	s_cbranch_execz .LBB128_8
; %bb.7:
	v_mul_lo_u32 v2, v1, s26
	v_mov_b32_e32 v3, 0
	v_lshlrev_b64 v[2:3], 2, v[2:3]
	v_mov_b32_e32 v7, s29
	v_add_co_u32_e32 v2, vcc, s27, v2
	v_addc_co_u32_e32 v3, vcc, v7, v3, vcc
	global_load_dword v3, v[2:3], off
.LBB128_8:
	s_or_b64 exec, exec, s[4:5]
	s_load_dwordx2 s[14:15], s[12:13], 0x0
	v_or_b32_e32 v11, 64, v0
	v_cmp_gt_u32_e64 s[4:5], s25, v11
	s_and_saveexec_b64 s[6:7], s[4:5]
	s_cbranch_execz .LBB128_10
; %bb.9:
	v_mul_lo_u32 v8, v11, s26
	v_mov_b32_e32 v9, 0
	v_lshlrev_b64 v[8:9], 2, v[8:9]
	v_mov_b32_e32 v2, s29
	v_add_co_u32_e32 v8, vcc, s27, v8
	v_addc_co_u32_e32 v9, vcc, v2, v9, vcc
	global_load_dword v4, v[8:9], off
.LBB128_10:
	s_or_b64 exec, exec, s[6:7]
	s_load_dword s16, s[12:13], 0x6c
	v_or_b32_e32 v10, 0x60, v0
	v_cmp_gt_u32_e64 s[6:7], s25, v10
	s_and_saveexec_b64 s[12:13], s[6:7]
	s_cbranch_execz .LBB128_12
; %bb.11:
	v_mul_lo_u32 v8, v10, s26
	v_mov_b32_e32 v9, 0
	v_lshlrev_b64 v[8:9], 2, v[8:9]
	v_mov_b32_e32 v2, s29
	v_add_co_u32_e32 v8, vcc, s27, v8
	v_addc_co_u32_e32 v9, vcc, v2, v9, vcc
	global_load_dword v5, v[8:9], off
.LBB128_12:
	s_or_b64 exec, exec, s[12:13]
	v_lshrrev_b32_e32 v2, 5, v1
	v_add_u32_e32 v15, v2, v0
	v_lshrrev_b32_e32 v2, 5, v11
	v_add_u32_e32 v13, v2, v0
	v_lshrrev_b32_e32 v2, 5, v10
	v_lshlrev_b32_e32 v38, 2, v0
	v_add_u32_e32 v12, v2, v0
	v_lshrrev_b32_e32 v2, 3, v0
	v_or_b32_e32 v14, v2, v38
	s_waitcnt lgkmcnt(0)
	s_mul_i32 s10, s16, s10
	v_lshlrev_b32_e32 v23, 2, v15
	v_lshlrev_b32_e32 v39, 2, v13
	;; [unrolled: 1-line block ×4, first 2 shown]
	s_add_i32 s12, s10, s11
	s_mov_b32 s13, 0
	s_waitcnt vmcnt(0)
	ds_write_b32 v38, v6
	ds_write_b32 v23, v3 offset:128
	ds_write_b32 v39, v4 offset:256
	;; [unrolled: 1-line block ×3, first 2 shown]
	s_waitcnt lgkmcnt(0)
	; wave barrier
	s_waitcnt lgkmcnt(0)
	ds_read2_b32 v[28:29], v41 offset1:1
	ds_read2_b32 v[26:27], v41 offset0:2 offset1:3
	s_lshl_b64 s[10:11], s[12:13], 3
	s_add_u32 s33, s14, s10
	s_mov_b32 s12, s13
	s_addc_u32 s38, s15, s11
	s_mov_b32 s14, s13
	s_mov_b32 s15, s13
	s_mov_b32 s16, s13
	s_mov_b32 s17, s13
	s_mov_b32 s18, s13
	s_mov_b32 s19, s13
	v_pk_mov_b32 v[2:3], s[12:13], s[12:13] op_sel:[0,1]
	v_pk_mov_b32 v[4:5], s[14:15], s[14:15] op_sel:[0,1]
	;; [unrolled: 1-line block ×4, first 2 shown]
	v_pk_mov_b32 v[2:3], 0, 0
	v_mul_lo_u32 v24, v0, s28
	s_waitcnt lgkmcnt(0)
	; wave barrier
	s_waitcnt lgkmcnt(0)
	s_and_saveexec_b64 s[10:11], s[0:1]
	s_cbranch_execnz .LBB128_32
; %bb.13:
	s_or_b64 exec, exec, s[10:11]
	s_and_saveexec_b64 s[10:11], s[2:3]
	s_cbranch_execnz .LBB128_33
.LBB128_14:
	s_or_b64 exec, exec, s[10:11]
	s_and_saveexec_b64 s[10:11], s[4:5]
	s_cbranch_execnz .LBB128_34
.LBB128_15:
	s_or_b64 exec, exec, s[10:11]
	s_xor_b64 s[24:25], s[8:9], -1
	s_and_saveexec_b64 s[8:9], s[6:7]
	s_cbranch_execz .LBB128_17
.LBB128_16:
	v_mul_lo_u32 v8, v10, s28
	v_mov_b32_e32 v9, 0
	v_lshlrev_b64 v[8:9], 3, v[8:9]
	v_mov_b32_e32 v10, s38
	v_add_co_u32_e32 v8, vcc, s33, v8
	v_addc_co_u32_e32 v9, vcc, v10, v9, vcc
	global_load_dwordx2 v[8:9], v[8:9], off
.LBB128_17:
	s_or_b64 exec, exec, s[8:9]
	v_mbcnt_lo_u32_b32 v10, -1, 0
	v_mbcnt_hi_u32_b32 v10, -1, v10
	v_lshlrev_b32_e32 v42, 3, v0
	v_lshlrev_b32_e32 v25, 3, v15
	;; [unrolled: 1-line block ×5, first 2 shown]
	s_getpc_b64 s[8:9]
	s_add_u32 s8, s8, _ZN7rocprim17ROCPRIM_400000_NS16block_radix_sortIiLj32ELj4ElLj1ELj1ELj0ELNS0_26block_radix_rank_algorithmE1ELNS0_18block_padding_hintE2ELNS0_4arch9wavefront6targetE1EE19radix_bits_per_passE@rel32@lo+4
	s_addc_u32 s9, s9, _ZN7rocprim17ROCPRIM_400000_NS16block_radix_sortIiLj32ELj4ElLj1ELj1ELj0ELNS0_26block_radix_rank_algorithmE1ELNS0_18block_padding_hintE2ELNS0_4arch9wavefront6targetE1EE19radix_bits_per_passE@rel32@hi+12
	v_and_b32_e32 v11, 15, v10
	s_waitcnt vmcnt(0)
	ds_write_b64 v42, v[2:3]
	ds_write_b64 v25, v[4:5] offset:256
	ds_write_b64 v43, v[6:7] offset:512
	;; [unrolled: 1-line block ×3, first 2 shown]
	s_waitcnt lgkmcnt(0)
	; wave barrier
	s_waitcnt lgkmcnt(0)
	ds_read2_b64 v[2:5], v45 offset1:1
	ds_read2_b64 v[6:9], v45 offset0:2 offset1:3
	s_load_dword s39, s[8:9], 0x0
	v_cmp_eq_u32_e64 s[10:11], 0, v11
	v_cmp_lt_u32_e64 s[12:13], 1, v11
	v_cmp_lt_u32_e64 s[14:15], 3, v11
	;; [unrolled: 1-line block ×3, first 2 shown]
	v_and_b32_e32 v11, 16, v10
	v_cmp_eq_u32_e64 s[18:19], 0, v11
	v_add_u32_e32 v11, -1, v10
	v_and_b32_e32 v12, 0x60, v10
	v_cmp_lt_i32_e32 vcc, v11, v12
	s_movk_i32 s8, 0x100
	v_cndmask_b32_e32 v11, v11, v10, vcc
	v_cmp_gt_u32_e64 s[8:9], s8, v0
	v_lshlrev_b32_e32 v48, 5, v0
	s_mov_b32 s40, 0
	v_cmp_eq_u32_e64 s[20:21], 31, v0
	v_lshlrev_b32_e32 v49, 2, v11
	v_cmp_eq_u32_e64 s[22:23], 0, v10
	v_lshlrev_b32_e32 v47, 2, v38
	v_lshlrev_b32_e32 v46, 3, v38
	s_and_b64 vcc, exec, s[24:25]
	v_add_u32_e64 v50, 7, 2
	s_waitcnt lgkmcnt(0)
	; wave barrier
	s_waitcnt lgkmcnt(0)
	s_cbranch_vccz .LBB128_35
; %bb.18:
	v_xor_b32_e32 v34, 0x80000000, v28
	v_xor_b32_e32 v35, 0x80000000, v29
	v_xor_b32_e32 v36, 0x80000000, v26
	v_xor_b32_e32 v37, 0x80000000, v27
	v_and_b32_e32 v51, 14, v50
	v_mov_b32_e32 v52, 0
	s_movk_i32 s41, 0xe0
	v_pk_mov_b32 v[10:11], v[2:3], v[2:3] op_sel:[0,1]
	v_pk_mov_b32 v[12:13], v[4:5], v[4:5] op_sel:[0,1]
	;; [unrolled: 1-line block ×4, first 2 shown]
	s_branch .LBB128_20
.LBB128_19:                             ;   in Loop: Header=BB128_20 Depth=1
	v_lshlrev_b32_e32 v10, 2, v57
	s_waitcnt lgkmcnt(0)
	; wave barrier
	ds_write_b32 v10, v56
	v_lshlrev_b32_e32 v10, 2, v58
	ds_write_b32 v10, v55
	v_lshlrev_b32_e32 v10, 2, v59
	;; [unrolled: 2-line block ×4, first 2 shown]
	s_waitcnt lgkmcnt(0)
	; wave barrier
	s_waitcnt lgkmcnt(0)
	ds_read2_b32 v[34:35], v47 offset1:1
	ds_read2_b32 v[36:37], v47 offset0:2 offset1:3
	s_waitcnt lgkmcnt(0)
	; wave barrier
	s_waitcnt lgkmcnt(0)
	ds_write_b64 v10, v[32:33]
	v_lshlrev_b32_e32 v10, 3, v58
	ds_write_b64 v10, v[30:31]
	v_lshlrev_b32_e32 v10, 3, v59
	;; [unrolled: 2-line block ×3, first 2 shown]
	ds_write_b64 v10, v[18:19]
	s_waitcnt lgkmcnt(0)
	; wave barrier
	s_waitcnt lgkmcnt(0)
	ds_read2_b64 v[10:13], v46 offset1:1
	ds_read2_b64 v[14:17], v46 offset0:2 offset1:3
	s_add_i32 s40, s40, 4
	s_waitcnt lgkmcnt(0)
	; wave barrier
	s_waitcnt lgkmcnt(0)
	s_cbranch_execz .LBB128_31
.LBB128_20:                             ; =>This Loop Header: Depth=1
                                        ;     Child Loop BB128_23 Depth 2
	v_mov_b32_e32 v53, v37
	v_mov_b32_e32 v54, v36
	v_mov_b32_e32 v55, v35
	v_mov_b32_e32 v56, v34
	v_pk_mov_b32 v[18:19], v[16:17], v[16:17] op_sel:[0,1]
	v_pk_mov_b32 v[20:21], v[14:15], v[14:15] op_sel:[0,1]
	;; [unrolled: 1-line block ×4, first 2 shown]
	s_and_saveexec_b64 s[24:25], s[8:9]
	s_cbranch_execz .LBB128_27
; %bb.21:                               ;   in Loop: Header=BB128_20 Depth=1
	s_mov_b32 s42, 0
	s_mov_b64 s[30:31], 0
	v_pk_mov_b32 v[10:11], v[0:1], v[0:1] op_sel:[0,1]
	s_branch .LBB128_23
.LBB128_22:                             ;   in Loop: Header=BB128_23 Depth=2
	s_or_b64 exec, exec, s[36:37]
	s_add_i32 s42, s42, 2
	v_cmp_eq_u32_e32 vcc, s42, v51
	v_add_u32_e32 v11, 64, v11
	s_or_b64 s[30:31], vcc, s[30:31]
	v_add_u32_e32 v10, 64, v10
	s_andn2_b64 exec, exec, s[30:31]
	s_cbranch_execz .LBB128_27
.LBB128_23:                             ;   Parent Loop BB128_20 Depth=1
                                        ; =>  This Inner Loop Header: Depth=2
	s_or_b32 s34, s42, 1
	v_cmp_le_u32_e64 s[34:35], s34, 7
	v_cmp_le_u32_e64 s[44:45], s42, 7
	s_and_saveexec_b64 s[36:37], s[44:45]
	s_cbranch_execz .LBB128_25
; %bb.24:                               ;   in Loop: Header=BB128_23 Depth=2
	v_lshlrev_b32_e32 v12, 2, v10
	ds_write_b32 v12, v52
.LBB128_25:                             ;   in Loop: Header=BB128_23 Depth=2
	s_or_b64 exec, exec, s[36:37]
	s_and_saveexec_b64 s[36:37], s[34:35]
	s_cbranch_execz .LBB128_22
; %bb.26:                               ;   in Loop: Header=BB128_23 Depth=2
	v_lshlrev_b32_e32 v12, 2, v11
	ds_write_b32 v12, v52
	s_branch .LBB128_22
.LBB128_27:                             ;   in Loop: Header=BB128_20 Depth=1
	s_or_b64 exec, exec, s[24:25]
	s_sub_i32 s24, 32, s40
	s_min_u32 s24, s39, s24
	s_lshl_b32 s24, -1, s24
	s_not_b32 s24, s24
	v_lshrrev_b32_e32 v10, s40, v56
	v_and_b32_e32 v10, s24, v10
	v_lshrrev_b32_e32 v11, 3, v10
	v_lshlrev_b32_e32 v10, 5, v10
	v_and_or_b32 v10, v10, s41, v0
	v_lshlrev_b32_e32 v10, 1, v10
	v_add_lshl_u32 v35, v10, v11, 1
	ds_read_u16 v34, v35
	v_lshrrev_b32_e32 v10, s40, v55
	v_and_b32_e32 v10, s24, v10
	s_waitcnt lgkmcnt(0)
	v_add_u16_e32 v11, 1, v34
	ds_write_b16 v35, v11
	v_lshrrev_b32_e32 v11, 3, v10
	v_lshlrev_b32_e32 v10, 5, v10
	v_and_or_b32 v10, v10, s41, v0
	v_lshlrev_b32_e32 v10, 1, v10
	v_add_lshl_u32 v37, v10, v11, 1
	ds_read_u16 v36, v37
	s_waitcnt lgkmcnt(0)
	v_add_u16_e32 v10, 1, v36
	ds_write_b16 v37, v10
	v_lshrrev_b32_e32 v10, s40, v54
	v_and_b32_e32 v10, s24, v10
	v_lshrrev_b32_e32 v11, 3, v10
	v_lshlrev_b32_e32 v10, 5, v10
	v_and_or_b32 v10, v10, s41, v0
	v_lshlrev_b32_e32 v10, 1, v10
	v_add_lshl_u32 v57, v10, v11, 1
	ds_read_u16 v59, v57
	s_waitcnt lgkmcnt(0)
	v_add_u16_e32 v10, 1, v59
	ds_write_b16 v57, v10
	v_lshrrev_b32_e32 v10, s40, v53
	v_and_b32_e32 v10, s24, v10
	v_lshrrev_b32_e32 v11, 3, v10
	v_lshlrev_b32_e32 v10, 5, v10
	v_and_or_b32 v10, v10, s41, v0
	v_lshlrev_b32_e32 v10, 1, v10
	v_add_lshl_u32 v58, v10, v11, 1
	ds_read_u16 v60, v58
	s_waitcnt lgkmcnt(0)
	v_add_u16_e32 v10, 1, v60
	ds_write_b16 v58, v10
	s_waitcnt lgkmcnt(0)
	; wave barrier
	s_waitcnt lgkmcnt(0)
	ds_read2_b32 v[16:17], v48 offset1:1
	ds_read2_b32 v[14:15], v48 offset0:2 offset1:3
	ds_read2_b32 v[10:11], v48 offset0:4 offset1:5
	;; [unrolled: 1-line block ×3, first 2 shown]
	s_waitcnt lgkmcnt(3)
	v_add_u32_e32 v61, v17, v16
	s_waitcnt lgkmcnt(2)
	v_add3_u32 v61, v61, v14, v15
	s_waitcnt lgkmcnt(1)
	v_add3_u32 v61, v61, v10, v11
	;; [unrolled: 2-line block ×3, first 2 shown]
	s_nop 1
	v_mov_b32_dpp v61, v13 row_shr:1 row_mask:0xf bank_mask:0xf
	v_cndmask_b32_e64 v61, v61, 0, s[10:11]
	v_add_u32_e32 v13, v61, v13
	s_nop 1
	v_mov_b32_dpp v61, v13 row_shr:2 row_mask:0xf bank_mask:0xf
	v_cndmask_b32_e64 v61, 0, v61, s[12:13]
	v_add_u32_e32 v13, v13, v61
	;; [unrolled: 4-line block ×4, first 2 shown]
	s_nop 1
	v_mov_b32_dpp v61, v13 row_bcast:15 row_mask:0xf bank_mask:0xf
	v_cndmask_b32_e64 v61, v61, 0, s[18:19]
	v_add_u32_e32 v13, v13, v61
	s_and_saveexec_b64 s[24:25], s[20:21]
	s_cbranch_execz .LBB128_29
; %bb.28:                               ;   in Loop: Header=BB128_20 Depth=1
	ds_write_b32 v52, v13 offset:1024
.LBB128_29:                             ;   in Loop: Header=BB128_20 Depth=1
	s_or_b64 exec, exec, s[24:25]
	ds_bpermute_b32 v13, v49, v13
	s_waitcnt lgkmcnt(0)
	; wave barrier
	s_waitcnt lgkmcnt(0)
	ds_read_b32 v61, v52 offset:1024
	s_cmp_gt_u32 s40, 27
	v_cndmask_b32_e64 v13, v13, 0, s[22:23]
	s_waitcnt lgkmcnt(0)
	v_lshl_add_u32 v13, v61, 16, v13
	v_add_u32_e32 v16, v13, v16
	v_add_u32_e32 v17, v16, v17
	ds_write2_b32 v48, v13, v16 offset1:1
	v_add_u32_e32 v13, v17, v14
	v_add_u32_e32 v14, v13, v15
	;; [unrolled: 1-line block ×5, first 2 shown]
	ds_write2_b32 v48, v17, v13 offset0:2 offset1:3
	ds_write2_b32 v48, v14, v10 offset0:4 offset1:5
	;; [unrolled: 1-line block ×3, first 2 shown]
	s_waitcnt lgkmcnt(0)
	; wave barrier
	s_waitcnt lgkmcnt(0)
	ds_read_u16 v10, v35
	ds_read_u16 v11, v37
	ds_read_u16 v12, v57
	ds_read_u16 v13, v58
	s_waitcnt lgkmcnt(3)
	v_add_u32_sdwa v57, v10, v34 dst_sel:DWORD dst_unused:UNUSED_PAD src0_sel:DWORD src1_sel:WORD_0
	s_waitcnt lgkmcnt(2)
	v_add_u32_sdwa v58, v11, v36 dst_sel:DWORD dst_unused:UNUSED_PAD src0_sel:DWORD src1_sel:WORD_0
	;; [unrolled: 2-line block ×4, first 2 shown]
	s_cbranch_scc0 .LBB128_19
; %bb.30:
                                        ; implicit-def: $vgpr37
                                        ; implicit-def: $vgpr35
                                        ; implicit-def: $vgpr16_vgpr17
                                        ; implicit-def: $vgpr12_vgpr13
                                        ; implicit-def: $sgpr40
.LBB128_31:
	v_lshlrev_b32_e32 v10, 2, v57
	s_waitcnt lgkmcnt(0)
	; wave barrier
	ds_write_b32 v10, v56
	v_lshlrev_b32_e32 v10, 2, v58
	ds_write_b32 v10, v55
	v_lshlrev_b32_e32 v10, 2, v59
	;; [unrolled: 2-line block ×4, first 2 shown]
	v_lshlrev_b32_e32 v11, 3, v58
	v_lshlrev_b32_e32 v12, 3, v59
	;; [unrolled: 1-line block ×3, first 2 shown]
	s_waitcnt lgkmcnt(0)
	; wave barrier
	s_waitcnt lgkmcnt(0)
	ds_read2_b32 v[34:35], v47 offset1:1
	ds_read2_b32 v[36:37], v47 offset0:2 offset1:3
	s_waitcnt lgkmcnt(0)
	; wave barrier
	s_waitcnt lgkmcnt(0)
	ds_write_b64 v10, v[32:33]
	ds_write_b64 v11, v[30:31]
	;; [unrolled: 1-line block ×4, first 2 shown]
	s_waitcnt lgkmcnt(0)
	; wave barrier
	s_waitcnt lgkmcnt(0)
	ds_read2_b64 v[10:13], v46 offset1:1
	ds_read2_b64 v[14:17], v46 offset0:2 offset1:3
	v_xor_b32_e32 v21, 0x80000000, v37
	v_xor_b32_e32 v20, 0x80000000, v36
	;; [unrolled: 1-line block ×4, first 2 shown]
	s_branch .LBB128_50
.LBB128_32:
	v_mov_b32_e32 v25, 0
	v_lshlrev_b64 v[2:3], 3, v[24:25]
	v_mov_b32_e32 v4, s38
	v_add_co_u32_e32 v2, vcc, s33, v2
	v_addc_co_u32_e32 v3, vcc, v4, v3, vcc
	global_load_dwordx2 v[2:3], v[2:3], off
	v_mov_b32_e32 v4, v25
	v_mov_b32_e32 v5, v25
	v_mov_b32_e32 v6, v25
	v_mov_b32_e32 v7, v25
	v_mov_b32_e32 v8, v25
	v_mov_b32_e32 v9, v25
	s_or_b64 exec, exec, s[10:11]
	s_and_saveexec_b64 s[10:11], s[2:3]
	s_cbranch_execz .LBB128_14
.LBB128_33:
	v_mul_lo_u32 v4, v1, s28
	v_mov_b32_e32 v5, 0
	v_lshlrev_b64 v[4:5], 3, v[4:5]
	v_mov_b32_e32 v16, s38
	v_add_co_u32_e32 v4, vcc, s33, v4
	v_addc_co_u32_e32 v5, vcc, v16, v5, vcc
	global_load_dwordx2 v[4:5], v[4:5], off
	s_or_b64 exec, exec, s[10:11]
	s_and_saveexec_b64 s[10:11], s[4:5]
	s_cbranch_execz .LBB128_15
.LBB128_34:
	v_mul_lo_u32 v6, v11, s28
	v_mov_b32_e32 v7, 0
	v_lshlrev_b64 v[6:7], 3, v[6:7]
	v_mov_b32_e32 v11, s38
	v_add_co_u32_e32 v6, vcc, s33, v6
	v_addc_co_u32_e32 v7, vcc, v11, v7, vcc
	global_load_dwordx2 v[6:7], v[6:7], off
	s_or_b64 exec, exec, s[10:11]
	s_xor_b64 s[24:25], s[8:9], -1
	s_and_saveexec_b64 s[8:9], s[6:7]
	s_cbranch_execnz .LBB128_16
	s_branch .LBB128_17
.LBB128_35:
                                        ; implicit-def: $vgpr16_vgpr17
                                        ; implicit-def: $vgpr12_vgpr13
                                        ; implicit-def: $vgpr18_vgpr19_vgpr20_vgpr21
	s_cbranch_execz .LBB128_50
; %bb.36:
	v_xor_b32_e32 v18, 0x7fffffff, v28
	v_xor_b32_e32 v19, 0x7fffffff, v29
	;; [unrolled: 1-line block ×4, first 2 shown]
	v_and_b32_e32 v26, 14, v50
	s_mov_b32 s41, 0
	v_mov_b32_e32 v27, 0
	s_movk_i32 s40, 0xe0
	s_branch .LBB128_38
.LBB128_37:                             ;   in Loop: Header=BB128_38 Depth=1
	v_lshlrev_b32_e32 v2, 2, v32
	s_waitcnt lgkmcnt(0)
	; wave barrier
	ds_write_b32 v2, v31
	v_lshlrev_b32_e32 v2, 2, v33
	ds_write_b32 v2, v30
	v_lshlrev_b32_e32 v2, 2, v34
	;; [unrolled: 2-line block ×4, first 2 shown]
	s_waitcnt lgkmcnt(0)
	; wave barrier
	s_waitcnt lgkmcnt(0)
	ds_read2_b32 v[18:19], v47 offset1:1
	ds_read2_b32 v[20:21], v47 offset0:2 offset1:3
	s_waitcnt lgkmcnt(0)
	; wave barrier
	s_waitcnt lgkmcnt(0)
	ds_write_b64 v2, v[16:17]
	v_lshlrev_b32_e32 v2, 3, v33
	ds_write_b64 v2, v[14:15]
	v_lshlrev_b32_e32 v2, 3, v34
	;; [unrolled: 2-line block ×3, first 2 shown]
	ds_write_b64 v2, v[10:11]
	s_waitcnt lgkmcnt(0)
	; wave barrier
	s_waitcnt lgkmcnt(0)
	ds_read2_b64 v[2:5], v46 offset1:1
	ds_read2_b64 v[6:9], v46 offset0:2 offset1:3
	s_add_i32 s41, s41, 4
	s_waitcnt lgkmcnt(0)
	; wave barrier
	s_waitcnt lgkmcnt(0)
	s_cbranch_execz .LBB128_49
.LBB128_38:                             ; =>This Loop Header: Depth=1
                                        ;     Child Loop BB128_41 Depth 2
	v_mov_b32_e32 v28, v21
	v_mov_b32_e32 v29, v20
	;; [unrolled: 1-line block ×4, first 2 shown]
	s_waitcnt lgkmcnt(1)
	v_pk_mov_b32 v[10:11], v[8:9], v[8:9] op_sel:[0,1]
	v_pk_mov_b32 v[12:13], v[6:7], v[6:7] op_sel:[0,1]
	s_waitcnt lgkmcnt(0)
	v_pk_mov_b32 v[14:15], v[4:5], v[4:5] op_sel:[0,1]
	v_pk_mov_b32 v[16:17], v[2:3], v[2:3] op_sel:[0,1]
	s_and_saveexec_b64 s[24:25], s[8:9]
	s_cbranch_execz .LBB128_45
; %bb.39:                               ;   in Loop: Header=BB128_38 Depth=1
	s_mov_b32 s42, 0
	s_mov_b64 s[30:31], 0
	v_pk_mov_b32 v[2:3], v[0:1], v[0:1] op_sel:[0,1]
	s_branch .LBB128_41
.LBB128_40:                             ;   in Loop: Header=BB128_41 Depth=2
	s_or_b64 exec, exec, s[36:37]
	s_add_i32 s42, s42, 2
	v_cmp_eq_u32_e32 vcc, s42, v26
	v_add_u32_e32 v3, 64, v3
	s_or_b64 s[30:31], vcc, s[30:31]
	v_add_u32_e32 v2, 64, v2
	s_andn2_b64 exec, exec, s[30:31]
	s_cbranch_execz .LBB128_45
.LBB128_41:                             ;   Parent Loop BB128_38 Depth=1
                                        ; =>  This Inner Loop Header: Depth=2
	s_or_b32 s34, s42, 1
	v_cmp_le_u32_e64 s[34:35], s34, 7
	v_cmp_le_u32_e64 s[44:45], s42, 7
	s_and_saveexec_b64 s[36:37], s[44:45]
	s_cbranch_execz .LBB128_43
; %bb.42:                               ;   in Loop: Header=BB128_41 Depth=2
	v_lshlrev_b32_e32 v4, 2, v2
	ds_write_b32 v4, v27
.LBB128_43:                             ;   in Loop: Header=BB128_41 Depth=2
	s_or_b64 exec, exec, s[36:37]
	s_and_saveexec_b64 s[36:37], s[34:35]
	s_cbranch_execz .LBB128_40
; %bb.44:                               ;   in Loop: Header=BB128_41 Depth=2
	v_lshlrev_b32_e32 v4, 2, v3
	ds_write_b32 v4, v27
	s_branch .LBB128_40
.LBB128_45:                             ;   in Loop: Header=BB128_38 Depth=1
	s_or_b64 exec, exec, s[24:25]
	s_sub_i32 s24, 32, s41
	s_min_u32 s24, s39, s24
	s_lshl_b32 s24, -1, s24
	s_not_b32 s24, s24
	v_lshrrev_b32_e32 v2, s41, v31
	v_and_b32_e32 v2, s24, v2
	v_lshrrev_b32_e32 v3, 3, v2
	v_lshlrev_b32_e32 v2, 5, v2
	v_and_or_b32 v2, v2, s40, v0
	v_lshlrev_b32_e32 v2, 1, v2
	v_add_lshl_u32 v19, v2, v3, 1
	ds_read_u16 v18, v19
	v_lshrrev_b32_e32 v2, s41, v30
	v_and_b32_e32 v2, s24, v2
	s_waitcnt lgkmcnt(0)
	v_add_u16_e32 v3, 1, v18
	ds_write_b16 v19, v3
	v_lshrrev_b32_e32 v3, 3, v2
	v_lshlrev_b32_e32 v2, 5, v2
	v_and_or_b32 v2, v2, s40, v0
	v_lshlrev_b32_e32 v2, 1, v2
	v_add_lshl_u32 v21, v2, v3, 1
	ds_read_u16 v20, v21
	s_waitcnt lgkmcnt(0)
	v_add_u16_e32 v2, 1, v20
	ds_write_b16 v21, v2
	v_lshrrev_b32_e32 v2, s41, v29
	v_and_b32_e32 v2, s24, v2
	v_lshrrev_b32_e32 v3, 3, v2
	v_lshlrev_b32_e32 v2, 5, v2
	v_and_or_b32 v2, v2, s40, v0
	v_lshlrev_b32_e32 v2, 1, v2
	v_add_lshl_u32 v32, v2, v3, 1
	ds_read_u16 v34, v32
	s_waitcnt lgkmcnt(0)
	v_add_u16_e32 v2, 1, v34
	ds_write_b16 v32, v2
	v_lshrrev_b32_e32 v2, s41, v28
	v_and_b32_e32 v2, s24, v2
	v_lshrrev_b32_e32 v3, 3, v2
	v_lshlrev_b32_e32 v2, 5, v2
	v_and_or_b32 v2, v2, s40, v0
	v_lshlrev_b32_e32 v2, 1, v2
	v_add_lshl_u32 v33, v2, v3, 1
	ds_read_u16 v35, v33
	s_waitcnt lgkmcnt(0)
	v_add_u16_e32 v2, 1, v35
	ds_write_b16 v33, v2
	s_waitcnt lgkmcnt(0)
	; wave barrier
	s_waitcnt lgkmcnt(0)
	ds_read2_b32 v[8:9], v48 offset1:1
	ds_read2_b32 v[6:7], v48 offset0:2 offset1:3
	ds_read2_b32 v[2:3], v48 offset0:4 offset1:5
	;; [unrolled: 1-line block ×3, first 2 shown]
	s_waitcnt lgkmcnt(3)
	v_add_u32_e32 v36, v9, v8
	s_waitcnt lgkmcnt(2)
	v_add3_u32 v36, v36, v6, v7
	s_waitcnt lgkmcnt(1)
	v_add3_u32 v36, v36, v2, v3
	;; [unrolled: 2-line block ×3, first 2 shown]
	s_nop 1
	v_mov_b32_dpp v36, v5 row_shr:1 row_mask:0xf bank_mask:0xf
	v_cndmask_b32_e64 v36, v36, 0, s[10:11]
	v_add_u32_e32 v5, v36, v5
	s_nop 1
	v_mov_b32_dpp v36, v5 row_shr:2 row_mask:0xf bank_mask:0xf
	v_cndmask_b32_e64 v36, 0, v36, s[12:13]
	v_add_u32_e32 v5, v5, v36
	;; [unrolled: 4-line block ×4, first 2 shown]
	s_nop 1
	v_mov_b32_dpp v36, v5 row_bcast:15 row_mask:0xf bank_mask:0xf
	v_cndmask_b32_e64 v36, v36, 0, s[18:19]
	v_add_u32_e32 v5, v5, v36
	s_and_saveexec_b64 s[24:25], s[20:21]
	s_cbranch_execz .LBB128_47
; %bb.46:                               ;   in Loop: Header=BB128_38 Depth=1
	ds_write_b32 v27, v5 offset:1024
.LBB128_47:                             ;   in Loop: Header=BB128_38 Depth=1
	s_or_b64 exec, exec, s[24:25]
	ds_bpermute_b32 v5, v49, v5
	s_waitcnt lgkmcnt(0)
	; wave barrier
	s_waitcnt lgkmcnt(0)
	ds_read_b32 v36, v27 offset:1024
	s_cmp_gt_u32 s41, 27
	v_cndmask_b32_e64 v5, v5, 0, s[22:23]
	s_waitcnt lgkmcnt(0)
	v_lshl_add_u32 v5, v36, 16, v5
	v_add_u32_e32 v8, v5, v8
	v_add_u32_e32 v9, v8, v9
	ds_write2_b32 v48, v5, v8 offset1:1
	v_add_u32_e32 v5, v9, v6
	v_add_u32_e32 v6, v5, v7
	v_add_u32_e32 v2, v6, v2
	v_add_u32_e32 v3, v2, v3
	v_add_u32_e32 v4, v3, v4
	ds_write2_b32 v48, v9, v5 offset0:2 offset1:3
	ds_write2_b32 v48, v6, v2 offset0:4 offset1:5
	;; [unrolled: 1-line block ×3, first 2 shown]
	s_waitcnt lgkmcnt(0)
	; wave barrier
	s_waitcnt lgkmcnt(0)
	ds_read_u16 v2, v19
	ds_read_u16 v3, v21
	;; [unrolled: 1-line block ×4, first 2 shown]
	s_waitcnt lgkmcnt(3)
	v_add_u32_sdwa v32, v2, v18 dst_sel:DWORD dst_unused:UNUSED_PAD src0_sel:DWORD src1_sel:WORD_0
	s_waitcnt lgkmcnt(2)
	v_add_u32_sdwa v33, v3, v20 dst_sel:DWORD dst_unused:UNUSED_PAD src0_sel:DWORD src1_sel:WORD_0
	;; [unrolled: 2-line block ×4, first 2 shown]
	s_cbranch_scc0 .LBB128_37
; %bb.48:
                                        ; implicit-def: $vgpr21
                                        ; implicit-def: $vgpr19
                                        ; implicit-def: $vgpr8_vgpr9
                                        ; implicit-def: $vgpr4_vgpr5
                                        ; implicit-def: $sgpr41
.LBB128_49:
	v_lshlrev_b32_e32 v0, 2, v32
	s_waitcnt lgkmcnt(0)
	; wave barrier
	ds_write_b32 v0, v31
	v_lshlrev_b32_e32 v0, 2, v33
	ds_write_b32 v0, v30
	v_lshlrev_b32_e32 v0, 2, v34
	;; [unrolled: 2-line block ×3, first 2 shown]
	v_lshlrev_b32_e32 v4, 3, v32
	ds_write_b32 v0, v28
	s_waitcnt lgkmcnt(0)
	; wave barrier
	s_waitcnt lgkmcnt(0)
	v_lshlrev_b32_e32 v5, 3, v33
	v_lshlrev_b32_e32 v6, 3, v34
	;; [unrolled: 1-line block ×3, first 2 shown]
	ds_read2_b32 v[0:1], v47 offset1:1
	ds_read2_b32 v[2:3], v47 offset0:2 offset1:3
	s_waitcnt lgkmcnt(0)
	; wave barrier
	s_waitcnt lgkmcnt(0)
	ds_write_b64 v4, v[16:17]
	ds_write_b64 v5, v[14:15]
	;; [unrolled: 1-line block ×4, first 2 shown]
	s_waitcnt lgkmcnt(0)
	; wave barrier
	s_waitcnt lgkmcnt(0)
	ds_read2_b64 v[10:13], v46 offset1:1
	ds_read2_b64 v[14:17], v46 offset0:2 offset1:3
	v_xor_b32_e32 v21, 0x7fffffff, v3
	v_xor_b32_e32 v20, 0x7fffffff, v2
	;; [unrolled: 1-line block ×4, first 2 shown]
.LBB128_50:
	s_waitcnt lgkmcnt(0)
	; wave barrier
	s_waitcnt lgkmcnt(0)
	ds_write2_b32 v41, v18, v19 offset1:1
	ds_write2_b32 v41, v20, v21 offset0:2 offset1:3
	s_waitcnt lgkmcnt(0)
	; wave barrier
	s_waitcnt lgkmcnt(0)
	ds_read_b32 v4, v23 offset:128
	ds_read_b32 v3, v39 offset:256
	;; [unrolled: 1-line block ×3, first 2 shown]
	v_mov_b32_e32 v23, 0
	v_lshlrev_b64 v[0:1], 2, v[22:23]
	v_mov_b32_e32 v5, s29
	v_add_co_u32_e32 v0, vcc, s27, v0
	v_addc_co_u32_e32 v1, vcc, v5, v1, vcc
	s_and_saveexec_b64 s[8:9], s[0:1]
	s_cbranch_execnz .LBB128_61
; %bb.51:
	s_or_b64 exec, exec, s[8:9]
	s_and_saveexec_b64 s[8:9], s[2:3]
	s_cbranch_execnz .LBB128_62
.LBB128_52:
	s_or_b64 exec, exec, s[8:9]
	s_and_saveexec_b64 s[8:9], s[4:5]
	s_cbranch_execnz .LBB128_63
.LBB128_53:
	s_or_b64 exec, exec, s[8:9]
	s_and_saveexec_b64 s[8:9], s[6:7]
	s_cbranch_execz .LBB128_55
.LBB128_54:
	s_mul_i32 s10, s26, 0x60
	s_mov_b32 s11, 0
	s_lshl_b64 s[10:11], s[10:11], 2
	s_waitcnt lgkmcnt(1)
	v_mov_b32_e32 v3, s11
	v_add_co_u32_e32 v0, vcc, s10, v0
	v_addc_co_u32_e32 v1, vcc, v1, v3, vcc
	s_waitcnt lgkmcnt(0)
	global_store_dword v[0:1], v2, off
.LBB128_55:
	s_or_b64 exec, exec, s[8:9]
	s_waitcnt lgkmcnt(0)
	; wave barrier
	s_waitcnt lgkmcnt(0)
	ds_write2_b64 v45, v[10:11], v[12:13] offset1:1
	ds_write2_b64 v45, v[14:15], v[16:17] offset0:2 offset1:3
	s_waitcnt lgkmcnt(0)
	; wave barrier
	s_waitcnt lgkmcnt(0)
	ds_read_b64 v[6:7], v25 offset:256
	ds_read_b64 v[4:5], v43 offset:512
	;; [unrolled: 1-line block ×3, first 2 shown]
	v_mov_b32_e32 v25, 0
	v_lshlrev_b64 v[2:3], 3, v[24:25]
	v_mov_b32_e32 v8, s38
	v_add_co_u32_e32 v2, vcc, s33, v2
	v_addc_co_u32_e32 v3, vcc, v8, v3, vcc
	s_and_saveexec_b64 s[8:9], s[0:1]
	s_cbranch_execnz .LBB128_64
; %bb.56:
	s_or_b64 exec, exec, s[8:9]
	s_and_saveexec_b64 s[0:1], s[2:3]
	s_cbranch_execnz .LBB128_65
.LBB128_57:
	s_or_b64 exec, exec, s[0:1]
	s_and_saveexec_b64 s[0:1], s[4:5]
	s_cbranch_execnz .LBB128_66
.LBB128_58:
	s_or_b64 exec, exec, s[0:1]
	s_and_saveexec_b64 s[0:1], s[6:7]
	s_cbranch_execz .LBB128_60
.LBB128_59:
	s_mul_i32 s0, s28, 0x60
	s_mov_b32 s1, 0
	s_lshl_b64 s[0:1], s[0:1], 3
	s_waitcnt lgkmcnt(1)
	v_mov_b32_e32 v4, s1
	v_add_co_u32_e32 v2, vcc, s0, v2
	v_addc_co_u32_e32 v3, vcc, v3, v4, vcc
	s_waitcnt lgkmcnt(0)
	global_store_dwordx2 v[2:3], v[0:1], off
.LBB128_60:
	s_endpgm
.LBB128_61:
	ds_read_b32 v5, v38
	s_waitcnt lgkmcnt(0)
	global_store_dword v[0:1], v5, off
	s_or_b64 exec, exec, s[8:9]
	s_and_saveexec_b64 s[8:9], s[2:3]
	s_cbranch_execz .LBB128_52
.LBB128_62:
	s_lshl_b32 s10, s26, 5
	s_mov_b32 s11, 0
	s_lshl_b64 s[10:11], s[10:11], 2
	v_mov_b32_e32 v5, s11
	v_add_co_u32_e32 v6, vcc, s10, v0
	v_addc_co_u32_e32 v7, vcc, v1, v5, vcc
	s_waitcnt lgkmcnt(2)
	global_store_dword v[6:7], v4, off
	s_or_b64 exec, exec, s[8:9]
	s_and_saveexec_b64 s[8:9], s[4:5]
	s_cbranch_execz .LBB128_53
.LBB128_63:
	s_lshl_b32 s10, s26, 6
	s_mov_b32 s11, 0
	s_lshl_b64 s[10:11], s[10:11], 2
	v_mov_b32_e32 v5, s11
	s_waitcnt lgkmcnt(2)
	v_add_co_u32_e32 v4, vcc, s10, v0
	v_addc_co_u32_e32 v5, vcc, v1, v5, vcc
	s_waitcnt lgkmcnt(1)
	global_store_dword v[4:5], v3, off
	s_or_b64 exec, exec, s[8:9]
	s_and_saveexec_b64 s[8:9], s[6:7]
	s_cbranch_execnz .LBB128_54
	s_branch .LBB128_55
.LBB128_64:
	ds_read_b64 v[8:9], v42
	s_waitcnt lgkmcnt(0)
	global_store_dwordx2 v[2:3], v[8:9], off
	s_or_b64 exec, exec, s[8:9]
	s_and_saveexec_b64 s[0:1], s[2:3]
	s_cbranch_execz .LBB128_57
.LBB128_65:
	s_lshl_b32 s2, s28, 5
	s_mov_b32 s3, 0
	s_lshl_b64 s[2:3], s[2:3], 3
	v_mov_b32_e32 v9, s3
	v_add_co_u32_e32 v8, vcc, s2, v2
	v_addc_co_u32_e32 v9, vcc, v3, v9, vcc
	s_waitcnt lgkmcnt(2)
	global_store_dwordx2 v[8:9], v[6:7], off
	s_or_b64 exec, exec, s[0:1]
	s_and_saveexec_b64 s[0:1], s[4:5]
	s_cbranch_execz .LBB128_58
.LBB128_66:
	s_lshl_b32 s2, s28, 6
	s_mov_b32 s3, 0
	s_lshl_b64 s[2:3], s[2:3], 3
	s_waitcnt lgkmcnt(2)
	v_mov_b32_e32 v7, s3
	v_add_co_u32_e32 v6, vcc, s2, v2
	v_addc_co_u32_e32 v7, vcc, v3, v7, vcc
	s_waitcnt lgkmcnt(1)
	global_store_dwordx2 v[6:7], v[4:5], off
	s_or_b64 exec, exec, s[0:1]
	s_and_saveexec_b64 s[0:1], s[6:7]
	s_cbranch_execnz .LBB128_59
	s_branch .LBB128_60
	.section	.rodata,"a",@progbits
	.p2align	6, 0x0
	.amdhsa_kernel _ZN2at6native18radixSortKVInPlaceILi2ELin1ELi32ELi4EiljEEvNS_4cuda6detail10TensorInfoIT3_T5_EES6_S6_S6_NS4_IT4_S6_EES6_b
		.amdhsa_group_segment_fixed_size 1056
		.amdhsa_private_segment_fixed_size 0
		.amdhsa_kernarg_size 712
		.amdhsa_user_sgpr_count 6
		.amdhsa_user_sgpr_private_segment_buffer 1
		.amdhsa_user_sgpr_dispatch_ptr 0
		.amdhsa_user_sgpr_queue_ptr 0
		.amdhsa_user_sgpr_kernarg_segment_ptr 1
		.amdhsa_user_sgpr_dispatch_id 0
		.amdhsa_user_sgpr_flat_scratch_init 0
		.amdhsa_user_sgpr_kernarg_preload_length 0
		.amdhsa_user_sgpr_kernarg_preload_offset 0
		.amdhsa_user_sgpr_private_segment_size 0
		.amdhsa_uses_dynamic_stack 0
		.amdhsa_system_sgpr_private_segment_wavefront_offset 0
		.amdhsa_system_sgpr_workgroup_id_x 1
		.amdhsa_system_sgpr_workgroup_id_y 1
		.amdhsa_system_sgpr_workgroup_id_z 1
		.amdhsa_system_sgpr_workgroup_info 0
		.amdhsa_system_vgpr_workitem_id 0
		.amdhsa_next_free_vgpr 62
		.amdhsa_next_free_sgpr 46
		.amdhsa_accum_offset 64
		.amdhsa_reserve_vcc 1
		.amdhsa_reserve_flat_scratch 0
		.amdhsa_float_round_mode_32 0
		.amdhsa_float_round_mode_16_64 0
		.amdhsa_float_denorm_mode_32 3
		.amdhsa_float_denorm_mode_16_64 3
		.amdhsa_dx10_clamp 1
		.amdhsa_ieee_mode 1
		.amdhsa_fp16_overflow 0
		.amdhsa_tg_split 0
		.amdhsa_exception_fp_ieee_invalid_op 0
		.amdhsa_exception_fp_denorm_src 0
		.amdhsa_exception_fp_ieee_div_zero 0
		.amdhsa_exception_fp_ieee_overflow 0
		.amdhsa_exception_fp_ieee_underflow 0
		.amdhsa_exception_fp_ieee_inexact 0
		.amdhsa_exception_int_div_zero 0
	.end_amdhsa_kernel
	.section	.text._ZN2at6native18radixSortKVInPlaceILi2ELin1ELi32ELi4EiljEEvNS_4cuda6detail10TensorInfoIT3_T5_EES6_S6_S6_NS4_IT4_S6_EES6_b,"axG",@progbits,_ZN2at6native18radixSortKVInPlaceILi2ELin1ELi32ELi4EiljEEvNS_4cuda6detail10TensorInfoIT3_T5_EES6_S6_S6_NS4_IT4_S6_EES6_b,comdat
.Lfunc_end128:
	.size	_ZN2at6native18radixSortKVInPlaceILi2ELin1ELi32ELi4EiljEEvNS_4cuda6detail10TensorInfoIT3_T5_EES6_S6_S6_NS4_IT4_S6_EES6_b, .Lfunc_end128-_ZN2at6native18radixSortKVInPlaceILi2ELin1ELi32ELi4EiljEEvNS_4cuda6detail10TensorInfoIT3_T5_EES6_S6_S6_NS4_IT4_S6_EES6_b
                                        ; -- End function
	.section	.AMDGPU.csdata,"",@progbits
; Kernel info:
; codeLenInByte = 4724
; NumSgprs: 50
; NumVgprs: 62
; NumAgprs: 0
; TotalNumVgprs: 62
; ScratchSize: 0
; MemoryBound: 0
; FloatMode: 240
; IeeeMode: 1
; LDSByteSize: 1056 bytes/workgroup (compile time only)
; SGPRBlocks: 6
; VGPRBlocks: 7
; NumSGPRsForWavesPerEU: 50
; NumVGPRsForWavesPerEU: 62
; AccumOffset: 64
; Occupancy: 8
; WaveLimiterHint : 1
; COMPUTE_PGM_RSRC2:SCRATCH_EN: 0
; COMPUTE_PGM_RSRC2:USER_SGPR: 6
; COMPUTE_PGM_RSRC2:TRAP_HANDLER: 0
; COMPUTE_PGM_RSRC2:TGID_X_EN: 1
; COMPUTE_PGM_RSRC2:TGID_Y_EN: 1
; COMPUTE_PGM_RSRC2:TGID_Z_EN: 1
; COMPUTE_PGM_RSRC2:TIDIG_COMP_CNT: 0
; COMPUTE_PGM_RSRC3_GFX90A:ACCUM_OFFSET: 15
; COMPUTE_PGM_RSRC3_GFX90A:TG_SPLIT: 0
	.section	.text._ZN2at6native18radixSortKVInPlaceILi2ELin1ELi16ELi2EiljEEvNS_4cuda6detail10TensorInfoIT3_T5_EES6_S6_S6_NS4_IT4_S6_EES6_b,"axG",@progbits,_ZN2at6native18radixSortKVInPlaceILi2ELin1ELi16ELi2EiljEEvNS_4cuda6detail10TensorInfoIT3_T5_EES6_S6_S6_NS4_IT4_S6_EES6_b,comdat
	.protected	_ZN2at6native18radixSortKVInPlaceILi2ELin1ELi16ELi2EiljEEvNS_4cuda6detail10TensorInfoIT3_T5_EES6_S6_S6_NS4_IT4_S6_EES6_b ; -- Begin function _ZN2at6native18radixSortKVInPlaceILi2ELin1ELi16ELi2EiljEEvNS_4cuda6detail10TensorInfoIT3_T5_EES6_S6_S6_NS4_IT4_S6_EES6_b
	.globl	_ZN2at6native18radixSortKVInPlaceILi2ELin1ELi16ELi2EiljEEvNS_4cuda6detail10TensorInfoIT3_T5_EES6_S6_S6_NS4_IT4_S6_EES6_b
	.p2align	8
	.type	_ZN2at6native18radixSortKVInPlaceILi2ELin1ELi16ELi2EiljEEvNS_4cuda6detail10TensorInfoIT3_T5_EES6_S6_S6_NS4_IT4_S6_EES6_b,@function
_ZN2at6native18radixSortKVInPlaceILi2ELin1ELi16ELi2EiljEEvNS_4cuda6detail10TensorInfoIT3_T5_EES6_S6_S6_NS4_IT4_S6_EES6_b: ; @_ZN2at6native18radixSortKVInPlaceILi2ELin1ELi16ELi2EiljEEvNS_4cuda6detail10TensorInfoIT3_T5_EES6_S6_S6_NS4_IT4_S6_EES6_b
; %bb.0:
	s_load_dwordx2 s[0:1], s[4:5], 0x1c8
	s_load_dwordx4 s[16:19], s[4:5], 0xd8
	s_waitcnt lgkmcnt(0)
	s_mul_i32 s1, s1, s8
	s_add_i32 s1, s1, s7
	s_mul_i32 s12, s1, s0
	s_add_i32 s12, s12, s6
	s_cmp_ge_u32 s12, s16
	s_cbranch_scc1 .LBB129_50
; %bb.1:
	s_load_dword s13, s[4:5], 0xc
	s_load_dwordx2 s[8:9], s[4:5], 0x6c
	s_load_dword s10, s[4:5], 0x1b8
	s_add_u32 s2, s4, 0xe8
	s_load_dwordx2 s[0:1], s[4:5], 0x0
	s_waitcnt lgkmcnt(0)
	v_cvt_f32_u32_e32 v1, s13
	s_addc_u32 s3, s5, 0
	s_sub_i32 s6, 0, s13
	s_mov_b32 s7, 0
	v_rcp_iflag_f32_e32 v1, v1
	v_mul_f32_e32 v1, 0x4f7ffffe, v1
	v_cvt_u32_f32_e32 v1, v1
	v_readfirstlane_b32 s11, v1
	s_mul_i32 s6, s6, s11
	s_mul_hi_u32 s6, s11, s6
	s_add_i32 s11, s11, s6
	s_mul_hi_u32 s14, s12, s11
	s_cmp_lt_i32 s10, 2
	s_mov_b32 s6, s12
	s_cbranch_scc1 .LBB129_4
; %bb.2:
	s_add_i32 s6, s10, -1
	s_add_i32 s15, s10, 1
	s_lshl_b64 s[10:11], s[6:7], 2
	s_add_u32 s6, s10, s2
	s_addc_u32 s11, s11, s3
	s_add_u32 s10, s6, 8
	s_addc_u32 s11, s11, 0
	s_mov_b32 s6, s12
.LBB129_3:                              ; =>This Inner Loop Header: Depth=1
	s_load_dword s16, s[10:11], 0x0
	s_load_dword s20, s[10:11], 0x64
	s_mov_b32 s19, s6
	s_waitcnt lgkmcnt(0)
	v_cvt_f32_u32_e32 v1, s16
	s_sub_i32 s6, 0, s16
	v_rcp_iflag_f32_e32 v1, v1
	v_mul_f32_e32 v1, 0x4f7ffffe, v1
	v_cvt_u32_f32_e32 v1, v1
	v_readfirstlane_b32 s21, v1
	s_mul_i32 s6, s6, s21
	s_mul_hi_u32 s6, s21, s6
	s_add_i32 s21, s21, s6
	s_mul_hi_u32 s6, s19, s21
	s_mul_i32 s21, s6, s16
	s_sub_i32 s21, s19, s21
	s_add_i32 s22, s6, 1
	s_sub_i32 s23, s21, s16
	s_cmp_ge_u32 s21, s16
	s_cselect_b32 s6, s22, s6
	s_cselect_b32 s21, s23, s21
	s_add_i32 s22, s6, 1
	s_cmp_ge_u32 s21, s16
	s_cselect_b32 s6, s22, s6
	s_mul_i32 s16, s6, s16
	s_sub_i32 s16, s19, s16
	s_mul_i32 s16, s20, s16
	s_add_i32 s15, s15, -1
	s_add_i32 s7, s16, s7
	s_add_u32 s10, s10, -4
	s_addc_u32 s11, s11, -1
	s_cmp_gt_u32 s15, 2
	s_cbranch_scc1 .LBB129_3
.LBB129_4:
	s_mul_i32 s10, s14, s13
	s_sub_i32 s10, s12, s10
	s_add_i32 s11, s14, 1
	s_sub_i32 s15, s10, s13
	s_cmp_ge_u32 s10, s13
	s_cselect_b32 s11, s11, s14
	s_cselect_b32 s10, s15, s10
	s_add_i32 s14, s11, 1
	s_cmp_ge_u32 s10, s13
	s_cselect_b32 s10, s14, s11
	s_load_dwordx2 s[20:21], s[4:5], 0x1c0
	s_mul_i32 s11, s10, s13
	s_sub_i32 s11, s12, s11
	s_mul_i32 s11, s11, s9
	s_mul_i32 s4, s10, s8
	s_add_i32 s12, s4, s11
	s_waitcnt lgkmcnt(0)
	s_bitcmp1_b32 s21, 0
	s_cselect_b64 s[4:5], -1, 0
	s_load_dwordx2 s[8:9], s[2:3], 0x0
	s_brev_b32 s13, 1
	s_and_b64 s[10:11], s[4:5], exec
	s_cselect_b32 s10, s13, 0x7fffffff
	s_mov_b32 s13, 0
	s_lshl_b64 s[12:13], s[12:13], 2
	s_add_u32 s19, s0, s12
	s_mov_b32 s11, s10
	s_addc_u32 s21, s1, s13
	v_cmp_gt_u32_e64 s[0:1], s17, v0
	v_pk_mov_b32 v[2:3], s[10:11], s[10:11] op_sel:[0,1]
	v_mul_lo_u32 v10, v0, s18
	s_and_saveexec_b64 s[12:13], s[0:1]
	s_cbranch_execz .LBB129_6
; %bb.5:
	v_mov_b32_e32 v11, 0
	v_lshlrev_b64 v[2:3], 2, v[10:11]
	v_mov_b32_e32 v1, s21
	v_add_co_u32_e32 v2, vcc, s19, v2
	v_addc_co_u32_e32 v3, vcc, v1, v3, vcc
	global_load_dword v2, v[2:3], off
	v_mov_b32_e32 v3, s10
.LBB129_6:
	s_or_b64 exec, exec, s[12:13]
	s_load_dword s12, s[2:3], 0x6c
	v_or_b32_e32 v1, 16, v0
	v_cmp_gt_u32_e64 s[2:3], s17, v1
	s_and_saveexec_b64 s[10:11], s[2:3]
	s_cbranch_execz .LBB129_8
; %bb.7:
	v_mul_lo_u32 v4, v1, s18
	v_mov_b32_e32 v5, 0
	v_lshlrev_b64 v[4:5], 2, v[4:5]
	v_mov_b32_e32 v3, s21
	v_add_co_u32_e32 v4, vcc, s19, v4
	v_addc_co_u32_e32 v5, vcc, v3, v5, vcc
	global_load_dword v3, v[4:5], off
.LBB129_8:
	s_or_b64 exec, exec, s[10:11]
	v_lshlrev_b32_e32 v25, 2, v0
	v_lshlrev_b32_e32 v24, 3, v0
	s_waitcnt lgkmcnt(0)
	s_mul_i32 s6, s12, s6
	s_waitcnt vmcnt(0)
	ds_write2_b32 v25, v2, v3 offset1:16
	s_waitcnt lgkmcnt(0)
	; wave barrier
	s_waitcnt lgkmcnt(0)
	ds_read2_b32 v[14:15], v24 offset1:1
	s_add_i32 s12, s6, s7
	s_mov_b32 s13, 0
	s_lshl_b64 s[6:7], s[12:13], 3
	s_mov_b32 s12, s13
	s_add_u32 s30, s8, s6
	s_mov_b32 s14, s13
	s_mov_b32 s15, s13
	v_pk_mov_b32 v[2:3], s[12:13], s[12:13] op_sel:[0,1]
	s_addc_u32 s31, s9, s7
	v_pk_mov_b32 v[4:5], s[14:15], s[14:15] op_sel:[0,1]
	v_pk_mov_b32 v[2:3], 0, 0
	v_mul_lo_u32 v12, v0, s20
	s_waitcnt lgkmcnt(0)
	; wave barrier
	s_waitcnt lgkmcnt(0)
	s_and_saveexec_b64 s[6:7], s[0:1]
	s_cbranch_execz .LBB129_10
; %bb.9:
	v_mov_b32_e32 v13, 0
	v_lshlrev_b64 v[2:3], 3, v[12:13]
	v_mov_b32_e32 v4, s31
	v_add_co_u32_e32 v2, vcc, s30, v2
	v_addc_co_u32_e32 v3, vcc, v4, v3, vcc
	global_load_dwordx2 v[2:3], v[2:3], off
	v_mov_b32_e32 v4, v13
	v_mov_b32_e32 v5, v13
.LBB129_10:
	s_or_b64 exec, exec, s[6:7]
	s_xor_b64 s[22:23], s[4:5], -1
	v_lshlrev_b32_e32 v6, 1, v0
	s_and_saveexec_b64 s[4:5], s[2:3]
	s_cbranch_execz .LBB129_12
; %bb.11:
	v_mul_lo_u32 v4, v1, s20
	v_mov_b32_e32 v5, 0
	v_lshlrev_b64 v[4:5], 3, v[4:5]
	v_mov_b32_e32 v7, s31
	v_add_co_u32_e32 v4, vcc, s30, v4
	v_addc_co_u32_e32 v5, vcc, v7, v5, vcc
	global_load_dwordx2 v[4:5], v[4:5], off
.LBB129_12:
	s_or_b64 exec, exec, s[4:5]
	v_mbcnt_lo_u32_b32 v7, -1, 0
	v_lshlrev_b32_e32 v13, 3, v6
	s_getpc_b64 s[4:5]
	s_add_u32 s4, s4, _ZN7rocprim17ROCPRIM_400000_NS16block_radix_sortIiLj16ELj2ElLj1ELj1ELj0ELNS0_26block_radix_rank_algorithmE1ELNS0_18block_padding_hintE2ELNS0_4arch9wavefront6targetE1EE19radix_bits_per_passE@rel32@lo+4
	s_addc_u32 s5, s5, _ZN7rocprim17ROCPRIM_400000_NS16block_radix_sortIiLj16ELj2ElLj1ELj1ELj0ELNS0_26block_radix_rank_algorithmE1ELNS0_18block_padding_hintE2ELNS0_4arch9wavefront6targetE1EE19radix_bits_per_passE@rel32@hi+12
	v_mbcnt_hi_u32_b32 v7, -1, v7
	s_waitcnt vmcnt(0)
	ds_write2_b64 v24, v[2:3], v[4:5] offset1:16
	s_waitcnt lgkmcnt(0)
	; wave barrier
	s_waitcnt lgkmcnt(0)
	ds_read2_b64 v[2:5], v13 offset1:1
	s_load_dword s33, s[4:5], 0x0
	v_and_b32_e32 v8, 15, v7
	v_cmp_eq_u32_e64 s[6:7], 0, v8
	v_cmp_lt_u32_e64 s[8:9], 1, v8
	v_cmp_lt_u32_e64 s[10:11], 3, v8
	;; [unrolled: 1-line block ×3, first 2 shown]
	v_add_u32_e32 v8, -1, v7
	v_and_b32_e32 v9, 0x70, v7
	v_cmp_lt_i32_e32 vcc, v8, v9
	s_movk_i32 s4, 0x80
	v_cndmask_b32_e32 v8, v8, v7, vcc
	v_cmp_gt_u32_e64 s[4:5], s4, v0
	v_lshlrev_b32_e32 v11, 5, v0
	s_mov_b32 s34, 0
	v_cmp_eq_u32_e64 s[14:15], 15, v0
	s_movk_i32 s35, 0x70
	v_lshlrev_b32_e32 v27, 2, v8
	v_cmp_eq_u32_e64 s[16:17], 0, v7
	v_lshlrev_b32_e32 v26, 2, v6
	s_and_b64 vcc, exec, s[22:23]
	v_add_u32_e64 v28, 7, 2
	s_waitcnt lgkmcnt(0)
	; wave barrier
	s_waitcnt lgkmcnt(0)
	s_cbranch_vccz .LBB129_27
; %bb.13:
	v_xor_b32_e32 v20, 0x80000000, v14
	v_xor_b32_e32 v21, 0x80000000, v15
	v_and_b32_e32 v29, 14, v28
	v_mov_b32_e32 v30, 0
	v_pk_mov_b32 v[6:7], v[2:3], v[2:3] op_sel:[0,1]
	v_pk_mov_b32 v[8:9], v[4:5], v[4:5] op_sel:[0,1]
	s_branch .LBB129_15
.LBB129_14:                             ;   in Loop: Header=BB129_15 Depth=1
	v_lshlrev_b32_e32 v6, 2, v22
	s_waitcnt lgkmcnt(0)
	; wave barrier
	ds_write_b32 v6, v32
	v_lshlrev_b32_e32 v6, 2, v23
	ds_write_b32 v6, v31
	v_lshlrev_b32_e32 v6, 3, v22
	s_waitcnt lgkmcnt(0)
	; wave barrier
	s_waitcnt lgkmcnt(0)
	ds_read2_b32 v[20:21], v26 offset1:1
	s_waitcnt lgkmcnt(0)
	; wave barrier
	s_waitcnt lgkmcnt(0)
	ds_write_b64 v6, v[18:19]
	v_lshlrev_b32_e32 v6, 3, v23
	ds_write_b64 v6, v[16:17]
	s_waitcnt lgkmcnt(0)
	; wave barrier
	s_waitcnt lgkmcnt(0)
	ds_read2_b64 v[6:9], v13 offset1:1
	s_add_i32 s34, s34, 4
	s_waitcnt lgkmcnt(0)
	; wave barrier
	s_waitcnt lgkmcnt(0)
	s_cbranch_execz .LBB129_26
.LBB129_15:                             ; =>This Loop Header: Depth=1
                                        ;     Child Loop BB129_18 Depth 2
	v_mov_b32_e32 v31, v21
	v_mov_b32_e32 v32, v20
	v_pk_mov_b32 v[16:17], v[8:9], v[8:9] op_sel:[0,1]
	v_pk_mov_b32 v[18:19], v[6:7], v[6:7] op_sel:[0,1]
	s_and_saveexec_b64 s[22:23], s[4:5]
	s_cbranch_execz .LBB129_22
; %bb.16:                               ;   in Loop: Header=BB129_15 Depth=1
	s_mov_b32 s36, 0
	s_mov_b64 s[24:25], 0
	v_pk_mov_b32 v[6:7], v[0:1], v[0:1] op_sel:[0,1]
	s_branch .LBB129_18
.LBB129_17:                             ;   in Loop: Header=BB129_18 Depth=2
	s_or_b64 exec, exec, s[28:29]
	s_add_i32 s36, s36, 2
	v_cmp_eq_u32_e32 vcc, s36, v29
	v_add_u32_e32 v7, 32, v7
	s_or_b64 s[24:25], vcc, s[24:25]
	v_add_u32_e32 v6, 32, v6
	s_andn2_b64 exec, exec, s[24:25]
	s_cbranch_execz .LBB129_22
.LBB129_18:                             ;   Parent Loop BB129_15 Depth=1
                                        ; =>  This Inner Loop Header: Depth=2
	s_or_b32 s26, s36, 1
	v_cmp_le_u32_e64 s[26:27], s26, 7
	v_cmp_le_u32_e64 s[38:39], s36, 7
	s_and_saveexec_b64 s[28:29], s[38:39]
	s_cbranch_execz .LBB129_20
; %bb.19:                               ;   in Loop: Header=BB129_18 Depth=2
	v_lshlrev_b32_e32 v8, 2, v6
	ds_write_b32 v8, v30
.LBB129_20:                             ;   in Loop: Header=BB129_18 Depth=2
	s_or_b64 exec, exec, s[28:29]
	s_and_saveexec_b64 s[28:29], s[26:27]
	s_cbranch_execz .LBB129_17
; %bb.21:                               ;   in Loop: Header=BB129_18 Depth=2
	v_lshlrev_b32_e32 v8, 2, v7
	ds_write_b32 v8, v30
	s_branch .LBB129_17
.LBB129_22:                             ;   in Loop: Header=BB129_15 Depth=1
	s_or_b64 exec, exec, s[22:23]
	s_sub_i32 s22, 32, s34
	s_min_u32 s22, s33, s22
	s_lshl_b32 s22, -1, s22
	s_not_b32 s22, s22
	v_lshrrev_b32_e32 v6, s34, v32
	v_and_b32_e32 v6, s22, v6
	v_lshrrev_b32_e32 v7, 3, v6
	v_lshlrev_b32_e32 v6, 4, v6
	v_and_or_b32 v6, v6, s35, v0
	v_lshlrev_b32_e32 v6, 1, v6
	v_add_lshl_u32 v34, v6, v7, 1
	ds_read_u16 v33, v34
	v_lshrrev_b32_e32 v6, s34, v31
	v_and_b32_e32 v6, s22, v6
	s_waitcnt lgkmcnt(0)
	v_add_u16_e32 v7, 1, v33
	ds_write_b16 v34, v7
	v_lshrrev_b32_e32 v7, 3, v6
	v_lshlrev_b32_e32 v6, 4, v6
	v_and_or_b32 v6, v6, s35, v0
	v_lshlrev_b32_e32 v6, 1, v6
	v_add_lshl_u32 v36, v6, v7, 1
	ds_read_u16 v35, v36
	s_waitcnt lgkmcnt(0)
	v_add_u16_e32 v6, 1, v35
	ds_write_b16 v36, v6
	s_waitcnt lgkmcnt(0)
	; wave barrier
	s_waitcnt lgkmcnt(0)
	ds_read2_b32 v[22:23], v11 offset1:1
	ds_read2_b32 v[20:21], v11 offset0:2 offset1:3
	ds_read2_b32 v[6:7], v11 offset0:4 offset1:5
	;; [unrolled: 1-line block ×3, first 2 shown]
	s_waitcnt lgkmcnt(3)
	v_add_u32_e32 v37, v23, v22
	s_waitcnt lgkmcnt(2)
	v_add3_u32 v37, v37, v20, v21
	s_waitcnt lgkmcnt(1)
	v_add3_u32 v37, v37, v6, v7
	;; [unrolled: 2-line block ×3, first 2 shown]
	s_nop 1
	v_mov_b32_dpp v37, v9 row_shr:1 row_mask:0xf bank_mask:0xf
	v_cndmask_b32_e64 v37, v37, 0, s[6:7]
	v_add_u32_e32 v9, v37, v9
	s_nop 1
	v_mov_b32_dpp v37, v9 row_shr:2 row_mask:0xf bank_mask:0xf
	v_cndmask_b32_e64 v37, 0, v37, s[8:9]
	v_add_u32_e32 v9, v9, v37
	;; [unrolled: 4-line block ×4, first 2 shown]
	s_and_saveexec_b64 s[22:23], s[14:15]
	s_cbranch_execz .LBB129_24
; %bb.23:                               ;   in Loop: Header=BB129_15 Depth=1
	ds_write_b32 v30, v9 offset:512
.LBB129_24:                             ;   in Loop: Header=BB129_15 Depth=1
	s_or_b64 exec, exec, s[22:23]
	ds_bpermute_b32 v9, v27, v9
	s_waitcnt lgkmcnt(0)
	; wave barrier
	s_waitcnt lgkmcnt(0)
	ds_read_b32 v37, v30 offset:512
	s_cmp_gt_u32 s34, 27
	v_cndmask_b32_e64 v9, v9, 0, s[16:17]
	s_waitcnt lgkmcnt(0)
	v_lshl_add_u32 v9, v37, 16, v9
	v_add_u32_e32 v22, v9, v22
	v_add_u32_e32 v23, v22, v23
	ds_write2_b32 v11, v9, v22 offset1:1
	v_add_u32_e32 v9, v23, v20
	v_add_u32_e32 v20, v9, v21
	;; [unrolled: 1-line block ×5, first 2 shown]
	ds_write2_b32 v11, v23, v9 offset0:2 offset1:3
	ds_write2_b32 v11, v20, v6 offset0:4 offset1:5
	ds_write2_b32 v11, v7, v8 offset0:6 offset1:7
	s_waitcnt lgkmcnt(0)
	; wave barrier
	s_waitcnt lgkmcnt(0)
	ds_read_u16 v6, v34
	ds_read_u16 v7, v36
	s_waitcnt lgkmcnt(1)
	v_add_u32_sdwa v22, v6, v33 dst_sel:DWORD dst_unused:UNUSED_PAD src0_sel:DWORD src1_sel:WORD_0
	s_waitcnt lgkmcnt(0)
	v_add_u32_sdwa v23, v7, v35 dst_sel:DWORD dst_unused:UNUSED_PAD src0_sel:DWORD src1_sel:WORD_0
	s_cbranch_scc0 .LBB129_14
; %bb.25:
                                        ; implicit-def: $vgpr21
                                        ; implicit-def: $vgpr8_vgpr9
                                        ; implicit-def: $sgpr34
.LBB129_26:
	v_lshlrev_b32_e32 v6, 2, v22
	s_waitcnt lgkmcnt(0)
	; wave barrier
	ds_write_b32 v6, v32
	v_lshlrev_b32_e32 v6, 2, v23
	ds_write_b32 v6, v31
	s_waitcnt lgkmcnt(0)
	; wave barrier
	s_waitcnt lgkmcnt(0)
	v_lshlrev_b32_e32 v6, 3, v22
	v_lshlrev_b32_e32 v7, 3, v23
	ds_read2_b32 v[20:21], v26 offset1:1
	s_waitcnt lgkmcnt(0)
	; wave barrier
	s_waitcnt lgkmcnt(0)
	ds_write_b64 v6, v[18:19]
	ds_write_b64 v7, v[16:17]
	s_waitcnt lgkmcnt(0)
	; wave barrier
	s_waitcnt lgkmcnt(0)
	ds_read2_b64 v[6:9], v13 offset1:1
	v_xor_b32_e32 v17, 0x80000000, v21
	v_xor_b32_e32 v16, 0x80000000, v20
	s_branch .LBB129_42
.LBB129_27:
                                        ; implicit-def: $vgpr8_vgpr9
                                        ; implicit-def: $vgpr16_vgpr17
	s_cbranch_execz .LBB129_42
; %bb.28:
	v_xor_b32_e32 v14, 0x7fffffff, v14
	v_xor_b32_e32 v15, 0x7fffffff, v15
	v_and_b32_e32 v18, 14, v28
	s_mov_b32 s35, 0
	v_mov_b32_e32 v19, 0
	s_movk_i32 s34, 0x70
	s_branch .LBB129_30
.LBB129_29:                             ;   in Loop: Header=BB129_30 Depth=1
	v_lshlrev_b32_e32 v2, 2, v16
	s_waitcnt lgkmcnt(0)
	; wave barrier
	ds_write_b32 v2, v21
	v_lshlrev_b32_e32 v2, 2, v17
	ds_write_b32 v2, v20
	v_lshlrev_b32_e32 v2, 3, v16
	s_waitcnt lgkmcnt(0)
	; wave barrier
	s_waitcnt lgkmcnt(0)
	ds_read2_b32 v[14:15], v26 offset1:1
	s_waitcnt lgkmcnt(0)
	; wave barrier
	s_waitcnt lgkmcnt(0)
	ds_write_b64 v2, v[8:9]
	v_lshlrev_b32_e32 v2, 3, v17
	ds_write_b64 v2, v[6:7]
	s_waitcnt lgkmcnt(0)
	; wave barrier
	s_waitcnt lgkmcnt(0)
	ds_read2_b64 v[2:5], v13 offset1:1
	s_add_i32 s35, s35, 4
	s_waitcnt lgkmcnt(0)
	; wave barrier
	s_waitcnt lgkmcnt(0)
	s_cbranch_execz .LBB129_41
.LBB129_30:                             ; =>This Loop Header: Depth=1
                                        ;     Child Loop BB129_33 Depth 2
	v_mov_b32_e32 v20, v15
	v_mov_b32_e32 v21, v14
	s_waitcnt lgkmcnt(0)
	v_pk_mov_b32 v[6:7], v[4:5], v[4:5] op_sel:[0,1]
	v_pk_mov_b32 v[8:9], v[2:3], v[2:3] op_sel:[0,1]
	s_and_saveexec_b64 s[22:23], s[4:5]
	s_cbranch_execz .LBB129_37
; %bb.31:                               ;   in Loop: Header=BB129_30 Depth=1
	s_mov_b32 s36, 0
	s_mov_b64 s[24:25], 0
	v_pk_mov_b32 v[2:3], v[0:1], v[0:1] op_sel:[0,1]
	s_branch .LBB129_33
.LBB129_32:                             ;   in Loop: Header=BB129_33 Depth=2
	s_or_b64 exec, exec, s[28:29]
	s_add_i32 s36, s36, 2
	v_cmp_eq_u32_e32 vcc, s36, v18
	v_add_u32_e32 v3, 32, v3
	s_or_b64 s[24:25], vcc, s[24:25]
	v_add_u32_e32 v2, 32, v2
	s_andn2_b64 exec, exec, s[24:25]
	s_cbranch_execz .LBB129_37
.LBB129_33:                             ;   Parent Loop BB129_30 Depth=1
                                        ; =>  This Inner Loop Header: Depth=2
	s_or_b32 s26, s36, 1
	v_cmp_le_u32_e64 s[26:27], s26, 7
	v_cmp_le_u32_e64 s[38:39], s36, 7
	s_and_saveexec_b64 s[28:29], s[38:39]
	s_cbranch_execz .LBB129_35
; %bb.34:                               ;   in Loop: Header=BB129_33 Depth=2
	v_lshlrev_b32_e32 v4, 2, v2
	ds_write_b32 v4, v19
.LBB129_35:                             ;   in Loop: Header=BB129_33 Depth=2
	s_or_b64 exec, exec, s[28:29]
	s_and_saveexec_b64 s[28:29], s[26:27]
	s_cbranch_execz .LBB129_32
; %bb.36:                               ;   in Loop: Header=BB129_33 Depth=2
	v_lshlrev_b32_e32 v4, 2, v3
	ds_write_b32 v4, v19
	s_branch .LBB129_32
.LBB129_37:                             ;   in Loop: Header=BB129_30 Depth=1
	s_or_b64 exec, exec, s[22:23]
	s_sub_i32 s22, 32, s35
	s_min_u32 s22, s33, s22
	s_lshl_b32 s22, -1, s22
	s_not_b32 s22, s22
	v_lshrrev_b32_e32 v2, s35, v21
	v_and_b32_e32 v2, s22, v2
	v_lshrrev_b32_e32 v3, 3, v2
	v_lshlrev_b32_e32 v2, 4, v2
	v_and_or_b32 v2, v2, s34, v0
	v_lshlrev_b32_e32 v2, 1, v2
	v_add_lshl_u32 v23, v2, v3, 1
	ds_read_u16 v22, v23
	v_lshrrev_b32_e32 v2, s35, v20
	v_and_b32_e32 v2, s22, v2
	s_waitcnt lgkmcnt(0)
	v_add_u16_e32 v3, 1, v22
	ds_write_b16 v23, v3
	v_lshrrev_b32_e32 v3, 3, v2
	v_lshlrev_b32_e32 v2, 4, v2
	v_and_or_b32 v2, v2, s34, v0
	v_lshlrev_b32_e32 v2, 1, v2
	v_add_lshl_u32 v29, v2, v3, 1
	ds_read_u16 v28, v29
	s_waitcnt lgkmcnt(0)
	v_add_u16_e32 v2, 1, v28
	ds_write_b16 v29, v2
	s_waitcnt lgkmcnt(0)
	; wave barrier
	s_waitcnt lgkmcnt(0)
	ds_read2_b32 v[16:17], v11 offset1:1
	ds_read2_b32 v[14:15], v11 offset0:2 offset1:3
	ds_read2_b32 v[2:3], v11 offset0:4 offset1:5
	;; [unrolled: 1-line block ×3, first 2 shown]
	s_waitcnt lgkmcnt(3)
	v_add_u32_e32 v30, v17, v16
	s_waitcnt lgkmcnt(2)
	v_add3_u32 v30, v30, v14, v15
	s_waitcnt lgkmcnt(1)
	v_add3_u32 v30, v30, v2, v3
	;; [unrolled: 2-line block ×3, first 2 shown]
	s_nop 1
	v_mov_b32_dpp v30, v5 row_shr:1 row_mask:0xf bank_mask:0xf
	v_cndmask_b32_e64 v30, v30, 0, s[6:7]
	v_add_u32_e32 v5, v30, v5
	s_nop 1
	v_mov_b32_dpp v30, v5 row_shr:2 row_mask:0xf bank_mask:0xf
	v_cndmask_b32_e64 v30, 0, v30, s[8:9]
	v_add_u32_e32 v5, v5, v30
	;; [unrolled: 4-line block ×4, first 2 shown]
	s_and_saveexec_b64 s[22:23], s[14:15]
	s_cbranch_execz .LBB129_39
; %bb.38:                               ;   in Loop: Header=BB129_30 Depth=1
	ds_write_b32 v19, v5 offset:512
.LBB129_39:                             ;   in Loop: Header=BB129_30 Depth=1
	s_or_b64 exec, exec, s[22:23]
	ds_bpermute_b32 v5, v27, v5
	s_waitcnt lgkmcnt(0)
	; wave barrier
	s_waitcnt lgkmcnt(0)
	ds_read_b32 v30, v19 offset:512
	s_cmp_gt_u32 s35, 27
	v_cndmask_b32_e64 v5, v5, 0, s[16:17]
	s_waitcnt lgkmcnt(0)
	v_lshl_add_u32 v5, v30, 16, v5
	v_add_u32_e32 v16, v5, v16
	v_add_u32_e32 v17, v16, v17
	ds_write2_b32 v11, v5, v16 offset1:1
	v_add_u32_e32 v5, v17, v14
	v_add_u32_e32 v14, v5, v15
	;; [unrolled: 1-line block ×5, first 2 shown]
	ds_write2_b32 v11, v17, v5 offset0:2 offset1:3
	ds_write2_b32 v11, v14, v2 offset0:4 offset1:5
	;; [unrolled: 1-line block ×3, first 2 shown]
	s_waitcnt lgkmcnt(0)
	; wave barrier
	s_waitcnt lgkmcnt(0)
	ds_read_u16 v2, v23
	ds_read_u16 v3, v29
	s_waitcnt lgkmcnt(1)
	v_add_u32_sdwa v16, v2, v22 dst_sel:DWORD dst_unused:UNUSED_PAD src0_sel:DWORD src1_sel:WORD_0
	s_waitcnt lgkmcnt(0)
	v_add_u32_sdwa v17, v3, v28 dst_sel:DWORD dst_unused:UNUSED_PAD src0_sel:DWORD src1_sel:WORD_0
	s_cbranch_scc0 .LBB129_29
; %bb.40:
                                        ; implicit-def: $vgpr15
                                        ; implicit-def: $vgpr4_vgpr5
                                        ; implicit-def: $sgpr35
.LBB129_41:
	v_lshlrev_b32_e32 v0, 2, v16
	s_waitcnt lgkmcnt(0)
	; wave barrier
	ds_write_b32 v0, v21
	v_lshlrev_b32_e32 v0, 2, v17
	ds_write_b32 v0, v20
	s_waitcnt lgkmcnt(0)
	; wave barrier
	s_waitcnt lgkmcnt(0)
	v_lshlrev_b32_e32 v2, 3, v16
	ds_read2_b32 v[0:1], v26 offset1:1
	v_lshlrev_b32_e32 v3, 3, v17
	s_waitcnt lgkmcnt(0)
	; wave barrier
	s_waitcnt lgkmcnt(0)
	ds_write_b64 v2, v[8:9]
	ds_write_b64 v3, v[6:7]
	s_waitcnt lgkmcnt(0)
	; wave barrier
	s_waitcnt lgkmcnt(0)
	ds_read2_b64 v[6:9], v13 offset1:1
	v_xor_b32_e32 v17, 0x7fffffff, v1
	v_xor_b32_e32 v16, 0x7fffffff, v0
.LBB129_42:
	s_waitcnt lgkmcnt(0)
	; wave barrier
	s_waitcnt lgkmcnt(0)
	ds_write2_b32 v24, v16, v17 offset1:1
	s_waitcnt lgkmcnt(0)
	; wave barrier
	s_waitcnt lgkmcnt(0)
	ds_read_b32 v2, v25 offset:64
	v_mov_b32_e32 v11, 0
	v_lshlrev_b64 v[0:1], 2, v[10:11]
	v_mov_b32_e32 v3, s21
	v_add_co_u32_e32 v0, vcc, s19, v0
	v_addc_co_u32_e32 v1, vcc, v3, v1, vcc
	s_and_saveexec_b64 s[4:5], s[0:1]
	s_cbranch_execz .LBB129_44
; %bb.43:
	ds_read_b32 v3, v25
	s_waitcnt lgkmcnt(0)
	global_store_dword v[0:1], v3, off
.LBB129_44:
	s_or_b64 exec, exec, s[4:5]
	s_and_saveexec_b64 s[4:5], s[2:3]
	s_cbranch_execz .LBB129_46
; %bb.45:
	s_lshl_b32 s6, s18, 4
	s_mov_b32 s7, 0
	s_lshl_b64 s[6:7], s[6:7], 2
	v_mov_b32_e32 v3, s7
	v_add_co_u32_e32 v0, vcc, s6, v0
	v_addc_co_u32_e32 v1, vcc, v1, v3, vcc
	s_waitcnt lgkmcnt(0)
	global_store_dword v[0:1], v2, off
.LBB129_46:
	s_or_b64 exec, exec, s[4:5]
	s_waitcnt lgkmcnt(0)
	; wave barrier
	s_waitcnt lgkmcnt(0)
	ds_write2_b64 v13, v[6:7], v[8:9] offset1:1
	s_waitcnt lgkmcnt(0)
	; wave barrier
	s_waitcnt lgkmcnt(0)
	ds_read_b64 v[0:1], v24 offset:128
	v_mov_b32_e32 v13, 0
	v_lshlrev_b64 v[2:3], 3, v[12:13]
	v_mov_b32_e32 v4, s31
	v_add_co_u32_e32 v2, vcc, s30, v2
	v_addc_co_u32_e32 v3, vcc, v4, v3, vcc
	s_and_saveexec_b64 s[4:5], s[0:1]
	s_cbranch_execz .LBB129_48
; %bb.47:
	ds_read_b64 v[4:5], v24
	s_waitcnt lgkmcnt(0)
	global_store_dwordx2 v[2:3], v[4:5], off
.LBB129_48:
	s_or_b64 exec, exec, s[4:5]
	s_and_saveexec_b64 s[0:1], s[2:3]
	s_cbranch_execz .LBB129_50
; %bb.49:
	s_lshl_b32 s0, s20, 4
	s_mov_b32 s1, 0
	s_lshl_b64 s[0:1], s[0:1], 3
	v_mov_b32_e32 v4, s1
	v_add_co_u32_e32 v2, vcc, s0, v2
	v_addc_co_u32_e32 v3, vcc, v3, v4, vcc
	s_waitcnt lgkmcnt(0)
	global_store_dwordx2 v[2:3], v[0:1], off
.LBB129_50:
	s_endpgm
	.section	.rodata,"a",@progbits
	.p2align	6, 0x0
	.amdhsa_kernel _ZN2at6native18radixSortKVInPlaceILi2ELin1ELi16ELi2EiljEEvNS_4cuda6detail10TensorInfoIT3_T5_EES6_S6_S6_NS4_IT4_S6_EES6_b
		.amdhsa_group_segment_fixed_size 528
		.amdhsa_private_segment_fixed_size 0
		.amdhsa_kernarg_size 712
		.amdhsa_user_sgpr_count 6
		.amdhsa_user_sgpr_private_segment_buffer 1
		.amdhsa_user_sgpr_dispatch_ptr 0
		.amdhsa_user_sgpr_queue_ptr 0
		.amdhsa_user_sgpr_kernarg_segment_ptr 1
		.amdhsa_user_sgpr_dispatch_id 0
		.amdhsa_user_sgpr_flat_scratch_init 0
		.amdhsa_user_sgpr_kernarg_preload_length 0
		.amdhsa_user_sgpr_kernarg_preload_offset 0
		.amdhsa_user_sgpr_private_segment_size 0
		.amdhsa_uses_dynamic_stack 0
		.amdhsa_system_sgpr_private_segment_wavefront_offset 0
		.amdhsa_system_sgpr_workgroup_id_x 1
		.amdhsa_system_sgpr_workgroup_id_y 1
		.amdhsa_system_sgpr_workgroup_id_z 1
		.amdhsa_system_sgpr_workgroup_info 0
		.amdhsa_system_vgpr_workitem_id 0
		.amdhsa_next_free_vgpr 38
		.amdhsa_next_free_sgpr 40
		.amdhsa_accum_offset 40
		.amdhsa_reserve_vcc 1
		.amdhsa_reserve_flat_scratch 0
		.amdhsa_float_round_mode_32 0
		.amdhsa_float_round_mode_16_64 0
		.amdhsa_float_denorm_mode_32 3
		.amdhsa_float_denorm_mode_16_64 3
		.amdhsa_dx10_clamp 1
		.amdhsa_ieee_mode 1
		.amdhsa_fp16_overflow 0
		.amdhsa_tg_split 0
		.amdhsa_exception_fp_ieee_invalid_op 0
		.amdhsa_exception_fp_denorm_src 0
		.amdhsa_exception_fp_ieee_div_zero 0
		.amdhsa_exception_fp_ieee_overflow 0
		.amdhsa_exception_fp_ieee_underflow 0
		.amdhsa_exception_fp_ieee_inexact 0
		.amdhsa_exception_int_div_zero 0
	.end_amdhsa_kernel
	.section	.text._ZN2at6native18radixSortKVInPlaceILi2ELin1ELi16ELi2EiljEEvNS_4cuda6detail10TensorInfoIT3_T5_EES6_S6_S6_NS4_IT4_S6_EES6_b,"axG",@progbits,_ZN2at6native18radixSortKVInPlaceILi2ELin1ELi16ELi2EiljEEvNS_4cuda6detail10TensorInfoIT3_T5_EES6_S6_S6_NS4_IT4_S6_EES6_b,comdat
.Lfunc_end129:
	.size	_ZN2at6native18radixSortKVInPlaceILi2ELin1ELi16ELi2EiljEEvNS_4cuda6detail10TensorInfoIT3_T5_EES6_S6_S6_NS4_IT4_S6_EES6_b, .Lfunc_end129-_ZN2at6native18radixSortKVInPlaceILi2ELin1ELi16ELi2EiljEEvNS_4cuda6detail10TensorInfoIT3_T5_EES6_S6_S6_NS4_IT4_S6_EES6_b
                                        ; -- End function
	.section	.AMDGPU.csdata,"",@progbits
; Kernel info:
; codeLenInByte = 3128
; NumSgprs: 44
; NumVgprs: 38
; NumAgprs: 0
; TotalNumVgprs: 38
; ScratchSize: 0
; MemoryBound: 0
; FloatMode: 240
; IeeeMode: 1
; LDSByteSize: 528 bytes/workgroup (compile time only)
; SGPRBlocks: 5
; VGPRBlocks: 4
; NumSGPRsForWavesPerEU: 44
; NumVGPRsForWavesPerEU: 38
; AccumOffset: 40
; Occupancy: 8
; WaveLimiterHint : 1
; COMPUTE_PGM_RSRC2:SCRATCH_EN: 0
; COMPUTE_PGM_RSRC2:USER_SGPR: 6
; COMPUTE_PGM_RSRC2:TRAP_HANDLER: 0
; COMPUTE_PGM_RSRC2:TGID_X_EN: 1
; COMPUTE_PGM_RSRC2:TGID_Y_EN: 1
; COMPUTE_PGM_RSRC2:TGID_Z_EN: 1
; COMPUTE_PGM_RSRC2:TIDIG_COMP_CNT: 0
; COMPUTE_PGM_RSRC3_GFX90A:ACCUM_OFFSET: 9
; COMPUTE_PGM_RSRC3_GFX90A:TG_SPLIT: 0
	.section	.text._ZN2at6native18radixSortKVInPlaceILin1ELin1ELi512ELi8EiljEEvNS_4cuda6detail10TensorInfoIT3_T5_EES6_S6_S6_NS4_IT4_S6_EES6_b,"axG",@progbits,_ZN2at6native18radixSortKVInPlaceILin1ELin1ELi512ELi8EiljEEvNS_4cuda6detail10TensorInfoIT3_T5_EES6_S6_S6_NS4_IT4_S6_EES6_b,comdat
	.protected	_ZN2at6native18radixSortKVInPlaceILin1ELin1ELi512ELi8EiljEEvNS_4cuda6detail10TensorInfoIT3_T5_EES6_S6_S6_NS4_IT4_S6_EES6_b ; -- Begin function _ZN2at6native18radixSortKVInPlaceILin1ELin1ELi512ELi8EiljEEvNS_4cuda6detail10TensorInfoIT3_T5_EES6_S6_S6_NS4_IT4_S6_EES6_b
	.globl	_ZN2at6native18radixSortKVInPlaceILin1ELin1ELi512ELi8EiljEEvNS_4cuda6detail10TensorInfoIT3_T5_EES6_S6_S6_NS4_IT4_S6_EES6_b
	.p2align	8
	.type	_ZN2at6native18radixSortKVInPlaceILin1ELin1ELi512ELi8EiljEEvNS_4cuda6detail10TensorInfoIT3_T5_EES6_S6_S6_NS4_IT4_S6_EES6_b,@function
_ZN2at6native18radixSortKVInPlaceILin1ELin1ELi512ELi8EiljEEvNS_4cuda6detail10TensorInfoIT3_T5_EES6_S6_S6_NS4_IT4_S6_EES6_b: ; @_ZN2at6native18radixSortKVInPlaceILin1ELin1ELi512ELi8EiljEEvNS_4cuda6detail10TensorInfoIT3_T5_EES6_S6_S6_NS4_IT4_S6_EES6_b
; %bb.0:
	s_load_dwordx2 s[0:1], s[4:5], 0x1c8
	s_load_dwordx4 s[48:51], s[4:5], 0xd8
	s_add_u32 s54, s4, 0x1c8
	s_addc_u32 s55, s5, 0
	s_waitcnt lgkmcnt(0)
	s_mul_i32 s1, s1, s8
	s_add_i32 s1, s1, s7
	s_mul_i32 s0, s1, s0
	s_add_i32 s20, s0, s6
	s_cmp_ge_u32 s20, s48
	s_cbranch_scc1 .LBB130_113
; %bb.1:
	s_load_dword s2, s[4:5], 0xd0
	s_mov_b32 s1, 0
	s_mov_b32 s0, s20
	s_waitcnt lgkmcnt(0)
	s_cmp_lt_i32 s2, 2
	s_cbranch_scc1 .LBB130_4
; %bb.2:
	s_add_i32 s0, s2, -1
	s_add_i32 s6, s2, 1
	s_lshl_b64 s[2:3], s[0:1], 2
	s_add_u32 s0, s2, s4
	s_addc_u32 s3, s3, s5
	s_add_u32 s2, s0, 8
	s_addc_u32 s3, s3, 0
	s_mov_b32 s0, s20
.LBB130_3:                              ; =>This Inner Loop Header: Depth=1
	s_load_dword s7, s[2:3], 0x0
	s_load_dword s9, s[2:3], 0x64
	s_mov_b32 s8, s0
	s_waitcnt lgkmcnt(0)
	v_cvt_f32_u32_e32 v1, s7
	s_sub_i32 s0, 0, s7
	v_rcp_iflag_f32_e32 v1, v1
	v_mul_f32_e32 v1, 0x4f7ffffe, v1
	v_cvt_u32_f32_e32 v1, v1
	v_readfirstlane_b32 s10, v1
	s_mul_i32 s0, s0, s10
	s_mul_hi_u32 s0, s10, s0
	s_add_i32 s10, s10, s0
	s_mul_hi_u32 s0, s8, s10
	s_mul_i32 s10, s0, s7
	s_sub_i32 s10, s8, s10
	s_add_i32 s11, s0, 1
	s_sub_i32 s12, s10, s7
	s_cmp_ge_u32 s10, s7
	s_cselect_b32 s0, s11, s0
	s_cselect_b32 s10, s12, s10
	s_add_i32 s11, s0, 1
	s_cmp_ge_u32 s10, s7
	s_cselect_b32 s0, s11, s0
	s_mul_i32 s7, s0, s7
	s_sub_i32 s7, s8, s7
	s_mul_i32 s7, s9, s7
	s_add_i32 s6, s6, -1
	s_add_i32 s1, s7, s1
	s_add_u32 s2, s2, -4
	s_addc_u32 s3, s3, -1
	s_cmp_gt_u32 s6, 2
	s_cbranch_scc1 .LBB130_3
.LBB130_4:
	s_load_dword s2, s[4:5], 0x1b8
	s_mov_b32 s17, 0
	s_waitcnt lgkmcnt(0)
	s_cmp_lt_i32 s2, 2
	s_cbranch_scc1 .LBB130_7
; %bb.5:
	s_add_i32 s16, s2, -1
	s_add_i32 s6, s2, 1
	s_lshl_b64 s[2:3], s[16:17], 2
	s_add_u32 s2, s2, s4
	s_addc_u32 s3, s3, s5
	s_add_u32 s2, s2, 0xf0
	s_addc_u32 s3, s3, 0
.LBB130_6:                              ; =>This Inner Loop Header: Depth=1
	s_load_dword s7, s[2:3], 0x0
	s_load_dword s9, s[2:3], 0x64
	s_mov_b32 s8, s20
	s_waitcnt lgkmcnt(0)
	v_cvt_f32_u32_e32 v1, s7
	s_sub_i32 s10, 0, s7
	v_rcp_iflag_f32_e32 v1, v1
	v_mul_f32_e32 v1, 0x4f7ffffe, v1
	v_cvt_u32_f32_e32 v1, v1
	v_readfirstlane_b32 s11, v1
	s_mul_i32 s10, s10, s11
	s_mul_hi_u32 s10, s11, s10
	s_add_i32 s11, s11, s10
	s_mul_hi_u32 s10, s20, s11
	s_mul_i32 s11, s10, s7
	s_sub_i32 s11, s20, s11
	s_add_i32 s12, s10, 1
	s_sub_i32 s13, s11, s7
	s_cmp_ge_u32 s11, s7
	s_cselect_b32 s10, s12, s10
	s_cselect_b32 s11, s13, s11
	s_add_i32 s12, s10, 1
	s_cmp_ge_u32 s11, s7
	s_cselect_b32 s20, s12, s10
	s_mul_i32 s7, s20, s7
	s_sub_i32 s7, s8, s7
	s_mul_i32 s7, s9, s7
	s_add_i32 s6, s6, -1
	s_add_i32 s17, s7, s17
	s_add_u32 s2, s2, -4
	s_addc_u32 s3, s3, -1
	s_cmp_gt_u32 s6, 2
	s_cbranch_scc1 .LBB130_6
.LBB130_7:
	s_load_dword s2, s[4:5], 0x6c
	s_load_dwordx2 s[52:53], s[4:5], 0x1c0
	s_brev_b32 s8, 1
	v_and_b32_e32 v38, 0x3ff, v0
	v_mul_lo_u32 v34, v38, s50
	s_waitcnt lgkmcnt(0)
	s_mul_i32 s0, s2, s0
	s_add_i32 s0, s0, s1
	s_load_dwordx2 s[2:3], s[4:5], 0x0
	s_bitcmp1_b32 s53, 0
	s_cselect_b64 s[34:35], -1, 0
	s_and_b64 s[6:7], s[34:35], exec
	s_cselect_b32 s8, s8, 0x7fffffff
	s_mov_b32 s1, 0
	s_lshl_b64 s[0:1], s[0:1], 2
	s_mov_b32 s9, s8
	s_waitcnt lgkmcnt(0)
	s_add_u32 s33, s2, s0
	s_mov_b32 s10, s8
	s_mov_b32 s11, s8
	;; [unrolled: 1-line block ×6, first 2 shown]
	v_pk_mov_b32 v[2:3], s[8:9], s[8:9] op_sel:[0,1]
	s_addc_u32 s48, s3, s1
	v_cmp_gt_u32_e64 s[0:1], s49, v38
	v_pk_mov_b32 v[4:5], s[10:11], s[10:11] op_sel:[0,1]
	v_pk_mov_b32 v[6:7], s[12:13], s[12:13] op_sel:[0,1]
	;; [unrolled: 1-line block ×3, first 2 shown]
	v_mov_b32_e32 v10, s8
	s_and_saveexec_b64 s[2:3], s[0:1]
	s_cbranch_execz .LBB130_9
; %bb.8:
	v_mov_b32_e32 v35, 0
	v_lshlrev_b64 v[2:3], 2, v[34:35]
	v_mov_b32_e32 v1, s48
	v_add_co_u32_e32 v2, vcc, s33, v2
	v_addc_co_u32_e32 v3, vcc, v1, v3, vcc
	global_load_dword v10, v[2:3], off
	v_pk_mov_b32 v[2:3], s[8:9], s[8:9] op_sel:[0,1]
	v_pk_mov_b32 v[4:5], s[10:11], s[10:11] op_sel:[0,1]
	v_pk_mov_b32 v[6:7], s[12:13], s[12:13] op_sel:[0,1]
	v_pk_mov_b32 v[8:9], s[14:15], s[14:15] op_sel:[0,1]
                                        ; kill: def $vgpr2 killed $vgpr10 killed $exec
.LBB130_9:
	s_or_b64 exec, exec, s[2:3]
	v_add_u32_e32 v30, 0x200, v38
	v_cmp_gt_u32_e64 s[2:3], s49, v30
	s_and_saveexec_b64 s[6:7], s[2:3]
	s_cbranch_execz .LBB130_11
; %bb.10:
	v_mul_lo_u32 v2, v30, s50
	v_mov_b32_e32 v3, 0
	v_lshlrev_b64 v[2:3], 2, v[2:3]
	v_mov_b32_e32 v1, s48
	v_add_co_u32_e32 v2, vcc, s33, v2
	v_addc_co_u32_e32 v3, vcc, v1, v3, vcc
	global_load_dword v3, v[2:3], off
.LBB130_11:
	s_or_b64 exec, exec, s[6:7]
	v_or_b32_e32 v28, 0x400, v38
	v_cmp_gt_u32_e64 s[46:47], s49, v28
	s_and_saveexec_b64 s[6:7], s[46:47]
	s_cbranch_execz .LBB130_13
; %bb.12:
	v_mul_lo_u32 v12, v28, s50
	v_mov_b32_e32 v13, 0
	v_lshlrev_b64 v[12:13], 2, v[12:13]
	v_mov_b32_e32 v1, s48
	v_add_co_u32_e32 v12, vcc, s33, v12
	v_addc_co_u32_e32 v13, vcc, v1, v13, vcc
	global_load_dword v4, v[12:13], off
.LBB130_13:
	s_or_b64 exec, exec, s[6:7]
	v_add_u32_e32 v26, 0x600, v38
	v_cmp_gt_u32_e64 s[6:7], s49, v26
	s_and_saveexec_b64 s[8:9], s[6:7]
	s_cbranch_execz .LBB130_15
; %bb.14:
	v_mul_lo_u32 v12, v26, s50
	v_mov_b32_e32 v13, 0
	v_lshlrev_b64 v[12:13], 2, v[12:13]
	v_mov_b32_e32 v1, s48
	v_add_co_u32_e32 v12, vcc, s33, v12
	v_addc_co_u32_e32 v13, vcc, v1, v13, vcc
	global_load_dword v5, v[12:13], off
.LBB130_15:
	s_or_b64 exec, exec, s[8:9]
	v_or_b32_e32 v24, 0x800, v38
	v_cmp_gt_u32_e64 s[8:9], s49, v24
	s_and_saveexec_b64 s[10:11], s[8:9]
	s_cbranch_execz .LBB130_17
; %bb.16:
	v_mul_lo_u32 v12, v24, s50
	v_mov_b32_e32 v13, 0
	v_lshlrev_b64 v[12:13], 2, v[12:13]
	v_mov_b32_e32 v1, s48
	v_add_co_u32_e32 v12, vcc, s33, v12
	v_addc_co_u32_e32 v13, vcc, v1, v13, vcc
	global_load_dword v6, v[12:13], off
.LBB130_17:
	s_or_b64 exec, exec, s[10:11]
	v_add_u32_e32 v21, 0xa00, v38
	v_cmp_gt_u32_e64 s[10:11], s49, v21
	s_and_saveexec_b64 s[12:13], s[10:11]
	s_cbranch_execz .LBB130_19
; %bb.18:
	v_mul_lo_u32 v12, v21, s50
	v_mov_b32_e32 v13, 0
	v_lshlrev_b64 v[12:13], 2, v[12:13]
	v_mov_b32_e32 v1, s48
	v_add_co_u32_e32 v12, vcc, s33, v12
	v_addc_co_u32_e32 v13, vcc, v1, v13, vcc
	global_load_dword v7, v[12:13], off
.LBB130_19:
	s_or_b64 exec, exec, s[12:13]
	s_load_dwordx2 s[18:19], s[4:5], 0xe8
	v_or_b32_e32 v19, 0xc00, v38
	v_cmp_gt_u32_e64 s[12:13], s49, v19
	s_and_saveexec_b64 s[14:15], s[12:13]
	s_cbranch_execz .LBB130_21
; %bb.20:
	v_mul_lo_u32 v12, v19, s50
	v_mov_b32_e32 v13, 0
	v_lshlrev_b64 v[12:13], 2, v[12:13]
	v_mov_b32_e32 v1, s48
	v_add_co_u32_e32 v12, vcc, s33, v12
	v_addc_co_u32_e32 v13, vcc, v1, v13, vcc
	global_load_dword v8, v[12:13], off
.LBB130_21:
	s_or_b64 exec, exec, s[14:15]
	s_load_dword s16, s[4:5], 0x154
	v_add_u32_e32 v1, 0xe00, v38
	v_cmp_gt_u32_e64 s[14:15], s49, v1
	s_and_saveexec_b64 s[4:5], s[14:15]
	s_cbranch_execz .LBB130_23
; %bb.22:
	v_mul_lo_u32 v12, v1, s50
	v_mov_b32_e32 v13, 0
	v_lshlrev_b64 v[12:13], 2, v[12:13]
	v_mov_b32_e32 v2, s48
	v_add_co_u32_e32 v12, vcc, s33, v12
	v_addc_co_u32_e32 v13, vcc, v2, v13, vcc
	global_load_dword v9, v[12:13], off
.LBB130_23:
	s_or_b64 exec, exec, s[4:5]
	v_lshrrev_b32_e32 v2, 5, v38
	v_add_u32_e32 v32, v2, v38
	v_lshrrev_b32_e32 v2, 5, v30
	v_add_u32_e32 v31, v2, v38
	;; [unrolled: 2-line block ×8, first 2 shown]
	v_lshlrev_b32_e32 v87, 3, v38
	v_lshrrev_b32_e32 v2, 2, v38
	v_add_u32_e32 v22, v2, v87
	v_lshlrev_b32_e32 v39, 2, v32
	v_lshlrev_b32_e32 v35, 2, v31
	;; [unrolled: 1-line block ×9, first 2 shown]
	s_waitcnt vmcnt(0)
	ds_write_b32 v39, v10
	ds_write_b32 v35, v3 offset:2048
	ds_write_b32 v72, v4 offset:4096
	;; [unrolled: 1-line block ×7, first 2 shown]
	s_waitcnt lgkmcnt(0)
	s_barrier
	ds_read2_b32 v[46:47], v78 offset1:1
	ds_read2_b32 v[44:45], v78 offset0:2 offset1:3
	ds_read2_b32 v[42:43], v78 offset0:4 offset1:5
	;; [unrolled: 1-line block ×3, first 2 shown]
	s_mul_i32 s4, s16, s20
	s_add_i32 s16, s4, s17
	s_mov_b32 s17, 0
	s_lshl_b64 s[4:5], s[16:17], 3
	s_add_u32 s49, s18, s4
	s_mov_b32 s16, s17
	s_addc_u32 s51, s19, s5
	s_mov_b32 s18, s17
	s_mov_b32 s19, s17
	;; [unrolled: 1-line block ×14, first 2 shown]
	v_pk_mov_b32 v[2:3], s[16:17], s[16:17] op_sel:[0,1]
	v_pk_mov_b32 v[4:5], s[18:19], s[18:19] op_sel:[0,1]
	;; [unrolled: 1-line block ×8, first 2 shown]
	v_pk_mov_b32 v[2:3], 0, 0
	v_mul_lo_u32 v36, v38, s52
	s_waitcnt lgkmcnt(0)
	s_barrier
	s_and_saveexec_b64 s[4:5], s[0:1]
	s_cbranch_execnz .LBB130_60
; %bb.24:
	s_or_b64 exec, exec, s[4:5]
	s_and_saveexec_b64 s[4:5], s[2:3]
	s_cbranch_execnz .LBB130_61
.LBB130_25:
	s_or_b64 exec, exec, s[4:5]
	s_and_saveexec_b64 s[4:5], s[46:47]
	s_cbranch_execnz .LBB130_62
.LBB130_26:
	s_or_b64 exec, exec, s[4:5]
	s_and_saveexec_b64 s[4:5], s[6:7]
	s_cbranch_execnz .LBB130_63
.LBB130_27:
	s_or_b64 exec, exec, s[4:5]
	s_and_saveexec_b64 s[4:5], s[8:9]
	s_cbranch_execnz .LBB130_64
.LBB130_28:
	s_or_b64 exec, exec, s[4:5]
	s_and_saveexec_b64 s[4:5], s[10:11]
	s_cbranch_execnz .LBB130_65
.LBB130_29:
	s_or_b64 exec, exec, s[4:5]
	s_and_saveexec_b64 s[4:5], s[12:13]
	s_cbranch_execnz .LBB130_66
.LBB130_30:
	s_or_b64 exec, exec, s[4:5]
	s_xor_b64 s[4:5], s[34:35], -1
	s_and_saveexec_b64 s[16:17], s[14:15]
	s_cbranch_execz .LBB130_32
.LBB130_31:
	v_mul_lo_u32 v16, v1, s52
	v_mov_b32_e32 v17, 0
	v_lshlrev_b64 v[16:17], 3, v[16:17]
	v_mov_b32_e32 v1, s51
	v_add_co_u32_e32 v16, vcc, s49, v16
	v_addc_co_u32_e32 v17, vcc, v1, v17, vcc
	global_load_dwordx2 v[16:17], v[16:17], off
.LBB130_32:
	s_or_b64 exec, exec, s[16:17]
	v_lshlrev_b32_e32 v79, 3, v32
	v_lshlrev_b32_e32 v37, 3, v31
	;; [unrolled: 1-line block ×9, first 2 shown]
	s_waitcnt vmcnt(0)
	ds_write_b64 v79, v[2:3]
	ds_write_b64 v37, v[4:5] offset:4096
	ds_write_b64 v80, v[6:7] offset:8192
	ds_write_b64 v81, v[8:9] offset:12288
	ds_write_b64 v82, v[10:11] offset:16384
	ds_write_b64 v83, v[12:13] offset:20480
	ds_write_b64 v84, v[14:15] offset:24576
	ds_write_b64 v85, v[16:17] offset:28672
	s_waitcnt lgkmcnt(0)
	s_barrier
	ds_read2_b64 v[14:17], v86 offset1:1
	ds_read2_b64 v[10:13], v86 offset0:2 offset1:3
	ds_read2_b64 v[6:9], v86 offset0:4 offset1:5
	;; [unrolled: 1-line block ×3, first 2 shown]
	v_mbcnt_lo_u32_b32 v1, -1, 0
	v_mbcnt_hi_u32_b32 v90, -1, v1
	v_and_b32_e32 v91, 0x3c0, v38
	v_add_u32_e32 v1, v90, v91
	v_lshlrev_b32_e32 v18, 3, v1
	v_lshlrev_b32_e32 v104, 5, v1
	v_and_b32_e32 v1, 0x1e00, v87
	v_or_b32_e32 v19, v90, v1
	s_mov_b32 s53, 0
	v_lshlrev_b32_e32 v103, 2, v19
	s_and_b64 vcc, exec, s[4:5]
	v_bfe_u32 v99, v0, 10, 10
	v_bfe_u32 v100, v0, 20, 10
	v_lshlrev_b32_e32 v102, 3, v18
	v_lshlrev_b32_e32 v101, 3, v19
	;; [unrolled: 1-line block ×4, first 2 shown]
	v_and_b32_e32 v97, 15, v90
	v_and_b32_e32 v98, 16, v90
	v_cmp_lt_u32_e64 s[16:17], 31, v90
	v_cmp_gt_u32_e64 s[18:19], 8, v38
	v_cmp_lt_u32_e64 s[20:21], 63, v38
	v_add_u32_e32 v94, -1, v90
	v_and_b32_e32 v96, 64, v90
	v_cmp_eq_u32_e64 s[22:23], 0, v90
	v_cmp_eq_u32_e64 s[24:25], 0, v38
	v_lshrrev_b32_e32 v95, 4, v38
	v_and_b32_e32 v93, 7, v90
	v_and_or_b32 v92, v90, 63, v1
	s_waitcnt lgkmcnt(0)
	s_barrier
	s_cbranch_vccz .LBB130_67
; %bb.33:
	v_xor_b32_e32 v0, 0x80000000, v47
	v_xor_b32_e32 v1, 0x80000000, v46
	;; [unrolled: 1-line block ×8, first 2 shown]
	ds_write2_b32 v104, v1, v0 offset1:1
	ds_write2_b32 v104, v19, v18 offset0:2 offset1:3
	ds_write2_b32 v104, v21, v20 offset0:4 offset1:5
	;; [unrolled: 1-line block ×3, first 2 shown]
	; wave barrier
	ds_read2st64_b32 v[64:65], v103 offset1:1
	ds_read2st64_b32 v[66:67], v103 offset0:2 offset1:3
	ds_read2st64_b32 v[68:69], v103 offset0:4 offset1:5
	;; [unrolled: 1-line block ×3, first 2 shown]
	s_waitcnt lgkmcnt(0)
	s_barrier
	ds_write2_b64 v102, v[14:15], v[16:17] offset1:1
	ds_write2_b64 v102, v[10:11], v[12:13] offset0:2 offset1:3
	ds_write2_b64 v102, v[6:7], v[8:9] offset0:4 offset1:5
	;; [unrolled: 1-line block ×3, first 2 shown]
	; wave barrier
	ds_read2st64_b64 v[18:21], v101 offset1:1
	ds_read2st64_b64 v[22:25], v101 offset0:2 offset1:3
	ds_read2st64_b64 v[26:29], v101 offset0:4 offset1:5
	;; [unrolled: 1-line block ×3, first 2 shown]
	s_waitcnt lgkmcnt(0)
	s_barrier
	s_load_dword s26, s[54:55], 0xc
	s_getpc_b64 s[4:5]
	s_add_u32 s4, s4, _ZN7rocprim17ROCPRIM_400000_NS16block_radix_sortIiLj512ELj8ElLj1ELj1ELj0ELNS0_26block_radix_rank_algorithmE1ELNS0_18block_padding_hintE2ELNS0_4arch9wavefront6targetE1EE19radix_bits_per_passE@rel32@lo+4
	s_addc_u32 s5, s5, _ZN7rocprim17ROCPRIM_400000_NS16block_radix_sortIiLj512ELj8ElLj1ELj1ELj0ELNS0_26block_radix_rank_algorithmE1ELNS0_18block_padding_hintE2ELNS0_4arch9wavefront6targetE1EE19radix_bits_per_passE@rel32@hi+12
	s_load_dword s56, s[4:5], 0x0
	v_cmp_lt_i32_e32 vcc, v94, v96
	v_and_b32_e32 v108, 60, v95
	s_waitcnt lgkmcnt(0)
	s_lshr_b32 s4, s26, 16
	s_and_b32 s5, s26, 0xffff
	v_mad_u32_u24 v0, v100, s4, v99
	v_mad_u64_u32 v[0:1], s[4:5], v0, s5, v[38:39]
	v_lshrrev_b32_e32 v106, 6, v0
	v_min_u32_e32 v0, 0x1c0, v91
	v_or_b32_e32 v0, 63, v0
	v_cmp_eq_u32_e64 s[38:39], v0, v38
	v_cndmask_b32_e32 v0, v94, v90, vcc
	s_mov_b32 s57, 32
	v_add_u32_e32 v105, 32, v89
	v_cmp_eq_u32_e64 s[26:27], 0, v97
	v_cmp_lt_u32_e64 s[28:29], 1, v97
	v_cmp_lt_u32_e64 s[30:31], 3, v97
	;; [unrolled: 1-line block ×3, first 2 shown]
	v_cmp_eq_u32_e64 s[36:37], 0, v98
	v_lshlrev_b32_e32 v107, 2, v0
	v_cmp_eq_u32_e64 s[40:41], 0, v93
	v_cmp_lt_u32_e64 s[42:43], 1, v93
	v_cmp_lt_u32_e64 s[44:45], 3, v93
	v_add_u32_e32 v109, -4, v108
	v_lshlrev_b32_e32 v110, 2, v92
	v_lshlrev_b32_e32 v111, 3, v92
	v_mov_b32_e32 v62, 0
	s_branch .LBB130_35
.LBB130_34:                             ;   in Loop: Header=BB130_35 Depth=1
	v_lshlrev_b32_e32 v18, 2, v63
	s_barrier
	ds_write_b32 v18, v119
	v_lshlrev_b32_e32 v18, 2, v121
	ds_write_b32 v18, v118
	v_lshlrev_b32_e32 v18, 2, v122
	;; [unrolled: 2-line block ×8, first 2 shown]
	s_waitcnt lgkmcnt(0)
	s_barrier
	ds_read2st64_b32 v[64:65], v110 offset1:1
	ds_read2st64_b32 v[66:67], v110 offset0:2 offset1:3
	ds_read2st64_b32 v[68:69], v110 offset0:4 offset1:5
	;; [unrolled: 1-line block ×3, first 2 shown]
	s_waitcnt lgkmcnt(0)
	s_barrier
	ds_write_b64 v18, v[60:61]
	v_lshlrev_b32_e32 v18, 3, v121
	ds_write_b64 v18, v[58:59]
	v_lshlrev_b32_e32 v18, 3, v122
	;; [unrolled: 2-line block ×7, first 2 shown]
	ds_write_b64 v18, v[0:1]
	s_waitcnt lgkmcnt(0)
	s_barrier
	ds_read2st64_b64 v[18:21], v111 offset1:1
	ds_read2st64_b64 v[22:25], v111 offset0:2 offset1:3
	ds_read2st64_b64 v[26:29], v111 offset0:4 offset1:5
	;; [unrolled: 1-line block ×3, first 2 shown]
	s_add_i32 s53, s53, 8
	s_add_i32 s57, s57, -8
	s_waitcnt lgkmcnt(0)
	s_barrier
	s_cbranch_execz .LBB130_59
.LBB130_35:                             ; =>This Inner Loop Header: Depth=1
	s_min_u32 s4, s56, s57
	v_mov_b32_e32 v119, v64
	s_lshl_b32 s4, -1, s4
	v_pk_mov_b32 v[60:61], v[18:19], v[18:19] op_sel:[0,1]
	s_not_b32 s58, s4
	v_lshrrev_b32_e32 v18, s53, v119
	v_and_b32_e32 v18, s58, v18
	v_lshl_add_u32 v19, v18, 3, v106
	v_pk_mov_b32 v[56:57], v[22:23], v[22:23] op_sel:[0,1]
	v_lshl_add_u32 v22, v19, 2, 32
	v_and_b32_e32 v19, 1, v18
	v_pk_mov_b32 v[58:59], v[20:21], v[20:21] op_sel:[0,1]
	v_add_co_u32_e32 v20, vcc, -1, v19
	v_addc_co_u32_e64 v21, s[4:5], 0, -1, vcc
	v_cmp_ne_u32_e32 vcc, 0, v19
	v_lshlrev_b32_e32 v63, 30, v18
	v_xor_b32_e32 v19, vcc_hi, v21
	v_not_b32_e32 v21, v63
	v_xor_b32_e32 v20, vcc_lo, v20
	v_cmp_gt_i64_e32 vcc, 0, v[62:63]
	v_ashrrev_i32_e32 v21, 31, v21
	v_and_b32_e32 v20, exec_lo, v20
	v_xor_b32_e32 v23, vcc_hi, v21
	v_xor_b32_e32 v21, vcc_lo, v21
	v_lshlrev_b32_e32 v63, 29, v18
	v_and_b32_e32 v20, v20, v21
	v_not_b32_e32 v21, v63
	v_and_b32_e32 v19, exec_hi, v19
	v_cmp_gt_i64_e32 vcc, 0, v[62:63]
	v_ashrrev_i32_e32 v21, 31, v21
	v_and_b32_e32 v19, v19, v23
	v_xor_b32_e32 v23, vcc_hi, v21
	v_xor_b32_e32 v21, vcc_lo, v21
	v_lshlrev_b32_e32 v63, 28, v18
	v_and_b32_e32 v20, v20, v21
	v_not_b32_e32 v21, v63
	v_cmp_gt_i64_e32 vcc, 0, v[62:63]
	v_ashrrev_i32_e32 v21, 31, v21
	v_and_b32_e32 v19, v19, v23
	v_xor_b32_e32 v23, vcc_hi, v21
	v_xor_b32_e32 v21, vcc_lo, v21
	v_lshlrev_b32_e32 v63, 27, v18
	v_and_b32_e32 v20, v20, v21
	v_not_b32_e32 v21, v63
	;; [unrolled: 8-line block ×3, first 2 shown]
	v_cmp_gt_i64_e32 vcc, 0, v[62:63]
	v_ashrrev_i32_e32 v21, 31, v21
	v_and_b32_e32 v19, v19, v23
	v_xor_b32_e32 v23, vcc_hi, v21
	v_xor_b32_e32 v21, vcc_lo, v21
	v_lshlrev_b32_e32 v63, 25, v18
	v_and_b32_e32 v20, v20, v21
	v_cmp_gt_i64_e32 vcc, 0, v[62:63]
	v_not_b32_e32 v21, v63
	v_lshlrev_b32_e32 v63, 24, v18
	v_ashrrev_i32_e32 v21, 31, v21
	v_not_b32_e32 v18, v63
	v_and_b32_e32 v19, v19, v23
	v_xor_b32_e32 v23, vcc_hi, v21
	v_xor_b32_e32 v21, vcc_lo, v21
	v_cmp_gt_i64_e32 vcc, 0, v[62:63]
	v_ashrrev_i32_e32 v18, 31, v18
	v_and_b32_e32 v20, v20, v21
	v_xor_b32_e32 v21, vcc_hi, v18
	v_xor_b32_e32 v18, vcc_lo, v18
	v_and_b32_e32 v19, v19, v23
	v_and_b32_e32 v18, v20, v18
	;; [unrolled: 1-line block ×3, first 2 shown]
	v_mbcnt_lo_u32_b32 v20, v18, 0
	v_mbcnt_hi_u32_b32 v23, v19, v20
	v_cmp_eq_u32_e32 vcc, 0, v23
	v_cmp_ne_u64_e64 s[4:5], 0, v[18:19]
	v_mov_b32_e32 v112, v71
	v_mov_b32_e32 v113, v70
	;; [unrolled: 1-line block ×7, first 2 shown]
	v_pk_mov_b32 v[0:1], v[32:33], v[32:33] op_sel:[0,1]
	v_pk_mov_b32 v[48:49], v[30:31], v[30:31] op_sel:[0,1]
	;; [unrolled: 1-line block ×5, first 2 shown]
	s_and_b64 s[60:61], s[4:5], vcc
	ds_write2_b32 v89, v62, v62 offset0:8 offset1:9
	ds_write2_b32 v105, v62, v62 offset0:2 offset1:3
	s_waitcnt lgkmcnt(0)
	s_barrier
	s_waitcnt lgkmcnt(0)
	; wave barrier
	s_and_saveexec_b64 s[4:5], s[60:61]
	s_cbranch_execz .LBB130_37
; %bb.36:                               ;   in Loop: Header=BB130_35 Depth=1
	v_bcnt_u32_b32 v18, v18, 0
	v_bcnt_u32_b32 v18, v19, v18
	ds_write_b32 v22, v18
.LBB130_37:                             ;   in Loop: Header=BB130_35 Depth=1
	s_or_b64 exec, exec, s[4:5]
	v_lshrrev_b32_e32 v18, s53, v118
	v_and_b32_e32 v18, s58, v18
	v_lshlrev_b32_e32 v19, 3, v18
	v_add_lshl_u32 v19, v19, v106, 2
	; wave barrier
	v_add_u32_e32 v25, 32, v19
	ds_read_b32 v24, v19 offset:32
	v_and_b32_e32 v19, 1, v18
	v_add_co_u32_e32 v20, vcc, -1, v19
	v_addc_co_u32_e64 v21, s[4:5], 0, -1, vcc
	v_cmp_ne_u32_e32 vcc, 0, v19
	v_lshlrev_b32_e32 v63, 30, v18
	v_xor_b32_e32 v19, vcc_hi, v21
	v_not_b32_e32 v21, v63
	v_xor_b32_e32 v20, vcc_lo, v20
	v_cmp_gt_i64_e32 vcc, 0, v[62:63]
	v_ashrrev_i32_e32 v21, 31, v21
	v_and_b32_e32 v20, exec_lo, v20
	v_xor_b32_e32 v26, vcc_hi, v21
	v_xor_b32_e32 v21, vcc_lo, v21
	v_lshlrev_b32_e32 v63, 29, v18
	v_and_b32_e32 v20, v20, v21
	v_not_b32_e32 v21, v63
	v_and_b32_e32 v19, exec_hi, v19
	v_cmp_gt_i64_e32 vcc, 0, v[62:63]
	v_ashrrev_i32_e32 v21, 31, v21
	v_and_b32_e32 v19, v19, v26
	v_xor_b32_e32 v26, vcc_hi, v21
	v_xor_b32_e32 v21, vcc_lo, v21
	v_lshlrev_b32_e32 v63, 28, v18
	v_and_b32_e32 v20, v20, v21
	v_not_b32_e32 v21, v63
	v_cmp_gt_i64_e32 vcc, 0, v[62:63]
	v_ashrrev_i32_e32 v21, 31, v21
	v_and_b32_e32 v19, v19, v26
	v_xor_b32_e32 v26, vcc_hi, v21
	v_xor_b32_e32 v21, vcc_lo, v21
	v_lshlrev_b32_e32 v63, 27, v18
	v_and_b32_e32 v20, v20, v21
	v_not_b32_e32 v21, v63
	;; [unrolled: 8-line block ×3, first 2 shown]
	v_cmp_gt_i64_e32 vcc, 0, v[62:63]
	v_ashrrev_i32_e32 v21, 31, v21
	v_and_b32_e32 v19, v19, v26
	v_xor_b32_e32 v26, vcc_hi, v21
	v_xor_b32_e32 v21, vcc_lo, v21
	v_lshlrev_b32_e32 v63, 25, v18
	v_and_b32_e32 v20, v20, v21
	v_cmp_gt_i64_e32 vcc, 0, v[62:63]
	v_not_b32_e32 v21, v63
	v_lshlrev_b32_e32 v63, 24, v18
	v_ashrrev_i32_e32 v21, 31, v21
	v_not_b32_e32 v18, v63
	v_and_b32_e32 v19, v19, v26
	v_xor_b32_e32 v26, vcc_hi, v21
	v_xor_b32_e32 v21, vcc_lo, v21
	v_cmp_gt_i64_e32 vcc, 0, v[62:63]
	v_ashrrev_i32_e32 v18, 31, v18
	v_and_b32_e32 v20, v20, v21
	v_xor_b32_e32 v21, vcc_hi, v18
	v_xor_b32_e32 v18, vcc_lo, v18
	v_and_b32_e32 v19, v19, v26
	v_and_b32_e32 v18, v20, v18
	;; [unrolled: 1-line block ×3, first 2 shown]
	v_mbcnt_lo_u32_b32 v20, v18, 0
	v_mbcnt_hi_u32_b32 v26, v19, v20
	v_cmp_eq_u32_e32 vcc, 0, v26
	v_cmp_ne_u64_e64 s[4:5], 0, v[18:19]
	s_and_b64 s[60:61], s[4:5], vcc
	; wave barrier
	s_and_saveexec_b64 s[4:5], s[60:61]
	s_cbranch_execz .LBB130_39
; %bb.38:                               ;   in Loop: Header=BB130_35 Depth=1
	v_bcnt_u32_b32 v18, v18, 0
	v_bcnt_u32_b32 v18, v19, v18
	s_waitcnt lgkmcnt(0)
	v_add_u32_e32 v18, v24, v18
	ds_write_b32 v25, v18
.LBB130_39:                             ;   in Loop: Header=BB130_35 Depth=1
	s_or_b64 exec, exec, s[4:5]
	v_lshrrev_b32_e32 v18, s53, v117
	v_and_b32_e32 v18, s58, v18
	v_lshlrev_b32_e32 v19, 3, v18
	v_add_lshl_u32 v19, v19, v106, 2
	; wave barrier
	v_add_u32_e32 v28, 32, v19
	ds_read_b32 v27, v19 offset:32
	v_and_b32_e32 v19, 1, v18
	v_add_co_u32_e32 v20, vcc, -1, v19
	v_addc_co_u32_e64 v21, s[4:5], 0, -1, vcc
	v_cmp_ne_u32_e32 vcc, 0, v19
	v_lshlrev_b32_e32 v63, 30, v18
	v_xor_b32_e32 v19, vcc_hi, v21
	v_not_b32_e32 v21, v63
	v_xor_b32_e32 v20, vcc_lo, v20
	v_cmp_gt_i64_e32 vcc, 0, v[62:63]
	v_ashrrev_i32_e32 v21, 31, v21
	v_and_b32_e32 v20, exec_lo, v20
	v_xor_b32_e32 v29, vcc_hi, v21
	v_xor_b32_e32 v21, vcc_lo, v21
	v_lshlrev_b32_e32 v63, 29, v18
	v_and_b32_e32 v20, v20, v21
	v_not_b32_e32 v21, v63
	v_and_b32_e32 v19, exec_hi, v19
	v_cmp_gt_i64_e32 vcc, 0, v[62:63]
	v_ashrrev_i32_e32 v21, 31, v21
	v_and_b32_e32 v19, v19, v29
	v_xor_b32_e32 v29, vcc_hi, v21
	v_xor_b32_e32 v21, vcc_lo, v21
	v_lshlrev_b32_e32 v63, 28, v18
	v_and_b32_e32 v20, v20, v21
	v_not_b32_e32 v21, v63
	v_cmp_gt_i64_e32 vcc, 0, v[62:63]
	v_ashrrev_i32_e32 v21, 31, v21
	v_and_b32_e32 v19, v19, v29
	v_xor_b32_e32 v29, vcc_hi, v21
	v_xor_b32_e32 v21, vcc_lo, v21
	v_lshlrev_b32_e32 v63, 27, v18
	v_and_b32_e32 v20, v20, v21
	v_not_b32_e32 v21, v63
	;; [unrolled: 8-line block ×3, first 2 shown]
	v_cmp_gt_i64_e32 vcc, 0, v[62:63]
	v_ashrrev_i32_e32 v21, 31, v21
	v_and_b32_e32 v19, v19, v29
	v_xor_b32_e32 v29, vcc_hi, v21
	v_xor_b32_e32 v21, vcc_lo, v21
	v_lshlrev_b32_e32 v63, 25, v18
	v_and_b32_e32 v20, v20, v21
	v_cmp_gt_i64_e32 vcc, 0, v[62:63]
	v_not_b32_e32 v21, v63
	v_lshlrev_b32_e32 v63, 24, v18
	v_ashrrev_i32_e32 v21, 31, v21
	v_not_b32_e32 v18, v63
	v_and_b32_e32 v19, v19, v29
	v_xor_b32_e32 v29, vcc_hi, v21
	v_xor_b32_e32 v21, vcc_lo, v21
	v_cmp_gt_i64_e32 vcc, 0, v[62:63]
	v_ashrrev_i32_e32 v18, 31, v18
	v_and_b32_e32 v20, v20, v21
	v_xor_b32_e32 v21, vcc_hi, v18
	v_xor_b32_e32 v18, vcc_lo, v18
	v_and_b32_e32 v19, v19, v29
	v_and_b32_e32 v18, v20, v18
	v_and_b32_e32 v19, v19, v21
	v_mbcnt_lo_u32_b32 v20, v18, 0
	v_mbcnt_hi_u32_b32 v29, v19, v20
	v_cmp_eq_u32_e32 vcc, 0, v29
	v_cmp_ne_u64_e64 s[4:5], 0, v[18:19]
	s_and_b64 s[60:61], s[4:5], vcc
	; wave barrier
	s_and_saveexec_b64 s[4:5], s[60:61]
	s_cbranch_execz .LBB130_41
; %bb.40:                               ;   in Loop: Header=BB130_35 Depth=1
	v_bcnt_u32_b32 v18, v18, 0
	v_bcnt_u32_b32 v18, v19, v18
	s_waitcnt lgkmcnt(0)
	v_add_u32_e32 v18, v27, v18
	ds_write_b32 v28, v18
.LBB130_41:                             ;   in Loop: Header=BB130_35 Depth=1
	s_or_b64 exec, exec, s[4:5]
	v_lshrrev_b32_e32 v18, s53, v116
	v_and_b32_e32 v18, s58, v18
	v_lshlrev_b32_e32 v19, 3, v18
	v_add_lshl_u32 v19, v19, v106, 2
	; wave barrier
	v_add_u32_e32 v31, 32, v19
	ds_read_b32 v30, v19 offset:32
	v_and_b32_e32 v19, 1, v18
	v_add_co_u32_e32 v20, vcc, -1, v19
	v_addc_co_u32_e64 v21, s[4:5], 0, -1, vcc
	v_cmp_ne_u32_e32 vcc, 0, v19
	v_lshlrev_b32_e32 v63, 30, v18
	v_xor_b32_e32 v19, vcc_hi, v21
	v_not_b32_e32 v21, v63
	v_xor_b32_e32 v20, vcc_lo, v20
	v_cmp_gt_i64_e32 vcc, 0, v[62:63]
	v_ashrrev_i32_e32 v21, 31, v21
	v_and_b32_e32 v20, exec_lo, v20
	v_xor_b32_e32 v32, vcc_hi, v21
	v_xor_b32_e32 v21, vcc_lo, v21
	v_lshlrev_b32_e32 v63, 29, v18
	v_and_b32_e32 v20, v20, v21
	v_not_b32_e32 v21, v63
	v_and_b32_e32 v19, exec_hi, v19
	v_cmp_gt_i64_e32 vcc, 0, v[62:63]
	v_ashrrev_i32_e32 v21, 31, v21
	v_and_b32_e32 v19, v19, v32
	v_xor_b32_e32 v32, vcc_hi, v21
	v_xor_b32_e32 v21, vcc_lo, v21
	v_lshlrev_b32_e32 v63, 28, v18
	v_and_b32_e32 v20, v20, v21
	v_not_b32_e32 v21, v63
	v_cmp_gt_i64_e32 vcc, 0, v[62:63]
	v_ashrrev_i32_e32 v21, 31, v21
	v_and_b32_e32 v19, v19, v32
	v_xor_b32_e32 v32, vcc_hi, v21
	v_xor_b32_e32 v21, vcc_lo, v21
	v_lshlrev_b32_e32 v63, 27, v18
	v_and_b32_e32 v20, v20, v21
	v_not_b32_e32 v21, v63
	v_cmp_gt_i64_e32 vcc, 0, v[62:63]
	v_ashrrev_i32_e32 v21, 31, v21
	v_and_b32_e32 v19, v19, v32
	v_xor_b32_e32 v32, vcc_hi, v21
	v_xor_b32_e32 v21, vcc_lo, v21
	v_lshlrev_b32_e32 v63, 26, v18
	v_and_b32_e32 v20, v20, v21
	v_not_b32_e32 v21, v63
	v_cmp_gt_i64_e32 vcc, 0, v[62:63]
	v_ashrrev_i32_e32 v21, 31, v21
	v_and_b32_e32 v19, v19, v32
	v_xor_b32_e32 v32, vcc_hi, v21
	v_xor_b32_e32 v21, vcc_lo, v21
	v_lshlrev_b32_e32 v63, 25, v18
	v_and_b32_e32 v20, v20, v21
	v_cmp_gt_i64_e32 vcc, 0, v[62:63]
	v_not_b32_e32 v21, v63
	v_lshlrev_b32_e32 v63, 24, v18
	v_ashrrev_i32_e32 v21, 31, v21
	v_not_b32_e32 v18, v63
	v_and_b32_e32 v19, v19, v32
	v_xor_b32_e32 v32, vcc_hi, v21
	v_xor_b32_e32 v21, vcc_lo, v21
	v_cmp_gt_i64_e32 vcc, 0, v[62:63]
	v_ashrrev_i32_e32 v18, 31, v18
	v_and_b32_e32 v20, v20, v21
	v_xor_b32_e32 v21, vcc_hi, v18
	v_xor_b32_e32 v18, vcc_lo, v18
	v_and_b32_e32 v19, v19, v32
	v_and_b32_e32 v18, v20, v18
	;; [unrolled: 1-line block ×3, first 2 shown]
	v_mbcnt_lo_u32_b32 v20, v18, 0
	v_mbcnt_hi_u32_b32 v32, v19, v20
	v_cmp_eq_u32_e32 vcc, 0, v32
	v_cmp_ne_u64_e64 s[4:5], 0, v[18:19]
	s_and_b64 s[60:61], s[4:5], vcc
	; wave barrier
	s_and_saveexec_b64 s[4:5], s[60:61]
	s_cbranch_execz .LBB130_43
; %bb.42:                               ;   in Loop: Header=BB130_35 Depth=1
	v_bcnt_u32_b32 v18, v18, 0
	v_bcnt_u32_b32 v18, v19, v18
	s_waitcnt lgkmcnt(0)
	v_add_u32_e32 v18, v30, v18
	ds_write_b32 v31, v18
.LBB130_43:                             ;   in Loop: Header=BB130_35 Depth=1
	s_or_b64 exec, exec, s[4:5]
	v_lshrrev_b32_e32 v18, s53, v115
	v_and_b32_e32 v18, s58, v18
	v_lshlrev_b32_e32 v19, 3, v18
	v_add_lshl_u32 v19, v19, v106, 2
	; wave barrier
	v_add_u32_e32 v64, 32, v19
	ds_read_b32 v33, v19 offset:32
	v_and_b32_e32 v19, 1, v18
	v_add_co_u32_e32 v20, vcc, -1, v19
	v_addc_co_u32_e64 v21, s[4:5], 0, -1, vcc
	v_cmp_ne_u32_e32 vcc, 0, v19
	v_lshlrev_b32_e32 v63, 30, v18
	v_xor_b32_e32 v19, vcc_hi, v21
	v_not_b32_e32 v21, v63
	v_xor_b32_e32 v20, vcc_lo, v20
	v_cmp_gt_i64_e32 vcc, 0, v[62:63]
	v_ashrrev_i32_e32 v21, 31, v21
	v_and_b32_e32 v19, exec_hi, v19
	v_xor_b32_e32 v63, vcc_hi, v21
	v_and_b32_e32 v20, exec_lo, v20
	v_xor_b32_e32 v21, vcc_lo, v21
	v_and_b32_e32 v19, v19, v63
	v_lshlrev_b32_e32 v63, 29, v18
	v_and_b32_e32 v20, v20, v21
	v_not_b32_e32 v21, v63
	v_cmp_gt_i64_e32 vcc, 0, v[62:63]
	v_ashrrev_i32_e32 v21, 31, v21
	v_xor_b32_e32 v63, vcc_hi, v21
	v_xor_b32_e32 v21, vcc_lo, v21
	v_and_b32_e32 v19, v19, v63
	v_lshlrev_b32_e32 v63, 28, v18
	v_and_b32_e32 v20, v20, v21
	v_not_b32_e32 v21, v63
	v_cmp_gt_i64_e32 vcc, 0, v[62:63]
	v_ashrrev_i32_e32 v21, 31, v21
	v_xor_b32_e32 v63, vcc_hi, v21
	;; [unrolled: 8-line block ×5, first 2 shown]
	v_and_b32_e32 v19, v19, v63
	v_lshlrev_b32_e32 v63, 24, v18
	v_not_b32_e32 v18, v63
	v_xor_b32_e32 v21, vcc_lo, v21
	v_cmp_gt_i64_e32 vcc, 0, v[62:63]
	v_ashrrev_i32_e32 v18, 31, v18
	v_and_b32_e32 v20, v20, v21
	v_xor_b32_e32 v21, vcc_hi, v18
	v_xor_b32_e32 v18, vcc_lo, v18
	v_and_b32_e32 v18, v20, v18
	v_and_b32_e32 v19, v19, v21
	v_mbcnt_lo_u32_b32 v20, v18, 0
	v_mbcnt_hi_u32_b32 v65, v19, v20
	v_cmp_eq_u32_e32 vcc, 0, v65
	v_cmp_ne_u64_e64 s[4:5], 0, v[18:19]
	s_and_b64 s[60:61], s[4:5], vcc
	; wave barrier
	s_and_saveexec_b64 s[4:5], s[60:61]
	s_cbranch_execz .LBB130_45
; %bb.44:                               ;   in Loop: Header=BB130_35 Depth=1
	v_bcnt_u32_b32 v18, v18, 0
	v_bcnt_u32_b32 v18, v19, v18
	s_waitcnt lgkmcnt(0)
	v_add_u32_e32 v18, v33, v18
	ds_write_b32 v64, v18
.LBB130_45:                             ;   in Loop: Header=BB130_35 Depth=1
	s_or_b64 exec, exec, s[4:5]
	v_lshrrev_b32_e32 v18, s53, v114
	v_and_b32_e32 v18, s58, v18
	v_lshlrev_b32_e32 v19, 3, v18
	v_add_lshl_u32 v19, v19, v106, 2
	; wave barrier
	v_add_u32_e32 v67, 32, v19
	ds_read_b32 v66, v19 offset:32
	v_and_b32_e32 v19, 1, v18
	v_add_co_u32_e32 v20, vcc, -1, v19
	v_addc_co_u32_e64 v21, s[4:5], 0, -1, vcc
	v_cmp_ne_u32_e32 vcc, 0, v19
	v_lshlrev_b32_e32 v63, 30, v18
	v_xor_b32_e32 v19, vcc_hi, v21
	v_not_b32_e32 v21, v63
	v_xor_b32_e32 v20, vcc_lo, v20
	v_cmp_gt_i64_e32 vcc, 0, v[62:63]
	v_ashrrev_i32_e32 v21, 31, v21
	v_and_b32_e32 v19, exec_hi, v19
	v_xor_b32_e32 v63, vcc_hi, v21
	v_and_b32_e32 v20, exec_lo, v20
	v_xor_b32_e32 v21, vcc_lo, v21
	v_and_b32_e32 v19, v19, v63
	v_lshlrev_b32_e32 v63, 29, v18
	v_and_b32_e32 v20, v20, v21
	v_not_b32_e32 v21, v63
	v_cmp_gt_i64_e32 vcc, 0, v[62:63]
	v_ashrrev_i32_e32 v21, 31, v21
	v_xor_b32_e32 v63, vcc_hi, v21
	v_xor_b32_e32 v21, vcc_lo, v21
	v_and_b32_e32 v19, v19, v63
	v_lshlrev_b32_e32 v63, 28, v18
	v_and_b32_e32 v20, v20, v21
	v_not_b32_e32 v21, v63
	v_cmp_gt_i64_e32 vcc, 0, v[62:63]
	v_ashrrev_i32_e32 v21, 31, v21
	v_xor_b32_e32 v63, vcc_hi, v21
	;; [unrolled: 8-line block ×5, first 2 shown]
	v_and_b32_e32 v19, v19, v63
	v_lshlrev_b32_e32 v63, 24, v18
	v_not_b32_e32 v18, v63
	v_xor_b32_e32 v21, vcc_lo, v21
	v_cmp_gt_i64_e32 vcc, 0, v[62:63]
	v_ashrrev_i32_e32 v18, 31, v18
	v_and_b32_e32 v20, v20, v21
	v_xor_b32_e32 v21, vcc_hi, v18
	v_xor_b32_e32 v18, vcc_lo, v18
	v_and_b32_e32 v18, v20, v18
	v_and_b32_e32 v19, v19, v21
	v_mbcnt_lo_u32_b32 v20, v18, 0
	v_mbcnt_hi_u32_b32 v68, v19, v20
	v_cmp_eq_u32_e32 vcc, 0, v68
	v_cmp_ne_u64_e64 s[4:5], 0, v[18:19]
	s_and_b64 s[60:61], s[4:5], vcc
	; wave barrier
	s_and_saveexec_b64 s[4:5], s[60:61]
	s_cbranch_execz .LBB130_47
; %bb.46:                               ;   in Loop: Header=BB130_35 Depth=1
	v_bcnt_u32_b32 v18, v18, 0
	v_bcnt_u32_b32 v18, v19, v18
	s_waitcnt lgkmcnt(0)
	v_add_u32_e32 v18, v66, v18
	ds_write_b32 v67, v18
.LBB130_47:                             ;   in Loop: Header=BB130_35 Depth=1
	s_or_b64 exec, exec, s[4:5]
	v_lshrrev_b32_e32 v18, s53, v113
	v_and_b32_e32 v18, s58, v18
	v_lshlrev_b32_e32 v19, 3, v18
	v_add_lshl_u32 v19, v19, v106, 2
	; wave barrier
	v_add_u32_e32 v70, 32, v19
	ds_read_b32 v69, v19 offset:32
	v_and_b32_e32 v19, 1, v18
	v_add_co_u32_e32 v20, vcc, -1, v19
	v_addc_co_u32_e64 v21, s[4:5], 0, -1, vcc
	v_cmp_ne_u32_e32 vcc, 0, v19
	v_lshlrev_b32_e32 v63, 30, v18
	v_xor_b32_e32 v19, vcc_hi, v21
	v_not_b32_e32 v21, v63
	v_xor_b32_e32 v20, vcc_lo, v20
	v_cmp_gt_i64_e32 vcc, 0, v[62:63]
	v_ashrrev_i32_e32 v21, 31, v21
	v_and_b32_e32 v19, exec_hi, v19
	v_xor_b32_e32 v63, vcc_hi, v21
	v_and_b32_e32 v20, exec_lo, v20
	v_xor_b32_e32 v21, vcc_lo, v21
	v_and_b32_e32 v19, v19, v63
	v_lshlrev_b32_e32 v63, 29, v18
	v_and_b32_e32 v20, v20, v21
	v_not_b32_e32 v21, v63
	v_cmp_gt_i64_e32 vcc, 0, v[62:63]
	v_ashrrev_i32_e32 v21, 31, v21
	v_xor_b32_e32 v63, vcc_hi, v21
	v_xor_b32_e32 v21, vcc_lo, v21
	v_and_b32_e32 v19, v19, v63
	v_lshlrev_b32_e32 v63, 28, v18
	v_and_b32_e32 v20, v20, v21
	v_not_b32_e32 v21, v63
	v_cmp_gt_i64_e32 vcc, 0, v[62:63]
	v_ashrrev_i32_e32 v21, 31, v21
	v_xor_b32_e32 v63, vcc_hi, v21
	;; [unrolled: 8-line block ×5, first 2 shown]
	v_and_b32_e32 v19, v19, v63
	v_lshlrev_b32_e32 v63, 24, v18
	v_not_b32_e32 v18, v63
	v_xor_b32_e32 v21, vcc_lo, v21
	v_cmp_gt_i64_e32 vcc, 0, v[62:63]
	v_ashrrev_i32_e32 v18, 31, v18
	v_and_b32_e32 v20, v20, v21
	v_xor_b32_e32 v21, vcc_hi, v18
	v_xor_b32_e32 v18, vcc_lo, v18
	v_and_b32_e32 v18, v20, v18
	v_and_b32_e32 v19, v19, v21
	v_mbcnt_lo_u32_b32 v20, v18, 0
	v_mbcnt_hi_u32_b32 v71, v19, v20
	v_cmp_eq_u32_e32 vcc, 0, v71
	v_cmp_ne_u64_e64 s[4:5], 0, v[18:19]
	s_and_b64 s[60:61], s[4:5], vcc
	; wave barrier
	s_and_saveexec_b64 s[4:5], s[60:61]
	s_cbranch_execz .LBB130_49
; %bb.48:                               ;   in Loop: Header=BB130_35 Depth=1
	v_bcnt_u32_b32 v18, v18, 0
	v_bcnt_u32_b32 v18, v19, v18
	s_waitcnt lgkmcnt(0)
	v_add_u32_e32 v18, v69, v18
	ds_write_b32 v70, v18
.LBB130_49:                             ;   in Loop: Header=BB130_35 Depth=1
	s_or_b64 exec, exec, s[4:5]
	v_lshrrev_b32_e32 v18, s53, v112
	v_and_b32_e32 v18, s58, v18
	v_lshlrev_b32_e32 v19, 3, v18
	v_add_lshl_u32 v19, v19, v106, 2
	; wave barrier
	v_add_u32_e32 v121, 32, v19
	ds_read_b32 v120, v19 offset:32
	v_and_b32_e32 v19, 1, v18
	v_add_co_u32_e32 v20, vcc, -1, v19
	v_addc_co_u32_e64 v21, s[4:5], 0, -1, vcc
	v_cmp_ne_u32_e32 vcc, 0, v19
	v_lshlrev_b32_e32 v63, 30, v18
	v_xor_b32_e32 v19, vcc_hi, v21
	v_not_b32_e32 v21, v63
	v_xor_b32_e32 v20, vcc_lo, v20
	v_cmp_gt_i64_e32 vcc, 0, v[62:63]
	v_ashrrev_i32_e32 v21, 31, v21
	v_and_b32_e32 v19, exec_hi, v19
	v_xor_b32_e32 v63, vcc_hi, v21
	v_and_b32_e32 v20, exec_lo, v20
	v_xor_b32_e32 v21, vcc_lo, v21
	v_and_b32_e32 v19, v19, v63
	v_lshlrev_b32_e32 v63, 29, v18
	v_and_b32_e32 v20, v20, v21
	v_not_b32_e32 v21, v63
	v_cmp_gt_i64_e32 vcc, 0, v[62:63]
	v_ashrrev_i32_e32 v21, 31, v21
	v_xor_b32_e32 v63, vcc_hi, v21
	v_xor_b32_e32 v21, vcc_lo, v21
	v_and_b32_e32 v19, v19, v63
	v_lshlrev_b32_e32 v63, 28, v18
	v_and_b32_e32 v20, v20, v21
	v_not_b32_e32 v21, v63
	v_cmp_gt_i64_e32 vcc, 0, v[62:63]
	v_ashrrev_i32_e32 v21, 31, v21
	v_xor_b32_e32 v63, vcc_hi, v21
	;; [unrolled: 8-line block ×5, first 2 shown]
	v_and_b32_e32 v19, v19, v63
	v_lshlrev_b32_e32 v63, 24, v18
	v_not_b32_e32 v18, v63
	v_xor_b32_e32 v21, vcc_lo, v21
	v_cmp_gt_i64_e32 vcc, 0, v[62:63]
	v_ashrrev_i32_e32 v18, 31, v18
	v_and_b32_e32 v20, v20, v21
	v_xor_b32_e32 v21, vcc_hi, v18
	v_xor_b32_e32 v18, vcc_lo, v18
	v_and_b32_e32 v18, v20, v18
	v_and_b32_e32 v19, v19, v21
	v_mbcnt_lo_u32_b32 v20, v18, 0
	v_mbcnt_hi_u32_b32 v127, v19, v20
	v_cmp_eq_u32_e32 vcc, 0, v127
	v_cmp_ne_u64_e64 s[4:5], 0, v[18:19]
	s_and_b64 s[58:59], s[4:5], vcc
	; wave barrier
	s_and_saveexec_b64 s[4:5], s[58:59]
	s_cbranch_execz .LBB130_51
; %bb.50:                               ;   in Loop: Header=BB130_35 Depth=1
	v_bcnt_u32_b32 v18, v18, 0
	v_bcnt_u32_b32 v18, v19, v18
	s_waitcnt lgkmcnt(0)
	v_add_u32_e32 v18, v120, v18
	ds_write_b32 v121, v18
.LBB130_51:                             ;   in Loop: Header=BB130_35 Depth=1
	s_or_b64 exec, exec, s[4:5]
	; wave barrier
	s_waitcnt lgkmcnt(0)
	s_barrier
	ds_read2_b32 v[20:21], v89 offset0:8 offset1:9
	ds_read2_b32 v[18:19], v105 offset0:2 offset1:3
	s_waitcnt lgkmcnt(1)
	v_add_u32_e32 v63, v21, v20
	s_waitcnt lgkmcnt(0)
	v_add3_u32 v19, v63, v18, v19
	s_nop 1
	v_mov_b32_dpp v63, v19 row_shr:1 row_mask:0xf bank_mask:0xf
	v_cndmask_b32_e64 v63, v63, 0, s[26:27]
	v_add_u32_e32 v19, v63, v19
	s_nop 1
	v_mov_b32_dpp v63, v19 row_shr:2 row_mask:0xf bank_mask:0xf
	v_cndmask_b32_e64 v63, 0, v63, s[28:29]
	v_add_u32_e32 v19, v19, v63
	;; [unrolled: 4-line block ×4, first 2 shown]
	s_nop 1
	v_mov_b32_dpp v63, v19 row_bcast:15 row_mask:0xf bank_mask:0xf
	v_cndmask_b32_e64 v63, v63, 0, s[36:37]
	v_add_u32_e32 v19, v19, v63
	s_nop 1
	v_mov_b32_dpp v63, v19 row_bcast:31 row_mask:0xf bank_mask:0xf
	v_cndmask_b32_e64 v63, 0, v63, s[16:17]
	v_add_u32_e32 v19, v19, v63
	s_and_saveexec_b64 s[4:5], s[38:39]
	s_cbranch_execz .LBB130_53
; %bb.52:                               ;   in Loop: Header=BB130_35 Depth=1
	ds_write_b32 v108, v19
.LBB130_53:                             ;   in Loop: Header=BB130_35 Depth=1
	s_or_b64 exec, exec, s[4:5]
	s_waitcnt lgkmcnt(0)
	s_barrier
	s_and_saveexec_b64 s[4:5], s[18:19]
	s_cbranch_execz .LBB130_55
; %bb.54:                               ;   in Loop: Header=BB130_35 Depth=1
	ds_read_b32 v63, v88
	s_waitcnt lgkmcnt(0)
	s_nop 0
	v_mov_b32_dpp v122, v63 row_shr:1 row_mask:0xf bank_mask:0xf
	v_cndmask_b32_e64 v122, v122, 0, s[40:41]
	v_add_u32_e32 v63, v122, v63
	s_nop 1
	v_mov_b32_dpp v122, v63 row_shr:2 row_mask:0xf bank_mask:0xf
	v_cndmask_b32_e64 v122, 0, v122, s[42:43]
	v_add_u32_e32 v63, v63, v122
	;; [unrolled: 4-line block ×3, first 2 shown]
	ds_write_b32 v88, v63
.LBB130_55:                             ;   in Loop: Header=BB130_35 Depth=1
	s_or_b64 exec, exec, s[4:5]
	v_mov_b32_e32 v63, 0
	s_waitcnt lgkmcnt(0)
	s_barrier
	s_and_saveexec_b64 s[4:5], s[20:21]
	s_cbranch_execz .LBB130_57
; %bb.56:                               ;   in Loop: Header=BB130_35 Depth=1
	ds_read_b32 v63, v109
.LBB130_57:                             ;   in Loop: Header=BB130_35 Depth=1
	s_or_b64 exec, exec, s[4:5]
	s_waitcnt lgkmcnt(0)
	v_add_u32_e32 v19, v63, v19
	ds_bpermute_b32 v19, v107, v19
	s_cmp_gt_u32 s53, 23
	s_waitcnt lgkmcnt(0)
	v_cndmask_b32_e64 v19, v19, v63, s[22:23]
	v_cndmask_b32_e64 v19, v19, 0, s[24:25]
	v_add_u32_e32 v20, v19, v20
	v_add_u32_e32 v21, v20, v21
	;; [unrolled: 1-line block ×3, first 2 shown]
	ds_write2_b32 v89, v19, v20 offset0:8 offset1:9
	ds_write2_b32 v105, v21, v18 offset0:2 offset1:3
	s_waitcnt lgkmcnt(0)
	s_barrier
	ds_read_b32 v18, v22
	ds_read_b32 v19, v25
	ds_read_b32 v20, v28
	ds_read_b32 v21, v31
	ds_read_b32 v22, v64
	ds_read_b32 v25, v67
	ds_read_b32 v28, v70
	ds_read_b32 v31, v121
	s_waitcnt lgkmcnt(7)
	v_add_u32_e32 v63, v18, v23
	s_waitcnt lgkmcnt(6)
	v_add3_u32 v121, v26, v24, v19
	s_waitcnt lgkmcnt(5)
	v_add3_u32 v122, v29, v27, v20
	;; [unrolled: 2-line block ×7, first 2 shown]
	s_cbranch_scc0 .LBB130_34
; %bb.58:
                                        ; implicit-def: $vgpr71
                                        ; implicit-def: $vgpr69
                                        ; implicit-def: $vgpr67
                                        ; implicit-def: $vgpr65
                                        ; implicit-def: $vgpr32_vgpr33
                                        ; implicit-def: $vgpr28_vgpr29
                                        ; implicit-def: $vgpr24_vgpr25
                                        ; implicit-def: $vgpr20_vgpr21
                                        ; implicit-def: $sgpr53
                                        ; implicit-def: $sgpr57
.LBB130_59:
	v_lshlrev_b32_e32 v18, 2, v63
	s_barrier
	ds_write_b32 v18, v119
	v_lshlrev_b32_e32 v18, 2, v121
	ds_write_b32 v18, v118
	v_lshlrev_b32_e32 v18, 2, v122
	;; [unrolled: 2-line block ×7, first 2 shown]
	v_lshlrev_b32_e32 v22, 2, v87
	ds_write_b32 v18, v112
	s_waitcnt lgkmcnt(0)
	s_barrier
	ds_read2_b32 v[18:19], v22 offset1:1
	ds_read2_b32 v[20:21], v22 offset0:2 offset1:3
	ds_read2_b32 v[66:67], v22 offset0:4 offset1:5
	;; [unrolled: 1-line block ×3, first 2 shown]
	v_lshlrev_b32_e32 v23, 3, v63
	v_lshlrev_b32_e32 v24, 3, v121
	;; [unrolled: 1-line block ×9, first 2 shown]
	s_waitcnt lgkmcnt(3)
	v_xor_b32_e32 v62, 0x80000000, v18
	v_xor_b32_e32 v64, 0x80000000, v19
	s_waitcnt lgkmcnt(2)
	v_xor_b32_e32 v63, 0x80000000, v20
	v_xor_b32_e32 v65, 0x80000000, v21
	s_waitcnt lgkmcnt(0)
	s_barrier
	ds_write_b64 v23, v[60:61]
	ds_write_b64 v24, v[58:59]
	;; [unrolled: 1-line block ×8, first 2 shown]
	s_waitcnt lgkmcnt(0)
	s_barrier
	ds_read2_b64 v[18:21], v31 offset1:1
	ds_read2_b64 v[22:25], v31 offset0:2 offset1:3
	ds_read2_b64 v[26:29], v31 offset0:4 offset1:5
	;; [unrolled: 1-line block ×3, first 2 shown]
	v_xor_b32_e32 v66, 0x80000000, v66
	v_xor_b32_e32 v0, 0x80000000, v67
	;; [unrolled: 1-line block ×4, first 2 shown]
	s_branch .LBB130_95
.LBB130_60:
	v_mov_b32_e32 v37, 0
	v_lshlrev_b64 v[2:3], 3, v[36:37]
	v_mov_b32_e32 v4, s51
	v_add_co_u32_e32 v2, vcc, s49, v2
	v_addc_co_u32_e32 v3, vcc, v4, v3, vcc
	global_load_dwordx2 v[2:3], v[2:3], off
	v_mov_b32_e32 v4, v37
	v_mov_b32_e32 v5, v37
	v_mov_b32_e32 v6, v37
	v_mov_b32_e32 v7, v37
	v_mov_b32_e32 v8, v37
	v_mov_b32_e32 v9, v37
	v_mov_b32_e32 v10, v37
	v_mov_b32_e32 v11, v37
	v_mov_b32_e32 v12, v37
	v_mov_b32_e32 v13, v37
	v_mov_b32_e32 v14, v37
	v_mov_b32_e32 v15, v37
	v_mov_b32_e32 v16, v37
	v_mov_b32_e32 v17, v37
	s_or_b64 exec, exec, s[4:5]
	s_and_saveexec_b64 s[4:5], s[2:3]
	s_cbranch_execz .LBB130_25
.LBB130_61:
	v_mul_lo_u32 v4, v30, s52
	v_mov_b32_e32 v5, 0
	v_lshlrev_b64 v[4:5], 3, v[4:5]
	v_mov_b32_e32 v30, s51
	v_add_co_u32_e32 v4, vcc, s49, v4
	v_addc_co_u32_e32 v5, vcc, v30, v5, vcc
	global_load_dwordx2 v[4:5], v[4:5], off
	s_or_b64 exec, exec, s[4:5]
	s_and_saveexec_b64 s[4:5], s[46:47]
	s_cbranch_execz .LBB130_26
.LBB130_62:
	v_mul_lo_u32 v6, v28, s52
	v_mov_b32_e32 v7, 0
	v_lshlrev_b64 v[6:7], 3, v[6:7]
	v_mov_b32_e32 v28, s51
	v_add_co_u32_e32 v6, vcc, s49, v6
	v_addc_co_u32_e32 v7, vcc, v28, v7, vcc
	global_load_dwordx2 v[6:7], v[6:7], off
	s_or_b64 exec, exec, s[4:5]
	s_and_saveexec_b64 s[4:5], s[6:7]
	s_cbranch_execz .LBB130_27
.LBB130_63:
	v_mul_lo_u32 v8, v26, s52
	v_mov_b32_e32 v9, 0
	v_lshlrev_b64 v[8:9], 3, v[8:9]
	v_mov_b32_e32 v26, s51
	v_add_co_u32_e32 v8, vcc, s49, v8
	v_addc_co_u32_e32 v9, vcc, v26, v9, vcc
	global_load_dwordx2 v[8:9], v[8:9], off
	s_or_b64 exec, exec, s[4:5]
	s_and_saveexec_b64 s[4:5], s[8:9]
	s_cbranch_execz .LBB130_28
.LBB130_64:
	v_mul_lo_u32 v10, v24, s52
	v_mov_b32_e32 v11, 0
	v_lshlrev_b64 v[10:11], 3, v[10:11]
	v_mov_b32_e32 v24, s51
	v_add_co_u32_e32 v10, vcc, s49, v10
	v_addc_co_u32_e32 v11, vcc, v24, v11, vcc
	global_load_dwordx2 v[10:11], v[10:11], off
	s_or_b64 exec, exec, s[4:5]
	s_and_saveexec_b64 s[4:5], s[10:11]
	s_cbranch_execz .LBB130_29
.LBB130_65:
	v_mul_lo_u32 v12, v21, s52
	v_mov_b32_e32 v13, 0
	v_lshlrev_b64 v[12:13], 3, v[12:13]
	v_mov_b32_e32 v21, s51
	v_add_co_u32_e32 v12, vcc, s49, v12
	v_addc_co_u32_e32 v13, vcc, v21, v13, vcc
	global_load_dwordx2 v[12:13], v[12:13], off
	s_or_b64 exec, exec, s[4:5]
	s_and_saveexec_b64 s[4:5], s[12:13]
	s_cbranch_execz .LBB130_30
.LBB130_66:
	v_mul_lo_u32 v14, v19, s52
	v_mov_b32_e32 v15, 0
	v_lshlrev_b64 v[14:15], 3, v[14:15]
	v_mov_b32_e32 v19, s51
	v_add_co_u32_e32 v14, vcc, s49, v14
	v_addc_co_u32_e32 v15, vcc, v19, v15, vcc
	global_load_dwordx2 v[14:15], v[14:15], off
	s_or_b64 exec, exec, s[4:5]
	s_xor_b64 s[4:5], s[34:35], -1
	s_and_saveexec_b64 s[16:17], s[14:15]
	s_cbranch_execnz .LBB130_31
	s_branch .LBB130_32
.LBB130_67:
                                        ; implicit-def: $vgpr48
                                        ; implicit-def: $vgpr1
                                        ; implicit-def: $vgpr0
                                        ; implicit-def: $vgpr66
                                        ; implicit-def: $vgpr65
                                        ; implicit-def: $vgpr63
                                        ; implicit-def: $vgpr64
                                        ; implicit-def: $vgpr62
                                        ; implicit-def: $vgpr32_vgpr33
                                        ; implicit-def: $vgpr28_vgpr29
                                        ; implicit-def: $vgpr24_vgpr25
                                        ; implicit-def: $vgpr20_vgpr21
	s_cbranch_execz .LBB130_95
; %bb.68:
	v_xor_b32_e32 v0, 0x7fffffff, v47
	v_xor_b32_e32 v1, 0x7fffffff, v46
	s_waitcnt lgkmcnt(3)
	v_xor_b32_e32 v18, 0x7fffffff, v45
	v_xor_b32_e32 v19, 0x7fffffff, v44
	;; [unrolled: 1-line block ×4, first 2 shown]
	s_waitcnt lgkmcnt(2)
	v_xor_b32_e32 v22, 0x7fffffff, v41
	v_xor_b32_e32 v23, 0x7fffffff, v40
	ds_write2_b32 v104, v1, v0 offset1:1
	ds_write2_b32 v104, v19, v18 offset0:2 offset1:3
	ds_write2_b32 v104, v21, v20 offset0:4 offset1:5
	;; [unrolled: 1-line block ×3, first 2 shown]
	; wave barrier
	ds_read2st64_b32 v[40:41], v103 offset1:1
	ds_read2st64_b32 v[42:43], v103 offset0:2 offset1:3
	ds_read2st64_b32 v[44:45], v103 offset0:4 offset1:5
	;; [unrolled: 1-line block ×3, first 2 shown]
	s_waitcnt lgkmcnt(0)
	s_barrier
	ds_write2_b64 v102, v[14:15], v[16:17] offset1:1
	ds_write2_b64 v102, v[10:11], v[12:13] offset0:2 offset1:3
	ds_write2_b64 v102, v[6:7], v[8:9] offset0:4 offset1:5
	;; [unrolled: 1-line block ×3, first 2 shown]
	; wave barrier
	ds_read2st64_b64 v[0:3], v101 offset1:1
	ds_read2st64_b64 v[4:7], v101 offset0:2 offset1:3
	ds_read2st64_b64 v[8:11], v101 offset0:4 offset1:5
	;; [unrolled: 1-line block ×3, first 2 shown]
	s_waitcnt lgkmcnt(0)
	s_barrier
	s_load_dword s16, s[54:55], 0xc
	s_getpc_b64 s[4:5]
	s_add_u32 s4, s4, _ZN7rocprim17ROCPRIM_400000_NS16block_radix_sortIiLj512ELj8ElLj1ELj1ELj0ELNS0_26block_radix_rank_algorithmE1ELNS0_18block_padding_hintE2ELNS0_4arch9wavefront6targetE1EE19radix_bits_per_passE@rel32@lo+4
	s_addc_u32 s5, s5, _ZN7rocprim17ROCPRIM_400000_NS16block_radix_sortIiLj512ELj8ElLj1ELj1ELj0ELNS0_26block_radix_rank_algorithmE1ELNS0_18block_padding_hintE2ELNS0_4arch9wavefront6targetE1EE19radix_bits_per_passE@rel32@hi+12
	s_load_dword s53, s[4:5], 0x0
	v_cmp_lt_i32_e32 vcc, v94, v96
	v_cmp_gt_u32_e64 s[30:31], 8, v38
	s_waitcnt lgkmcnt(0)
	s_lshr_b32 s4, s16, 16
	s_and_b32 s5, s16, 0xffff
	v_mad_u32_u24 v16, v100, s4, v99
	v_mad_u64_u32 v[16:17], s[4:5], v16, s5, v[38:39]
	v_lshrrev_b32_e32 v49, 6, v16
	v_min_u32_e32 v16, 0x1c0, v91
	v_or_b32_e32 v16, 63, v16
	v_cmp_eq_u32_e64 s[28:29], v16, v38
	v_cmp_lt_u32_e64 s[34:35], 63, v38
	v_cndmask_b32_e32 v16, v94, v90, vcc
	v_cmp_eq_u32_e64 s[38:39], 0, v38
	v_and_b32_e32 v38, 60, v95
	s_mov_b32 s54, 32
	v_add_u32_e32 v48, 32, v89
	s_mov_b32 s55, 0
	v_cmp_eq_u32_e64 s[16:17], 0, v97
	v_cmp_lt_u32_e64 s[18:19], 1, v97
	v_cmp_lt_u32_e64 s[20:21], 3, v97
	;; [unrolled: 1-line block ×3, first 2 shown]
	v_cmp_eq_u32_e64 s[24:25], 0, v98
	v_cmp_lt_u32_e64 s[26:27], 31, v90
	v_lshlrev_b32_e32 v50, 2, v16
	v_cmp_eq_u32_e64 s[36:37], 0, v90
	v_cmp_eq_u32_e64 s[40:41], 0, v93
	v_cmp_lt_u32_e64 s[42:43], 1, v93
	v_cmp_lt_u32_e64 s[44:45], 3, v93
	v_add_u32_e32 v51, -4, v38
	v_lshlrev_b32_e32 v52, 2, v92
	v_lshlrev_b32_e32 v53, 3, v92
	v_mov_b32_e32 v32, 0
	s_branch .LBB130_70
.LBB130_69:                             ;   in Loop: Header=BB130_70 Depth=1
	v_lshlrev_b32_e32 v0, 2, v33
	s_barrier
	ds_write_b32 v0, v61
	v_lshlrev_b32_e32 v0, 2, v63
	ds_write_b32 v0, v60
	v_lshlrev_b32_e32 v0, 2, v64
	;; [unrolled: 2-line block ×8, first 2 shown]
	s_waitcnt lgkmcnt(0)
	s_barrier
	ds_read2st64_b32 v[40:41], v52 offset1:1
	ds_read2st64_b32 v[42:43], v52 offset0:2 offset1:3
	ds_read2st64_b32 v[44:45], v52 offset0:4 offset1:5
	;; [unrolled: 1-line block ×3, first 2 shown]
	s_waitcnt lgkmcnt(0)
	s_barrier
	ds_write_b64 v0, v[30:31]
	v_lshlrev_b32_e32 v0, 3, v63
	ds_write_b64 v0, v[28:29]
	v_lshlrev_b32_e32 v0, 3, v64
	;; [unrolled: 2-line block ×7, first 2 shown]
	ds_write_b64 v0, v[16:17]
	s_waitcnt lgkmcnt(0)
	s_barrier
	ds_read2st64_b64 v[0:3], v53 offset1:1
	ds_read2st64_b64 v[4:7], v53 offset0:2 offset1:3
	ds_read2st64_b64 v[8:11], v53 offset0:4 offset1:5
	;; [unrolled: 1-line block ×3, first 2 shown]
	s_add_i32 s55, s55, 8
	s_add_i32 s54, s54, -8
	s_waitcnt lgkmcnt(0)
	s_barrier
	s_cbranch_execz .LBB130_94
.LBB130_70:                             ; =>This Inner Loop Header: Depth=1
	s_min_u32 s4, s53, s54
	v_mov_b32_e32 v61, v40
	s_lshl_b32 s4, -1, s4
	v_pk_mov_b32 v[30:31], v[0:1], v[0:1] op_sel:[0,1]
	s_not_b32 s56, s4
	v_lshrrev_b32_e32 v0, s55, v61
	v_and_b32_e32 v0, s56, v0
	v_lshl_add_u32 v1, v0, 3, v49
	v_pk_mov_b32 v[26:27], v[4:5], v[4:5] op_sel:[0,1]
	v_lshl_add_u32 v4, v1, 2, 32
	v_and_b32_e32 v1, 1, v0
	v_pk_mov_b32 v[28:29], v[2:3], v[2:3] op_sel:[0,1]
	v_add_co_u32_e32 v2, vcc, -1, v1
	v_addc_co_u32_e64 v3, s[4:5], 0, -1, vcc
	v_cmp_ne_u32_e32 vcc, 0, v1
	v_lshlrev_b32_e32 v33, 30, v0
	v_xor_b32_e32 v1, vcc_hi, v3
	v_not_b32_e32 v3, v33
	v_xor_b32_e32 v2, vcc_lo, v2
	v_cmp_gt_i64_e32 vcc, 0, v[32:33]
	v_ashrrev_i32_e32 v3, 31, v3
	v_and_b32_e32 v2, exec_lo, v2
	v_xor_b32_e32 v5, vcc_hi, v3
	v_xor_b32_e32 v3, vcc_lo, v3
	v_lshlrev_b32_e32 v33, 29, v0
	v_and_b32_e32 v2, v2, v3
	v_not_b32_e32 v3, v33
	v_and_b32_e32 v1, exec_hi, v1
	v_cmp_gt_i64_e32 vcc, 0, v[32:33]
	v_ashrrev_i32_e32 v3, 31, v3
	v_and_b32_e32 v1, v1, v5
	v_xor_b32_e32 v5, vcc_hi, v3
	v_xor_b32_e32 v3, vcc_lo, v3
	v_lshlrev_b32_e32 v33, 28, v0
	v_and_b32_e32 v2, v2, v3
	v_not_b32_e32 v3, v33
	v_cmp_gt_i64_e32 vcc, 0, v[32:33]
	v_ashrrev_i32_e32 v3, 31, v3
	v_and_b32_e32 v1, v1, v5
	v_xor_b32_e32 v5, vcc_hi, v3
	v_xor_b32_e32 v3, vcc_lo, v3
	v_lshlrev_b32_e32 v33, 27, v0
	v_and_b32_e32 v2, v2, v3
	v_not_b32_e32 v3, v33
	;; [unrolled: 8-line block ×3, first 2 shown]
	v_cmp_gt_i64_e32 vcc, 0, v[32:33]
	v_ashrrev_i32_e32 v3, 31, v3
	v_and_b32_e32 v1, v1, v5
	v_xor_b32_e32 v5, vcc_hi, v3
	v_xor_b32_e32 v3, vcc_lo, v3
	v_lshlrev_b32_e32 v33, 25, v0
	v_and_b32_e32 v2, v2, v3
	v_cmp_gt_i64_e32 vcc, 0, v[32:33]
	v_not_b32_e32 v3, v33
	v_lshlrev_b32_e32 v33, 24, v0
	v_ashrrev_i32_e32 v3, 31, v3
	v_not_b32_e32 v0, v33
	v_and_b32_e32 v1, v1, v5
	v_xor_b32_e32 v5, vcc_hi, v3
	v_xor_b32_e32 v3, vcc_lo, v3
	v_cmp_gt_i64_e32 vcc, 0, v[32:33]
	v_ashrrev_i32_e32 v0, 31, v0
	v_and_b32_e32 v2, v2, v3
	v_xor_b32_e32 v3, vcc_hi, v0
	v_xor_b32_e32 v0, vcc_lo, v0
	v_and_b32_e32 v1, v1, v5
	v_and_b32_e32 v0, v2, v0
	;; [unrolled: 1-line block ×3, first 2 shown]
	v_mbcnt_lo_u32_b32 v2, v0, 0
	v_mbcnt_hi_u32_b32 v5, v1, v2
	v_cmp_eq_u32_e32 vcc, 0, v5
	v_cmp_ne_u64_e64 s[4:5], 0, v[0:1]
	v_mov_b32_e32 v54, v47
	v_mov_b32_e32 v55, v46
	;; [unrolled: 1-line block ×7, first 2 shown]
	v_pk_mov_b32 v[16:17], v[14:15], v[14:15] op_sel:[0,1]
	v_pk_mov_b32 v[18:19], v[12:13], v[12:13] op_sel:[0,1]
	v_pk_mov_b32 v[20:21], v[10:11], v[10:11] op_sel:[0,1]
	v_pk_mov_b32 v[22:23], v[8:9], v[8:9] op_sel:[0,1]
	v_pk_mov_b32 v[24:25], v[6:7], v[6:7] op_sel:[0,1]
	s_and_b64 s[58:59], s[4:5], vcc
	ds_write2_b32 v89, v32, v32 offset0:8 offset1:9
	ds_write2_b32 v48, v32, v32 offset0:2 offset1:3
	s_waitcnt lgkmcnt(0)
	s_barrier
	s_waitcnt lgkmcnt(0)
	; wave barrier
	s_and_saveexec_b64 s[4:5], s[58:59]
	s_cbranch_execz .LBB130_72
; %bb.71:                               ;   in Loop: Header=BB130_70 Depth=1
	v_bcnt_u32_b32 v0, v0, 0
	v_bcnt_u32_b32 v0, v1, v0
	ds_write_b32 v4, v0
.LBB130_72:                             ;   in Loop: Header=BB130_70 Depth=1
	s_or_b64 exec, exec, s[4:5]
	v_lshrrev_b32_e32 v0, s55, v60
	v_and_b32_e32 v0, s56, v0
	v_lshlrev_b32_e32 v1, 3, v0
	v_add_lshl_u32 v1, v1, v49, 2
	; wave barrier
	v_add_u32_e32 v7, 32, v1
	ds_read_b32 v6, v1 offset:32
	v_and_b32_e32 v1, 1, v0
	v_add_co_u32_e32 v2, vcc, -1, v1
	v_addc_co_u32_e64 v3, s[4:5], 0, -1, vcc
	v_cmp_ne_u32_e32 vcc, 0, v1
	v_lshlrev_b32_e32 v33, 30, v0
	v_xor_b32_e32 v1, vcc_hi, v3
	v_not_b32_e32 v3, v33
	v_xor_b32_e32 v2, vcc_lo, v2
	v_cmp_gt_i64_e32 vcc, 0, v[32:33]
	v_ashrrev_i32_e32 v3, 31, v3
	v_and_b32_e32 v2, exec_lo, v2
	v_xor_b32_e32 v8, vcc_hi, v3
	v_xor_b32_e32 v3, vcc_lo, v3
	v_lshlrev_b32_e32 v33, 29, v0
	v_and_b32_e32 v2, v2, v3
	v_not_b32_e32 v3, v33
	v_and_b32_e32 v1, exec_hi, v1
	v_cmp_gt_i64_e32 vcc, 0, v[32:33]
	v_ashrrev_i32_e32 v3, 31, v3
	v_and_b32_e32 v1, v1, v8
	v_xor_b32_e32 v8, vcc_hi, v3
	v_xor_b32_e32 v3, vcc_lo, v3
	v_lshlrev_b32_e32 v33, 28, v0
	v_and_b32_e32 v2, v2, v3
	v_not_b32_e32 v3, v33
	v_cmp_gt_i64_e32 vcc, 0, v[32:33]
	v_ashrrev_i32_e32 v3, 31, v3
	v_and_b32_e32 v1, v1, v8
	v_xor_b32_e32 v8, vcc_hi, v3
	v_xor_b32_e32 v3, vcc_lo, v3
	v_lshlrev_b32_e32 v33, 27, v0
	v_and_b32_e32 v2, v2, v3
	v_not_b32_e32 v3, v33
	;; [unrolled: 8-line block ×3, first 2 shown]
	v_cmp_gt_i64_e32 vcc, 0, v[32:33]
	v_ashrrev_i32_e32 v3, 31, v3
	v_and_b32_e32 v1, v1, v8
	v_xor_b32_e32 v8, vcc_hi, v3
	v_xor_b32_e32 v3, vcc_lo, v3
	v_lshlrev_b32_e32 v33, 25, v0
	v_and_b32_e32 v2, v2, v3
	v_cmp_gt_i64_e32 vcc, 0, v[32:33]
	v_not_b32_e32 v3, v33
	v_lshlrev_b32_e32 v33, 24, v0
	v_ashrrev_i32_e32 v3, 31, v3
	v_not_b32_e32 v0, v33
	v_and_b32_e32 v1, v1, v8
	v_xor_b32_e32 v8, vcc_hi, v3
	v_xor_b32_e32 v3, vcc_lo, v3
	v_cmp_gt_i64_e32 vcc, 0, v[32:33]
	v_ashrrev_i32_e32 v0, 31, v0
	v_and_b32_e32 v2, v2, v3
	v_xor_b32_e32 v3, vcc_hi, v0
	v_xor_b32_e32 v0, vcc_lo, v0
	v_and_b32_e32 v1, v1, v8
	v_and_b32_e32 v0, v2, v0
	;; [unrolled: 1-line block ×3, first 2 shown]
	v_mbcnt_lo_u32_b32 v2, v0, 0
	v_mbcnt_hi_u32_b32 v8, v1, v2
	v_cmp_eq_u32_e32 vcc, 0, v8
	v_cmp_ne_u64_e64 s[4:5], 0, v[0:1]
	s_and_b64 s[58:59], s[4:5], vcc
	; wave barrier
	s_and_saveexec_b64 s[4:5], s[58:59]
	s_cbranch_execz .LBB130_74
; %bb.73:                               ;   in Loop: Header=BB130_70 Depth=1
	v_bcnt_u32_b32 v0, v0, 0
	v_bcnt_u32_b32 v0, v1, v0
	s_waitcnt lgkmcnt(0)
	v_add_u32_e32 v0, v6, v0
	ds_write_b32 v7, v0
.LBB130_74:                             ;   in Loop: Header=BB130_70 Depth=1
	s_or_b64 exec, exec, s[4:5]
	v_lshrrev_b32_e32 v0, s55, v59
	v_and_b32_e32 v0, s56, v0
	v_lshlrev_b32_e32 v1, 3, v0
	v_add_lshl_u32 v1, v1, v49, 2
	; wave barrier
	v_add_u32_e32 v10, 32, v1
	ds_read_b32 v9, v1 offset:32
	v_and_b32_e32 v1, 1, v0
	v_add_co_u32_e32 v2, vcc, -1, v1
	v_addc_co_u32_e64 v3, s[4:5], 0, -1, vcc
	v_cmp_ne_u32_e32 vcc, 0, v1
	v_lshlrev_b32_e32 v33, 30, v0
	v_xor_b32_e32 v1, vcc_hi, v3
	v_not_b32_e32 v3, v33
	v_xor_b32_e32 v2, vcc_lo, v2
	v_cmp_gt_i64_e32 vcc, 0, v[32:33]
	v_ashrrev_i32_e32 v3, 31, v3
	v_and_b32_e32 v2, exec_lo, v2
	v_xor_b32_e32 v11, vcc_hi, v3
	v_xor_b32_e32 v3, vcc_lo, v3
	v_lshlrev_b32_e32 v33, 29, v0
	v_and_b32_e32 v2, v2, v3
	v_not_b32_e32 v3, v33
	v_and_b32_e32 v1, exec_hi, v1
	v_cmp_gt_i64_e32 vcc, 0, v[32:33]
	v_ashrrev_i32_e32 v3, 31, v3
	v_and_b32_e32 v1, v1, v11
	v_xor_b32_e32 v11, vcc_hi, v3
	v_xor_b32_e32 v3, vcc_lo, v3
	v_lshlrev_b32_e32 v33, 28, v0
	v_and_b32_e32 v2, v2, v3
	v_not_b32_e32 v3, v33
	v_cmp_gt_i64_e32 vcc, 0, v[32:33]
	v_ashrrev_i32_e32 v3, 31, v3
	v_and_b32_e32 v1, v1, v11
	v_xor_b32_e32 v11, vcc_hi, v3
	v_xor_b32_e32 v3, vcc_lo, v3
	v_lshlrev_b32_e32 v33, 27, v0
	v_and_b32_e32 v2, v2, v3
	v_not_b32_e32 v3, v33
	;; [unrolled: 8-line block ×3, first 2 shown]
	v_cmp_gt_i64_e32 vcc, 0, v[32:33]
	v_ashrrev_i32_e32 v3, 31, v3
	v_and_b32_e32 v1, v1, v11
	v_xor_b32_e32 v11, vcc_hi, v3
	v_xor_b32_e32 v3, vcc_lo, v3
	v_lshlrev_b32_e32 v33, 25, v0
	v_and_b32_e32 v2, v2, v3
	v_cmp_gt_i64_e32 vcc, 0, v[32:33]
	v_not_b32_e32 v3, v33
	v_lshlrev_b32_e32 v33, 24, v0
	v_ashrrev_i32_e32 v3, 31, v3
	v_not_b32_e32 v0, v33
	v_and_b32_e32 v1, v1, v11
	v_xor_b32_e32 v11, vcc_hi, v3
	v_xor_b32_e32 v3, vcc_lo, v3
	v_cmp_gt_i64_e32 vcc, 0, v[32:33]
	v_ashrrev_i32_e32 v0, 31, v0
	v_and_b32_e32 v2, v2, v3
	v_xor_b32_e32 v3, vcc_hi, v0
	v_xor_b32_e32 v0, vcc_lo, v0
	v_and_b32_e32 v1, v1, v11
	v_and_b32_e32 v0, v2, v0
	;; [unrolled: 1-line block ×3, first 2 shown]
	v_mbcnt_lo_u32_b32 v2, v0, 0
	v_mbcnt_hi_u32_b32 v11, v1, v2
	v_cmp_eq_u32_e32 vcc, 0, v11
	v_cmp_ne_u64_e64 s[4:5], 0, v[0:1]
	s_and_b64 s[58:59], s[4:5], vcc
	; wave barrier
	s_and_saveexec_b64 s[4:5], s[58:59]
	s_cbranch_execz .LBB130_76
; %bb.75:                               ;   in Loop: Header=BB130_70 Depth=1
	v_bcnt_u32_b32 v0, v0, 0
	v_bcnt_u32_b32 v0, v1, v0
	s_waitcnt lgkmcnt(0)
	v_add_u32_e32 v0, v9, v0
	ds_write_b32 v10, v0
.LBB130_76:                             ;   in Loop: Header=BB130_70 Depth=1
	s_or_b64 exec, exec, s[4:5]
	v_lshrrev_b32_e32 v0, s55, v58
	v_and_b32_e32 v0, s56, v0
	v_lshlrev_b32_e32 v1, 3, v0
	v_add_lshl_u32 v1, v1, v49, 2
	; wave barrier
	v_add_u32_e32 v13, 32, v1
	ds_read_b32 v12, v1 offset:32
	v_and_b32_e32 v1, 1, v0
	v_add_co_u32_e32 v2, vcc, -1, v1
	v_addc_co_u32_e64 v3, s[4:5], 0, -1, vcc
	v_cmp_ne_u32_e32 vcc, 0, v1
	v_lshlrev_b32_e32 v33, 30, v0
	v_xor_b32_e32 v1, vcc_hi, v3
	v_not_b32_e32 v3, v33
	v_xor_b32_e32 v2, vcc_lo, v2
	v_cmp_gt_i64_e32 vcc, 0, v[32:33]
	v_ashrrev_i32_e32 v3, 31, v3
	v_and_b32_e32 v2, exec_lo, v2
	v_xor_b32_e32 v14, vcc_hi, v3
	v_xor_b32_e32 v3, vcc_lo, v3
	v_lshlrev_b32_e32 v33, 29, v0
	v_and_b32_e32 v2, v2, v3
	v_not_b32_e32 v3, v33
	v_and_b32_e32 v1, exec_hi, v1
	v_cmp_gt_i64_e32 vcc, 0, v[32:33]
	v_ashrrev_i32_e32 v3, 31, v3
	v_and_b32_e32 v1, v1, v14
	v_xor_b32_e32 v14, vcc_hi, v3
	v_xor_b32_e32 v3, vcc_lo, v3
	v_lshlrev_b32_e32 v33, 28, v0
	v_and_b32_e32 v2, v2, v3
	v_not_b32_e32 v3, v33
	v_cmp_gt_i64_e32 vcc, 0, v[32:33]
	v_ashrrev_i32_e32 v3, 31, v3
	v_and_b32_e32 v1, v1, v14
	v_xor_b32_e32 v14, vcc_hi, v3
	v_xor_b32_e32 v3, vcc_lo, v3
	v_lshlrev_b32_e32 v33, 27, v0
	v_and_b32_e32 v2, v2, v3
	v_not_b32_e32 v3, v33
	;; [unrolled: 8-line block ×3, first 2 shown]
	v_cmp_gt_i64_e32 vcc, 0, v[32:33]
	v_ashrrev_i32_e32 v3, 31, v3
	v_and_b32_e32 v1, v1, v14
	v_xor_b32_e32 v14, vcc_hi, v3
	v_xor_b32_e32 v3, vcc_lo, v3
	v_lshlrev_b32_e32 v33, 25, v0
	v_and_b32_e32 v2, v2, v3
	v_cmp_gt_i64_e32 vcc, 0, v[32:33]
	v_not_b32_e32 v3, v33
	v_lshlrev_b32_e32 v33, 24, v0
	v_ashrrev_i32_e32 v3, 31, v3
	v_not_b32_e32 v0, v33
	v_and_b32_e32 v1, v1, v14
	v_xor_b32_e32 v14, vcc_hi, v3
	v_xor_b32_e32 v3, vcc_lo, v3
	v_cmp_gt_i64_e32 vcc, 0, v[32:33]
	v_ashrrev_i32_e32 v0, 31, v0
	v_and_b32_e32 v2, v2, v3
	v_xor_b32_e32 v3, vcc_hi, v0
	v_xor_b32_e32 v0, vcc_lo, v0
	v_and_b32_e32 v1, v1, v14
	v_and_b32_e32 v0, v2, v0
	;; [unrolled: 1-line block ×3, first 2 shown]
	v_mbcnt_lo_u32_b32 v2, v0, 0
	v_mbcnt_hi_u32_b32 v14, v1, v2
	v_cmp_eq_u32_e32 vcc, 0, v14
	v_cmp_ne_u64_e64 s[4:5], 0, v[0:1]
	s_and_b64 s[58:59], s[4:5], vcc
	; wave barrier
	s_and_saveexec_b64 s[4:5], s[58:59]
	s_cbranch_execz .LBB130_78
; %bb.77:                               ;   in Loop: Header=BB130_70 Depth=1
	v_bcnt_u32_b32 v0, v0, 0
	v_bcnt_u32_b32 v0, v1, v0
	s_waitcnt lgkmcnt(0)
	v_add_u32_e32 v0, v12, v0
	ds_write_b32 v13, v0
.LBB130_78:                             ;   in Loop: Header=BB130_70 Depth=1
	s_or_b64 exec, exec, s[4:5]
	v_lshrrev_b32_e32 v0, s55, v57
	v_and_b32_e32 v0, s56, v0
	v_lshlrev_b32_e32 v1, 3, v0
	v_add_lshl_u32 v1, v1, v49, 2
	; wave barrier
	v_add_u32_e32 v40, 32, v1
	ds_read_b32 v15, v1 offset:32
	v_and_b32_e32 v1, 1, v0
	v_add_co_u32_e32 v2, vcc, -1, v1
	v_addc_co_u32_e64 v3, s[4:5], 0, -1, vcc
	v_cmp_ne_u32_e32 vcc, 0, v1
	v_lshlrev_b32_e32 v33, 30, v0
	v_xor_b32_e32 v1, vcc_hi, v3
	v_not_b32_e32 v3, v33
	v_xor_b32_e32 v2, vcc_lo, v2
	v_cmp_gt_i64_e32 vcc, 0, v[32:33]
	v_ashrrev_i32_e32 v3, 31, v3
	v_and_b32_e32 v1, exec_hi, v1
	v_xor_b32_e32 v33, vcc_hi, v3
	v_and_b32_e32 v2, exec_lo, v2
	v_xor_b32_e32 v3, vcc_lo, v3
	v_and_b32_e32 v1, v1, v33
	v_lshlrev_b32_e32 v33, 29, v0
	v_and_b32_e32 v2, v2, v3
	v_not_b32_e32 v3, v33
	v_cmp_gt_i64_e32 vcc, 0, v[32:33]
	v_ashrrev_i32_e32 v3, 31, v3
	v_xor_b32_e32 v33, vcc_hi, v3
	v_xor_b32_e32 v3, vcc_lo, v3
	v_and_b32_e32 v1, v1, v33
	v_lshlrev_b32_e32 v33, 28, v0
	v_and_b32_e32 v2, v2, v3
	v_not_b32_e32 v3, v33
	v_cmp_gt_i64_e32 vcc, 0, v[32:33]
	v_ashrrev_i32_e32 v3, 31, v3
	v_xor_b32_e32 v33, vcc_hi, v3
	;; [unrolled: 8-line block ×5, first 2 shown]
	v_and_b32_e32 v1, v1, v33
	v_lshlrev_b32_e32 v33, 24, v0
	v_not_b32_e32 v0, v33
	v_xor_b32_e32 v3, vcc_lo, v3
	v_cmp_gt_i64_e32 vcc, 0, v[32:33]
	v_ashrrev_i32_e32 v0, 31, v0
	v_and_b32_e32 v2, v2, v3
	v_xor_b32_e32 v3, vcc_hi, v0
	v_xor_b32_e32 v0, vcc_lo, v0
	v_and_b32_e32 v0, v2, v0
	v_and_b32_e32 v1, v1, v3
	v_mbcnt_lo_u32_b32 v2, v0, 0
	v_mbcnt_hi_u32_b32 v41, v1, v2
	v_cmp_eq_u32_e32 vcc, 0, v41
	v_cmp_ne_u64_e64 s[4:5], 0, v[0:1]
	s_and_b64 s[58:59], s[4:5], vcc
	; wave barrier
	s_and_saveexec_b64 s[4:5], s[58:59]
	s_cbranch_execz .LBB130_80
; %bb.79:                               ;   in Loop: Header=BB130_70 Depth=1
	v_bcnt_u32_b32 v0, v0, 0
	v_bcnt_u32_b32 v0, v1, v0
	s_waitcnt lgkmcnt(0)
	v_add_u32_e32 v0, v15, v0
	ds_write_b32 v40, v0
.LBB130_80:                             ;   in Loop: Header=BB130_70 Depth=1
	s_or_b64 exec, exec, s[4:5]
	v_lshrrev_b32_e32 v0, s55, v56
	v_and_b32_e32 v0, s56, v0
	v_lshlrev_b32_e32 v1, 3, v0
	v_add_lshl_u32 v1, v1, v49, 2
	; wave barrier
	v_add_u32_e32 v43, 32, v1
	ds_read_b32 v42, v1 offset:32
	v_and_b32_e32 v1, 1, v0
	v_add_co_u32_e32 v2, vcc, -1, v1
	v_addc_co_u32_e64 v3, s[4:5], 0, -1, vcc
	v_cmp_ne_u32_e32 vcc, 0, v1
	v_lshlrev_b32_e32 v33, 30, v0
	v_xor_b32_e32 v1, vcc_hi, v3
	v_not_b32_e32 v3, v33
	v_xor_b32_e32 v2, vcc_lo, v2
	v_cmp_gt_i64_e32 vcc, 0, v[32:33]
	v_ashrrev_i32_e32 v3, 31, v3
	v_and_b32_e32 v1, exec_hi, v1
	v_xor_b32_e32 v33, vcc_hi, v3
	v_and_b32_e32 v2, exec_lo, v2
	v_xor_b32_e32 v3, vcc_lo, v3
	v_and_b32_e32 v1, v1, v33
	v_lshlrev_b32_e32 v33, 29, v0
	v_and_b32_e32 v2, v2, v3
	v_not_b32_e32 v3, v33
	v_cmp_gt_i64_e32 vcc, 0, v[32:33]
	v_ashrrev_i32_e32 v3, 31, v3
	v_xor_b32_e32 v33, vcc_hi, v3
	v_xor_b32_e32 v3, vcc_lo, v3
	v_and_b32_e32 v1, v1, v33
	v_lshlrev_b32_e32 v33, 28, v0
	v_and_b32_e32 v2, v2, v3
	v_not_b32_e32 v3, v33
	v_cmp_gt_i64_e32 vcc, 0, v[32:33]
	v_ashrrev_i32_e32 v3, 31, v3
	v_xor_b32_e32 v33, vcc_hi, v3
	;; [unrolled: 8-line block ×5, first 2 shown]
	v_and_b32_e32 v1, v1, v33
	v_lshlrev_b32_e32 v33, 24, v0
	v_not_b32_e32 v0, v33
	v_xor_b32_e32 v3, vcc_lo, v3
	v_cmp_gt_i64_e32 vcc, 0, v[32:33]
	v_ashrrev_i32_e32 v0, 31, v0
	v_and_b32_e32 v2, v2, v3
	v_xor_b32_e32 v3, vcc_hi, v0
	v_xor_b32_e32 v0, vcc_lo, v0
	v_and_b32_e32 v0, v2, v0
	v_and_b32_e32 v1, v1, v3
	v_mbcnt_lo_u32_b32 v2, v0, 0
	v_mbcnt_hi_u32_b32 v44, v1, v2
	v_cmp_eq_u32_e32 vcc, 0, v44
	v_cmp_ne_u64_e64 s[4:5], 0, v[0:1]
	s_and_b64 s[58:59], s[4:5], vcc
	; wave barrier
	s_and_saveexec_b64 s[4:5], s[58:59]
	s_cbranch_execz .LBB130_82
; %bb.81:                               ;   in Loop: Header=BB130_70 Depth=1
	v_bcnt_u32_b32 v0, v0, 0
	v_bcnt_u32_b32 v0, v1, v0
	s_waitcnt lgkmcnt(0)
	v_add_u32_e32 v0, v42, v0
	ds_write_b32 v43, v0
.LBB130_82:                             ;   in Loop: Header=BB130_70 Depth=1
	s_or_b64 exec, exec, s[4:5]
	v_lshrrev_b32_e32 v0, s55, v55
	v_and_b32_e32 v0, s56, v0
	v_lshlrev_b32_e32 v1, 3, v0
	v_add_lshl_u32 v1, v1, v49, 2
	; wave barrier
	v_add_u32_e32 v46, 32, v1
	ds_read_b32 v45, v1 offset:32
	v_and_b32_e32 v1, 1, v0
	v_add_co_u32_e32 v2, vcc, -1, v1
	v_addc_co_u32_e64 v3, s[4:5], 0, -1, vcc
	v_cmp_ne_u32_e32 vcc, 0, v1
	v_lshlrev_b32_e32 v33, 30, v0
	v_xor_b32_e32 v1, vcc_hi, v3
	v_not_b32_e32 v3, v33
	v_xor_b32_e32 v2, vcc_lo, v2
	v_cmp_gt_i64_e32 vcc, 0, v[32:33]
	v_ashrrev_i32_e32 v3, 31, v3
	v_and_b32_e32 v1, exec_hi, v1
	v_xor_b32_e32 v33, vcc_hi, v3
	v_and_b32_e32 v2, exec_lo, v2
	v_xor_b32_e32 v3, vcc_lo, v3
	v_and_b32_e32 v1, v1, v33
	v_lshlrev_b32_e32 v33, 29, v0
	v_and_b32_e32 v2, v2, v3
	v_not_b32_e32 v3, v33
	v_cmp_gt_i64_e32 vcc, 0, v[32:33]
	v_ashrrev_i32_e32 v3, 31, v3
	v_xor_b32_e32 v33, vcc_hi, v3
	v_xor_b32_e32 v3, vcc_lo, v3
	v_and_b32_e32 v1, v1, v33
	v_lshlrev_b32_e32 v33, 28, v0
	v_and_b32_e32 v2, v2, v3
	v_not_b32_e32 v3, v33
	v_cmp_gt_i64_e32 vcc, 0, v[32:33]
	v_ashrrev_i32_e32 v3, 31, v3
	v_xor_b32_e32 v33, vcc_hi, v3
	;; [unrolled: 8-line block ×5, first 2 shown]
	v_and_b32_e32 v1, v1, v33
	v_lshlrev_b32_e32 v33, 24, v0
	v_not_b32_e32 v0, v33
	v_xor_b32_e32 v3, vcc_lo, v3
	v_cmp_gt_i64_e32 vcc, 0, v[32:33]
	v_ashrrev_i32_e32 v0, 31, v0
	v_and_b32_e32 v2, v2, v3
	v_xor_b32_e32 v3, vcc_hi, v0
	v_xor_b32_e32 v0, vcc_lo, v0
	v_and_b32_e32 v0, v2, v0
	v_and_b32_e32 v1, v1, v3
	v_mbcnt_lo_u32_b32 v2, v0, 0
	v_mbcnt_hi_u32_b32 v47, v1, v2
	v_cmp_eq_u32_e32 vcc, 0, v47
	v_cmp_ne_u64_e64 s[4:5], 0, v[0:1]
	s_and_b64 s[58:59], s[4:5], vcc
	; wave barrier
	s_and_saveexec_b64 s[4:5], s[58:59]
	s_cbranch_execz .LBB130_84
; %bb.83:                               ;   in Loop: Header=BB130_70 Depth=1
	v_bcnt_u32_b32 v0, v0, 0
	v_bcnt_u32_b32 v0, v1, v0
	s_waitcnt lgkmcnt(0)
	v_add_u32_e32 v0, v45, v0
	ds_write_b32 v46, v0
.LBB130_84:                             ;   in Loop: Header=BB130_70 Depth=1
	s_or_b64 exec, exec, s[4:5]
	v_lshrrev_b32_e32 v0, s55, v54
	v_and_b32_e32 v0, s56, v0
	v_lshlrev_b32_e32 v1, 3, v0
	v_add_lshl_u32 v1, v1, v49, 2
	; wave barrier
	v_add_u32_e32 v63, 32, v1
	ds_read_b32 v62, v1 offset:32
	v_and_b32_e32 v1, 1, v0
	v_add_co_u32_e32 v2, vcc, -1, v1
	v_addc_co_u32_e64 v3, s[4:5], 0, -1, vcc
	v_cmp_ne_u32_e32 vcc, 0, v1
	v_lshlrev_b32_e32 v33, 30, v0
	v_xor_b32_e32 v1, vcc_hi, v3
	v_not_b32_e32 v3, v33
	v_xor_b32_e32 v2, vcc_lo, v2
	v_cmp_gt_i64_e32 vcc, 0, v[32:33]
	v_ashrrev_i32_e32 v3, 31, v3
	v_and_b32_e32 v1, exec_hi, v1
	v_xor_b32_e32 v33, vcc_hi, v3
	v_and_b32_e32 v2, exec_lo, v2
	v_xor_b32_e32 v3, vcc_lo, v3
	v_and_b32_e32 v1, v1, v33
	v_lshlrev_b32_e32 v33, 29, v0
	v_and_b32_e32 v2, v2, v3
	v_not_b32_e32 v3, v33
	v_cmp_gt_i64_e32 vcc, 0, v[32:33]
	v_ashrrev_i32_e32 v3, 31, v3
	v_xor_b32_e32 v33, vcc_hi, v3
	v_xor_b32_e32 v3, vcc_lo, v3
	v_and_b32_e32 v1, v1, v33
	v_lshlrev_b32_e32 v33, 28, v0
	v_and_b32_e32 v2, v2, v3
	v_not_b32_e32 v3, v33
	v_cmp_gt_i64_e32 vcc, 0, v[32:33]
	v_ashrrev_i32_e32 v3, 31, v3
	v_xor_b32_e32 v33, vcc_hi, v3
	;; [unrolled: 8-line block ×5, first 2 shown]
	v_and_b32_e32 v1, v1, v33
	v_lshlrev_b32_e32 v33, 24, v0
	v_not_b32_e32 v0, v33
	v_xor_b32_e32 v3, vcc_lo, v3
	v_cmp_gt_i64_e32 vcc, 0, v[32:33]
	v_ashrrev_i32_e32 v0, 31, v0
	v_and_b32_e32 v2, v2, v3
	v_xor_b32_e32 v3, vcc_hi, v0
	v_xor_b32_e32 v0, vcc_lo, v0
	v_and_b32_e32 v0, v2, v0
	v_and_b32_e32 v1, v1, v3
	v_mbcnt_lo_u32_b32 v2, v0, 0
	v_mbcnt_hi_u32_b32 v69, v1, v2
	v_cmp_eq_u32_e32 vcc, 0, v69
	v_cmp_ne_u64_e64 s[4:5], 0, v[0:1]
	s_and_b64 s[56:57], s[4:5], vcc
	; wave barrier
	s_and_saveexec_b64 s[4:5], s[56:57]
	s_cbranch_execz .LBB130_86
; %bb.85:                               ;   in Loop: Header=BB130_70 Depth=1
	v_bcnt_u32_b32 v0, v0, 0
	v_bcnt_u32_b32 v0, v1, v0
	s_waitcnt lgkmcnt(0)
	v_add_u32_e32 v0, v62, v0
	ds_write_b32 v63, v0
.LBB130_86:                             ;   in Loop: Header=BB130_70 Depth=1
	s_or_b64 exec, exec, s[4:5]
	; wave barrier
	s_waitcnt lgkmcnt(0)
	s_barrier
	ds_read2_b32 v[2:3], v89 offset0:8 offset1:9
	ds_read2_b32 v[0:1], v48 offset0:2 offset1:3
	s_waitcnt lgkmcnt(1)
	v_add_u32_e32 v33, v3, v2
	s_waitcnt lgkmcnt(0)
	v_add3_u32 v1, v33, v0, v1
	s_nop 1
	v_mov_b32_dpp v33, v1 row_shr:1 row_mask:0xf bank_mask:0xf
	v_cndmask_b32_e64 v33, v33, 0, s[16:17]
	v_add_u32_e32 v1, v33, v1
	s_nop 1
	v_mov_b32_dpp v33, v1 row_shr:2 row_mask:0xf bank_mask:0xf
	v_cndmask_b32_e64 v33, 0, v33, s[18:19]
	v_add_u32_e32 v1, v1, v33
	;; [unrolled: 4-line block ×4, first 2 shown]
	s_nop 1
	v_mov_b32_dpp v33, v1 row_bcast:15 row_mask:0xf bank_mask:0xf
	v_cndmask_b32_e64 v33, v33, 0, s[24:25]
	v_add_u32_e32 v1, v1, v33
	s_nop 1
	v_mov_b32_dpp v33, v1 row_bcast:31 row_mask:0xf bank_mask:0xf
	v_cndmask_b32_e64 v33, 0, v33, s[26:27]
	v_add_u32_e32 v1, v1, v33
	s_and_saveexec_b64 s[4:5], s[28:29]
	s_cbranch_execz .LBB130_88
; %bb.87:                               ;   in Loop: Header=BB130_70 Depth=1
	ds_write_b32 v38, v1
.LBB130_88:                             ;   in Loop: Header=BB130_70 Depth=1
	s_or_b64 exec, exec, s[4:5]
	s_waitcnt lgkmcnt(0)
	s_barrier
	s_and_saveexec_b64 s[4:5], s[30:31]
	s_cbranch_execz .LBB130_90
; %bb.89:                               ;   in Loop: Header=BB130_70 Depth=1
	ds_read_b32 v33, v88
	s_waitcnt lgkmcnt(0)
	s_nop 0
	v_mov_b32_dpp v64, v33 row_shr:1 row_mask:0xf bank_mask:0xf
	v_cndmask_b32_e64 v64, v64, 0, s[40:41]
	v_add_u32_e32 v33, v64, v33
	s_nop 1
	v_mov_b32_dpp v64, v33 row_shr:2 row_mask:0xf bank_mask:0xf
	v_cndmask_b32_e64 v64, 0, v64, s[42:43]
	v_add_u32_e32 v33, v33, v64
	;; [unrolled: 4-line block ×3, first 2 shown]
	ds_write_b32 v88, v33
.LBB130_90:                             ;   in Loop: Header=BB130_70 Depth=1
	s_or_b64 exec, exec, s[4:5]
	v_mov_b32_e32 v33, 0
	s_waitcnt lgkmcnt(0)
	s_barrier
	s_and_saveexec_b64 s[4:5], s[34:35]
	s_cbranch_execz .LBB130_92
; %bb.91:                               ;   in Loop: Header=BB130_70 Depth=1
	ds_read_b32 v33, v51
.LBB130_92:                             ;   in Loop: Header=BB130_70 Depth=1
	s_or_b64 exec, exec, s[4:5]
	s_waitcnt lgkmcnt(0)
	v_add_u32_e32 v1, v33, v1
	ds_bpermute_b32 v1, v50, v1
	s_cmp_gt_u32 s55, 23
	s_waitcnt lgkmcnt(0)
	v_cndmask_b32_e64 v1, v1, v33, s[36:37]
	v_cndmask_b32_e64 v1, v1, 0, s[38:39]
	v_add_u32_e32 v2, v1, v2
	v_add_u32_e32 v3, v2, v3
	;; [unrolled: 1-line block ×3, first 2 shown]
	ds_write2_b32 v89, v1, v2 offset0:8 offset1:9
	ds_write2_b32 v48, v3, v0 offset0:2 offset1:3
	s_waitcnt lgkmcnt(0)
	s_barrier
	ds_read_b32 v0, v4
	ds_read_b32 v1, v7
	;; [unrolled: 1-line block ×8, first 2 shown]
	s_waitcnt lgkmcnt(7)
	v_add_u32_e32 v33, v0, v5
	s_waitcnt lgkmcnt(6)
	v_add3_u32 v63, v8, v6, v1
	s_waitcnt lgkmcnt(5)
	v_add3_u32 v64, v11, v9, v2
	;; [unrolled: 2-line block ×7, first 2 shown]
	s_cbranch_scc0 .LBB130_69
; %bb.93:
                                        ; implicit-def: $vgpr47
                                        ; implicit-def: $vgpr45
                                        ; implicit-def: $vgpr43
                                        ; implicit-def: $vgpr41
                                        ; implicit-def: $vgpr14_vgpr15
                                        ; implicit-def: $vgpr10_vgpr11
                                        ; implicit-def: $vgpr6_vgpr7
                                        ; implicit-def: $vgpr2_vgpr3
                                        ; implicit-def: $sgpr55
                                        ; implicit-def: $sgpr54
.LBB130_94:
	v_lshlrev_b32_e32 v0, 2, v33
	s_barrier
	ds_write_b32 v0, v61
	v_lshlrev_b32_e32 v0, 2, v63
	ds_write_b32 v0, v60
	v_lshlrev_b32_e32 v0, 2, v64
	ds_write_b32 v0, v59
	v_lshlrev_b32_e32 v0, 2, v65
	ds_write_b32 v0, v58
	v_lshlrev_b32_e32 v0, 2, v66
	ds_write_b32 v0, v57
	v_lshlrev_b32_e32 v0, 2, v67
	ds_write_b32 v0, v56
	v_lshlrev_b32_e32 v0, 2, v68
	ds_write_b32 v0, v55
	v_lshlrev_b32_e32 v0, 2, v62
	v_lshlrev_b32_e32 v6, 2, v87
	v_lshlrev_b32_e32 v8, 3, v33
	v_lshlrev_b32_e32 v32, 3, v87
	ds_write_b32 v0, v54
	s_waitcnt lgkmcnt(0)
	s_barrier
	v_lshlrev_b32_e32 v9, 3, v63
	v_lshlrev_b32_e32 v10, 3, v64
	;; [unrolled: 1-line block ×7, first 2 shown]
	ds_read2_b32 v[0:1], v6 offset1:1
	ds_read2_b32 v[2:3], v6 offset0:2 offset1:3
	ds_read2_b32 v[4:5], v6 offset0:4 offset1:5
	;; [unrolled: 1-line block ×3, first 2 shown]
	s_waitcnt lgkmcnt(0)
	s_barrier
	ds_write_b64 v8, v[30:31]
	ds_write_b64 v9, v[28:29]
	;; [unrolled: 1-line block ×8, first 2 shown]
	s_waitcnt lgkmcnt(0)
	s_barrier
	ds_read2_b64 v[18:21], v32 offset1:1
	ds_read2_b64 v[22:25], v32 offset0:2 offset1:3
	ds_read2_b64 v[26:29], v32 offset0:4 offset1:5
	;; [unrolled: 1-line block ×3, first 2 shown]
	v_xor_b32_e32 v62, 0x7fffffff, v0
	v_xor_b32_e32 v64, 0x7fffffff, v1
	v_xor_b32_e32 v63, 0x7fffffff, v2
	v_xor_b32_e32 v65, 0x7fffffff, v3
	v_xor_b32_e32 v66, 0x7fffffff, v4
	v_xor_b32_e32 v0, 0x7fffffff, v5
	v_xor_b32_e32 v1, 0x7fffffff, v6
	v_xor_b32_e32 v48, 0x7fffffff, v7
.LBB130_95:
	s_waitcnt lgkmcnt(0)
	s_barrier
	ds_write2_b32 v78, v62, v64 offset1:1
	ds_write2_b32 v78, v63, v65 offset0:2 offset1:3
	ds_write2_b32 v78, v66, v0 offset0:4 offset1:5
	ds_write2_b32 v78, v1, v48 offset0:6 offset1:7
	s_waitcnt lgkmcnt(0)
	s_barrier
	ds_read_b32 v8, v35 offset:2048
	ds_read_b32 v7, v72 offset:4096
	;; [unrolled: 1-line block ×7, first 2 shown]
	v_mov_b32_e32 v35, 0
	v_lshlrev_b64 v[0:1], 2, v[34:35]
	v_mov_b32_e32 v9, s48
	v_add_co_u32_e32 v0, vcc, s33, v0
	v_addc_co_u32_e32 v1, vcc, v9, v1, vcc
	s_and_saveexec_b64 s[4:5], s[0:1]
	s_cbranch_execnz .LBB130_114
; %bb.96:
	s_or_b64 exec, exec, s[4:5]
	s_and_saveexec_b64 s[4:5], s[2:3]
	s_cbranch_execnz .LBB130_115
.LBB130_97:
	s_or_b64 exec, exec, s[4:5]
	s_and_saveexec_b64 s[4:5], s[46:47]
	s_cbranch_execnz .LBB130_116
.LBB130_98:
	s_or_b64 exec, exec, s[4:5]
	s_and_saveexec_b64 s[4:5], s[6:7]
	s_cbranch_execnz .LBB130_117
.LBB130_99:
	s_or_b64 exec, exec, s[4:5]
	s_and_saveexec_b64 s[4:5], s[8:9]
	s_cbranch_execnz .LBB130_118
.LBB130_100:
	s_or_b64 exec, exec, s[4:5]
	s_and_saveexec_b64 s[4:5], s[10:11]
	s_cbranch_execnz .LBB130_119
.LBB130_101:
	s_or_b64 exec, exec, s[4:5]
	s_and_saveexec_b64 s[4:5], s[12:13]
	s_cbranch_execnz .LBB130_120
.LBB130_102:
	s_or_b64 exec, exec, s[4:5]
	s_and_saveexec_b64 s[4:5], s[14:15]
	s_cbranch_execz .LBB130_104
.LBB130_103:
	s_mul_i32 s16, s50, 0xe00
	s_mov_b32 s17, 0
	s_lshl_b64 s[16:17], s[16:17], 2
	s_waitcnt lgkmcnt(1)
	v_mov_b32_e32 v3, s17
	v_add_co_u32_e32 v0, vcc, s16, v0
	v_addc_co_u32_e32 v1, vcc, v1, v3, vcc
	s_waitcnt lgkmcnt(0)
	global_store_dword v[0:1], v2, off
.LBB130_104:
	s_or_b64 exec, exec, s[4:5]
	s_waitcnt lgkmcnt(0)
	s_barrier
	ds_write2_b64 v86, v[18:19], v[20:21] offset1:1
	ds_write2_b64 v86, v[22:23], v[24:25] offset0:2 offset1:3
	ds_write2_b64 v86, v[26:27], v[28:29] offset0:4 offset1:5
	ds_write2_b64 v86, v[30:31], v[32:33] offset0:6 offset1:7
	s_waitcnt lgkmcnt(0)
	s_barrier
	ds_read_b64 v[14:15], v37 offset:4096
	ds_read_b64 v[12:13], v80 offset:8192
	;; [unrolled: 1-line block ×7, first 2 shown]
	v_mov_b32_e32 v37, 0
	v_lshlrev_b64 v[2:3], 3, v[36:37]
	v_mov_b32_e32 v16, s51
	v_add_co_u32_e32 v2, vcc, s49, v2
	v_addc_co_u32_e32 v3, vcc, v16, v3, vcc
	s_and_saveexec_b64 s[4:5], s[0:1]
	s_cbranch_execnz .LBB130_121
; %bb.105:
	s_or_b64 exec, exec, s[4:5]
	s_and_saveexec_b64 s[0:1], s[2:3]
	s_cbranch_execnz .LBB130_122
.LBB130_106:
	s_or_b64 exec, exec, s[0:1]
	s_and_saveexec_b64 s[0:1], s[46:47]
	s_cbranch_execnz .LBB130_123
.LBB130_107:
	s_or_b64 exec, exec, s[0:1]
	s_and_saveexec_b64 s[0:1], s[6:7]
	s_cbranch_execnz .LBB130_124
.LBB130_108:
	s_or_b64 exec, exec, s[0:1]
	s_and_saveexec_b64 s[0:1], s[8:9]
	s_cbranch_execnz .LBB130_125
.LBB130_109:
	s_or_b64 exec, exec, s[0:1]
	s_and_saveexec_b64 s[0:1], s[10:11]
	s_cbranch_execnz .LBB130_126
.LBB130_110:
	s_or_b64 exec, exec, s[0:1]
	s_and_saveexec_b64 s[0:1], s[12:13]
	s_cbranch_execnz .LBB130_127
.LBB130_111:
	s_or_b64 exec, exec, s[0:1]
	s_and_saveexec_b64 s[0:1], s[14:15]
	s_cbranch_execz .LBB130_113
.LBB130_112:
	s_mul_i32 s0, s52, 0xe00
	s_mov_b32 s1, 0
	s_lshl_b64 s[0:1], s[0:1], 3
	s_waitcnt lgkmcnt(1)
	v_mov_b32_e32 v4, s1
	v_add_co_u32_e32 v2, vcc, s0, v2
	v_addc_co_u32_e32 v3, vcc, v3, v4, vcc
	s_waitcnt lgkmcnt(0)
	global_store_dwordx2 v[2:3], v[0:1], off
.LBB130_113:
	s_endpgm
.LBB130_114:
	ds_read_b32 v9, v39
	s_waitcnt lgkmcnt(0)
	global_store_dword v[0:1], v9, off
	s_or_b64 exec, exec, s[4:5]
	s_and_saveexec_b64 s[4:5], s[2:3]
	s_cbranch_execz .LBB130_97
.LBB130_115:
	s_lshl_b32 s16, s50, 9
	s_mov_b32 s17, 0
	s_lshl_b64 s[16:17], s[16:17], 2
	v_mov_b32_e32 v9, s17
	v_add_co_u32_e32 v10, vcc, s16, v0
	v_addc_co_u32_e32 v11, vcc, v1, v9, vcc
	s_waitcnt lgkmcnt(6)
	global_store_dword v[10:11], v8, off
	s_or_b64 exec, exec, s[4:5]
	s_and_saveexec_b64 s[4:5], s[46:47]
	s_cbranch_execz .LBB130_98
.LBB130_116:
	s_lshl_b32 s16, s50, 10
	s_mov_b32 s17, 0
	s_lshl_b64 s[16:17], s[16:17], 2
	v_mov_b32_e32 v9, s17
	s_waitcnt lgkmcnt(6)
	v_add_co_u32_e32 v8, vcc, s16, v0
	v_addc_co_u32_e32 v9, vcc, v1, v9, vcc
	s_waitcnt lgkmcnt(5)
	global_store_dword v[8:9], v7, off
	s_or_b64 exec, exec, s[4:5]
	s_and_saveexec_b64 s[4:5], s[6:7]
	s_cbranch_execz .LBB130_99
.LBB130_117:
	s_mul_i32 s16, s50, 0x600
	s_mov_b32 s17, 0
	s_lshl_b64 s[16:17], s[16:17], 2
	s_waitcnt lgkmcnt(5)
	v_mov_b32_e32 v7, s17
	v_add_co_u32_e32 v8, vcc, s16, v0
	v_addc_co_u32_e32 v9, vcc, v1, v7, vcc
	s_waitcnt lgkmcnt(4)
	global_store_dword v[8:9], v6, off
	s_or_b64 exec, exec, s[4:5]
	s_and_saveexec_b64 s[4:5], s[8:9]
	s_cbranch_execz .LBB130_100
.LBB130_118:
	s_lshl_b32 s16, s50, 11
	s_mov_b32 s17, 0
	s_lshl_b64 s[16:17], s[16:17], 2
	s_waitcnt lgkmcnt(5)
	v_mov_b32_e32 v7, s17
	s_waitcnt lgkmcnt(4)
	v_add_co_u32_e32 v6, vcc, s16, v0
	v_addc_co_u32_e32 v7, vcc, v1, v7, vcc
	s_waitcnt lgkmcnt(3)
	global_store_dword v[6:7], v5, off
	s_or_b64 exec, exec, s[4:5]
	s_and_saveexec_b64 s[4:5], s[10:11]
	s_cbranch_execz .LBB130_101
.LBB130_119:
	s_mul_i32 s16, s50, 0xa00
	s_mov_b32 s17, 0
	s_lshl_b64 s[16:17], s[16:17], 2
	s_waitcnt lgkmcnt(3)
	v_mov_b32_e32 v5, s17
	v_add_co_u32_e32 v6, vcc, s16, v0
	v_addc_co_u32_e32 v7, vcc, v1, v5, vcc
	s_waitcnt lgkmcnt(2)
	global_store_dword v[6:7], v4, off
	s_or_b64 exec, exec, s[4:5]
	s_and_saveexec_b64 s[4:5], s[12:13]
	s_cbranch_execz .LBB130_102
.LBB130_120:
	s_mul_i32 s16, s50, 0xc00
	s_mov_b32 s17, 0
	s_lshl_b64 s[16:17], s[16:17], 2
	s_waitcnt lgkmcnt(3)
	v_mov_b32_e32 v5, s17
	s_waitcnt lgkmcnt(2)
	v_add_co_u32_e32 v4, vcc, s16, v0
	v_addc_co_u32_e32 v5, vcc, v1, v5, vcc
	s_waitcnt lgkmcnt(1)
	global_store_dword v[4:5], v3, off
	s_or_b64 exec, exec, s[4:5]
	s_and_saveexec_b64 s[4:5], s[14:15]
	s_cbranch_execnz .LBB130_103
	s_branch .LBB130_104
.LBB130_121:
	ds_read_b64 v[16:17], v79
	s_waitcnt lgkmcnt(0)
	global_store_dwordx2 v[2:3], v[16:17], off
	s_or_b64 exec, exec, s[4:5]
	s_and_saveexec_b64 s[0:1], s[2:3]
	s_cbranch_execz .LBB130_106
.LBB130_122:
	s_lshl_b32 s2, s52, 9
	s_mov_b32 s3, 0
	s_lshl_b64 s[2:3], s[2:3], 3
	v_mov_b32_e32 v17, s3
	v_add_co_u32_e32 v16, vcc, s2, v2
	v_addc_co_u32_e32 v17, vcc, v3, v17, vcc
	s_waitcnt lgkmcnt(6)
	global_store_dwordx2 v[16:17], v[14:15], off
	s_or_b64 exec, exec, s[0:1]
	s_and_saveexec_b64 s[0:1], s[46:47]
	s_cbranch_execz .LBB130_107
.LBB130_123:
	s_lshl_b32 s2, s52, 10
	s_mov_b32 s3, 0
	s_lshl_b64 s[2:3], s[2:3], 3
	s_waitcnt lgkmcnt(6)
	v_mov_b32_e32 v15, s3
	v_add_co_u32_e32 v14, vcc, s2, v2
	v_addc_co_u32_e32 v15, vcc, v3, v15, vcc
	s_waitcnt lgkmcnt(5)
	global_store_dwordx2 v[14:15], v[12:13], off
	s_or_b64 exec, exec, s[0:1]
	s_and_saveexec_b64 s[0:1], s[6:7]
	s_cbranch_execz .LBB130_108
.LBB130_124:
	s_mul_i32 s2, s52, 0x600
	s_mov_b32 s3, 0
	s_lshl_b64 s[2:3], s[2:3], 3
	s_waitcnt lgkmcnt(5)
	v_mov_b32_e32 v13, s3
	v_add_co_u32_e32 v12, vcc, s2, v2
	v_addc_co_u32_e32 v13, vcc, v3, v13, vcc
	s_waitcnt lgkmcnt(4)
	global_store_dwordx2 v[12:13], v[10:11], off
	s_or_b64 exec, exec, s[0:1]
	s_and_saveexec_b64 s[0:1], s[8:9]
	s_cbranch_execz .LBB130_109
.LBB130_125:
	s_lshl_b32 s2, s52, 11
	s_mov_b32 s3, 0
	s_lshl_b64 s[2:3], s[2:3], 3
	s_waitcnt lgkmcnt(4)
	v_mov_b32_e32 v11, s3
	v_add_co_u32_e32 v10, vcc, s2, v2
	v_addc_co_u32_e32 v11, vcc, v3, v11, vcc
	s_waitcnt lgkmcnt(3)
	global_store_dwordx2 v[10:11], v[8:9], off
	s_or_b64 exec, exec, s[0:1]
	s_and_saveexec_b64 s[0:1], s[10:11]
	s_cbranch_execz .LBB130_110
.LBB130_126:
	s_mul_i32 s2, s52, 0xa00
	s_mov_b32 s3, 0
	s_lshl_b64 s[2:3], s[2:3], 3
	s_waitcnt lgkmcnt(3)
	v_mov_b32_e32 v9, s3
	v_add_co_u32_e32 v8, vcc, s2, v2
	v_addc_co_u32_e32 v9, vcc, v3, v9, vcc
	s_waitcnt lgkmcnt(2)
	global_store_dwordx2 v[8:9], v[6:7], off
	s_or_b64 exec, exec, s[0:1]
	s_and_saveexec_b64 s[0:1], s[12:13]
	s_cbranch_execz .LBB130_111
.LBB130_127:
	s_mul_i32 s2, s52, 0xc00
	s_mov_b32 s3, 0
	s_lshl_b64 s[2:3], s[2:3], 3
	s_waitcnt lgkmcnt(2)
	v_mov_b32_e32 v7, s3
	v_add_co_u32_e32 v6, vcc, s2, v2
	v_addc_co_u32_e32 v7, vcc, v3, v7, vcc
	s_waitcnt lgkmcnt(1)
	global_store_dwordx2 v[6:7], v[4:5], off
	s_or_b64 exec, exec, s[0:1]
	s_and_saveexec_b64 s[0:1], s[14:15]
	s_cbranch_execnz .LBB130_112
	s_branch .LBB130_113
	.section	.rodata,"a",@progbits
	.p2align	6, 0x0
	.amdhsa_kernel _ZN2at6native18radixSortKVInPlaceILin1ELin1ELi512ELi8EiljEEvNS_4cuda6detail10TensorInfoIT3_T5_EES6_S6_S6_NS4_IT4_S6_EES6_b
		.amdhsa_group_segment_fixed_size 33792
		.amdhsa_private_segment_fixed_size 0
		.amdhsa_kernarg_size 712
		.amdhsa_user_sgpr_count 6
		.amdhsa_user_sgpr_private_segment_buffer 1
		.amdhsa_user_sgpr_dispatch_ptr 0
		.amdhsa_user_sgpr_queue_ptr 0
		.amdhsa_user_sgpr_kernarg_segment_ptr 1
		.amdhsa_user_sgpr_dispatch_id 0
		.amdhsa_user_sgpr_flat_scratch_init 0
		.amdhsa_user_sgpr_kernarg_preload_length 0
		.amdhsa_user_sgpr_kernarg_preload_offset 0
		.amdhsa_user_sgpr_private_segment_size 0
		.amdhsa_uses_dynamic_stack 0
		.amdhsa_system_sgpr_private_segment_wavefront_offset 0
		.amdhsa_system_sgpr_workgroup_id_x 1
		.amdhsa_system_sgpr_workgroup_id_y 1
		.amdhsa_system_sgpr_workgroup_id_z 1
		.amdhsa_system_sgpr_workgroup_info 0
		.amdhsa_system_vgpr_workitem_id 2
		.amdhsa_next_free_vgpr 128
		.amdhsa_next_free_sgpr 62
		.amdhsa_accum_offset 128
		.amdhsa_reserve_vcc 1
		.amdhsa_reserve_flat_scratch 0
		.amdhsa_float_round_mode_32 0
		.amdhsa_float_round_mode_16_64 0
		.amdhsa_float_denorm_mode_32 3
		.amdhsa_float_denorm_mode_16_64 3
		.amdhsa_dx10_clamp 1
		.amdhsa_ieee_mode 1
		.amdhsa_fp16_overflow 0
		.amdhsa_tg_split 0
		.amdhsa_exception_fp_ieee_invalid_op 0
		.amdhsa_exception_fp_denorm_src 0
		.amdhsa_exception_fp_ieee_div_zero 0
		.amdhsa_exception_fp_ieee_overflow 0
		.amdhsa_exception_fp_ieee_underflow 0
		.amdhsa_exception_fp_ieee_inexact 0
		.amdhsa_exception_int_div_zero 0
	.end_amdhsa_kernel
	.section	.text._ZN2at6native18radixSortKVInPlaceILin1ELin1ELi512ELi8EiljEEvNS_4cuda6detail10TensorInfoIT3_T5_EES6_S6_S6_NS4_IT4_S6_EES6_b,"axG",@progbits,_ZN2at6native18radixSortKVInPlaceILin1ELin1ELi512ELi8EiljEEvNS_4cuda6detail10TensorInfoIT3_T5_EES6_S6_S6_NS4_IT4_S6_EES6_b,comdat
.Lfunc_end130:
	.size	_ZN2at6native18radixSortKVInPlaceILin1ELin1ELi512ELi8EiljEEvNS_4cuda6detail10TensorInfoIT3_T5_EES6_S6_S6_NS4_IT4_S6_EES6_b, .Lfunc_end130-_ZN2at6native18radixSortKVInPlaceILin1ELin1ELi512ELi8EiljEEvNS_4cuda6detail10TensorInfoIT3_T5_EES6_S6_S6_NS4_IT4_S6_EES6_b
                                        ; -- End function
	.section	.AMDGPU.csdata,"",@progbits
; Kernel info:
; codeLenInByte = 13232
; NumSgprs: 66
; NumVgprs: 128
; NumAgprs: 0
; TotalNumVgprs: 128
; ScratchSize: 0
; MemoryBound: 0
; FloatMode: 240
; IeeeMode: 1
; LDSByteSize: 33792 bytes/workgroup (compile time only)
; SGPRBlocks: 8
; VGPRBlocks: 15
; NumSGPRsForWavesPerEU: 66
; NumVGPRsForWavesPerEU: 128
; AccumOffset: 128
; Occupancy: 2
; WaveLimiterHint : 1
; COMPUTE_PGM_RSRC2:SCRATCH_EN: 0
; COMPUTE_PGM_RSRC2:USER_SGPR: 6
; COMPUTE_PGM_RSRC2:TRAP_HANDLER: 0
; COMPUTE_PGM_RSRC2:TGID_X_EN: 1
; COMPUTE_PGM_RSRC2:TGID_Y_EN: 1
; COMPUTE_PGM_RSRC2:TGID_Z_EN: 1
; COMPUTE_PGM_RSRC2:TIDIG_COMP_CNT: 2
; COMPUTE_PGM_RSRC3_GFX90A:ACCUM_OFFSET: 31
; COMPUTE_PGM_RSRC3_GFX90A:TG_SPLIT: 0
	.section	.text._ZN2at6native18radixSortKVInPlaceILin1ELin1ELi256ELi8EiljEEvNS_4cuda6detail10TensorInfoIT3_T5_EES6_S6_S6_NS4_IT4_S6_EES6_b,"axG",@progbits,_ZN2at6native18radixSortKVInPlaceILin1ELin1ELi256ELi8EiljEEvNS_4cuda6detail10TensorInfoIT3_T5_EES6_S6_S6_NS4_IT4_S6_EES6_b,comdat
	.protected	_ZN2at6native18radixSortKVInPlaceILin1ELin1ELi256ELi8EiljEEvNS_4cuda6detail10TensorInfoIT3_T5_EES6_S6_S6_NS4_IT4_S6_EES6_b ; -- Begin function _ZN2at6native18radixSortKVInPlaceILin1ELin1ELi256ELi8EiljEEvNS_4cuda6detail10TensorInfoIT3_T5_EES6_S6_S6_NS4_IT4_S6_EES6_b
	.globl	_ZN2at6native18radixSortKVInPlaceILin1ELin1ELi256ELi8EiljEEvNS_4cuda6detail10TensorInfoIT3_T5_EES6_S6_S6_NS4_IT4_S6_EES6_b
	.p2align	8
	.type	_ZN2at6native18radixSortKVInPlaceILin1ELin1ELi256ELi8EiljEEvNS_4cuda6detail10TensorInfoIT3_T5_EES6_S6_S6_NS4_IT4_S6_EES6_b,@function
_ZN2at6native18radixSortKVInPlaceILin1ELin1ELi256ELi8EiljEEvNS_4cuda6detail10TensorInfoIT3_T5_EES6_S6_S6_NS4_IT4_S6_EES6_b: ; @_ZN2at6native18radixSortKVInPlaceILin1ELin1ELi256ELi8EiljEEvNS_4cuda6detail10TensorInfoIT3_T5_EES6_S6_S6_NS4_IT4_S6_EES6_b
; %bb.0:
	s_load_dwordx2 s[0:1], s[4:5], 0x1c8
	s_load_dwordx4 s[48:51], s[4:5], 0xd8
	s_add_u32 s52, s4, 0x1c8
	s_addc_u32 s53, s5, 0
	s_waitcnt lgkmcnt(0)
	s_mul_i32 s1, s1, s8
	s_add_i32 s1, s1, s7
	s_mul_i32 s0, s1, s0
	s_add_i32 s20, s0, s6
	s_cmp_ge_u32 s20, s48
	s_cbranch_scc1 .LBB131_113
; %bb.1:
	s_load_dword s2, s[4:5], 0xd0
	s_mov_b32 s1, 0
	s_mov_b32 s0, s20
	s_waitcnt lgkmcnt(0)
	s_cmp_lt_i32 s2, 2
	s_cbranch_scc1 .LBB131_4
; %bb.2:
	s_add_i32 s0, s2, -1
	s_add_i32 s6, s2, 1
	s_lshl_b64 s[2:3], s[0:1], 2
	s_add_u32 s0, s2, s4
	s_addc_u32 s3, s3, s5
	s_add_u32 s2, s0, 8
	s_addc_u32 s3, s3, 0
	s_mov_b32 s0, s20
.LBB131_3:                              ; =>This Inner Loop Header: Depth=1
	s_load_dword s7, s[2:3], 0x0
	s_load_dword s9, s[2:3], 0x64
	s_mov_b32 s8, s0
	s_waitcnt lgkmcnt(0)
	v_cvt_f32_u32_e32 v1, s7
	s_sub_i32 s0, 0, s7
	v_rcp_iflag_f32_e32 v1, v1
	v_mul_f32_e32 v1, 0x4f7ffffe, v1
	v_cvt_u32_f32_e32 v1, v1
	v_readfirstlane_b32 s10, v1
	s_mul_i32 s0, s0, s10
	s_mul_hi_u32 s0, s10, s0
	s_add_i32 s10, s10, s0
	s_mul_hi_u32 s0, s8, s10
	s_mul_i32 s10, s0, s7
	s_sub_i32 s10, s8, s10
	s_add_i32 s11, s0, 1
	s_sub_i32 s12, s10, s7
	s_cmp_ge_u32 s10, s7
	s_cselect_b32 s0, s11, s0
	s_cselect_b32 s10, s12, s10
	s_add_i32 s11, s0, 1
	s_cmp_ge_u32 s10, s7
	s_cselect_b32 s0, s11, s0
	s_mul_i32 s7, s0, s7
	s_sub_i32 s7, s8, s7
	s_mul_i32 s7, s9, s7
	s_add_i32 s6, s6, -1
	s_add_i32 s1, s7, s1
	s_add_u32 s2, s2, -4
	s_addc_u32 s3, s3, -1
	s_cmp_gt_u32 s6, 2
	s_cbranch_scc1 .LBB131_3
.LBB131_4:
	s_load_dword s2, s[4:5], 0x1b8
	s_mov_b32 s17, 0
	s_waitcnt lgkmcnt(0)
	s_cmp_lt_i32 s2, 2
	s_cbranch_scc1 .LBB131_7
; %bb.5:
	s_add_i32 s16, s2, -1
	s_add_i32 s6, s2, 1
	s_lshl_b64 s[2:3], s[16:17], 2
	s_add_u32 s2, s2, s4
	s_addc_u32 s3, s3, s5
	s_add_u32 s2, s2, 0xf0
	s_addc_u32 s3, s3, 0
.LBB131_6:                              ; =>This Inner Loop Header: Depth=1
	s_load_dword s7, s[2:3], 0x0
	s_load_dword s9, s[2:3], 0x64
	s_mov_b32 s8, s20
	s_waitcnt lgkmcnt(0)
	v_cvt_f32_u32_e32 v1, s7
	s_sub_i32 s10, 0, s7
	v_rcp_iflag_f32_e32 v1, v1
	v_mul_f32_e32 v1, 0x4f7ffffe, v1
	v_cvt_u32_f32_e32 v1, v1
	v_readfirstlane_b32 s11, v1
	s_mul_i32 s10, s10, s11
	s_mul_hi_u32 s10, s11, s10
	s_add_i32 s11, s11, s10
	s_mul_hi_u32 s10, s20, s11
	s_mul_i32 s11, s10, s7
	s_sub_i32 s11, s20, s11
	s_add_i32 s12, s10, 1
	s_sub_i32 s13, s11, s7
	s_cmp_ge_u32 s11, s7
	s_cselect_b32 s10, s12, s10
	s_cselect_b32 s11, s13, s11
	s_add_i32 s12, s10, 1
	s_cmp_ge_u32 s11, s7
	s_cselect_b32 s20, s12, s10
	s_mul_i32 s7, s20, s7
	s_sub_i32 s7, s8, s7
	s_mul_i32 s7, s9, s7
	s_add_i32 s6, s6, -1
	s_add_i32 s17, s7, s17
	s_add_u32 s2, s2, -4
	s_addc_u32 s3, s3, -1
	s_cmp_gt_u32 s6, 2
	s_cbranch_scc1 .LBB131_6
.LBB131_7:
	s_load_dword s2, s[4:5], 0x6c
	s_load_dwordx2 s[46:47], s[4:5], 0x1c0
	s_brev_b32 s8, 1
	v_and_b32_e32 v38, 0x3ff, v0
	v_mul_lo_u32 v34, v38, s50
	s_waitcnt lgkmcnt(0)
	s_mul_i32 s0, s2, s0
	s_add_i32 s0, s0, s1
	s_load_dwordx2 s[2:3], s[4:5], 0x0
	s_bitcmp1_b32 s47, 0
	s_cselect_b64 s[34:35], -1, 0
	s_and_b64 s[6:7], s[34:35], exec
	s_cselect_b32 s8, s8, 0x7fffffff
	s_mov_b32 s1, 0
	s_lshl_b64 s[0:1], s[0:1], 2
	s_mov_b32 s9, s8
	s_waitcnt lgkmcnt(0)
	s_add_u32 s33, s2, s0
	s_mov_b32 s10, s8
	s_mov_b32 s11, s8
	;; [unrolled: 1-line block ×6, first 2 shown]
	v_pk_mov_b32 v[2:3], s[8:9], s[8:9] op_sel:[0,1]
	s_addc_u32 s47, s3, s1
	v_cmp_gt_u32_e64 s[0:1], s49, v38
	v_pk_mov_b32 v[4:5], s[10:11], s[10:11] op_sel:[0,1]
	v_pk_mov_b32 v[6:7], s[12:13], s[12:13] op_sel:[0,1]
	;; [unrolled: 1-line block ×3, first 2 shown]
	v_mov_b32_e32 v10, s8
	s_and_saveexec_b64 s[2:3], s[0:1]
	s_cbranch_execz .LBB131_9
; %bb.8:
	v_mov_b32_e32 v35, 0
	v_lshlrev_b64 v[2:3], 2, v[34:35]
	v_mov_b32_e32 v1, s47
	v_add_co_u32_e32 v2, vcc, s33, v2
	v_addc_co_u32_e32 v3, vcc, v1, v3, vcc
	global_load_dword v10, v[2:3], off
	v_pk_mov_b32 v[2:3], s[8:9], s[8:9] op_sel:[0,1]
	v_pk_mov_b32 v[4:5], s[10:11], s[10:11] op_sel:[0,1]
	;; [unrolled: 1-line block ×4, first 2 shown]
                                        ; kill: def $vgpr2 killed $vgpr10 killed $exec
.LBB131_9:
	s_or_b64 exec, exec, s[2:3]
	v_add_u32_e32 v30, 0x100, v38
	v_cmp_gt_u32_e64 s[2:3], s49, v30
	s_and_saveexec_b64 s[6:7], s[2:3]
	s_cbranch_execz .LBB131_11
; %bb.10:
	v_mul_lo_u32 v2, v30, s50
	v_mov_b32_e32 v3, 0
	v_lshlrev_b64 v[2:3], 2, v[2:3]
	v_mov_b32_e32 v1, s47
	v_add_co_u32_e32 v2, vcc, s33, v2
	v_addc_co_u32_e32 v3, vcc, v1, v3, vcc
	global_load_dword v3, v[2:3], off
.LBB131_11:
	s_or_b64 exec, exec, s[6:7]
	v_add_u32_e32 v28, 0x200, v38
	v_cmp_gt_u32_e64 s[44:45], s49, v28
	s_and_saveexec_b64 s[6:7], s[44:45]
	s_cbranch_execz .LBB131_13
; %bb.12:
	v_mul_lo_u32 v12, v28, s50
	v_mov_b32_e32 v13, 0
	v_lshlrev_b64 v[12:13], 2, v[12:13]
	v_mov_b32_e32 v1, s47
	v_add_co_u32_e32 v12, vcc, s33, v12
	v_addc_co_u32_e32 v13, vcc, v1, v13, vcc
	global_load_dword v4, v[12:13], off
.LBB131_13:
	;; [unrolled: 14-line block ×3, first 2 shown]
	s_or_b64 exec, exec, s[8:9]
	v_or_b32_e32 v24, 0x400, v38
	v_cmp_gt_u32_e64 s[8:9], s49, v24
	s_and_saveexec_b64 s[10:11], s[8:9]
	s_cbranch_execz .LBB131_17
; %bb.16:
	v_mul_lo_u32 v12, v24, s50
	v_mov_b32_e32 v13, 0
	v_lshlrev_b64 v[12:13], 2, v[12:13]
	v_mov_b32_e32 v1, s47
	v_add_co_u32_e32 v12, vcc, s33, v12
	v_addc_co_u32_e32 v13, vcc, v1, v13, vcc
	global_load_dword v6, v[12:13], off
.LBB131_17:
	s_or_b64 exec, exec, s[10:11]
	v_add_u32_e32 v21, 0x500, v38
	v_cmp_gt_u32_e64 s[10:11], s49, v21
	s_and_saveexec_b64 s[12:13], s[10:11]
	s_cbranch_execz .LBB131_19
; %bb.18:
	v_mul_lo_u32 v12, v21, s50
	v_mov_b32_e32 v13, 0
	v_lshlrev_b64 v[12:13], 2, v[12:13]
	v_mov_b32_e32 v1, s47
	v_add_co_u32_e32 v12, vcc, s33, v12
	v_addc_co_u32_e32 v13, vcc, v1, v13, vcc
	global_load_dword v7, v[12:13], off
.LBB131_19:
	s_or_b64 exec, exec, s[12:13]
	s_load_dwordx2 s[18:19], s[4:5], 0xe8
	v_add_u32_e32 v19, 0x600, v38
	v_cmp_gt_u32_e64 s[12:13], s49, v19
	s_and_saveexec_b64 s[14:15], s[12:13]
	s_cbranch_execz .LBB131_21
; %bb.20:
	v_mul_lo_u32 v12, v19, s50
	v_mov_b32_e32 v13, 0
	v_lshlrev_b64 v[12:13], 2, v[12:13]
	v_mov_b32_e32 v1, s47
	v_add_co_u32_e32 v12, vcc, s33, v12
	v_addc_co_u32_e32 v13, vcc, v1, v13, vcc
	global_load_dword v8, v[12:13], off
.LBB131_21:
	s_or_b64 exec, exec, s[14:15]
	s_load_dword s16, s[4:5], 0x154
	v_add_u32_e32 v1, 0x700, v38
	v_cmp_gt_u32_e64 s[14:15], s49, v1
	s_and_saveexec_b64 s[4:5], s[14:15]
	s_cbranch_execz .LBB131_23
; %bb.22:
	v_mul_lo_u32 v12, v1, s50
	v_mov_b32_e32 v13, 0
	v_lshlrev_b64 v[12:13], 2, v[12:13]
	v_mov_b32_e32 v2, s47
	v_add_co_u32_e32 v12, vcc, s33, v12
	v_addc_co_u32_e32 v13, vcc, v2, v13, vcc
	global_load_dword v9, v[12:13], off
.LBB131_23:
	s_or_b64 exec, exec, s[4:5]
	v_lshrrev_b32_e32 v2, 5, v38
	v_add_u32_e32 v32, v2, v38
	v_lshrrev_b32_e32 v2, 5, v30
	v_add_u32_e32 v31, v2, v38
	;; [unrolled: 2-line block ×8, first 2 shown]
	v_lshlrev_b32_e32 v87, 3, v38
	v_lshrrev_b32_e32 v2, 2, v38
	v_add_u32_e32 v22, v2, v87
	v_lshlrev_b32_e32 v39, 2, v32
	v_lshlrev_b32_e32 v35, 2, v31
	;; [unrolled: 1-line block ×9, first 2 shown]
	s_waitcnt vmcnt(0)
	ds_write_b32 v39, v10
	ds_write_b32 v35, v3 offset:1024
	ds_write_b32 v72, v4 offset:2048
	;; [unrolled: 1-line block ×7, first 2 shown]
	s_waitcnt lgkmcnt(0)
	s_barrier
	ds_read2_b32 v[46:47], v78 offset1:1
	ds_read2_b32 v[44:45], v78 offset0:2 offset1:3
	ds_read2_b32 v[42:43], v78 offset0:4 offset1:5
	;; [unrolled: 1-line block ×3, first 2 shown]
	s_mul_i32 s4, s16, s20
	s_add_i32 s16, s4, s17
	s_mov_b32 s17, 0
	s_lshl_b64 s[4:5], s[16:17], 3
	s_add_u32 s48, s18, s4
	s_mov_b32 s16, s17
	s_addc_u32 s49, s19, s5
	s_mov_b32 s18, s17
	s_mov_b32 s19, s17
	;; [unrolled: 1-line block ×14, first 2 shown]
	v_pk_mov_b32 v[2:3], s[16:17], s[16:17] op_sel:[0,1]
	v_pk_mov_b32 v[4:5], s[18:19], s[18:19] op_sel:[0,1]
	;; [unrolled: 1-line block ×8, first 2 shown]
	v_pk_mov_b32 v[2:3], 0, 0
	v_mul_lo_u32 v36, v38, s46
	s_waitcnt lgkmcnt(0)
	s_barrier
	s_and_saveexec_b64 s[4:5], s[0:1]
	s_cbranch_execnz .LBB131_60
; %bb.24:
	s_or_b64 exec, exec, s[4:5]
	s_and_saveexec_b64 s[4:5], s[2:3]
	s_cbranch_execnz .LBB131_61
.LBB131_25:
	s_or_b64 exec, exec, s[4:5]
	s_and_saveexec_b64 s[4:5], s[44:45]
	s_cbranch_execnz .LBB131_62
.LBB131_26:
	s_or_b64 exec, exec, s[4:5]
	s_and_saveexec_b64 s[4:5], s[6:7]
	s_cbranch_execnz .LBB131_63
.LBB131_27:
	s_or_b64 exec, exec, s[4:5]
	s_and_saveexec_b64 s[4:5], s[8:9]
	s_cbranch_execnz .LBB131_64
.LBB131_28:
	s_or_b64 exec, exec, s[4:5]
	s_and_saveexec_b64 s[4:5], s[10:11]
	s_cbranch_execnz .LBB131_65
.LBB131_29:
	s_or_b64 exec, exec, s[4:5]
	s_and_saveexec_b64 s[4:5], s[12:13]
	s_cbranch_execnz .LBB131_66
.LBB131_30:
	s_or_b64 exec, exec, s[4:5]
	s_xor_b64 s[4:5], s[34:35], -1
	s_and_saveexec_b64 s[16:17], s[14:15]
	s_cbranch_execz .LBB131_32
.LBB131_31:
	v_mul_lo_u32 v16, v1, s46
	v_mov_b32_e32 v17, 0
	v_lshlrev_b64 v[16:17], 3, v[16:17]
	v_mov_b32_e32 v1, s49
	v_add_co_u32_e32 v16, vcc, s48, v16
	v_addc_co_u32_e32 v17, vcc, v1, v17, vcc
	global_load_dwordx2 v[16:17], v[16:17], off
.LBB131_32:
	s_or_b64 exec, exec, s[16:17]
	v_lshlrev_b32_e32 v79, 3, v32
	v_lshlrev_b32_e32 v37, 3, v31
	;; [unrolled: 1-line block ×9, first 2 shown]
	s_waitcnt vmcnt(0)
	ds_write_b64 v79, v[2:3]
	ds_write_b64 v37, v[4:5] offset:2048
	ds_write_b64 v80, v[6:7] offset:4096
	ds_write_b64 v81, v[8:9] offset:6144
	ds_write_b64 v82, v[10:11] offset:8192
	ds_write_b64 v83, v[12:13] offset:10240
	ds_write_b64 v84, v[14:15] offset:12288
	ds_write_b64 v85, v[16:17] offset:14336
	s_waitcnt lgkmcnt(0)
	s_barrier
	ds_read2_b64 v[14:17], v86 offset1:1
	ds_read2_b64 v[10:13], v86 offset0:2 offset1:3
	ds_read2_b64 v[6:9], v86 offset0:4 offset1:5
	;; [unrolled: 1-line block ×3, first 2 shown]
	v_mbcnt_lo_u32_b32 v1, -1, 0
	v_mbcnt_hi_u32_b32 v90, -1, v1
	v_and_b32_e32 v91, 0x3c0, v38
	v_add_u32_e32 v1, v90, v91
	v_lshlrev_b32_e32 v18, 3, v1
	v_lshlrev_b32_e32 v104, 5, v1
	v_and_b32_e32 v1, 0x1e00, v87
	v_or_b32_e32 v19, v90, v1
	s_mov_b32 s51, 0
	v_lshlrev_b32_e32 v103, 2, v19
	s_and_b64 vcc, exec, s[4:5]
	v_bfe_u32 v99, v0, 10, 10
	v_bfe_u32 v100, v0, 20, 10
	v_lshlrev_b32_e32 v102, 3, v18
	v_lshlrev_b32_e32 v101, 3, v19
	;; [unrolled: 1-line block ×4, first 2 shown]
	v_and_b32_e32 v97, 15, v90
	v_and_b32_e32 v98, 16, v90
	v_cmp_lt_u32_e64 s[16:17], 31, v90
	v_cmp_gt_u32_e64 s[18:19], 4, v38
	v_cmp_lt_u32_e64 s[20:21], 63, v38
	v_add_u32_e32 v94, -1, v90
	v_and_b32_e32 v96, 64, v90
	v_cmp_eq_u32_e64 s[22:23], 0, v90
	v_cmp_eq_u32_e64 s[24:25], 0, v38
	v_lshrrev_b32_e32 v95, 4, v38
	v_and_b32_e32 v93, 3, v90
	v_and_or_b32 v92, v90, 63, v1
	s_waitcnt lgkmcnt(0)
	s_barrier
	s_cbranch_vccz .LBB131_67
; %bb.33:
	v_xor_b32_e32 v0, 0x80000000, v47
	v_xor_b32_e32 v1, 0x80000000, v46
	;; [unrolled: 1-line block ×8, first 2 shown]
	ds_write2_b32 v104, v1, v0 offset1:1
	ds_write2_b32 v104, v19, v18 offset0:2 offset1:3
	ds_write2_b32 v104, v21, v20 offset0:4 offset1:5
	;; [unrolled: 1-line block ×3, first 2 shown]
	; wave barrier
	ds_read2st64_b32 v[64:65], v103 offset1:1
	ds_read2st64_b32 v[66:67], v103 offset0:2 offset1:3
	ds_read2st64_b32 v[68:69], v103 offset0:4 offset1:5
	;; [unrolled: 1-line block ×3, first 2 shown]
	s_waitcnt lgkmcnt(0)
	s_barrier
	ds_write2_b64 v102, v[14:15], v[16:17] offset1:1
	ds_write2_b64 v102, v[10:11], v[12:13] offset0:2 offset1:3
	ds_write2_b64 v102, v[6:7], v[8:9] offset0:4 offset1:5
	;; [unrolled: 1-line block ×3, first 2 shown]
	; wave barrier
	ds_read2st64_b64 v[18:21], v101 offset1:1
	ds_read2st64_b64 v[22:25], v101 offset0:2 offset1:3
	ds_read2st64_b64 v[26:29], v101 offset0:4 offset1:5
	;; [unrolled: 1-line block ×3, first 2 shown]
	s_waitcnt lgkmcnt(0)
	s_barrier
	s_load_dword s26, s[52:53], 0xc
	s_getpc_b64 s[4:5]
	s_add_u32 s4, s4, _ZN7rocprim17ROCPRIM_400000_NS16block_radix_sortIiLj256ELj8ElLj1ELj1ELj0ELNS0_26block_radix_rank_algorithmE1ELNS0_18block_padding_hintE2ELNS0_4arch9wavefront6targetE1EE19radix_bits_per_passE@rel32@lo+4
	s_addc_u32 s5, s5, _ZN7rocprim17ROCPRIM_400000_NS16block_radix_sortIiLj256ELj8ElLj1ELj1ELj0ELNS0_26block_radix_rank_algorithmE1ELNS0_18block_padding_hintE2ELNS0_4arch9wavefront6targetE1EE19radix_bits_per_passE@rel32@hi+12
	s_load_dword s54, s[4:5], 0x0
	v_cmp_lt_i32_e32 vcc, v94, v96
	v_and_b32_e32 v108, 60, v95
	s_waitcnt lgkmcnt(0)
	s_lshr_b32 s4, s26, 16
	s_and_b32 s5, s26, 0xffff
	v_mad_u32_u24 v0, v100, s4, v99
	v_mad_u64_u32 v[0:1], s[4:5], v0, s5, v[38:39]
	v_lshrrev_b32_e32 v106, 6, v0
	v_min_u32_e32 v0, 0xc0, v91
	v_or_b32_e32 v0, 63, v0
	v_cmp_eq_u32_e64 s[38:39], v0, v38
	v_cndmask_b32_e32 v0, v94, v90, vcc
	v_add_u32_e32 v105, 16, v89
	v_cmp_eq_u32_e64 s[26:27], 0, v97
	v_cmp_lt_u32_e64 s[28:29], 1, v97
	v_cmp_lt_u32_e64 s[30:31], 3, v97
	;; [unrolled: 1-line block ×3, first 2 shown]
	v_cmp_eq_u32_e64 s[36:37], 0, v98
	v_lshlrev_b32_e32 v107, 2, v0
	v_cmp_eq_u32_e64 s[40:41], 0, v93
	v_cmp_lt_u32_e64 s[42:43], 1, v93
	v_add_u32_e32 v109, -4, v108
	v_lshlrev_b32_e32 v110, 2, v92
	v_lshlrev_b32_e32 v111, 3, v92
	s_mov_b32 s55, 32
	v_mov_b32_e32 v62, 0
	s_branch .LBB131_35
.LBB131_34:                             ;   in Loop: Header=BB131_35 Depth=1
	v_lshlrev_b32_e32 v18, 2, v63
	s_barrier
	ds_write_b32 v18, v119
	v_lshlrev_b32_e32 v18, 2, v121
	ds_write_b32 v18, v118
	v_lshlrev_b32_e32 v18, 2, v122
	;; [unrolled: 2-line block ×8, first 2 shown]
	s_waitcnt lgkmcnt(0)
	s_barrier
	ds_read2st64_b32 v[64:65], v110 offset1:1
	ds_read2st64_b32 v[66:67], v110 offset0:2 offset1:3
	ds_read2st64_b32 v[68:69], v110 offset0:4 offset1:5
	;; [unrolled: 1-line block ×3, first 2 shown]
	s_waitcnt lgkmcnt(0)
	s_barrier
	ds_write_b64 v18, v[60:61]
	v_lshlrev_b32_e32 v18, 3, v121
	ds_write_b64 v18, v[58:59]
	v_lshlrev_b32_e32 v18, 3, v122
	;; [unrolled: 2-line block ×7, first 2 shown]
	ds_write_b64 v18, v[0:1]
	s_waitcnt lgkmcnt(0)
	s_barrier
	ds_read2st64_b64 v[18:21], v111 offset1:1
	ds_read2st64_b64 v[22:25], v111 offset0:2 offset1:3
	ds_read2st64_b64 v[26:29], v111 offset0:4 offset1:5
	;; [unrolled: 1-line block ×3, first 2 shown]
	s_add_i32 s51, s51, 8
	s_add_i32 s55, s55, -8
	s_waitcnt lgkmcnt(0)
	s_barrier
	s_cbranch_execz .LBB131_59
.LBB131_35:                             ; =>This Inner Loop Header: Depth=1
	s_min_u32 s4, s54, s55
	v_mov_b32_e32 v119, v64
	s_lshl_b32 s4, -1, s4
	v_pk_mov_b32 v[60:61], v[18:19], v[18:19] op_sel:[0,1]
	s_not_b32 s56, s4
	v_lshrrev_b32_e32 v18, s51, v119
	v_and_b32_e32 v18, s56, v18
	v_lshl_add_u32 v19, v18, 2, v106
	v_pk_mov_b32 v[56:57], v[22:23], v[22:23] op_sel:[0,1]
	v_lshl_add_u32 v22, v19, 2, 16
	v_and_b32_e32 v19, 1, v18
	v_pk_mov_b32 v[58:59], v[20:21], v[20:21] op_sel:[0,1]
	v_add_co_u32_e32 v20, vcc, -1, v19
	v_addc_co_u32_e64 v21, s[4:5], 0, -1, vcc
	v_cmp_ne_u32_e32 vcc, 0, v19
	v_lshlrev_b32_e32 v63, 30, v18
	v_xor_b32_e32 v19, vcc_hi, v21
	v_not_b32_e32 v21, v63
	v_xor_b32_e32 v20, vcc_lo, v20
	v_cmp_gt_i64_e32 vcc, 0, v[62:63]
	v_ashrrev_i32_e32 v21, 31, v21
	v_and_b32_e32 v20, exec_lo, v20
	v_xor_b32_e32 v23, vcc_hi, v21
	v_xor_b32_e32 v21, vcc_lo, v21
	v_lshlrev_b32_e32 v63, 29, v18
	v_and_b32_e32 v20, v20, v21
	v_not_b32_e32 v21, v63
	v_and_b32_e32 v19, exec_hi, v19
	v_cmp_gt_i64_e32 vcc, 0, v[62:63]
	v_ashrrev_i32_e32 v21, 31, v21
	v_and_b32_e32 v19, v19, v23
	v_xor_b32_e32 v23, vcc_hi, v21
	v_xor_b32_e32 v21, vcc_lo, v21
	v_lshlrev_b32_e32 v63, 28, v18
	v_and_b32_e32 v20, v20, v21
	v_not_b32_e32 v21, v63
	v_cmp_gt_i64_e32 vcc, 0, v[62:63]
	v_ashrrev_i32_e32 v21, 31, v21
	v_and_b32_e32 v19, v19, v23
	v_xor_b32_e32 v23, vcc_hi, v21
	v_xor_b32_e32 v21, vcc_lo, v21
	v_lshlrev_b32_e32 v63, 27, v18
	v_and_b32_e32 v20, v20, v21
	v_not_b32_e32 v21, v63
	;; [unrolled: 8-line block ×3, first 2 shown]
	v_cmp_gt_i64_e32 vcc, 0, v[62:63]
	v_ashrrev_i32_e32 v21, 31, v21
	v_and_b32_e32 v19, v19, v23
	v_xor_b32_e32 v23, vcc_hi, v21
	v_xor_b32_e32 v21, vcc_lo, v21
	v_lshlrev_b32_e32 v63, 25, v18
	v_and_b32_e32 v20, v20, v21
	v_cmp_gt_i64_e32 vcc, 0, v[62:63]
	v_not_b32_e32 v21, v63
	v_lshlrev_b32_e32 v63, 24, v18
	v_ashrrev_i32_e32 v21, 31, v21
	v_not_b32_e32 v18, v63
	v_and_b32_e32 v19, v19, v23
	v_xor_b32_e32 v23, vcc_hi, v21
	v_xor_b32_e32 v21, vcc_lo, v21
	v_cmp_gt_i64_e32 vcc, 0, v[62:63]
	v_ashrrev_i32_e32 v18, 31, v18
	v_and_b32_e32 v20, v20, v21
	v_xor_b32_e32 v21, vcc_hi, v18
	v_xor_b32_e32 v18, vcc_lo, v18
	v_and_b32_e32 v19, v19, v23
	v_and_b32_e32 v18, v20, v18
	;; [unrolled: 1-line block ×3, first 2 shown]
	v_mbcnt_lo_u32_b32 v20, v18, 0
	v_mbcnt_hi_u32_b32 v23, v19, v20
	v_cmp_eq_u32_e32 vcc, 0, v23
	v_cmp_ne_u64_e64 s[4:5], 0, v[18:19]
	v_mov_b32_e32 v112, v71
	v_mov_b32_e32 v113, v70
	;; [unrolled: 1-line block ×7, first 2 shown]
	v_pk_mov_b32 v[0:1], v[32:33], v[32:33] op_sel:[0,1]
	v_pk_mov_b32 v[48:49], v[30:31], v[30:31] op_sel:[0,1]
	;; [unrolled: 1-line block ×5, first 2 shown]
	s_and_b64 s[58:59], s[4:5], vcc
	ds_write2_b32 v89, v62, v62 offset0:4 offset1:5
	ds_write2_b32 v105, v62, v62 offset0:2 offset1:3
	s_waitcnt lgkmcnt(0)
	s_barrier
	s_waitcnt lgkmcnt(0)
	; wave barrier
	s_and_saveexec_b64 s[4:5], s[58:59]
	s_cbranch_execz .LBB131_37
; %bb.36:                               ;   in Loop: Header=BB131_35 Depth=1
	v_bcnt_u32_b32 v18, v18, 0
	v_bcnt_u32_b32 v18, v19, v18
	ds_write_b32 v22, v18
.LBB131_37:                             ;   in Loop: Header=BB131_35 Depth=1
	s_or_b64 exec, exec, s[4:5]
	v_lshrrev_b32_e32 v18, s51, v118
	v_and_b32_e32 v18, s56, v18
	v_lshlrev_b32_e32 v19, 2, v18
	v_add_lshl_u32 v19, v19, v106, 2
	; wave barrier
	v_add_u32_e32 v25, 16, v19
	ds_read_b32 v24, v19 offset:16
	v_and_b32_e32 v19, 1, v18
	v_add_co_u32_e32 v20, vcc, -1, v19
	v_addc_co_u32_e64 v21, s[4:5], 0, -1, vcc
	v_cmp_ne_u32_e32 vcc, 0, v19
	v_lshlrev_b32_e32 v63, 30, v18
	v_xor_b32_e32 v19, vcc_hi, v21
	v_not_b32_e32 v21, v63
	v_xor_b32_e32 v20, vcc_lo, v20
	v_cmp_gt_i64_e32 vcc, 0, v[62:63]
	v_ashrrev_i32_e32 v21, 31, v21
	v_and_b32_e32 v20, exec_lo, v20
	v_xor_b32_e32 v26, vcc_hi, v21
	v_xor_b32_e32 v21, vcc_lo, v21
	v_lshlrev_b32_e32 v63, 29, v18
	v_and_b32_e32 v20, v20, v21
	v_not_b32_e32 v21, v63
	v_and_b32_e32 v19, exec_hi, v19
	v_cmp_gt_i64_e32 vcc, 0, v[62:63]
	v_ashrrev_i32_e32 v21, 31, v21
	v_and_b32_e32 v19, v19, v26
	v_xor_b32_e32 v26, vcc_hi, v21
	v_xor_b32_e32 v21, vcc_lo, v21
	v_lshlrev_b32_e32 v63, 28, v18
	v_and_b32_e32 v20, v20, v21
	v_not_b32_e32 v21, v63
	v_cmp_gt_i64_e32 vcc, 0, v[62:63]
	v_ashrrev_i32_e32 v21, 31, v21
	v_and_b32_e32 v19, v19, v26
	v_xor_b32_e32 v26, vcc_hi, v21
	v_xor_b32_e32 v21, vcc_lo, v21
	v_lshlrev_b32_e32 v63, 27, v18
	v_and_b32_e32 v20, v20, v21
	v_not_b32_e32 v21, v63
	v_cmp_gt_i64_e32 vcc, 0, v[62:63]
	v_ashrrev_i32_e32 v21, 31, v21
	v_and_b32_e32 v19, v19, v26
	v_xor_b32_e32 v26, vcc_hi, v21
	v_xor_b32_e32 v21, vcc_lo, v21
	v_lshlrev_b32_e32 v63, 26, v18
	v_and_b32_e32 v20, v20, v21
	v_not_b32_e32 v21, v63
	v_cmp_gt_i64_e32 vcc, 0, v[62:63]
	v_ashrrev_i32_e32 v21, 31, v21
	v_and_b32_e32 v19, v19, v26
	v_xor_b32_e32 v26, vcc_hi, v21
	v_xor_b32_e32 v21, vcc_lo, v21
	v_lshlrev_b32_e32 v63, 25, v18
	v_and_b32_e32 v20, v20, v21
	v_cmp_gt_i64_e32 vcc, 0, v[62:63]
	v_not_b32_e32 v21, v63
	v_lshlrev_b32_e32 v63, 24, v18
	v_ashrrev_i32_e32 v21, 31, v21
	v_not_b32_e32 v18, v63
	v_and_b32_e32 v19, v19, v26
	v_xor_b32_e32 v26, vcc_hi, v21
	v_xor_b32_e32 v21, vcc_lo, v21
	v_cmp_gt_i64_e32 vcc, 0, v[62:63]
	v_ashrrev_i32_e32 v18, 31, v18
	v_and_b32_e32 v20, v20, v21
	v_xor_b32_e32 v21, vcc_hi, v18
	v_xor_b32_e32 v18, vcc_lo, v18
	v_and_b32_e32 v19, v19, v26
	v_and_b32_e32 v18, v20, v18
	;; [unrolled: 1-line block ×3, first 2 shown]
	v_mbcnt_lo_u32_b32 v20, v18, 0
	v_mbcnt_hi_u32_b32 v26, v19, v20
	v_cmp_eq_u32_e32 vcc, 0, v26
	v_cmp_ne_u64_e64 s[4:5], 0, v[18:19]
	s_and_b64 s[58:59], s[4:5], vcc
	; wave barrier
	s_and_saveexec_b64 s[4:5], s[58:59]
	s_cbranch_execz .LBB131_39
; %bb.38:                               ;   in Loop: Header=BB131_35 Depth=1
	v_bcnt_u32_b32 v18, v18, 0
	v_bcnt_u32_b32 v18, v19, v18
	s_waitcnt lgkmcnt(0)
	v_add_u32_e32 v18, v24, v18
	ds_write_b32 v25, v18
.LBB131_39:                             ;   in Loop: Header=BB131_35 Depth=1
	s_or_b64 exec, exec, s[4:5]
	v_lshrrev_b32_e32 v18, s51, v117
	v_and_b32_e32 v18, s56, v18
	v_lshlrev_b32_e32 v19, 2, v18
	v_add_lshl_u32 v19, v19, v106, 2
	; wave barrier
	v_add_u32_e32 v28, 16, v19
	ds_read_b32 v27, v19 offset:16
	v_and_b32_e32 v19, 1, v18
	v_add_co_u32_e32 v20, vcc, -1, v19
	v_addc_co_u32_e64 v21, s[4:5], 0, -1, vcc
	v_cmp_ne_u32_e32 vcc, 0, v19
	v_lshlrev_b32_e32 v63, 30, v18
	v_xor_b32_e32 v19, vcc_hi, v21
	v_not_b32_e32 v21, v63
	v_xor_b32_e32 v20, vcc_lo, v20
	v_cmp_gt_i64_e32 vcc, 0, v[62:63]
	v_ashrrev_i32_e32 v21, 31, v21
	v_and_b32_e32 v20, exec_lo, v20
	v_xor_b32_e32 v29, vcc_hi, v21
	v_xor_b32_e32 v21, vcc_lo, v21
	v_lshlrev_b32_e32 v63, 29, v18
	v_and_b32_e32 v20, v20, v21
	v_not_b32_e32 v21, v63
	v_and_b32_e32 v19, exec_hi, v19
	v_cmp_gt_i64_e32 vcc, 0, v[62:63]
	v_ashrrev_i32_e32 v21, 31, v21
	v_and_b32_e32 v19, v19, v29
	v_xor_b32_e32 v29, vcc_hi, v21
	v_xor_b32_e32 v21, vcc_lo, v21
	v_lshlrev_b32_e32 v63, 28, v18
	v_and_b32_e32 v20, v20, v21
	v_not_b32_e32 v21, v63
	v_cmp_gt_i64_e32 vcc, 0, v[62:63]
	v_ashrrev_i32_e32 v21, 31, v21
	v_and_b32_e32 v19, v19, v29
	v_xor_b32_e32 v29, vcc_hi, v21
	v_xor_b32_e32 v21, vcc_lo, v21
	v_lshlrev_b32_e32 v63, 27, v18
	v_and_b32_e32 v20, v20, v21
	v_not_b32_e32 v21, v63
	;; [unrolled: 8-line block ×3, first 2 shown]
	v_cmp_gt_i64_e32 vcc, 0, v[62:63]
	v_ashrrev_i32_e32 v21, 31, v21
	v_and_b32_e32 v19, v19, v29
	v_xor_b32_e32 v29, vcc_hi, v21
	v_xor_b32_e32 v21, vcc_lo, v21
	v_lshlrev_b32_e32 v63, 25, v18
	v_and_b32_e32 v20, v20, v21
	v_cmp_gt_i64_e32 vcc, 0, v[62:63]
	v_not_b32_e32 v21, v63
	v_lshlrev_b32_e32 v63, 24, v18
	v_ashrrev_i32_e32 v21, 31, v21
	v_not_b32_e32 v18, v63
	v_and_b32_e32 v19, v19, v29
	v_xor_b32_e32 v29, vcc_hi, v21
	v_xor_b32_e32 v21, vcc_lo, v21
	v_cmp_gt_i64_e32 vcc, 0, v[62:63]
	v_ashrrev_i32_e32 v18, 31, v18
	v_and_b32_e32 v20, v20, v21
	v_xor_b32_e32 v21, vcc_hi, v18
	v_xor_b32_e32 v18, vcc_lo, v18
	v_and_b32_e32 v19, v19, v29
	v_and_b32_e32 v18, v20, v18
	;; [unrolled: 1-line block ×3, first 2 shown]
	v_mbcnt_lo_u32_b32 v20, v18, 0
	v_mbcnt_hi_u32_b32 v29, v19, v20
	v_cmp_eq_u32_e32 vcc, 0, v29
	v_cmp_ne_u64_e64 s[4:5], 0, v[18:19]
	s_and_b64 s[58:59], s[4:5], vcc
	; wave barrier
	s_and_saveexec_b64 s[4:5], s[58:59]
	s_cbranch_execz .LBB131_41
; %bb.40:                               ;   in Loop: Header=BB131_35 Depth=1
	v_bcnt_u32_b32 v18, v18, 0
	v_bcnt_u32_b32 v18, v19, v18
	s_waitcnt lgkmcnt(0)
	v_add_u32_e32 v18, v27, v18
	ds_write_b32 v28, v18
.LBB131_41:                             ;   in Loop: Header=BB131_35 Depth=1
	s_or_b64 exec, exec, s[4:5]
	v_lshrrev_b32_e32 v18, s51, v116
	v_and_b32_e32 v18, s56, v18
	v_lshlrev_b32_e32 v19, 2, v18
	v_add_lshl_u32 v19, v19, v106, 2
	; wave barrier
	v_add_u32_e32 v31, 16, v19
	ds_read_b32 v30, v19 offset:16
	v_and_b32_e32 v19, 1, v18
	v_add_co_u32_e32 v20, vcc, -1, v19
	v_addc_co_u32_e64 v21, s[4:5], 0, -1, vcc
	v_cmp_ne_u32_e32 vcc, 0, v19
	v_lshlrev_b32_e32 v63, 30, v18
	v_xor_b32_e32 v19, vcc_hi, v21
	v_not_b32_e32 v21, v63
	v_xor_b32_e32 v20, vcc_lo, v20
	v_cmp_gt_i64_e32 vcc, 0, v[62:63]
	v_ashrrev_i32_e32 v21, 31, v21
	v_and_b32_e32 v20, exec_lo, v20
	v_xor_b32_e32 v32, vcc_hi, v21
	v_xor_b32_e32 v21, vcc_lo, v21
	v_lshlrev_b32_e32 v63, 29, v18
	v_and_b32_e32 v20, v20, v21
	v_not_b32_e32 v21, v63
	v_and_b32_e32 v19, exec_hi, v19
	v_cmp_gt_i64_e32 vcc, 0, v[62:63]
	v_ashrrev_i32_e32 v21, 31, v21
	v_and_b32_e32 v19, v19, v32
	v_xor_b32_e32 v32, vcc_hi, v21
	v_xor_b32_e32 v21, vcc_lo, v21
	v_lshlrev_b32_e32 v63, 28, v18
	v_and_b32_e32 v20, v20, v21
	v_not_b32_e32 v21, v63
	v_cmp_gt_i64_e32 vcc, 0, v[62:63]
	v_ashrrev_i32_e32 v21, 31, v21
	v_and_b32_e32 v19, v19, v32
	v_xor_b32_e32 v32, vcc_hi, v21
	v_xor_b32_e32 v21, vcc_lo, v21
	v_lshlrev_b32_e32 v63, 27, v18
	v_and_b32_e32 v20, v20, v21
	v_not_b32_e32 v21, v63
	;; [unrolled: 8-line block ×3, first 2 shown]
	v_cmp_gt_i64_e32 vcc, 0, v[62:63]
	v_ashrrev_i32_e32 v21, 31, v21
	v_and_b32_e32 v19, v19, v32
	v_xor_b32_e32 v32, vcc_hi, v21
	v_xor_b32_e32 v21, vcc_lo, v21
	v_lshlrev_b32_e32 v63, 25, v18
	v_and_b32_e32 v20, v20, v21
	v_cmp_gt_i64_e32 vcc, 0, v[62:63]
	v_not_b32_e32 v21, v63
	v_lshlrev_b32_e32 v63, 24, v18
	v_ashrrev_i32_e32 v21, 31, v21
	v_not_b32_e32 v18, v63
	v_and_b32_e32 v19, v19, v32
	v_xor_b32_e32 v32, vcc_hi, v21
	v_xor_b32_e32 v21, vcc_lo, v21
	v_cmp_gt_i64_e32 vcc, 0, v[62:63]
	v_ashrrev_i32_e32 v18, 31, v18
	v_and_b32_e32 v20, v20, v21
	v_xor_b32_e32 v21, vcc_hi, v18
	v_xor_b32_e32 v18, vcc_lo, v18
	v_and_b32_e32 v19, v19, v32
	v_and_b32_e32 v18, v20, v18
	;; [unrolled: 1-line block ×3, first 2 shown]
	v_mbcnt_lo_u32_b32 v20, v18, 0
	v_mbcnt_hi_u32_b32 v32, v19, v20
	v_cmp_eq_u32_e32 vcc, 0, v32
	v_cmp_ne_u64_e64 s[4:5], 0, v[18:19]
	s_and_b64 s[58:59], s[4:5], vcc
	; wave barrier
	s_and_saveexec_b64 s[4:5], s[58:59]
	s_cbranch_execz .LBB131_43
; %bb.42:                               ;   in Loop: Header=BB131_35 Depth=1
	v_bcnt_u32_b32 v18, v18, 0
	v_bcnt_u32_b32 v18, v19, v18
	s_waitcnt lgkmcnt(0)
	v_add_u32_e32 v18, v30, v18
	ds_write_b32 v31, v18
.LBB131_43:                             ;   in Loop: Header=BB131_35 Depth=1
	s_or_b64 exec, exec, s[4:5]
	v_lshrrev_b32_e32 v18, s51, v115
	v_and_b32_e32 v18, s56, v18
	v_lshlrev_b32_e32 v19, 2, v18
	v_add_lshl_u32 v19, v19, v106, 2
	; wave barrier
	v_add_u32_e32 v64, 16, v19
	ds_read_b32 v33, v19 offset:16
	v_and_b32_e32 v19, 1, v18
	v_add_co_u32_e32 v20, vcc, -1, v19
	v_addc_co_u32_e64 v21, s[4:5], 0, -1, vcc
	v_cmp_ne_u32_e32 vcc, 0, v19
	v_lshlrev_b32_e32 v63, 30, v18
	v_xor_b32_e32 v19, vcc_hi, v21
	v_not_b32_e32 v21, v63
	v_xor_b32_e32 v20, vcc_lo, v20
	v_cmp_gt_i64_e32 vcc, 0, v[62:63]
	v_ashrrev_i32_e32 v21, 31, v21
	v_and_b32_e32 v19, exec_hi, v19
	v_xor_b32_e32 v63, vcc_hi, v21
	v_and_b32_e32 v20, exec_lo, v20
	v_xor_b32_e32 v21, vcc_lo, v21
	v_and_b32_e32 v19, v19, v63
	v_lshlrev_b32_e32 v63, 29, v18
	v_and_b32_e32 v20, v20, v21
	v_not_b32_e32 v21, v63
	v_cmp_gt_i64_e32 vcc, 0, v[62:63]
	v_ashrrev_i32_e32 v21, 31, v21
	v_xor_b32_e32 v63, vcc_hi, v21
	v_xor_b32_e32 v21, vcc_lo, v21
	v_and_b32_e32 v19, v19, v63
	v_lshlrev_b32_e32 v63, 28, v18
	v_and_b32_e32 v20, v20, v21
	v_not_b32_e32 v21, v63
	v_cmp_gt_i64_e32 vcc, 0, v[62:63]
	v_ashrrev_i32_e32 v21, 31, v21
	v_xor_b32_e32 v63, vcc_hi, v21
	;; [unrolled: 8-line block ×5, first 2 shown]
	v_and_b32_e32 v19, v19, v63
	v_lshlrev_b32_e32 v63, 24, v18
	v_not_b32_e32 v18, v63
	v_xor_b32_e32 v21, vcc_lo, v21
	v_cmp_gt_i64_e32 vcc, 0, v[62:63]
	v_ashrrev_i32_e32 v18, 31, v18
	v_and_b32_e32 v20, v20, v21
	v_xor_b32_e32 v21, vcc_hi, v18
	v_xor_b32_e32 v18, vcc_lo, v18
	v_and_b32_e32 v18, v20, v18
	v_and_b32_e32 v19, v19, v21
	v_mbcnt_lo_u32_b32 v20, v18, 0
	v_mbcnt_hi_u32_b32 v65, v19, v20
	v_cmp_eq_u32_e32 vcc, 0, v65
	v_cmp_ne_u64_e64 s[4:5], 0, v[18:19]
	s_and_b64 s[58:59], s[4:5], vcc
	; wave barrier
	s_and_saveexec_b64 s[4:5], s[58:59]
	s_cbranch_execz .LBB131_45
; %bb.44:                               ;   in Loop: Header=BB131_35 Depth=1
	v_bcnt_u32_b32 v18, v18, 0
	v_bcnt_u32_b32 v18, v19, v18
	s_waitcnt lgkmcnt(0)
	v_add_u32_e32 v18, v33, v18
	ds_write_b32 v64, v18
.LBB131_45:                             ;   in Loop: Header=BB131_35 Depth=1
	s_or_b64 exec, exec, s[4:5]
	v_lshrrev_b32_e32 v18, s51, v114
	v_and_b32_e32 v18, s56, v18
	v_lshlrev_b32_e32 v19, 2, v18
	v_add_lshl_u32 v19, v19, v106, 2
	; wave barrier
	v_add_u32_e32 v67, 16, v19
	ds_read_b32 v66, v19 offset:16
	v_and_b32_e32 v19, 1, v18
	v_add_co_u32_e32 v20, vcc, -1, v19
	v_addc_co_u32_e64 v21, s[4:5], 0, -1, vcc
	v_cmp_ne_u32_e32 vcc, 0, v19
	v_lshlrev_b32_e32 v63, 30, v18
	v_xor_b32_e32 v19, vcc_hi, v21
	v_not_b32_e32 v21, v63
	v_xor_b32_e32 v20, vcc_lo, v20
	v_cmp_gt_i64_e32 vcc, 0, v[62:63]
	v_ashrrev_i32_e32 v21, 31, v21
	v_and_b32_e32 v19, exec_hi, v19
	v_xor_b32_e32 v63, vcc_hi, v21
	v_and_b32_e32 v20, exec_lo, v20
	v_xor_b32_e32 v21, vcc_lo, v21
	v_and_b32_e32 v19, v19, v63
	v_lshlrev_b32_e32 v63, 29, v18
	v_and_b32_e32 v20, v20, v21
	v_not_b32_e32 v21, v63
	v_cmp_gt_i64_e32 vcc, 0, v[62:63]
	v_ashrrev_i32_e32 v21, 31, v21
	v_xor_b32_e32 v63, vcc_hi, v21
	v_xor_b32_e32 v21, vcc_lo, v21
	v_and_b32_e32 v19, v19, v63
	v_lshlrev_b32_e32 v63, 28, v18
	v_and_b32_e32 v20, v20, v21
	v_not_b32_e32 v21, v63
	v_cmp_gt_i64_e32 vcc, 0, v[62:63]
	v_ashrrev_i32_e32 v21, 31, v21
	v_xor_b32_e32 v63, vcc_hi, v21
	;; [unrolled: 8-line block ×5, first 2 shown]
	v_and_b32_e32 v19, v19, v63
	v_lshlrev_b32_e32 v63, 24, v18
	v_not_b32_e32 v18, v63
	v_xor_b32_e32 v21, vcc_lo, v21
	v_cmp_gt_i64_e32 vcc, 0, v[62:63]
	v_ashrrev_i32_e32 v18, 31, v18
	v_and_b32_e32 v20, v20, v21
	v_xor_b32_e32 v21, vcc_hi, v18
	v_xor_b32_e32 v18, vcc_lo, v18
	v_and_b32_e32 v18, v20, v18
	v_and_b32_e32 v19, v19, v21
	v_mbcnt_lo_u32_b32 v20, v18, 0
	v_mbcnt_hi_u32_b32 v68, v19, v20
	v_cmp_eq_u32_e32 vcc, 0, v68
	v_cmp_ne_u64_e64 s[4:5], 0, v[18:19]
	s_and_b64 s[58:59], s[4:5], vcc
	; wave barrier
	s_and_saveexec_b64 s[4:5], s[58:59]
	s_cbranch_execz .LBB131_47
; %bb.46:                               ;   in Loop: Header=BB131_35 Depth=1
	v_bcnt_u32_b32 v18, v18, 0
	v_bcnt_u32_b32 v18, v19, v18
	s_waitcnt lgkmcnt(0)
	v_add_u32_e32 v18, v66, v18
	ds_write_b32 v67, v18
.LBB131_47:                             ;   in Loop: Header=BB131_35 Depth=1
	s_or_b64 exec, exec, s[4:5]
	v_lshrrev_b32_e32 v18, s51, v113
	v_and_b32_e32 v18, s56, v18
	v_lshlrev_b32_e32 v19, 2, v18
	v_add_lshl_u32 v19, v19, v106, 2
	; wave barrier
	v_add_u32_e32 v70, 16, v19
	ds_read_b32 v69, v19 offset:16
	v_and_b32_e32 v19, 1, v18
	v_add_co_u32_e32 v20, vcc, -1, v19
	v_addc_co_u32_e64 v21, s[4:5], 0, -1, vcc
	v_cmp_ne_u32_e32 vcc, 0, v19
	v_lshlrev_b32_e32 v63, 30, v18
	v_xor_b32_e32 v19, vcc_hi, v21
	v_not_b32_e32 v21, v63
	v_xor_b32_e32 v20, vcc_lo, v20
	v_cmp_gt_i64_e32 vcc, 0, v[62:63]
	v_ashrrev_i32_e32 v21, 31, v21
	v_and_b32_e32 v19, exec_hi, v19
	v_xor_b32_e32 v63, vcc_hi, v21
	v_and_b32_e32 v20, exec_lo, v20
	v_xor_b32_e32 v21, vcc_lo, v21
	v_and_b32_e32 v19, v19, v63
	v_lshlrev_b32_e32 v63, 29, v18
	v_and_b32_e32 v20, v20, v21
	v_not_b32_e32 v21, v63
	v_cmp_gt_i64_e32 vcc, 0, v[62:63]
	v_ashrrev_i32_e32 v21, 31, v21
	v_xor_b32_e32 v63, vcc_hi, v21
	v_xor_b32_e32 v21, vcc_lo, v21
	v_and_b32_e32 v19, v19, v63
	v_lshlrev_b32_e32 v63, 28, v18
	v_and_b32_e32 v20, v20, v21
	v_not_b32_e32 v21, v63
	v_cmp_gt_i64_e32 vcc, 0, v[62:63]
	v_ashrrev_i32_e32 v21, 31, v21
	v_xor_b32_e32 v63, vcc_hi, v21
	;; [unrolled: 8-line block ×5, first 2 shown]
	v_and_b32_e32 v19, v19, v63
	v_lshlrev_b32_e32 v63, 24, v18
	v_not_b32_e32 v18, v63
	v_xor_b32_e32 v21, vcc_lo, v21
	v_cmp_gt_i64_e32 vcc, 0, v[62:63]
	v_ashrrev_i32_e32 v18, 31, v18
	v_and_b32_e32 v20, v20, v21
	v_xor_b32_e32 v21, vcc_hi, v18
	v_xor_b32_e32 v18, vcc_lo, v18
	v_and_b32_e32 v18, v20, v18
	v_and_b32_e32 v19, v19, v21
	v_mbcnt_lo_u32_b32 v20, v18, 0
	v_mbcnt_hi_u32_b32 v71, v19, v20
	v_cmp_eq_u32_e32 vcc, 0, v71
	v_cmp_ne_u64_e64 s[4:5], 0, v[18:19]
	s_and_b64 s[58:59], s[4:5], vcc
	; wave barrier
	s_and_saveexec_b64 s[4:5], s[58:59]
	s_cbranch_execz .LBB131_49
; %bb.48:                               ;   in Loop: Header=BB131_35 Depth=1
	v_bcnt_u32_b32 v18, v18, 0
	v_bcnt_u32_b32 v18, v19, v18
	s_waitcnt lgkmcnt(0)
	v_add_u32_e32 v18, v69, v18
	ds_write_b32 v70, v18
.LBB131_49:                             ;   in Loop: Header=BB131_35 Depth=1
	s_or_b64 exec, exec, s[4:5]
	v_lshrrev_b32_e32 v18, s51, v112
	v_and_b32_e32 v18, s56, v18
	v_lshlrev_b32_e32 v19, 2, v18
	v_add_lshl_u32 v19, v19, v106, 2
	; wave barrier
	v_add_u32_e32 v121, 16, v19
	ds_read_b32 v120, v19 offset:16
	v_and_b32_e32 v19, 1, v18
	v_add_co_u32_e32 v20, vcc, -1, v19
	v_addc_co_u32_e64 v21, s[4:5], 0, -1, vcc
	v_cmp_ne_u32_e32 vcc, 0, v19
	v_lshlrev_b32_e32 v63, 30, v18
	v_xor_b32_e32 v19, vcc_hi, v21
	v_not_b32_e32 v21, v63
	v_xor_b32_e32 v20, vcc_lo, v20
	v_cmp_gt_i64_e32 vcc, 0, v[62:63]
	v_ashrrev_i32_e32 v21, 31, v21
	v_and_b32_e32 v19, exec_hi, v19
	v_xor_b32_e32 v63, vcc_hi, v21
	v_and_b32_e32 v20, exec_lo, v20
	v_xor_b32_e32 v21, vcc_lo, v21
	v_and_b32_e32 v19, v19, v63
	v_lshlrev_b32_e32 v63, 29, v18
	v_and_b32_e32 v20, v20, v21
	v_not_b32_e32 v21, v63
	v_cmp_gt_i64_e32 vcc, 0, v[62:63]
	v_ashrrev_i32_e32 v21, 31, v21
	v_xor_b32_e32 v63, vcc_hi, v21
	v_xor_b32_e32 v21, vcc_lo, v21
	v_and_b32_e32 v19, v19, v63
	v_lshlrev_b32_e32 v63, 28, v18
	v_and_b32_e32 v20, v20, v21
	v_not_b32_e32 v21, v63
	v_cmp_gt_i64_e32 vcc, 0, v[62:63]
	v_ashrrev_i32_e32 v21, 31, v21
	v_xor_b32_e32 v63, vcc_hi, v21
	;; [unrolled: 8-line block ×5, first 2 shown]
	v_and_b32_e32 v19, v19, v63
	v_lshlrev_b32_e32 v63, 24, v18
	v_not_b32_e32 v18, v63
	v_xor_b32_e32 v21, vcc_lo, v21
	v_cmp_gt_i64_e32 vcc, 0, v[62:63]
	v_ashrrev_i32_e32 v18, 31, v18
	v_and_b32_e32 v20, v20, v21
	v_xor_b32_e32 v21, vcc_hi, v18
	v_xor_b32_e32 v18, vcc_lo, v18
	v_and_b32_e32 v18, v20, v18
	v_and_b32_e32 v19, v19, v21
	v_mbcnt_lo_u32_b32 v20, v18, 0
	v_mbcnt_hi_u32_b32 v127, v19, v20
	v_cmp_eq_u32_e32 vcc, 0, v127
	v_cmp_ne_u64_e64 s[4:5], 0, v[18:19]
	s_and_b64 s[56:57], s[4:5], vcc
	; wave barrier
	s_and_saveexec_b64 s[4:5], s[56:57]
	s_cbranch_execz .LBB131_51
; %bb.50:                               ;   in Loop: Header=BB131_35 Depth=1
	v_bcnt_u32_b32 v18, v18, 0
	v_bcnt_u32_b32 v18, v19, v18
	s_waitcnt lgkmcnt(0)
	v_add_u32_e32 v18, v120, v18
	ds_write_b32 v121, v18
.LBB131_51:                             ;   in Loop: Header=BB131_35 Depth=1
	s_or_b64 exec, exec, s[4:5]
	; wave barrier
	s_waitcnt lgkmcnt(0)
	s_barrier
	ds_read2_b32 v[20:21], v89 offset0:4 offset1:5
	ds_read2_b32 v[18:19], v105 offset0:2 offset1:3
	s_waitcnt lgkmcnt(1)
	v_add_u32_e32 v63, v21, v20
	s_waitcnt lgkmcnt(0)
	v_add3_u32 v19, v63, v18, v19
	s_nop 1
	v_mov_b32_dpp v63, v19 row_shr:1 row_mask:0xf bank_mask:0xf
	v_cndmask_b32_e64 v63, v63, 0, s[26:27]
	v_add_u32_e32 v19, v63, v19
	s_nop 1
	v_mov_b32_dpp v63, v19 row_shr:2 row_mask:0xf bank_mask:0xf
	v_cndmask_b32_e64 v63, 0, v63, s[28:29]
	v_add_u32_e32 v19, v19, v63
	;; [unrolled: 4-line block ×4, first 2 shown]
	s_nop 1
	v_mov_b32_dpp v63, v19 row_bcast:15 row_mask:0xf bank_mask:0xf
	v_cndmask_b32_e64 v63, v63, 0, s[36:37]
	v_add_u32_e32 v19, v19, v63
	s_nop 1
	v_mov_b32_dpp v63, v19 row_bcast:31 row_mask:0xf bank_mask:0xf
	v_cndmask_b32_e64 v63, 0, v63, s[16:17]
	v_add_u32_e32 v19, v19, v63
	s_and_saveexec_b64 s[4:5], s[38:39]
	s_cbranch_execz .LBB131_53
; %bb.52:                               ;   in Loop: Header=BB131_35 Depth=1
	ds_write_b32 v108, v19
.LBB131_53:                             ;   in Loop: Header=BB131_35 Depth=1
	s_or_b64 exec, exec, s[4:5]
	s_waitcnt lgkmcnt(0)
	s_barrier
	s_and_saveexec_b64 s[4:5], s[18:19]
	s_cbranch_execz .LBB131_55
; %bb.54:                               ;   in Loop: Header=BB131_35 Depth=1
	ds_read_b32 v63, v88
	s_waitcnt lgkmcnt(0)
	s_nop 0
	v_mov_b32_dpp v122, v63 row_shr:1 row_mask:0xf bank_mask:0xf
	v_cndmask_b32_e64 v122, v122, 0, s[40:41]
	v_add_u32_e32 v63, v122, v63
	s_nop 1
	v_mov_b32_dpp v122, v63 row_shr:2 row_mask:0xf bank_mask:0xf
	v_cndmask_b32_e64 v122, 0, v122, s[42:43]
	v_add_u32_e32 v63, v63, v122
	ds_write_b32 v88, v63
.LBB131_55:                             ;   in Loop: Header=BB131_35 Depth=1
	s_or_b64 exec, exec, s[4:5]
	v_mov_b32_e32 v63, 0
	s_waitcnt lgkmcnt(0)
	s_barrier
	s_and_saveexec_b64 s[4:5], s[20:21]
	s_cbranch_execz .LBB131_57
; %bb.56:                               ;   in Loop: Header=BB131_35 Depth=1
	ds_read_b32 v63, v109
.LBB131_57:                             ;   in Loop: Header=BB131_35 Depth=1
	s_or_b64 exec, exec, s[4:5]
	s_waitcnt lgkmcnt(0)
	v_add_u32_e32 v19, v63, v19
	ds_bpermute_b32 v19, v107, v19
	s_cmp_gt_u32 s51, 23
	s_waitcnt lgkmcnt(0)
	v_cndmask_b32_e64 v19, v19, v63, s[22:23]
	v_cndmask_b32_e64 v19, v19, 0, s[24:25]
	v_add_u32_e32 v20, v19, v20
	v_add_u32_e32 v21, v20, v21
	;; [unrolled: 1-line block ×3, first 2 shown]
	ds_write2_b32 v89, v19, v20 offset0:4 offset1:5
	ds_write2_b32 v105, v21, v18 offset0:2 offset1:3
	s_waitcnt lgkmcnt(0)
	s_barrier
	ds_read_b32 v18, v22
	ds_read_b32 v19, v25
	;; [unrolled: 1-line block ×8, first 2 shown]
	s_waitcnt lgkmcnt(7)
	v_add_u32_e32 v63, v18, v23
	s_waitcnt lgkmcnt(6)
	v_add3_u32 v121, v26, v24, v19
	s_waitcnt lgkmcnt(5)
	v_add3_u32 v122, v29, v27, v20
	;; [unrolled: 2-line block ×7, first 2 shown]
	s_cbranch_scc0 .LBB131_34
; %bb.58:
                                        ; implicit-def: $vgpr71
                                        ; implicit-def: $vgpr69
                                        ; implicit-def: $vgpr67
                                        ; implicit-def: $vgpr65
                                        ; implicit-def: $vgpr32_vgpr33
                                        ; implicit-def: $vgpr28_vgpr29
                                        ; implicit-def: $vgpr24_vgpr25
                                        ; implicit-def: $vgpr20_vgpr21
                                        ; implicit-def: $sgpr51
                                        ; implicit-def: $sgpr55
.LBB131_59:
	v_lshlrev_b32_e32 v18, 2, v63
	s_barrier
	ds_write_b32 v18, v119
	v_lshlrev_b32_e32 v18, 2, v121
	ds_write_b32 v18, v118
	v_lshlrev_b32_e32 v18, 2, v122
	;; [unrolled: 2-line block ×7, first 2 shown]
	v_lshlrev_b32_e32 v22, 2, v87
	ds_write_b32 v18, v112
	s_waitcnt lgkmcnt(0)
	s_barrier
	ds_read2_b32 v[18:19], v22 offset1:1
	ds_read2_b32 v[20:21], v22 offset0:2 offset1:3
	ds_read2_b32 v[66:67], v22 offset0:4 offset1:5
	;; [unrolled: 1-line block ×3, first 2 shown]
	v_lshlrev_b32_e32 v23, 3, v63
	v_lshlrev_b32_e32 v24, 3, v121
	;; [unrolled: 1-line block ×9, first 2 shown]
	s_waitcnt lgkmcnt(3)
	v_xor_b32_e32 v62, 0x80000000, v18
	v_xor_b32_e32 v64, 0x80000000, v19
	s_waitcnt lgkmcnt(2)
	v_xor_b32_e32 v63, 0x80000000, v20
	v_xor_b32_e32 v65, 0x80000000, v21
	s_waitcnt lgkmcnt(0)
	s_barrier
	ds_write_b64 v23, v[60:61]
	ds_write_b64 v24, v[58:59]
	;; [unrolled: 1-line block ×8, first 2 shown]
	s_waitcnt lgkmcnt(0)
	s_barrier
	ds_read2_b64 v[18:21], v31 offset1:1
	ds_read2_b64 v[22:25], v31 offset0:2 offset1:3
	ds_read2_b64 v[26:29], v31 offset0:4 offset1:5
	;; [unrolled: 1-line block ×3, first 2 shown]
	v_xor_b32_e32 v66, 0x80000000, v66
	v_xor_b32_e32 v0, 0x80000000, v67
	;; [unrolled: 1-line block ×4, first 2 shown]
	s_branch .LBB131_95
.LBB131_60:
	v_mov_b32_e32 v37, 0
	v_lshlrev_b64 v[2:3], 3, v[36:37]
	v_mov_b32_e32 v4, s49
	v_add_co_u32_e32 v2, vcc, s48, v2
	v_addc_co_u32_e32 v3, vcc, v4, v3, vcc
	global_load_dwordx2 v[2:3], v[2:3], off
	v_mov_b32_e32 v4, v37
	v_mov_b32_e32 v5, v37
	;; [unrolled: 1-line block ×14, first 2 shown]
	s_or_b64 exec, exec, s[4:5]
	s_and_saveexec_b64 s[4:5], s[2:3]
	s_cbranch_execz .LBB131_25
.LBB131_61:
	v_mul_lo_u32 v4, v30, s46
	v_mov_b32_e32 v5, 0
	v_lshlrev_b64 v[4:5], 3, v[4:5]
	v_mov_b32_e32 v30, s49
	v_add_co_u32_e32 v4, vcc, s48, v4
	v_addc_co_u32_e32 v5, vcc, v30, v5, vcc
	global_load_dwordx2 v[4:5], v[4:5], off
	s_or_b64 exec, exec, s[4:5]
	s_and_saveexec_b64 s[4:5], s[44:45]
	s_cbranch_execz .LBB131_26
.LBB131_62:
	v_mul_lo_u32 v6, v28, s46
	v_mov_b32_e32 v7, 0
	v_lshlrev_b64 v[6:7], 3, v[6:7]
	v_mov_b32_e32 v28, s49
	v_add_co_u32_e32 v6, vcc, s48, v6
	v_addc_co_u32_e32 v7, vcc, v28, v7, vcc
	global_load_dwordx2 v[6:7], v[6:7], off
	s_or_b64 exec, exec, s[4:5]
	s_and_saveexec_b64 s[4:5], s[6:7]
	s_cbranch_execz .LBB131_27
.LBB131_63:
	v_mul_lo_u32 v8, v26, s46
	v_mov_b32_e32 v9, 0
	v_lshlrev_b64 v[8:9], 3, v[8:9]
	v_mov_b32_e32 v26, s49
	v_add_co_u32_e32 v8, vcc, s48, v8
	v_addc_co_u32_e32 v9, vcc, v26, v9, vcc
	global_load_dwordx2 v[8:9], v[8:9], off
	s_or_b64 exec, exec, s[4:5]
	s_and_saveexec_b64 s[4:5], s[8:9]
	s_cbranch_execz .LBB131_28
.LBB131_64:
	v_mul_lo_u32 v10, v24, s46
	v_mov_b32_e32 v11, 0
	v_lshlrev_b64 v[10:11], 3, v[10:11]
	v_mov_b32_e32 v24, s49
	v_add_co_u32_e32 v10, vcc, s48, v10
	v_addc_co_u32_e32 v11, vcc, v24, v11, vcc
	global_load_dwordx2 v[10:11], v[10:11], off
	s_or_b64 exec, exec, s[4:5]
	s_and_saveexec_b64 s[4:5], s[10:11]
	s_cbranch_execz .LBB131_29
.LBB131_65:
	v_mul_lo_u32 v12, v21, s46
	v_mov_b32_e32 v13, 0
	v_lshlrev_b64 v[12:13], 3, v[12:13]
	v_mov_b32_e32 v21, s49
	v_add_co_u32_e32 v12, vcc, s48, v12
	v_addc_co_u32_e32 v13, vcc, v21, v13, vcc
	global_load_dwordx2 v[12:13], v[12:13], off
	s_or_b64 exec, exec, s[4:5]
	s_and_saveexec_b64 s[4:5], s[12:13]
	s_cbranch_execz .LBB131_30
.LBB131_66:
	v_mul_lo_u32 v14, v19, s46
	v_mov_b32_e32 v15, 0
	v_lshlrev_b64 v[14:15], 3, v[14:15]
	v_mov_b32_e32 v19, s49
	v_add_co_u32_e32 v14, vcc, s48, v14
	v_addc_co_u32_e32 v15, vcc, v19, v15, vcc
	global_load_dwordx2 v[14:15], v[14:15], off
	s_or_b64 exec, exec, s[4:5]
	s_xor_b64 s[4:5], s[34:35], -1
	s_and_saveexec_b64 s[16:17], s[14:15]
	s_cbranch_execnz .LBB131_31
	s_branch .LBB131_32
.LBB131_67:
                                        ; implicit-def: $vgpr48
                                        ; implicit-def: $vgpr1
                                        ; implicit-def: $vgpr0
                                        ; implicit-def: $vgpr66
                                        ; implicit-def: $vgpr65
                                        ; implicit-def: $vgpr63
                                        ; implicit-def: $vgpr64
                                        ; implicit-def: $vgpr62
                                        ; implicit-def: $vgpr32_vgpr33
                                        ; implicit-def: $vgpr28_vgpr29
                                        ; implicit-def: $vgpr24_vgpr25
                                        ; implicit-def: $vgpr20_vgpr21
	s_cbranch_execz .LBB131_95
; %bb.68:
	v_xor_b32_e32 v0, 0x7fffffff, v47
	v_xor_b32_e32 v1, 0x7fffffff, v46
	s_waitcnt lgkmcnt(3)
	v_xor_b32_e32 v18, 0x7fffffff, v45
	v_xor_b32_e32 v19, 0x7fffffff, v44
	;; [unrolled: 1-line block ×4, first 2 shown]
	s_waitcnt lgkmcnt(2)
	v_xor_b32_e32 v22, 0x7fffffff, v41
	v_xor_b32_e32 v23, 0x7fffffff, v40
	ds_write2_b32 v104, v1, v0 offset1:1
	ds_write2_b32 v104, v19, v18 offset0:2 offset1:3
	ds_write2_b32 v104, v21, v20 offset0:4 offset1:5
	ds_write2_b32 v104, v23, v22 offset0:6 offset1:7
	; wave barrier
	ds_read2st64_b32 v[40:41], v103 offset1:1
	ds_read2st64_b32 v[42:43], v103 offset0:2 offset1:3
	ds_read2st64_b32 v[44:45], v103 offset0:4 offset1:5
	;; [unrolled: 1-line block ×3, first 2 shown]
	s_waitcnt lgkmcnt(0)
	s_barrier
	ds_write2_b64 v102, v[14:15], v[16:17] offset1:1
	ds_write2_b64 v102, v[10:11], v[12:13] offset0:2 offset1:3
	ds_write2_b64 v102, v[6:7], v[8:9] offset0:4 offset1:5
	;; [unrolled: 1-line block ×3, first 2 shown]
	; wave barrier
	ds_read2st64_b64 v[0:3], v101 offset1:1
	ds_read2st64_b64 v[4:7], v101 offset0:2 offset1:3
	ds_read2st64_b64 v[8:11], v101 offset0:4 offset1:5
	;; [unrolled: 1-line block ×3, first 2 shown]
	s_waitcnt lgkmcnt(0)
	s_barrier
	s_load_dword s16, s[52:53], 0xc
	s_getpc_b64 s[4:5]
	s_add_u32 s4, s4, _ZN7rocprim17ROCPRIM_400000_NS16block_radix_sortIiLj256ELj8ElLj1ELj1ELj0ELNS0_26block_radix_rank_algorithmE1ELNS0_18block_padding_hintE2ELNS0_4arch9wavefront6targetE1EE19radix_bits_per_passE@rel32@lo+4
	s_addc_u32 s5, s5, _ZN7rocprim17ROCPRIM_400000_NS16block_radix_sortIiLj256ELj8ElLj1ELj1ELj0ELNS0_26block_radix_rank_algorithmE1ELNS0_18block_padding_hintE2ELNS0_4arch9wavefront6targetE1EE19radix_bits_per_passE@rel32@hi+12
	s_load_dword s51, s[4:5], 0x0
	v_cmp_lt_i32_e32 vcc, v94, v96
	v_cmp_gt_u32_e64 s[30:31], 4, v38
	s_waitcnt lgkmcnt(0)
	s_lshr_b32 s4, s16, 16
	s_and_b32 s5, s16, 0xffff
	v_mad_u32_u24 v16, v100, s4, v99
	v_mad_u64_u32 v[16:17], s[4:5], v16, s5, v[38:39]
	v_lshrrev_b32_e32 v49, 6, v16
	v_min_u32_e32 v16, 0xc0, v91
	v_or_b32_e32 v16, 63, v16
	v_cmp_eq_u32_e64 s[28:29], v16, v38
	v_cmp_lt_u32_e64 s[34:35], 63, v38
	v_cndmask_b32_e32 v16, v94, v90, vcc
	v_cmp_eq_u32_e64 s[38:39], 0, v38
	v_and_b32_e32 v38, 60, v95
	v_add_u32_e32 v48, 16, v89
	s_mov_b32 s52, 0
	v_cmp_eq_u32_e64 s[16:17], 0, v97
	v_cmp_lt_u32_e64 s[18:19], 1, v97
	v_cmp_lt_u32_e64 s[20:21], 3, v97
	;; [unrolled: 1-line block ×3, first 2 shown]
	v_cmp_eq_u32_e64 s[24:25], 0, v98
	v_cmp_lt_u32_e64 s[26:27], 31, v90
	v_lshlrev_b32_e32 v50, 2, v16
	v_cmp_eq_u32_e64 s[36:37], 0, v90
	v_cmp_eq_u32_e64 s[40:41], 0, v93
	v_cmp_lt_u32_e64 s[42:43], 1, v93
	v_add_u32_e32 v51, -4, v38
	v_lshlrev_b32_e32 v52, 2, v92
	v_lshlrev_b32_e32 v53, 3, v92
	s_mov_b32 s53, 32
	v_mov_b32_e32 v32, 0
	s_branch .LBB131_70
.LBB131_69:                             ;   in Loop: Header=BB131_70 Depth=1
	v_lshlrev_b32_e32 v0, 2, v33
	s_barrier
	ds_write_b32 v0, v61
	v_lshlrev_b32_e32 v0, 2, v63
	ds_write_b32 v0, v60
	v_lshlrev_b32_e32 v0, 2, v64
	ds_write_b32 v0, v59
	v_lshlrev_b32_e32 v0, 2, v65
	ds_write_b32 v0, v58
	v_lshlrev_b32_e32 v0, 2, v66
	ds_write_b32 v0, v57
	v_lshlrev_b32_e32 v0, 2, v67
	ds_write_b32 v0, v56
	v_lshlrev_b32_e32 v0, 2, v68
	ds_write_b32 v0, v55
	v_lshlrev_b32_e32 v0, 2, v62
	ds_write_b32 v0, v54
	v_lshlrev_b32_e32 v0, 3, v33
	s_waitcnt lgkmcnt(0)
	s_barrier
	ds_read2st64_b32 v[40:41], v52 offset1:1
	ds_read2st64_b32 v[42:43], v52 offset0:2 offset1:3
	ds_read2st64_b32 v[44:45], v52 offset0:4 offset1:5
	;; [unrolled: 1-line block ×3, first 2 shown]
	s_waitcnt lgkmcnt(0)
	s_barrier
	ds_write_b64 v0, v[30:31]
	v_lshlrev_b32_e32 v0, 3, v63
	ds_write_b64 v0, v[28:29]
	v_lshlrev_b32_e32 v0, 3, v64
	;; [unrolled: 2-line block ×7, first 2 shown]
	ds_write_b64 v0, v[16:17]
	s_waitcnt lgkmcnt(0)
	s_barrier
	ds_read2st64_b64 v[0:3], v53 offset1:1
	ds_read2st64_b64 v[4:7], v53 offset0:2 offset1:3
	ds_read2st64_b64 v[8:11], v53 offset0:4 offset1:5
	;; [unrolled: 1-line block ×3, first 2 shown]
	s_add_i32 s52, s52, 8
	s_add_i32 s53, s53, -8
	s_waitcnt lgkmcnt(0)
	s_barrier
	s_cbranch_execz .LBB131_94
.LBB131_70:                             ; =>This Inner Loop Header: Depth=1
	s_min_u32 s4, s51, s53
	v_mov_b32_e32 v61, v40
	s_lshl_b32 s4, -1, s4
	v_pk_mov_b32 v[30:31], v[0:1], v[0:1] op_sel:[0,1]
	s_not_b32 s54, s4
	v_lshrrev_b32_e32 v0, s52, v61
	v_and_b32_e32 v0, s54, v0
	v_lshl_add_u32 v1, v0, 2, v49
	v_pk_mov_b32 v[26:27], v[4:5], v[4:5] op_sel:[0,1]
	v_lshl_add_u32 v4, v1, 2, 16
	v_and_b32_e32 v1, 1, v0
	v_pk_mov_b32 v[28:29], v[2:3], v[2:3] op_sel:[0,1]
	v_add_co_u32_e32 v2, vcc, -1, v1
	v_addc_co_u32_e64 v3, s[4:5], 0, -1, vcc
	v_cmp_ne_u32_e32 vcc, 0, v1
	v_lshlrev_b32_e32 v33, 30, v0
	v_xor_b32_e32 v1, vcc_hi, v3
	v_not_b32_e32 v3, v33
	v_xor_b32_e32 v2, vcc_lo, v2
	v_cmp_gt_i64_e32 vcc, 0, v[32:33]
	v_ashrrev_i32_e32 v3, 31, v3
	v_and_b32_e32 v2, exec_lo, v2
	v_xor_b32_e32 v5, vcc_hi, v3
	v_xor_b32_e32 v3, vcc_lo, v3
	v_lshlrev_b32_e32 v33, 29, v0
	v_and_b32_e32 v2, v2, v3
	v_not_b32_e32 v3, v33
	v_and_b32_e32 v1, exec_hi, v1
	v_cmp_gt_i64_e32 vcc, 0, v[32:33]
	v_ashrrev_i32_e32 v3, 31, v3
	v_and_b32_e32 v1, v1, v5
	v_xor_b32_e32 v5, vcc_hi, v3
	v_xor_b32_e32 v3, vcc_lo, v3
	v_lshlrev_b32_e32 v33, 28, v0
	v_and_b32_e32 v2, v2, v3
	v_not_b32_e32 v3, v33
	v_cmp_gt_i64_e32 vcc, 0, v[32:33]
	v_ashrrev_i32_e32 v3, 31, v3
	v_and_b32_e32 v1, v1, v5
	v_xor_b32_e32 v5, vcc_hi, v3
	v_xor_b32_e32 v3, vcc_lo, v3
	v_lshlrev_b32_e32 v33, 27, v0
	v_and_b32_e32 v2, v2, v3
	v_not_b32_e32 v3, v33
	;; [unrolled: 8-line block ×3, first 2 shown]
	v_cmp_gt_i64_e32 vcc, 0, v[32:33]
	v_ashrrev_i32_e32 v3, 31, v3
	v_and_b32_e32 v1, v1, v5
	v_xor_b32_e32 v5, vcc_hi, v3
	v_xor_b32_e32 v3, vcc_lo, v3
	v_lshlrev_b32_e32 v33, 25, v0
	v_and_b32_e32 v2, v2, v3
	v_cmp_gt_i64_e32 vcc, 0, v[32:33]
	v_not_b32_e32 v3, v33
	v_lshlrev_b32_e32 v33, 24, v0
	v_ashrrev_i32_e32 v3, 31, v3
	v_not_b32_e32 v0, v33
	v_and_b32_e32 v1, v1, v5
	v_xor_b32_e32 v5, vcc_hi, v3
	v_xor_b32_e32 v3, vcc_lo, v3
	v_cmp_gt_i64_e32 vcc, 0, v[32:33]
	v_ashrrev_i32_e32 v0, 31, v0
	v_and_b32_e32 v2, v2, v3
	v_xor_b32_e32 v3, vcc_hi, v0
	v_xor_b32_e32 v0, vcc_lo, v0
	v_and_b32_e32 v1, v1, v5
	v_and_b32_e32 v0, v2, v0
	;; [unrolled: 1-line block ×3, first 2 shown]
	v_mbcnt_lo_u32_b32 v2, v0, 0
	v_mbcnt_hi_u32_b32 v5, v1, v2
	v_cmp_eq_u32_e32 vcc, 0, v5
	v_cmp_ne_u64_e64 s[4:5], 0, v[0:1]
	v_mov_b32_e32 v54, v47
	v_mov_b32_e32 v55, v46
	;; [unrolled: 1-line block ×7, first 2 shown]
	v_pk_mov_b32 v[16:17], v[14:15], v[14:15] op_sel:[0,1]
	v_pk_mov_b32 v[18:19], v[12:13], v[12:13] op_sel:[0,1]
	;; [unrolled: 1-line block ×5, first 2 shown]
	s_and_b64 s[56:57], s[4:5], vcc
	ds_write2_b32 v89, v32, v32 offset0:4 offset1:5
	ds_write2_b32 v48, v32, v32 offset0:2 offset1:3
	s_waitcnt lgkmcnt(0)
	s_barrier
	s_waitcnt lgkmcnt(0)
	; wave barrier
	s_and_saveexec_b64 s[4:5], s[56:57]
	s_cbranch_execz .LBB131_72
; %bb.71:                               ;   in Loop: Header=BB131_70 Depth=1
	v_bcnt_u32_b32 v0, v0, 0
	v_bcnt_u32_b32 v0, v1, v0
	ds_write_b32 v4, v0
.LBB131_72:                             ;   in Loop: Header=BB131_70 Depth=1
	s_or_b64 exec, exec, s[4:5]
	v_lshrrev_b32_e32 v0, s52, v60
	v_and_b32_e32 v0, s54, v0
	v_lshlrev_b32_e32 v1, 2, v0
	v_add_lshl_u32 v1, v1, v49, 2
	; wave barrier
	v_add_u32_e32 v7, 16, v1
	ds_read_b32 v6, v1 offset:16
	v_and_b32_e32 v1, 1, v0
	v_add_co_u32_e32 v2, vcc, -1, v1
	v_addc_co_u32_e64 v3, s[4:5], 0, -1, vcc
	v_cmp_ne_u32_e32 vcc, 0, v1
	v_lshlrev_b32_e32 v33, 30, v0
	v_xor_b32_e32 v1, vcc_hi, v3
	v_not_b32_e32 v3, v33
	v_xor_b32_e32 v2, vcc_lo, v2
	v_cmp_gt_i64_e32 vcc, 0, v[32:33]
	v_ashrrev_i32_e32 v3, 31, v3
	v_and_b32_e32 v2, exec_lo, v2
	v_xor_b32_e32 v8, vcc_hi, v3
	v_xor_b32_e32 v3, vcc_lo, v3
	v_lshlrev_b32_e32 v33, 29, v0
	v_and_b32_e32 v2, v2, v3
	v_not_b32_e32 v3, v33
	v_and_b32_e32 v1, exec_hi, v1
	v_cmp_gt_i64_e32 vcc, 0, v[32:33]
	v_ashrrev_i32_e32 v3, 31, v3
	v_and_b32_e32 v1, v1, v8
	v_xor_b32_e32 v8, vcc_hi, v3
	v_xor_b32_e32 v3, vcc_lo, v3
	v_lshlrev_b32_e32 v33, 28, v0
	v_and_b32_e32 v2, v2, v3
	v_not_b32_e32 v3, v33
	v_cmp_gt_i64_e32 vcc, 0, v[32:33]
	v_ashrrev_i32_e32 v3, 31, v3
	v_and_b32_e32 v1, v1, v8
	v_xor_b32_e32 v8, vcc_hi, v3
	v_xor_b32_e32 v3, vcc_lo, v3
	v_lshlrev_b32_e32 v33, 27, v0
	v_and_b32_e32 v2, v2, v3
	v_not_b32_e32 v3, v33
	;; [unrolled: 8-line block ×3, first 2 shown]
	v_cmp_gt_i64_e32 vcc, 0, v[32:33]
	v_ashrrev_i32_e32 v3, 31, v3
	v_and_b32_e32 v1, v1, v8
	v_xor_b32_e32 v8, vcc_hi, v3
	v_xor_b32_e32 v3, vcc_lo, v3
	v_lshlrev_b32_e32 v33, 25, v0
	v_and_b32_e32 v2, v2, v3
	v_cmp_gt_i64_e32 vcc, 0, v[32:33]
	v_not_b32_e32 v3, v33
	v_lshlrev_b32_e32 v33, 24, v0
	v_ashrrev_i32_e32 v3, 31, v3
	v_not_b32_e32 v0, v33
	v_and_b32_e32 v1, v1, v8
	v_xor_b32_e32 v8, vcc_hi, v3
	v_xor_b32_e32 v3, vcc_lo, v3
	v_cmp_gt_i64_e32 vcc, 0, v[32:33]
	v_ashrrev_i32_e32 v0, 31, v0
	v_and_b32_e32 v2, v2, v3
	v_xor_b32_e32 v3, vcc_hi, v0
	v_xor_b32_e32 v0, vcc_lo, v0
	v_and_b32_e32 v1, v1, v8
	v_and_b32_e32 v0, v2, v0
	;; [unrolled: 1-line block ×3, first 2 shown]
	v_mbcnt_lo_u32_b32 v2, v0, 0
	v_mbcnt_hi_u32_b32 v8, v1, v2
	v_cmp_eq_u32_e32 vcc, 0, v8
	v_cmp_ne_u64_e64 s[4:5], 0, v[0:1]
	s_and_b64 s[56:57], s[4:5], vcc
	; wave barrier
	s_and_saveexec_b64 s[4:5], s[56:57]
	s_cbranch_execz .LBB131_74
; %bb.73:                               ;   in Loop: Header=BB131_70 Depth=1
	v_bcnt_u32_b32 v0, v0, 0
	v_bcnt_u32_b32 v0, v1, v0
	s_waitcnt lgkmcnt(0)
	v_add_u32_e32 v0, v6, v0
	ds_write_b32 v7, v0
.LBB131_74:                             ;   in Loop: Header=BB131_70 Depth=1
	s_or_b64 exec, exec, s[4:5]
	v_lshrrev_b32_e32 v0, s52, v59
	v_and_b32_e32 v0, s54, v0
	v_lshlrev_b32_e32 v1, 2, v0
	v_add_lshl_u32 v1, v1, v49, 2
	; wave barrier
	v_add_u32_e32 v10, 16, v1
	ds_read_b32 v9, v1 offset:16
	v_and_b32_e32 v1, 1, v0
	v_add_co_u32_e32 v2, vcc, -1, v1
	v_addc_co_u32_e64 v3, s[4:5], 0, -1, vcc
	v_cmp_ne_u32_e32 vcc, 0, v1
	v_lshlrev_b32_e32 v33, 30, v0
	v_xor_b32_e32 v1, vcc_hi, v3
	v_not_b32_e32 v3, v33
	v_xor_b32_e32 v2, vcc_lo, v2
	v_cmp_gt_i64_e32 vcc, 0, v[32:33]
	v_ashrrev_i32_e32 v3, 31, v3
	v_and_b32_e32 v2, exec_lo, v2
	v_xor_b32_e32 v11, vcc_hi, v3
	v_xor_b32_e32 v3, vcc_lo, v3
	v_lshlrev_b32_e32 v33, 29, v0
	v_and_b32_e32 v2, v2, v3
	v_not_b32_e32 v3, v33
	v_and_b32_e32 v1, exec_hi, v1
	v_cmp_gt_i64_e32 vcc, 0, v[32:33]
	v_ashrrev_i32_e32 v3, 31, v3
	v_and_b32_e32 v1, v1, v11
	v_xor_b32_e32 v11, vcc_hi, v3
	v_xor_b32_e32 v3, vcc_lo, v3
	v_lshlrev_b32_e32 v33, 28, v0
	v_and_b32_e32 v2, v2, v3
	v_not_b32_e32 v3, v33
	v_cmp_gt_i64_e32 vcc, 0, v[32:33]
	v_ashrrev_i32_e32 v3, 31, v3
	v_and_b32_e32 v1, v1, v11
	v_xor_b32_e32 v11, vcc_hi, v3
	v_xor_b32_e32 v3, vcc_lo, v3
	v_lshlrev_b32_e32 v33, 27, v0
	v_and_b32_e32 v2, v2, v3
	v_not_b32_e32 v3, v33
	;; [unrolled: 8-line block ×3, first 2 shown]
	v_cmp_gt_i64_e32 vcc, 0, v[32:33]
	v_ashrrev_i32_e32 v3, 31, v3
	v_and_b32_e32 v1, v1, v11
	v_xor_b32_e32 v11, vcc_hi, v3
	v_xor_b32_e32 v3, vcc_lo, v3
	v_lshlrev_b32_e32 v33, 25, v0
	v_and_b32_e32 v2, v2, v3
	v_cmp_gt_i64_e32 vcc, 0, v[32:33]
	v_not_b32_e32 v3, v33
	v_lshlrev_b32_e32 v33, 24, v0
	v_ashrrev_i32_e32 v3, 31, v3
	v_not_b32_e32 v0, v33
	v_and_b32_e32 v1, v1, v11
	v_xor_b32_e32 v11, vcc_hi, v3
	v_xor_b32_e32 v3, vcc_lo, v3
	v_cmp_gt_i64_e32 vcc, 0, v[32:33]
	v_ashrrev_i32_e32 v0, 31, v0
	v_and_b32_e32 v2, v2, v3
	v_xor_b32_e32 v3, vcc_hi, v0
	v_xor_b32_e32 v0, vcc_lo, v0
	v_and_b32_e32 v1, v1, v11
	v_and_b32_e32 v0, v2, v0
	v_and_b32_e32 v1, v1, v3
	v_mbcnt_lo_u32_b32 v2, v0, 0
	v_mbcnt_hi_u32_b32 v11, v1, v2
	v_cmp_eq_u32_e32 vcc, 0, v11
	v_cmp_ne_u64_e64 s[4:5], 0, v[0:1]
	s_and_b64 s[56:57], s[4:5], vcc
	; wave barrier
	s_and_saveexec_b64 s[4:5], s[56:57]
	s_cbranch_execz .LBB131_76
; %bb.75:                               ;   in Loop: Header=BB131_70 Depth=1
	v_bcnt_u32_b32 v0, v0, 0
	v_bcnt_u32_b32 v0, v1, v0
	s_waitcnt lgkmcnt(0)
	v_add_u32_e32 v0, v9, v0
	ds_write_b32 v10, v0
.LBB131_76:                             ;   in Loop: Header=BB131_70 Depth=1
	s_or_b64 exec, exec, s[4:5]
	v_lshrrev_b32_e32 v0, s52, v58
	v_and_b32_e32 v0, s54, v0
	v_lshlrev_b32_e32 v1, 2, v0
	v_add_lshl_u32 v1, v1, v49, 2
	; wave barrier
	v_add_u32_e32 v13, 16, v1
	ds_read_b32 v12, v1 offset:16
	v_and_b32_e32 v1, 1, v0
	v_add_co_u32_e32 v2, vcc, -1, v1
	v_addc_co_u32_e64 v3, s[4:5], 0, -1, vcc
	v_cmp_ne_u32_e32 vcc, 0, v1
	v_lshlrev_b32_e32 v33, 30, v0
	v_xor_b32_e32 v1, vcc_hi, v3
	v_not_b32_e32 v3, v33
	v_xor_b32_e32 v2, vcc_lo, v2
	v_cmp_gt_i64_e32 vcc, 0, v[32:33]
	v_ashrrev_i32_e32 v3, 31, v3
	v_and_b32_e32 v2, exec_lo, v2
	v_xor_b32_e32 v14, vcc_hi, v3
	v_xor_b32_e32 v3, vcc_lo, v3
	v_lshlrev_b32_e32 v33, 29, v0
	v_and_b32_e32 v2, v2, v3
	v_not_b32_e32 v3, v33
	v_and_b32_e32 v1, exec_hi, v1
	v_cmp_gt_i64_e32 vcc, 0, v[32:33]
	v_ashrrev_i32_e32 v3, 31, v3
	v_and_b32_e32 v1, v1, v14
	v_xor_b32_e32 v14, vcc_hi, v3
	v_xor_b32_e32 v3, vcc_lo, v3
	v_lshlrev_b32_e32 v33, 28, v0
	v_and_b32_e32 v2, v2, v3
	v_not_b32_e32 v3, v33
	v_cmp_gt_i64_e32 vcc, 0, v[32:33]
	v_ashrrev_i32_e32 v3, 31, v3
	v_and_b32_e32 v1, v1, v14
	v_xor_b32_e32 v14, vcc_hi, v3
	v_xor_b32_e32 v3, vcc_lo, v3
	v_lshlrev_b32_e32 v33, 27, v0
	v_and_b32_e32 v2, v2, v3
	v_not_b32_e32 v3, v33
	;; [unrolled: 8-line block ×3, first 2 shown]
	v_cmp_gt_i64_e32 vcc, 0, v[32:33]
	v_ashrrev_i32_e32 v3, 31, v3
	v_and_b32_e32 v1, v1, v14
	v_xor_b32_e32 v14, vcc_hi, v3
	v_xor_b32_e32 v3, vcc_lo, v3
	v_lshlrev_b32_e32 v33, 25, v0
	v_and_b32_e32 v2, v2, v3
	v_cmp_gt_i64_e32 vcc, 0, v[32:33]
	v_not_b32_e32 v3, v33
	v_lshlrev_b32_e32 v33, 24, v0
	v_ashrrev_i32_e32 v3, 31, v3
	v_not_b32_e32 v0, v33
	v_and_b32_e32 v1, v1, v14
	v_xor_b32_e32 v14, vcc_hi, v3
	v_xor_b32_e32 v3, vcc_lo, v3
	v_cmp_gt_i64_e32 vcc, 0, v[32:33]
	v_ashrrev_i32_e32 v0, 31, v0
	v_and_b32_e32 v2, v2, v3
	v_xor_b32_e32 v3, vcc_hi, v0
	v_xor_b32_e32 v0, vcc_lo, v0
	v_and_b32_e32 v1, v1, v14
	v_and_b32_e32 v0, v2, v0
	;; [unrolled: 1-line block ×3, first 2 shown]
	v_mbcnt_lo_u32_b32 v2, v0, 0
	v_mbcnt_hi_u32_b32 v14, v1, v2
	v_cmp_eq_u32_e32 vcc, 0, v14
	v_cmp_ne_u64_e64 s[4:5], 0, v[0:1]
	s_and_b64 s[56:57], s[4:5], vcc
	; wave barrier
	s_and_saveexec_b64 s[4:5], s[56:57]
	s_cbranch_execz .LBB131_78
; %bb.77:                               ;   in Loop: Header=BB131_70 Depth=1
	v_bcnt_u32_b32 v0, v0, 0
	v_bcnt_u32_b32 v0, v1, v0
	s_waitcnt lgkmcnt(0)
	v_add_u32_e32 v0, v12, v0
	ds_write_b32 v13, v0
.LBB131_78:                             ;   in Loop: Header=BB131_70 Depth=1
	s_or_b64 exec, exec, s[4:5]
	v_lshrrev_b32_e32 v0, s52, v57
	v_and_b32_e32 v0, s54, v0
	v_lshlrev_b32_e32 v1, 2, v0
	v_add_lshl_u32 v1, v1, v49, 2
	; wave barrier
	v_add_u32_e32 v40, 16, v1
	ds_read_b32 v15, v1 offset:16
	v_and_b32_e32 v1, 1, v0
	v_add_co_u32_e32 v2, vcc, -1, v1
	v_addc_co_u32_e64 v3, s[4:5], 0, -1, vcc
	v_cmp_ne_u32_e32 vcc, 0, v1
	v_lshlrev_b32_e32 v33, 30, v0
	v_xor_b32_e32 v1, vcc_hi, v3
	v_not_b32_e32 v3, v33
	v_xor_b32_e32 v2, vcc_lo, v2
	v_cmp_gt_i64_e32 vcc, 0, v[32:33]
	v_ashrrev_i32_e32 v3, 31, v3
	v_and_b32_e32 v1, exec_hi, v1
	v_xor_b32_e32 v33, vcc_hi, v3
	v_and_b32_e32 v2, exec_lo, v2
	v_xor_b32_e32 v3, vcc_lo, v3
	v_and_b32_e32 v1, v1, v33
	v_lshlrev_b32_e32 v33, 29, v0
	v_and_b32_e32 v2, v2, v3
	v_not_b32_e32 v3, v33
	v_cmp_gt_i64_e32 vcc, 0, v[32:33]
	v_ashrrev_i32_e32 v3, 31, v3
	v_xor_b32_e32 v33, vcc_hi, v3
	v_xor_b32_e32 v3, vcc_lo, v3
	v_and_b32_e32 v1, v1, v33
	v_lshlrev_b32_e32 v33, 28, v0
	v_and_b32_e32 v2, v2, v3
	v_not_b32_e32 v3, v33
	v_cmp_gt_i64_e32 vcc, 0, v[32:33]
	v_ashrrev_i32_e32 v3, 31, v3
	v_xor_b32_e32 v33, vcc_hi, v3
	;; [unrolled: 8-line block ×5, first 2 shown]
	v_and_b32_e32 v1, v1, v33
	v_lshlrev_b32_e32 v33, 24, v0
	v_not_b32_e32 v0, v33
	v_xor_b32_e32 v3, vcc_lo, v3
	v_cmp_gt_i64_e32 vcc, 0, v[32:33]
	v_ashrrev_i32_e32 v0, 31, v0
	v_and_b32_e32 v2, v2, v3
	v_xor_b32_e32 v3, vcc_hi, v0
	v_xor_b32_e32 v0, vcc_lo, v0
	v_and_b32_e32 v0, v2, v0
	v_and_b32_e32 v1, v1, v3
	v_mbcnt_lo_u32_b32 v2, v0, 0
	v_mbcnt_hi_u32_b32 v41, v1, v2
	v_cmp_eq_u32_e32 vcc, 0, v41
	v_cmp_ne_u64_e64 s[4:5], 0, v[0:1]
	s_and_b64 s[56:57], s[4:5], vcc
	; wave barrier
	s_and_saveexec_b64 s[4:5], s[56:57]
	s_cbranch_execz .LBB131_80
; %bb.79:                               ;   in Loop: Header=BB131_70 Depth=1
	v_bcnt_u32_b32 v0, v0, 0
	v_bcnt_u32_b32 v0, v1, v0
	s_waitcnt lgkmcnt(0)
	v_add_u32_e32 v0, v15, v0
	ds_write_b32 v40, v0
.LBB131_80:                             ;   in Loop: Header=BB131_70 Depth=1
	s_or_b64 exec, exec, s[4:5]
	v_lshrrev_b32_e32 v0, s52, v56
	v_and_b32_e32 v0, s54, v0
	v_lshlrev_b32_e32 v1, 2, v0
	v_add_lshl_u32 v1, v1, v49, 2
	; wave barrier
	v_add_u32_e32 v43, 16, v1
	ds_read_b32 v42, v1 offset:16
	v_and_b32_e32 v1, 1, v0
	v_add_co_u32_e32 v2, vcc, -1, v1
	v_addc_co_u32_e64 v3, s[4:5], 0, -1, vcc
	v_cmp_ne_u32_e32 vcc, 0, v1
	v_lshlrev_b32_e32 v33, 30, v0
	v_xor_b32_e32 v1, vcc_hi, v3
	v_not_b32_e32 v3, v33
	v_xor_b32_e32 v2, vcc_lo, v2
	v_cmp_gt_i64_e32 vcc, 0, v[32:33]
	v_ashrrev_i32_e32 v3, 31, v3
	v_and_b32_e32 v1, exec_hi, v1
	v_xor_b32_e32 v33, vcc_hi, v3
	v_and_b32_e32 v2, exec_lo, v2
	v_xor_b32_e32 v3, vcc_lo, v3
	v_and_b32_e32 v1, v1, v33
	v_lshlrev_b32_e32 v33, 29, v0
	v_and_b32_e32 v2, v2, v3
	v_not_b32_e32 v3, v33
	v_cmp_gt_i64_e32 vcc, 0, v[32:33]
	v_ashrrev_i32_e32 v3, 31, v3
	v_xor_b32_e32 v33, vcc_hi, v3
	v_xor_b32_e32 v3, vcc_lo, v3
	v_and_b32_e32 v1, v1, v33
	v_lshlrev_b32_e32 v33, 28, v0
	v_and_b32_e32 v2, v2, v3
	v_not_b32_e32 v3, v33
	v_cmp_gt_i64_e32 vcc, 0, v[32:33]
	v_ashrrev_i32_e32 v3, 31, v3
	v_xor_b32_e32 v33, vcc_hi, v3
	;; [unrolled: 8-line block ×5, first 2 shown]
	v_and_b32_e32 v1, v1, v33
	v_lshlrev_b32_e32 v33, 24, v0
	v_not_b32_e32 v0, v33
	v_xor_b32_e32 v3, vcc_lo, v3
	v_cmp_gt_i64_e32 vcc, 0, v[32:33]
	v_ashrrev_i32_e32 v0, 31, v0
	v_and_b32_e32 v2, v2, v3
	v_xor_b32_e32 v3, vcc_hi, v0
	v_xor_b32_e32 v0, vcc_lo, v0
	v_and_b32_e32 v0, v2, v0
	v_and_b32_e32 v1, v1, v3
	v_mbcnt_lo_u32_b32 v2, v0, 0
	v_mbcnt_hi_u32_b32 v44, v1, v2
	v_cmp_eq_u32_e32 vcc, 0, v44
	v_cmp_ne_u64_e64 s[4:5], 0, v[0:1]
	s_and_b64 s[56:57], s[4:5], vcc
	; wave barrier
	s_and_saveexec_b64 s[4:5], s[56:57]
	s_cbranch_execz .LBB131_82
; %bb.81:                               ;   in Loop: Header=BB131_70 Depth=1
	v_bcnt_u32_b32 v0, v0, 0
	v_bcnt_u32_b32 v0, v1, v0
	s_waitcnt lgkmcnt(0)
	v_add_u32_e32 v0, v42, v0
	ds_write_b32 v43, v0
.LBB131_82:                             ;   in Loop: Header=BB131_70 Depth=1
	s_or_b64 exec, exec, s[4:5]
	v_lshrrev_b32_e32 v0, s52, v55
	v_and_b32_e32 v0, s54, v0
	v_lshlrev_b32_e32 v1, 2, v0
	v_add_lshl_u32 v1, v1, v49, 2
	; wave barrier
	v_add_u32_e32 v46, 16, v1
	ds_read_b32 v45, v1 offset:16
	v_and_b32_e32 v1, 1, v0
	v_add_co_u32_e32 v2, vcc, -1, v1
	v_addc_co_u32_e64 v3, s[4:5], 0, -1, vcc
	v_cmp_ne_u32_e32 vcc, 0, v1
	v_lshlrev_b32_e32 v33, 30, v0
	v_xor_b32_e32 v1, vcc_hi, v3
	v_not_b32_e32 v3, v33
	v_xor_b32_e32 v2, vcc_lo, v2
	v_cmp_gt_i64_e32 vcc, 0, v[32:33]
	v_ashrrev_i32_e32 v3, 31, v3
	v_and_b32_e32 v1, exec_hi, v1
	v_xor_b32_e32 v33, vcc_hi, v3
	v_and_b32_e32 v2, exec_lo, v2
	v_xor_b32_e32 v3, vcc_lo, v3
	v_and_b32_e32 v1, v1, v33
	v_lshlrev_b32_e32 v33, 29, v0
	v_and_b32_e32 v2, v2, v3
	v_not_b32_e32 v3, v33
	v_cmp_gt_i64_e32 vcc, 0, v[32:33]
	v_ashrrev_i32_e32 v3, 31, v3
	v_xor_b32_e32 v33, vcc_hi, v3
	v_xor_b32_e32 v3, vcc_lo, v3
	v_and_b32_e32 v1, v1, v33
	v_lshlrev_b32_e32 v33, 28, v0
	v_and_b32_e32 v2, v2, v3
	v_not_b32_e32 v3, v33
	v_cmp_gt_i64_e32 vcc, 0, v[32:33]
	v_ashrrev_i32_e32 v3, 31, v3
	v_xor_b32_e32 v33, vcc_hi, v3
	;; [unrolled: 8-line block ×5, first 2 shown]
	v_and_b32_e32 v1, v1, v33
	v_lshlrev_b32_e32 v33, 24, v0
	v_not_b32_e32 v0, v33
	v_xor_b32_e32 v3, vcc_lo, v3
	v_cmp_gt_i64_e32 vcc, 0, v[32:33]
	v_ashrrev_i32_e32 v0, 31, v0
	v_and_b32_e32 v2, v2, v3
	v_xor_b32_e32 v3, vcc_hi, v0
	v_xor_b32_e32 v0, vcc_lo, v0
	v_and_b32_e32 v0, v2, v0
	v_and_b32_e32 v1, v1, v3
	v_mbcnt_lo_u32_b32 v2, v0, 0
	v_mbcnt_hi_u32_b32 v47, v1, v2
	v_cmp_eq_u32_e32 vcc, 0, v47
	v_cmp_ne_u64_e64 s[4:5], 0, v[0:1]
	s_and_b64 s[56:57], s[4:5], vcc
	; wave barrier
	s_and_saveexec_b64 s[4:5], s[56:57]
	s_cbranch_execz .LBB131_84
; %bb.83:                               ;   in Loop: Header=BB131_70 Depth=1
	v_bcnt_u32_b32 v0, v0, 0
	v_bcnt_u32_b32 v0, v1, v0
	s_waitcnt lgkmcnt(0)
	v_add_u32_e32 v0, v45, v0
	ds_write_b32 v46, v0
.LBB131_84:                             ;   in Loop: Header=BB131_70 Depth=1
	s_or_b64 exec, exec, s[4:5]
	v_lshrrev_b32_e32 v0, s52, v54
	v_and_b32_e32 v0, s54, v0
	v_lshlrev_b32_e32 v1, 2, v0
	v_add_lshl_u32 v1, v1, v49, 2
	; wave barrier
	v_add_u32_e32 v63, 16, v1
	ds_read_b32 v62, v1 offset:16
	v_and_b32_e32 v1, 1, v0
	v_add_co_u32_e32 v2, vcc, -1, v1
	v_addc_co_u32_e64 v3, s[4:5], 0, -1, vcc
	v_cmp_ne_u32_e32 vcc, 0, v1
	v_lshlrev_b32_e32 v33, 30, v0
	v_xor_b32_e32 v1, vcc_hi, v3
	v_not_b32_e32 v3, v33
	v_xor_b32_e32 v2, vcc_lo, v2
	v_cmp_gt_i64_e32 vcc, 0, v[32:33]
	v_ashrrev_i32_e32 v3, 31, v3
	v_and_b32_e32 v1, exec_hi, v1
	v_xor_b32_e32 v33, vcc_hi, v3
	v_and_b32_e32 v2, exec_lo, v2
	v_xor_b32_e32 v3, vcc_lo, v3
	v_and_b32_e32 v1, v1, v33
	v_lshlrev_b32_e32 v33, 29, v0
	v_and_b32_e32 v2, v2, v3
	v_not_b32_e32 v3, v33
	v_cmp_gt_i64_e32 vcc, 0, v[32:33]
	v_ashrrev_i32_e32 v3, 31, v3
	v_xor_b32_e32 v33, vcc_hi, v3
	v_xor_b32_e32 v3, vcc_lo, v3
	v_and_b32_e32 v1, v1, v33
	v_lshlrev_b32_e32 v33, 28, v0
	v_and_b32_e32 v2, v2, v3
	v_not_b32_e32 v3, v33
	v_cmp_gt_i64_e32 vcc, 0, v[32:33]
	v_ashrrev_i32_e32 v3, 31, v3
	v_xor_b32_e32 v33, vcc_hi, v3
	;; [unrolled: 8-line block ×5, first 2 shown]
	v_and_b32_e32 v1, v1, v33
	v_lshlrev_b32_e32 v33, 24, v0
	v_not_b32_e32 v0, v33
	v_xor_b32_e32 v3, vcc_lo, v3
	v_cmp_gt_i64_e32 vcc, 0, v[32:33]
	v_ashrrev_i32_e32 v0, 31, v0
	v_and_b32_e32 v2, v2, v3
	v_xor_b32_e32 v3, vcc_hi, v0
	v_xor_b32_e32 v0, vcc_lo, v0
	v_and_b32_e32 v0, v2, v0
	v_and_b32_e32 v1, v1, v3
	v_mbcnt_lo_u32_b32 v2, v0, 0
	v_mbcnt_hi_u32_b32 v69, v1, v2
	v_cmp_eq_u32_e32 vcc, 0, v69
	v_cmp_ne_u64_e64 s[4:5], 0, v[0:1]
	s_and_b64 s[54:55], s[4:5], vcc
	; wave barrier
	s_and_saveexec_b64 s[4:5], s[54:55]
	s_cbranch_execz .LBB131_86
; %bb.85:                               ;   in Loop: Header=BB131_70 Depth=1
	v_bcnt_u32_b32 v0, v0, 0
	v_bcnt_u32_b32 v0, v1, v0
	s_waitcnt lgkmcnt(0)
	v_add_u32_e32 v0, v62, v0
	ds_write_b32 v63, v0
.LBB131_86:                             ;   in Loop: Header=BB131_70 Depth=1
	s_or_b64 exec, exec, s[4:5]
	; wave barrier
	s_waitcnt lgkmcnt(0)
	s_barrier
	ds_read2_b32 v[2:3], v89 offset0:4 offset1:5
	ds_read2_b32 v[0:1], v48 offset0:2 offset1:3
	s_waitcnt lgkmcnt(1)
	v_add_u32_e32 v33, v3, v2
	s_waitcnt lgkmcnt(0)
	v_add3_u32 v1, v33, v0, v1
	s_nop 1
	v_mov_b32_dpp v33, v1 row_shr:1 row_mask:0xf bank_mask:0xf
	v_cndmask_b32_e64 v33, v33, 0, s[16:17]
	v_add_u32_e32 v1, v33, v1
	s_nop 1
	v_mov_b32_dpp v33, v1 row_shr:2 row_mask:0xf bank_mask:0xf
	v_cndmask_b32_e64 v33, 0, v33, s[18:19]
	v_add_u32_e32 v1, v1, v33
	;; [unrolled: 4-line block ×4, first 2 shown]
	s_nop 1
	v_mov_b32_dpp v33, v1 row_bcast:15 row_mask:0xf bank_mask:0xf
	v_cndmask_b32_e64 v33, v33, 0, s[24:25]
	v_add_u32_e32 v1, v1, v33
	s_nop 1
	v_mov_b32_dpp v33, v1 row_bcast:31 row_mask:0xf bank_mask:0xf
	v_cndmask_b32_e64 v33, 0, v33, s[26:27]
	v_add_u32_e32 v1, v1, v33
	s_and_saveexec_b64 s[4:5], s[28:29]
	s_cbranch_execz .LBB131_88
; %bb.87:                               ;   in Loop: Header=BB131_70 Depth=1
	ds_write_b32 v38, v1
.LBB131_88:                             ;   in Loop: Header=BB131_70 Depth=1
	s_or_b64 exec, exec, s[4:5]
	s_waitcnt lgkmcnt(0)
	s_barrier
	s_and_saveexec_b64 s[4:5], s[30:31]
	s_cbranch_execz .LBB131_90
; %bb.89:                               ;   in Loop: Header=BB131_70 Depth=1
	ds_read_b32 v33, v88
	s_waitcnt lgkmcnt(0)
	s_nop 0
	v_mov_b32_dpp v64, v33 row_shr:1 row_mask:0xf bank_mask:0xf
	v_cndmask_b32_e64 v64, v64, 0, s[40:41]
	v_add_u32_e32 v33, v64, v33
	s_nop 1
	v_mov_b32_dpp v64, v33 row_shr:2 row_mask:0xf bank_mask:0xf
	v_cndmask_b32_e64 v64, 0, v64, s[42:43]
	v_add_u32_e32 v33, v33, v64
	ds_write_b32 v88, v33
.LBB131_90:                             ;   in Loop: Header=BB131_70 Depth=1
	s_or_b64 exec, exec, s[4:5]
	v_mov_b32_e32 v33, 0
	s_waitcnt lgkmcnt(0)
	s_barrier
	s_and_saveexec_b64 s[4:5], s[34:35]
	s_cbranch_execz .LBB131_92
; %bb.91:                               ;   in Loop: Header=BB131_70 Depth=1
	ds_read_b32 v33, v51
.LBB131_92:                             ;   in Loop: Header=BB131_70 Depth=1
	s_or_b64 exec, exec, s[4:5]
	s_waitcnt lgkmcnt(0)
	v_add_u32_e32 v1, v33, v1
	ds_bpermute_b32 v1, v50, v1
	s_cmp_gt_u32 s52, 23
	s_waitcnt lgkmcnt(0)
	v_cndmask_b32_e64 v1, v1, v33, s[36:37]
	v_cndmask_b32_e64 v1, v1, 0, s[38:39]
	v_add_u32_e32 v2, v1, v2
	v_add_u32_e32 v3, v2, v3
	;; [unrolled: 1-line block ×3, first 2 shown]
	ds_write2_b32 v89, v1, v2 offset0:4 offset1:5
	ds_write2_b32 v48, v3, v0 offset0:2 offset1:3
	s_waitcnt lgkmcnt(0)
	s_barrier
	ds_read_b32 v0, v4
	ds_read_b32 v1, v7
	;; [unrolled: 1-line block ×8, first 2 shown]
	s_waitcnt lgkmcnt(7)
	v_add_u32_e32 v33, v0, v5
	s_waitcnt lgkmcnt(6)
	v_add3_u32 v63, v8, v6, v1
	s_waitcnt lgkmcnt(5)
	v_add3_u32 v64, v11, v9, v2
	s_waitcnt lgkmcnt(4)
	v_add3_u32 v65, v14, v12, v3
	s_waitcnt lgkmcnt(3)
	v_add3_u32 v66, v41, v15, v4
	s_waitcnt lgkmcnt(2)
	v_add3_u32 v67, v44, v42, v7
	s_waitcnt lgkmcnt(1)
	v_add3_u32 v68, v47, v45, v10
	s_waitcnt lgkmcnt(0)
	v_add3_u32 v62, v69, v62, v13
	s_cbranch_scc0 .LBB131_69
; %bb.93:
                                        ; implicit-def: $vgpr47
                                        ; implicit-def: $vgpr45
                                        ; implicit-def: $vgpr43
                                        ; implicit-def: $vgpr41
                                        ; implicit-def: $vgpr14_vgpr15
                                        ; implicit-def: $vgpr10_vgpr11
                                        ; implicit-def: $vgpr6_vgpr7
                                        ; implicit-def: $vgpr2_vgpr3
                                        ; implicit-def: $sgpr52
                                        ; implicit-def: $sgpr53
.LBB131_94:
	v_lshlrev_b32_e32 v0, 2, v33
	s_barrier
	ds_write_b32 v0, v61
	v_lshlrev_b32_e32 v0, 2, v63
	ds_write_b32 v0, v60
	v_lshlrev_b32_e32 v0, 2, v64
	;; [unrolled: 2-line block ×7, first 2 shown]
	v_lshlrev_b32_e32 v6, 2, v87
	v_lshlrev_b32_e32 v8, 3, v33
	;; [unrolled: 1-line block ×3, first 2 shown]
	ds_write_b32 v0, v54
	s_waitcnt lgkmcnt(0)
	s_barrier
	v_lshlrev_b32_e32 v9, 3, v63
	v_lshlrev_b32_e32 v10, 3, v64
	;; [unrolled: 1-line block ×7, first 2 shown]
	ds_read2_b32 v[0:1], v6 offset1:1
	ds_read2_b32 v[2:3], v6 offset0:2 offset1:3
	ds_read2_b32 v[4:5], v6 offset0:4 offset1:5
	;; [unrolled: 1-line block ×3, first 2 shown]
	s_waitcnt lgkmcnt(0)
	s_barrier
	ds_write_b64 v8, v[30:31]
	ds_write_b64 v9, v[28:29]
	;; [unrolled: 1-line block ×8, first 2 shown]
	s_waitcnt lgkmcnt(0)
	s_barrier
	ds_read2_b64 v[18:21], v32 offset1:1
	ds_read2_b64 v[22:25], v32 offset0:2 offset1:3
	ds_read2_b64 v[26:29], v32 offset0:4 offset1:5
	;; [unrolled: 1-line block ×3, first 2 shown]
	v_xor_b32_e32 v62, 0x7fffffff, v0
	v_xor_b32_e32 v64, 0x7fffffff, v1
	;; [unrolled: 1-line block ×8, first 2 shown]
.LBB131_95:
	s_waitcnt lgkmcnt(0)
	s_barrier
	ds_write2_b32 v78, v62, v64 offset1:1
	ds_write2_b32 v78, v63, v65 offset0:2 offset1:3
	ds_write2_b32 v78, v66, v0 offset0:4 offset1:5
	;; [unrolled: 1-line block ×3, first 2 shown]
	s_waitcnt lgkmcnt(0)
	s_barrier
	ds_read_b32 v8, v35 offset:1024
	ds_read_b32 v7, v72 offset:2048
	;; [unrolled: 1-line block ×7, first 2 shown]
	v_mov_b32_e32 v35, 0
	v_lshlrev_b64 v[0:1], 2, v[34:35]
	v_mov_b32_e32 v9, s47
	v_add_co_u32_e32 v0, vcc, s33, v0
	v_addc_co_u32_e32 v1, vcc, v9, v1, vcc
	s_and_saveexec_b64 s[4:5], s[0:1]
	s_cbranch_execnz .LBB131_114
; %bb.96:
	s_or_b64 exec, exec, s[4:5]
	s_and_saveexec_b64 s[4:5], s[2:3]
	s_cbranch_execnz .LBB131_115
.LBB131_97:
	s_or_b64 exec, exec, s[4:5]
	s_and_saveexec_b64 s[4:5], s[44:45]
	s_cbranch_execnz .LBB131_116
.LBB131_98:
	s_or_b64 exec, exec, s[4:5]
	s_and_saveexec_b64 s[4:5], s[6:7]
	s_cbranch_execnz .LBB131_117
.LBB131_99:
	s_or_b64 exec, exec, s[4:5]
	s_and_saveexec_b64 s[4:5], s[8:9]
	s_cbranch_execnz .LBB131_118
.LBB131_100:
	s_or_b64 exec, exec, s[4:5]
	s_and_saveexec_b64 s[4:5], s[10:11]
	s_cbranch_execnz .LBB131_119
.LBB131_101:
	s_or_b64 exec, exec, s[4:5]
	s_and_saveexec_b64 s[4:5], s[12:13]
	s_cbranch_execnz .LBB131_120
.LBB131_102:
	s_or_b64 exec, exec, s[4:5]
	s_and_saveexec_b64 s[4:5], s[14:15]
	s_cbranch_execz .LBB131_104
.LBB131_103:
	s_mul_i32 s16, s50, 0x700
	s_mov_b32 s17, 0
	s_lshl_b64 s[16:17], s[16:17], 2
	s_waitcnt lgkmcnt(1)
	v_mov_b32_e32 v3, s17
	v_add_co_u32_e32 v0, vcc, s16, v0
	v_addc_co_u32_e32 v1, vcc, v1, v3, vcc
	s_waitcnt lgkmcnt(0)
	global_store_dword v[0:1], v2, off
.LBB131_104:
	s_or_b64 exec, exec, s[4:5]
	s_waitcnt lgkmcnt(0)
	s_barrier
	ds_write2_b64 v86, v[18:19], v[20:21] offset1:1
	ds_write2_b64 v86, v[22:23], v[24:25] offset0:2 offset1:3
	ds_write2_b64 v86, v[26:27], v[28:29] offset0:4 offset1:5
	;; [unrolled: 1-line block ×3, first 2 shown]
	s_waitcnt lgkmcnt(0)
	s_barrier
	ds_read_b64 v[14:15], v37 offset:2048
	ds_read_b64 v[12:13], v80 offset:4096
	;; [unrolled: 1-line block ×7, first 2 shown]
	v_mov_b32_e32 v37, 0
	v_lshlrev_b64 v[2:3], 3, v[36:37]
	v_mov_b32_e32 v16, s49
	v_add_co_u32_e32 v2, vcc, s48, v2
	v_addc_co_u32_e32 v3, vcc, v16, v3, vcc
	s_and_saveexec_b64 s[4:5], s[0:1]
	s_cbranch_execnz .LBB131_121
; %bb.105:
	s_or_b64 exec, exec, s[4:5]
	s_and_saveexec_b64 s[0:1], s[2:3]
	s_cbranch_execnz .LBB131_122
.LBB131_106:
	s_or_b64 exec, exec, s[0:1]
	s_and_saveexec_b64 s[0:1], s[44:45]
	s_cbranch_execnz .LBB131_123
.LBB131_107:
	s_or_b64 exec, exec, s[0:1]
	s_and_saveexec_b64 s[0:1], s[6:7]
	s_cbranch_execnz .LBB131_124
.LBB131_108:
	s_or_b64 exec, exec, s[0:1]
	s_and_saveexec_b64 s[0:1], s[8:9]
	s_cbranch_execnz .LBB131_125
.LBB131_109:
	s_or_b64 exec, exec, s[0:1]
	s_and_saveexec_b64 s[0:1], s[10:11]
	s_cbranch_execnz .LBB131_126
.LBB131_110:
	s_or_b64 exec, exec, s[0:1]
	s_and_saveexec_b64 s[0:1], s[12:13]
	s_cbranch_execnz .LBB131_127
.LBB131_111:
	s_or_b64 exec, exec, s[0:1]
	s_and_saveexec_b64 s[0:1], s[14:15]
	s_cbranch_execz .LBB131_113
.LBB131_112:
	s_mul_i32 s0, s46, 0x700
	s_mov_b32 s1, 0
	s_lshl_b64 s[0:1], s[0:1], 3
	s_waitcnt lgkmcnt(1)
	v_mov_b32_e32 v4, s1
	v_add_co_u32_e32 v2, vcc, s0, v2
	v_addc_co_u32_e32 v3, vcc, v3, v4, vcc
	s_waitcnt lgkmcnt(0)
	global_store_dwordx2 v[2:3], v[0:1], off
.LBB131_113:
	s_endpgm
.LBB131_114:
	ds_read_b32 v9, v39
	s_waitcnt lgkmcnt(0)
	global_store_dword v[0:1], v9, off
	s_or_b64 exec, exec, s[4:5]
	s_and_saveexec_b64 s[4:5], s[2:3]
	s_cbranch_execz .LBB131_97
.LBB131_115:
	s_lshl_b32 s16, s50, 8
	s_mov_b32 s17, 0
	s_lshl_b64 s[16:17], s[16:17], 2
	v_mov_b32_e32 v9, s17
	v_add_co_u32_e32 v10, vcc, s16, v0
	v_addc_co_u32_e32 v11, vcc, v1, v9, vcc
	s_waitcnt lgkmcnt(6)
	global_store_dword v[10:11], v8, off
	s_or_b64 exec, exec, s[4:5]
	s_and_saveexec_b64 s[4:5], s[44:45]
	s_cbranch_execz .LBB131_98
.LBB131_116:
	s_lshl_b32 s16, s50, 9
	s_mov_b32 s17, 0
	s_lshl_b64 s[16:17], s[16:17], 2
	v_mov_b32_e32 v9, s17
	s_waitcnt lgkmcnt(6)
	v_add_co_u32_e32 v8, vcc, s16, v0
	v_addc_co_u32_e32 v9, vcc, v1, v9, vcc
	s_waitcnt lgkmcnt(5)
	global_store_dword v[8:9], v7, off
	s_or_b64 exec, exec, s[4:5]
	s_and_saveexec_b64 s[4:5], s[6:7]
	s_cbranch_execz .LBB131_99
.LBB131_117:
	s_mul_i32 s16, s50, 0x300
	s_mov_b32 s17, 0
	s_lshl_b64 s[16:17], s[16:17], 2
	s_waitcnt lgkmcnt(5)
	v_mov_b32_e32 v7, s17
	v_add_co_u32_e32 v8, vcc, s16, v0
	v_addc_co_u32_e32 v9, vcc, v1, v7, vcc
	s_waitcnt lgkmcnt(4)
	global_store_dword v[8:9], v6, off
	s_or_b64 exec, exec, s[4:5]
	s_and_saveexec_b64 s[4:5], s[8:9]
	s_cbranch_execz .LBB131_100
.LBB131_118:
	s_lshl_b32 s16, s50, 10
	s_mov_b32 s17, 0
	s_lshl_b64 s[16:17], s[16:17], 2
	s_waitcnt lgkmcnt(5)
	v_mov_b32_e32 v7, s17
	s_waitcnt lgkmcnt(4)
	v_add_co_u32_e32 v6, vcc, s16, v0
	v_addc_co_u32_e32 v7, vcc, v1, v7, vcc
	s_waitcnt lgkmcnt(3)
	global_store_dword v[6:7], v5, off
	s_or_b64 exec, exec, s[4:5]
	s_and_saveexec_b64 s[4:5], s[10:11]
	s_cbranch_execz .LBB131_101
.LBB131_119:
	s_mul_i32 s16, s50, 0x500
	s_mov_b32 s17, 0
	s_lshl_b64 s[16:17], s[16:17], 2
	s_waitcnt lgkmcnt(3)
	v_mov_b32_e32 v5, s17
	v_add_co_u32_e32 v6, vcc, s16, v0
	v_addc_co_u32_e32 v7, vcc, v1, v5, vcc
	s_waitcnt lgkmcnt(2)
	global_store_dword v[6:7], v4, off
	s_or_b64 exec, exec, s[4:5]
	s_and_saveexec_b64 s[4:5], s[12:13]
	s_cbranch_execz .LBB131_102
.LBB131_120:
	s_mul_i32 s16, s50, 0x600
	s_mov_b32 s17, 0
	s_lshl_b64 s[16:17], s[16:17], 2
	s_waitcnt lgkmcnt(3)
	v_mov_b32_e32 v5, s17
	s_waitcnt lgkmcnt(2)
	v_add_co_u32_e32 v4, vcc, s16, v0
	v_addc_co_u32_e32 v5, vcc, v1, v5, vcc
	s_waitcnt lgkmcnt(1)
	global_store_dword v[4:5], v3, off
	s_or_b64 exec, exec, s[4:5]
	s_and_saveexec_b64 s[4:5], s[14:15]
	s_cbranch_execnz .LBB131_103
	s_branch .LBB131_104
.LBB131_121:
	ds_read_b64 v[16:17], v79
	s_waitcnt lgkmcnt(0)
	global_store_dwordx2 v[2:3], v[16:17], off
	s_or_b64 exec, exec, s[4:5]
	s_and_saveexec_b64 s[0:1], s[2:3]
	s_cbranch_execz .LBB131_106
.LBB131_122:
	s_lshl_b32 s2, s46, 8
	s_mov_b32 s3, 0
	s_lshl_b64 s[2:3], s[2:3], 3
	v_mov_b32_e32 v17, s3
	v_add_co_u32_e32 v16, vcc, s2, v2
	v_addc_co_u32_e32 v17, vcc, v3, v17, vcc
	s_waitcnt lgkmcnt(6)
	global_store_dwordx2 v[16:17], v[14:15], off
	s_or_b64 exec, exec, s[0:1]
	s_and_saveexec_b64 s[0:1], s[44:45]
	s_cbranch_execz .LBB131_107
.LBB131_123:
	s_lshl_b32 s2, s46, 9
	s_mov_b32 s3, 0
	s_lshl_b64 s[2:3], s[2:3], 3
	s_waitcnt lgkmcnt(6)
	v_mov_b32_e32 v15, s3
	v_add_co_u32_e32 v14, vcc, s2, v2
	v_addc_co_u32_e32 v15, vcc, v3, v15, vcc
	s_waitcnt lgkmcnt(5)
	global_store_dwordx2 v[14:15], v[12:13], off
	s_or_b64 exec, exec, s[0:1]
	s_and_saveexec_b64 s[0:1], s[6:7]
	s_cbranch_execz .LBB131_108
.LBB131_124:
	s_mul_i32 s2, s46, 0x300
	s_mov_b32 s3, 0
	s_lshl_b64 s[2:3], s[2:3], 3
	s_waitcnt lgkmcnt(5)
	v_mov_b32_e32 v13, s3
	v_add_co_u32_e32 v12, vcc, s2, v2
	v_addc_co_u32_e32 v13, vcc, v3, v13, vcc
	s_waitcnt lgkmcnt(4)
	global_store_dwordx2 v[12:13], v[10:11], off
	s_or_b64 exec, exec, s[0:1]
	s_and_saveexec_b64 s[0:1], s[8:9]
	s_cbranch_execz .LBB131_109
.LBB131_125:
	s_lshl_b32 s2, s46, 10
	s_mov_b32 s3, 0
	s_lshl_b64 s[2:3], s[2:3], 3
	s_waitcnt lgkmcnt(4)
	v_mov_b32_e32 v11, s3
	v_add_co_u32_e32 v10, vcc, s2, v2
	v_addc_co_u32_e32 v11, vcc, v3, v11, vcc
	s_waitcnt lgkmcnt(3)
	global_store_dwordx2 v[10:11], v[8:9], off
	s_or_b64 exec, exec, s[0:1]
	s_and_saveexec_b64 s[0:1], s[10:11]
	s_cbranch_execz .LBB131_110
.LBB131_126:
	s_mul_i32 s2, s46, 0x500
	s_mov_b32 s3, 0
	s_lshl_b64 s[2:3], s[2:3], 3
	s_waitcnt lgkmcnt(3)
	v_mov_b32_e32 v9, s3
	v_add_co_u32_e32 v8, vcc, s2, v2
	v_addc_co_u32_e32 v9, vcc, v3, v9, vcc
	s_waitcnt lgkmcnt(2)
	global_store_dwordx2 v[8:9], v[6:7], off
	s_or_b64 exec, exec, s[0:1]
	s_and_saveexec_b64 s[0:1], s[12:13]
	s_cbranch_execz .LBB131_111
.LBB131_127:
	s_mul_i32 s2, s46, 0x600
	s_mov_b32 s3, 0
	s_lshl_b64 s[2:3], s[2:3], 3
	s_waitcnt lgkmcnt(2)
	v_mov_b32_e32 v7, s3
	v_add_co_u32_e32 v6, vcc, s2, v2
	v_addc_co_u32_e32 v7, vcc, v3, v7, vcc
	s_waitcnt lgkmcnt(1)
	global_store_dwordx2 v[6:7], v[4:5], off
	s_or_b64 exec, exec, s[0:1]
	s_and_saveexec_b64 s[0:1], s[14:15]
	s_cbranch_execnz .LBB131_112
	s_branch .LBB131_113
	.section	.rodata,"a",@progbits
	.p2align	6, 0x0
	.amdhsa_kernel _ZN2at6native18radixSortKVInPlaceILin1ELin1ELi256ELi8EiljEEvNS_4cuda6detail10TensorInfoIT3_T5_EES6_S6_S6_NS4_IT4_S6_EES6_b
		.amdhsa_group_segment_fixed_size 16896
		.amdhsa_private_segment_fixed_size 0
		.amdhsa_kernarg_size 712
		.amdhsa_user_sgpr_count 6
		.amdhsa_user_sgpr_private_segment_buffer 1
		.amdhsa_user_sgpr_dispatch_ptr 0
		.amdhsa_user_sgpr_queue_ptr 0
		.amdhsa_user_sgpr_kernarg_segment_ptr 1
		.amdhsa_user_sgpr_dispatch_id 0
		.amdhsa_user_sgpr_flat_scratch_init 0
		.amdhsa_user_sgpr_kernarg_preload_length 0
		.amdhsa_user_sgpr_kernarg_preload_offset 0
		.amdhsa_user_sgpr_private_segment_size 0
		.amdhsa_uses_dynamic_stack 0
		.amdhsa_system_sgpr_private_segment_wavefront_offset 0
		.amdhsa_system_sgpr_workgroup_id_x 1
		.amdhsa_system_sgpr_workgroup_id_y 1
		.amdhsa_system_sgpr_workgroup_id_z 1
		.amdhsa_system_sgpr_workgroup_info 0
		.amdhsa_system_vgpr_workitem_id 2
		.amdhsa_next_free_vgpr 128
		.amdhsa_next_free_sgpr 60
		.amdhsa_accum_offset 128
		.amdhsa_reserve_vcc 1
		.amdhsa_reserve_flat_scratch 0
		.amdhsa_float_round_mode_32 0
		.amdhsa_float_round_mode_16_64 0
		.amdhsa_float_denorm_mode_32 3
		.amdhsa_float_denorm_mode_16_64 3
		.amdhsa_dx10_clamp 1
		.amdhsa_ieee_mode 1
		.amdhsa_fp16_overflow 0
		.amdhsa_tg_split 0
		.amdhsa_exception_fp_ieee_invalid_op 0
		.amdhsa_exception_fp_denorm_src 0
		.amdhsa_exception_fp_ieee_div_zero 0
		.amdhsa_exception_fp_ieee_overflow 0
		.amdhsa_exception_fp_ieee_underflow 0
		.amdhsa_exception_fp_ieee_inexact 0
		.amdhsa_exception_int_div_zero 0
	.end_amdhsa_kernel
	.section	.text._ZN2at6native18radixSortKVInPlaceILin1ELin1ELi256ELi8EiljEEvNS_4cuda6detail10TensorInfoIT3_T5_EES6_S6_S6_NS4_IT4_S6_EES6_b,"axG",@progbits,_ZN2at6native18radixSortKVInPlaceILin1ELin1ELi256ELi8EiljEEvNS_4cuda6detail10TensorInfoIT3_T5_EES6_S6_S6_NS4_IT4_S6_EES6_b,comdat
.Lfunc_end131:
	.size	_ZN2at6native18radixSortKVInPlaceILin1ELin1ELi256ELi8EiljEEvNS_4cuda6detail10TensorInfoIT3_T5_EES6_S6_S6_NS4_IT4_S6_EES6_b, .Lfunc_end131-_ZN2at6native18radixSortKVInPlaceILin1ELin1ELi256ELi8EiljEEvNS_4cuda6detail10TensorInfoIT3_T5_EES6_S6_S6_NS4_IT4_S6_EES6_b
                                        ; -- End function
	.section	.AMDGPU.csdata,"",@progbits
; Kernel info:
; codeLenInByte = 13168
; NumSgprs: 64
; NumVgprs: 128
; NumAgprs: 0
; TotalNumVgprs: 128
; ScratchSize: 0
; MemoryBound: 0
; FloatMode: 240
; IeeeMode: 1
; LDSByteSize: 16896 bytes/workgroup (compile time only)
; SGPRBlocks: 7
; VGPRBlocks: 15
; NumSGPRsForWavesPerEU: 64
; NumVGPRsForWavesPerEU: 128
; AccumOffset: 128
; Occupancy: 3
; WaveLimiterHint : 1
; COMPUTE_PGM_RSRC2:SCRATCH_EN: 0
; COMPUTE_PGM_RSRC2:USER_SGPR: 6
; COMPUTE_PGM_RSRC2:TRAP_HANDLER: 0
; COMPUTE_PGM_RSRC2:TGID_X_EN: 1
; COMPUTE_PGM_RSRC2:TGID_Y_EN: 1
; COMPUTE_PGM_RSRC2:TGID_Z_EN: 1
; COMPUTE_PGM_RSRC2:TIDIG_COMP_CNT: 2
; COMPUTE_PGM_RSRC3_GFX90A:ACCUM_OFFSET: 31
; COMPUTE_PGM_RSRC3_GFX90A:TG_SPLIT: 0
	.section	.text._ZN2at6native18radixSortKVInPlaceILin1ELin1ELi128ELi8EiljEEvNS_4cuda6detail10TensorInfoIT3_T5_EES6_S6_S6_NS4_IT4_S6_EES6_b,"axG",@progbits,_ZN2at6native18radixSortKVInPlaceILin1ELin1ELi128ELi8EiljEEvNS_4cuda6detail10TensorInfoIT3_T5_EES6_S6_S6_NS4_IT4_S6_EES6_b,comdat
	.protected	_ZN2at6native18radixSortKVInPlaceILin1ELin1ELi128ELi8EiljEEvNS_4cuda6detail10TensorInfoIT3_T5_EES6_S6_S6_NS4_IT4_S6_EES6_b ; -- Begin function _ZN2at6native18radixSortKVInPlaceILin1ELin1ELi128ELi8EiljEEvNS_4cuda6detail10TensorInfoIT3_T5_EES6_S6_S6_NS4_IT4_S6_EES6_b
	.globl	_ZN2at6native18radixSortKVInPlaceILin1ELin1ELi128ELi8EiljEEvNS_4cuda6detail10TensorInfoIT3_T5_EES6_S6_S6_NS4_IT4_S6_EES6_b
	.p2align	8
	.type	_ZN2at6native18radixSortKVInPlaceILin1ELin1ELi128ELi8EiljEEvNS_4cuda6detail10TensorInfoIT3_T5_EES6_S6_S6_NS4_IT4_S6_EES6_b,@function
_ZN2at6native18radixSortKVInPlaceILin1ELin1ELi128ELi8EiljEEvNS_4cuda6detail10TensorInfoIT3_T5_EES6_S6_S6_NS4_IT4_S6_EES6_b: ; @_ZN2at6native18radixSortKVInPlaceILin1ELin1ELi128ELi8EiljEEvNS_4cuda6detail10TensorInfoIT3_T5_EES6_S6_S6_NS4_IT4_S6_EES6_b
; %bb.0:
	s_load_dwordx2 s[0:1], s[4:5], 0x1c8
	s_load_dwordx4 s[44:47], s[4:5], 0xd8
	s_add_u32 s50, s4, 0x1c8
	s_addc_u32 s51, s5, 0
	s_waitcnt lgkmcnt(0)
	s_mul_i32 s1, s1, s8
	s_add_i32 s1, s1, s7
	s_mul_i32 s0, s1, s0
	s_add_i32 s20, s0, s6
	s_cmp_ge_u32 s20, s44
	s_cbranch_scc1 .LBB132_113
; %bb.1:
	s_load_dword s2, s[4:5], 0xd0
	s_mov_b32 s1, 0
	s_mov_b32 s0, s20
	s_waitcnt lgkmcnt(0)
	s_cmp_lt_i32 s2, 2
	s_cbranch_scc1 .LBB132_4
; %bb.2:
	s_add_i32 s0, s2, -1
	s_add_i32 s6, s2, 1
	s_lshl_b64 s[2:3], s[0:1], 2
	s_add_u32 s0, s2, s4
	s_addc_u32 s3, s3, s5
	s_add_u32 s2, s0, 8
	s_addc_u32 s3, s3, 0
	s_mov_b32 s0, s20
.LBB132_3:                              ; =>This Inner Loop Header: Depth=1
	s_load_dword s7, s[2:3], 0x0
	s_load_dword s9, s[2:3], 0x64
	s_mov_b32 s8, s0
	s_waitcnt lgkmcnt(0)
	v_cvt_f32_u32_e32 v1, s7
	s_sub_i32 s0, 0, s7
	v_rcp_iflag_f32_e32 v1, v1
	v_mul_f32_e32 v1, 0x4f7ffffe, v1
	v_cvt_u32_f32_e32 v1, v1
	v_readfirstlane_b32 s10, v1
	s_mul_i32 s0, s0, s10
	s_mul_hi_u32 s0, s10, s0
	s_add_i32 s10, s10, s0
	s_mul_hi_u32 s0, s8, s10
	s_mul_i32 s10, s0, s7
	s_sub_i32 s10, s8, s10
	s_add_i32 s11, s0, 1
	s_sub_i32 s12, s10, s7
	s_cmp_ge_u32 s10, s7
	s_cselect_b32 s0, s11, s0
	s_cselect_b32 s10, s12, s10
	s_add_i32 s11, s0, 1
	s_cmp_ge_u32 s10, s7
	s_cselect_b32 s0, s11, s0
	s_mul_i32 s7, s0, s7
	s_sub_i32 s7, s8, s7
	s_mul_i32 s7, s9, s7
	s_add_i32 s6, s6, -1
	s_add_i32 s1, s7, s1
	s_add_u32 s2, s2, -4
	s_addc_u32 s3, s3, -1
	s_cmp_gt_u32 s6, 2
	s_cbranch_scc1 .LBB132_3
.LBB132_4:
	s_load_dword s2, s[4:5], 0x1b8
	s_mov_b32 s17, 0
	s_waitcnt lgkmcnt(0)
	s_cmp_lt_i32 s2, 2
	s_cbranch_scc1 .LBB132_7
; %bb.5:
	s_add_i32 s16, s2, -1
	s_add_i32 s6, s2, 1
	s_lshl_b64 s[2:3], s[16:17], 2
	s_add_u32 s2, s2, s4
	s_addc_u32 s3, s3, s5
	s_add_u32 s2, s2, 0xf0
	s_addc_u32 s3, s3, 0
.LBB132_6:                              ; =>This Inner Loop Header: Depth=1
	s_load_dword s7, s[2:3], 0x0
	s_load_dword s9, s[2:3], 0x64
	s_mov_b32 s8, s20
	s_waitcnt lgkmcnt(0)
	v_cvt_f32_u32_e32 v1, s7
	s_sub_i32 s10, 0, s7
	v_rcp_iflag_f32_e32 v1, v1
	v_mul_f32_e32 v1, 0x4f7ffffe, v1
	v_cvt_u32_f32_e32 v1, v1
	v_readfirstlane_b32 s11, v1
	s_mul_i32 s10, s10, s11
	s_mul_hi_u32 s10, s11, s10
	s_add_i32 s11, s11, s10
	s_mul_hi_u32 s10, s20, s11
	s_mul_i32 s11, s10, s7
	s_sub_i32 s11, s20, s11
	s_add_i32 s12, s10, 1
	s_sub_i32 s13, s11, s7
	s_cmp_ge_u32 s11, s7
	s_cselect_b32 s10, s12, s10
	s_cselect_b32 s11, s13, s11
	s_add_i32 s12, s10, 1
	s_cmp_ge_u32 s11, s7
	s_cselect_b32 s20, s12, s10
	s_mul_i32 s7, s20, s7
	s_sub_i32 s7, s8, s7
	s_mul_i32 s7, s9, s7
	s_add_i32 s6, s6, -1
	s_add_i32 s17, s7, s17
	s_add_u32 s2, s2, -4
	s_addc_u32 s3, s3, -1
	s_cmp_gt_u32 s6, 2
	s_cbranch_scc1 .LBB132_6
.LBB132_7:
	s_load_dword s2, s[4:5], 0x6c
	s_load_dwordx2 s[48:49], s[4:5], 0x1c0
	s_brev_b32 s8, 1
	v_and_b32_e32 v38, 0x3ff, v0
	v_mul_lo_u32 v34, v38, s46
	s_waitcnt lgkmcnt(0)
	s_mul_i32 s0, s2, s0
	s_add_i32 s0, s0, s1
	s_load_dwordx2 s[2:3], s[4:5], 0x0
	s_bitcmp1_b32 s49, 0
	s_cselect_b64 s[34:35], -1, 0
	s_and_b64 s[6:7], s[34:35], exec
	s_cselect_b32 s8, s8, 0x7fffffff
	s_mov_b32 s1, 0
	s_lshl_b64 s[0:1], s[0:1], 2
	s_mov_b32 s9, s8
	s_waitcnt lgkmcnt(0)
	s_add_u32 s33, s2, s0
	s_mov_b32 s10, s8
	s_mov_b32 s11, s8
	;; [unrolled: 1-line block ×6, first 2 shown]
	v_pk_mov_b32 v[2:3], s[8:9], s[8:9] op_sel:[0,1]
	s_addc_u32 s44, s3, s1
	v_cmp_gt_u32_e64 s[0:1], s45, v38
	v_pk_mov_b32 v[4:5], s[10:11], s[10:11] op_sel:[0,1]
	v_pk_mov_b32 v[6:7], s[12:13], s[12:13] op_sel:[0,1]
	;; [unrolled: 1-line block ×3, first 2 shown]
	v_mov_b32_e32 v10, s8
	s_and_saveexec_b64 s[2:3], s[0:1]
	s_cbranch_execz .LBB132_9
; %bb.8:
	v_mov_b32_e32 v35, 0
	v_lshlrev_b64 v[2:3], 2, v[34:35]
	v_mov_b32_e32 v1, s44
	v_add_co_u32_e32 v2, vcc, s33, v2
	v_addc_co_u32_e32 v3, vcc, v1, v3, vcc
	global_load_dword v10, v[2:3], off
	v_pk_mov_b32 v[2:3], s[8:9], s[8:9] op_sel:[0,1]
	v_pk_mov_b32 v[4:5], s[10:11], s[10:11] op_sel:[0,1]
	;; [unrolled: 1-line block ×4, first 2 shown]
                                        ; kill: def $vgpr2 killed $vgpr10 killed $exec
.LBB132_9:
	s_or_b64 exec, exec, s[2:3]
	v_add_u32_e32 v30, 0x80, v38
	v_cmp_gt_u32_e64 s[2:3], s45, v30
	s_and_saveexec_b64 s[6:7], s[2:3]
	s_cbranch_execz .LBB132_11
; %bb.10:
	v_mul_lo_u32 v2, v30, s46
	v_mov_b32_e32 v3, 0
	v_lshlrev_b64 v[2:3], 2, v[2:3]
	v_mov_b32_e32 v1, s44
	v_add_co_u32_e32 v2, vcc, s33, v2
	v_addc_co_u32_e32 v3, vcc, v1, v3, vcc
	global_load_dword v3, v[2:3], off
.LBB132_11:
	s_or_b64 exec, exec, s[6:7]
	v_add_u32_e32 v28, 0x100, v38
	v_cmp_gt_u32_e64 s[42:43], s45, v28
	s_and_saveexec_b64 s[6:7], s[42:43]
	s_cbranch_execz .LBB132_13
; %bb.12:
	v_mul_lo_u32 v12, v28, s46
	v_mov_b32_e32 v13, 0
	v_lshlrev_b64 v[12:13], 2, v[12:13]
	v_mov_b32_e32 v1, s44
	v_add_co_u32_e32 v12, vcc, s33, v12
	v_addc_co_u32_e32 v13, vcc, v1, v13, vcc
	global_load_dword v4, v[12:13], off
.LBB132_13:
	s_or_b64 exec, exec, s[6:7]
	v_add_u32_e32 v26, 0x180, v38
	v_cmp_gt_u32_e64 s[6:7], s45, v26
	s_and_saveexec_b64 s[8:9], s[6:7]
	s_cbranch_execz .LBB132_15
; %bb.14:
	v_mul_lo_u32 v12, v26, s46
	v_mov_b32_e32 v13, 0
	v_lshlrev_b64 v[12:13], 2, v[12:13]
	v_mov_b32_e32 v1, s44
	v_add_co_u32_e32 v12, vcc, s33, v12
	v_addc_co_u32_e32 v13, vcc, v1, v13, vcc
	global_load_dword v5, v[12:13], off
.LBB132_15:
	s_or_b64 exec, exec, s[8:9]
	v_add_u32_e32 v24, 0x200, v38
	v_cmp_gt_u32_e64 s[8:9], s45, v24
	s_and_saveexec_b64 s[10:11], s[8:9]
	s_cbranch_execz .LBB132_17
; %bb.16:
	v_mul_lo_u32 v12, v24, s46
	v_mov_b32_e32 v13, 0
	v_lshlrev_b64 v[12:13], 2, v[12:13]
	v_mov_b32_e32 v1, s44
	v_add_co_u32_e32 v12, vcc, s33, v12
	v_addc_co_u32_e32 v13, vcc, v1, v13, vcc
	global_load_dword v6, v[12:13], off
.LBB132_17:
	s_or_b64 exec, exec, s[10:11]
	v_add_u32_e32 v21, 0x280, v38
	v_cmp_gt_u32_e64 s[10:11], s45, v21
	s_and_saveexec_b64 s[12:13], s[10:11]
	s_cbranch_execz .LBB132_19
; %bb.18:
	v_mul_lo_u32 v12, v21, s46
	v_mov_b32_e32 v13, 0
	v_lshlrev_b64 v[12:13], 2, v[12:13]
	v_mov_b32_e32 v1, s44
	v_add_co_u32_e32 v12, vcc, s33, v12
	v_addc_co_u32_e32 v13, vcc, v1, v13, vcc
	global_load_dword v7, v[12:13], off
.LBB132_19:
	s_or_b64 exec, exec, s[12:13]
	s_load_dwordx2 s[18:19], s[4:5], 0xe8
	v_add_u32_e32 v19, 0x300, v38
	v_cmp_gt_u32_e64 s[12:13], s45, v19
	s_and_saveexec_b64 s[14:15], s[12:13]
	s_cbranch_execz .LBB132_21
; %bb.20:
	v_mul_lo_u32 v12, v19, s46
	v_mov_b32_e32 v13, 0
	v_lshlrev_b64 v[12:13], 2, v[12:13]
	v_mov_b32_e32 v1, s44
	v_add_co_u32_e32 v12, vcc, s33, v12
	v_addc_co_u32_e32 v13, vcc, v1, v13, vcc
	global_load_dword v8, v[12:13], off
.LBB132_21:
	s_or_b64 exec, exec, s[14:15]
	s_load_dword s16, s[4:5], 0x154
	v_add_u32_e32 v1, 0x380, v38
	v_cmp_gt_u32_e64 s[14:15], s45, v1
	s_and_saveexec_b64 s[4:5], s[14:15]
	s_cbranch_execz .LBB132_23
; %bb.22:
	v_mul_lo_u32 v12, v1, s46
	v_mov_b32_e32 v13, 0
	v_lshlrev_b64 v[12:13], 2, v[12:13]
	v_mov_b32_e32 v2, s44
	v_add_co_u32_e32 v12, vcc, s33, v12
	v_addc_co_u32_e32 v13, vcc, v2, v13, vcc
	global_load_dword v9, v[12:13], off
.LBB132_23:
	s_or_b64 exec, exec, s[4:5]
	v_lshrrev_b32_e32 v2, 5, v38
	v_add_u32_e32 v32, v2, v38
	v_lshrrev_b32_e32 v2, 5, v30
	v_add_u32_e32 v31, v2, v38
	v_lshrrev_b32_e32 v2, 5, v28
	v_add_u32_e32 v29, v2, v38
	v_lshrrev_b32_e32 v2, 5, v26
	v_add_u32_e32 v27, v2, v38
	v_lshrrev_b32_e32 v2, 5, v24
	v_add_u32_e32 v25, v2, v38
	v_lshrrev_b32_e32 v2, 5, v21
	v_add_u32_e32 v23, v2, v38
	v_lshrrev_b32_e32 v2, 5, v19
	v_add_u32_e32 v20, v2, v38
	v_lshrrev_b32_e32 v2, 5, v1
	v_add_u32_e32 v18, v2, v38
	v_lshlrev_b32_e32 v87, 3, v38
	v_lshrrev_b32_e32 v2, 2, v38
	v_add_u32_e32 v22, v2, v87
	v_lshlrev_b32_e32 v39, 2, v32
	v_lshlrev_b32_e32 v35, 2, v31
	;; [unrolled: 1-line block ×9, first 2 shown]
	s_waitcnt vmcnt(0)
	ds_write_b32 v39, v10
	ds_write_b32 v35, v3 offset:512
	ds_write_b32 v72, v4 offset:1024
	;; [unrolled: 1-line block ×7, first 2 shown]
	s_waitcnt lgkmcnt(0)
	s_barrier
	ds_read2_b32 v[46:47], v78 offset1:1
	ds_read2_b32 v[44:45], v78 offset0:2 offset1:3
	ds_read2_b32 v[42:43], v78 offset0:4 offset1:5
	;; [unrolled: 1-line block ×3, first 2 shown]
	s_mul_i32 s4, s16, s20
	s_add_i32 s16, s4, s17
	s_mov_b32 s17, 0
	s_lshl_b64 s[4:5], s[16:17], 3
	s_add_u32 s45, s18, s4
	s_mov_b32 s16, s17
	s_addc_u32 s47, s19, s5
	s_mov_b32 s18, s17
	s_mov_b32 s19, s17
	;; [unrolled: 1-line block ×14, first 2 shown]
	v_pk_mov_b32 v[2:3], s[16:17], s[16:17] op_sel:[0,1]
	v_pk_mov_b32 v[4:5], s[18:19], s[18:19] op_sel:[0,1]
	;; [unrolled: 1-line block ×8, first 2 shown]
	v_pk_mov_b32 v[2:3], 0, 0
	v_mul_lo_u32 v36, v38, s48
	s_waitcnt lgkmcnt(0)
	s_barrier
	s_and_saveexec_b64 s[4:5], s[0:1]
	s_cbranch_execnz .LBB132_60
; %bb.24:
	s_or_b64 exec, exec, s[4:5]
	s_and_saveexec_b64 s[4:5], s[2:3]
	s_cbranch_execnz .LBB132_61
.LBB132_25:
	s_or_b64 exec, exec, s[4:5]
	s_and_saveexec_b64 s[4:5], s[42:43]
	s_cbranch_execnz .LBB132_62
.LBB132_26:
	s_or_b64 exec, exec, s[4:5]
	s_and_saveexec_b64 s[4:5], s[6:7]
	s_cbranch_execnz .LBB132_63
.LBB132_27:
	s_or_b64 exec, exec, s[4:5]
	s_and_saveexec_b64 s[4:5], s[8:9]
	s_cbranch_execnz .LBB132_64
.LBB132_28:
	s_or_b64 exec, exec, s[4:5]
	s_and_saveexec_b64 s[4:5], s[10:11]
	s_cbranch_execnz .LBB132_65
.LBB132_29:
	s_or_b64 exec, exec, s[4:5]
	s_and_saveexec_b64 s[4:5], s[12:13]
	s_cbranch_execnz .LBB132_66
.LBB132_30:
	s_or_b64 exec, exec, s[4:5]
	s_xor_b64 s[4:5], s[34:35], -1
	s_and_saveexec_b64 s[16:17], s[14:15]
	s_cbranch_execz .LBB132_32
.LBB132_31:
	v_mul_lo_u32 v16, v1, s48
	v_mov_b32_e32 v17, 0
	v_lshlrev_b64 v[16:17], 3, v[16:17]
	v_mov_b32_e32 v1, s47
	v_add_co_u32_e32 v16, vcc, s45, v16
	v_addc_co_u32_e32 v17, vcc, v1, v17, vcc
	global_load_dwordx2 v[16:17], v[16:17], off
.LBB132_32:
	s_or_b64 exec, exec, s[16:17]
	v_lshlrev_b32_e32 v79, 3, v32
	v_lshlrev_b32_e32 v37, 3, v31
	v_lshlrev_b32_e32 v80, 3, v29
	v_lshlrev_b32_e32 v81, 3, v27
	v_lshlrev_b32_e32 v82, 3, v25
	v_lshlrev_b32_e32 v83, 3, v23
	v_lshlrev_b32_e32 v84, 3, v20
	v_lshlrev_b32_e32 v85, 3, v18
	v_lshlrev_b32_e32 v86, 3, v22
	s_waitcnt vmcnt(0)
	ds_write_b64 v79, v[2:3]
	ds_write_b64 v37, v[4:5] offset:1024
	ds_write_b64 v80, v[6:7] offset:2048
	;; [unrolled: 1-line block ×7, first 2 shown]
	s_waitcnt lgkmcnt(0)
	s_barrier
	ds_read2_b64 v[14:17], v86 offset1:1
	ds_read2_b64 v[10:13], v86 offset0:2 offset1:3
	ds_read2_b64 v[6:9], v86 offset0:4 offset1:5
	;; [unrolled: 1-line block ×3, first 2 shown]
	v_mbcnt_lo_u32_b32 v1, -1, 0
	v_mbcnt_hi_u32_b32 v90, -1, v1
	v_and_b32_e32 v1, 0x3c0, v38
	v_add_u32_e32 v18, v90, v1
	v_lshlrev_b32_e32 v19, 3, v18
	v_lshlrev_b32_e32 v104, 5, v18
	v_and_b32_e32 v18, 0x1e00, v87
	v_or_b32_e32 v20, v90, v18
	s_mov_b32 s49, 0
	v_lshlrev_b32_e32 v103, 2, v20
	s_and_b64 vcc, exec, s[4:5]
	v_bfe_u32 v99, v0, 10, 10
	v_bfe_u32 v100, v0, 20, 10
	v_lshlrev_b32_e32 v102, 3, v19
	v_lshlrev_b32_e32 v101, 3, v20
	;; [unrolled: 1-line block ×4, first 2 shown]
	v_and_b32_e32 v95, 15, v90
	v_and_b32_e32 v96, 16, v90
	v_cmp_lt_u32_e64 s[16:17], 31, v90
	v_min_u32_e32 v97, 64, v1
	v_cmp_gt_u32_e64 s[18:19], 2, v38
	v_cmp_lt_u32_e64 s[20:21], 63, v38
	v_add_u32_e32 v92, -1, v90
	v_and_b32_e32 v98, 64, v90
	v_cmp_eq_u32_e64 s[22:23], 0, v90
	v_cmp_eq_u32_e64 s[24:25], 0, v38
	v_lshrrev_b32_e32 v93, 4, v38
	v_and_b32_e32 v94, 1, v90
	v_and_or_b32 v91, v90, 63, v18
	s_waitcnt lgkmcnt(0)
	s_barrier
	s_cbranch_vccz .LBB132_67
; %bb.33:
	v_xor_b32_e32 v0, 0x80000000, v47
	v_xor_b32_e32 v1, 0x80000000, v46
	;; [unrolled: 1-line block ×8, first 2 shown]
	ds_write2_b32 v104, v1, v0 offset1:1
	ds_write2_b32 v104, v19, v18 offset0:2 offset1:3
	ds_write2_b32 v104, v21, v20 offset0:4 offset1:5
	;; [unrolled: 1-line block ×3, first 2 shown]
	; wave barrier
	ds_read2st64_b32 v[64:65], v103 offset1:1
	ds_read2st64_b32 v[66:67], v103 offset0:2 offset1:3
	ds_read2st64_b32 v[68:69], v103 offset0:4 offset1:5
	;; [unrolled: 1-line block ×3, first 2 shown]
	s_waitcnt lgkmcnt(0)
	s_barrier
	ds_write2_b64 v102, v[14:15], v[16:17] offset1:1
	ds_write2_b64 v102, v[10:11], v[12:13] offset0:2 offset1:3
	ds_write2_b64 v102, v[6:7], v[8:9] offset0:4 offset1:5
	;; [unrolled: 1-line block ×3, first 2 shown]
	; wave barrier
	ds_read2st64_b64 v[18:21], v101 offset1:1
	ds_read2st64_b64 v[22:25], v101 offset0:2 offset1:3
	ds_read2st64_b64 v[26:29], v101 offset0:4 offset1:5
	;; [unrolled: 1-line block ×3, first 2 shown]
	s_waitcnt lgkmcnt(0)
	s_barrier
	s_load_dword s26, s[50:51], 0xc
	s_getpc_b64 s[4:5]
	s_add_u32 s4, s4, _ZN7rocprim17ROCPRIM_400000_NS16block_radix_sortIiLj128ELj8ElLj1ELj1ELj0ELNS0_26block_radix_rank_algorithmE1ELNS0_18block_padding_hintE2ELNS0_4arch9wavefront6targetE1EE19radix_bits_per_passE@rel32@lo+4
	s_addc_u32 s5, s5, _ZN7rocprim17ROCPRIM_400000_NS16block_radix_sortIiLj128ELj8ElLj1ELj1ELj0ELNS0_26block_radix_rank_algorithmE1ELNS0_18block_padding_hintE2ELNS0_4arch9wavefront6targetE1EE19radix_bits_per_passE@rel32@hi+12
	s_load_dword s52, s[4:5], 0x0
	v_cmp_lt_i32_e32 vcc, v92, v98
	v_and_b32_e32 v108, 60, v93
	s_waitcnt lgkmcnt(0)
	s_lshr_b32 s4, s26, 16
	s_and_b32 s5, s26, 0xffff
	v_mad_u32_u24 v0, v100, s4, v99
	v_mad_u64_u32 v[0:1], s[4:5], v0, s5, v[38:39]
	v_lshrrev_b32_e32 v106, 6, v0
	v_or_b32_e32 v0, 63, v97
	v_cmp_eq_u32_e64 s[38:39], v0, v38
	v_cndmask_b32_e32 v0, v92, v90, vcc
	v_or_b32_e32 v105, 8, v89
	v_cmp_eq_u32_e64 s[26:27], 0, v95
	v_cmp_lt_u32_e64 s[28:29], 1, v95
	v_cmp_lt_u32_e64 s[30:31], 3, v95
	;; [unrolled: 1-line block ×3, first 2 shown]
	v_cmp_eq_u32_e64 s[36:37], 0, v96
	v_lshlrev_b32_e32 v107, 2, v0
	v_cmp_eq_u32_e64 s[40:41], 0, v94
	v_add_u32_e32 v109, -4, v108
	v_lshlrev_b32_e32 v110, 2, v91
	v_lshlrev_b32_e32 v111, 3, v91
	s_mov_b32 s53, 32
	v_mov_b32_e32 v62, 0
	s_branch .LBB132_35
.LBB132_34:                             ;   in Loop: Header=BB132_35 Depth=1
	v_lshlrev_b32_e32 v18, 2, v63
	s_barrier
	ds_write_b32 v18, v119
	v_lshlrev_b32_e32 v18, 2, v121
	ds_write_b32 v18, v118
	v_lshlrev_b32_e32 v18, 2, v122
	;; [unrolled: 2-line block ×8, first 2 shown]
	s_waitcnt lgkmcnt(0)
	s_barrier
	ds_read2st64_b32 v[64:65], v110 offset1:1
	ds_read2st64_b32 v[66:67], v110 offset0:2 offset1:3
	ds_read2st64_b32 v[68:69], v110 offset0:4 offset1:5
	;; [unrolled: 1-line block ×3, first 2 shown]
	s_waitcnt lgkmcnt(0)
	s_barrier
	ds_write_b64 v18, v[60:61]
	v_lshlrev_b32_e32 v18, 3, v121
	ds_write_b64 v18, v[58:59]
	v_lshlrev_b32_e32 v18, 3, v122
	;; [unrolled: 2-line block ×7, first 2 shown]
	ds_write_b64 v18, v[0:1]
	s_waitcnt lgkmcnt(0)
	s_barrier
	ds_read2st64_b64 v[18:21], v111 offset1:1
	ds_read2st64_b64 v[22:25], v111 offset0:2 offset1:3
	ds_read2st64_b64 v[26:29], v111 offset0:4 offset1:5
	;; [unrolled: 1-line block ×3, first 2 shown]
	s_add_i32 s49, s49, 8
	s_add_i32 s53, s53, -8
	s_waitcnt lgkmcnt(0)
	s_barrier
	s_cbranch_execz .LBB132_59
.LBB132_35:                             ; =>This Inner Loop Header: Depth=1
	s_min_u32 s4, s52, s53
	v_mov_b32_e32 v119, v64
	s_lshl_b32 s4, -1, s4
	v_pk_mov_b32 v[60:61], v[18:19], v[18:19] op_sel:[0,1]
	s_not_b32 s54, s4
	v_lshrrev_b32_e32 v18, s49, v119
	v_and_b32_e32 v18, s54, v18
	v_lshl_add_u32 v19, v18, 1, v106
	v_pk_mov_b32 v[56:57], v[22:23], v[22:23] op_sel:[0,1]
	v_lshl_add_u32 v22, v19, 2, 8
	v_and_b32_e32 v19, 1, v18
	v_pk_mov_b32 v[58:59], v[20:21], v[20:21] op_sel:[0,1]
	v_add_co_u32_e32 v20, vcc, -1, v19
	v_addc_co_u32_e64 v21, s[4:5], 0, -1, vcc
	v_cmp_ne_u32_e32 vcc, 0, v19
	v_lshlrev_b32_e32 v63, 30, v18
	v_xor_b32_e32 v19, vcc_hi, v21
	v_not_b32_e32 v21, v63
	v_xor_b32_e32 v20, vcc_lo, v20
	v_cmp_gt_i64_e32 vcc, 0, v[62:63]
	v_ashrrev_i32_e32 v21, 31, v21
	v_and_b32_e32 v20, exec_lo, v20
	v_xor_b32_e32 v23, vcc_hi, v21
	v_xor_b32_e32 v21, vcc_lo, v21
	v_lshlrev_b32_e32 v63, 29, v18
	v_and_b32_e32 v20, v20, v21
	v_not_b32_e32 v21, v63
	v_and_b32_e32 v19, exec_hi, v19
	v_cmp_gt_i64_e32 vcc, 0, v[62:63]
	v_ashrrev_i32_e32 v21, 31, v21
	v_and_b32_e32 v19, v19, v23
	v_xor_b32_e32 v23, vcc_hi, v21
	v_xor_b32_e32 v21, vcc_lo, v21
	v_lshlrev_b32_e32 v63, 28, v18
	v_and_b32_e32 v20, v20, v21
	v_not_b32_e32 v21, v63
	v_cmp_gt_i64_e32 vcc, 0, v[62:63]
	v_ashrrev_i32_e32 v21, 31, v21
	v_and_b32_e32 v19, v19, v23
	v_xor_b32_e32 v23, vcc_hi, v21
	v_xor_b32_e32 v21, vcc_lo, v21
	v_lshlrev_b32_e32 v63, 27, v18
	v_and_b32_e32 v20, v20, v21
	v_not_b32_e32 v21, v63
	;; [unrolled: 8-line block ×3, first 2 shown]
	v_cmp_gt_i64_e32 vcc, 0, v[62:63]
	v_ashrrev_i32_e32 v21, 31, v21
	v_and_b32_e32 v19, v19, v23
	v_xor_b32_e32 v23, vcc_hi, v21
	v_xor_b32_e32 v21, vcc_lo, v21
	v_lshlrev_b32_e32 v63, 25, v18
	v_and_b32_e32 v20, v20, v21
	v_cmp_gt_i64_e32 vcc, 0, v[62:63]
	v_not_b32_e32 v21, v63
	v_lshlrev_b32_e32 v63, 24, v18
	v_ashrrev_i32_e32 v21, 31, v21
	v_not_b32_e32 v18, v63
	v_and_b32_e32 v19, v19, v23
	v_xor_b32_e32 v23, vcc_hi, v21
	v_xor_b32_e32 v21, vcc_lo, v21
	v_cmp_gt_i64_e32 vcc, 0, v[62:63]
	v_ashrrev_i32_e32 v18, 31, v18
	v_and_b32_e32 v20, v20, v21
	v_xor_b32_e32 v21, vcc_hi, v18
	v_xor_b32_e32 v18, vcc_lo, v18
	v_and_b32_e32 v19, v19, v23
	v_and_b32_e32 v18, v20, v18
	;; [unrolled: 1-line block ×3, first 2 shown]
	v_mbcnt_lo_u32_b32 v20, v18, 0
	v_mbcnt_hi_u32_b32 v23, v19, v20
	v_cmp_eq_u32_e32 vcc, 0, v23
	v_cmp_ne_u64_e64 s[4:5], 0, v[18:19]
	v_mov_b32_e32 v112, v71
	v_mov_b32_e32 v113, v70
	;; [unrolled: 1-line block ×7, first 2 shown]
	v_pk_mov_b32 v[0:1], v[32:33], v[32:33] op_sel:[0,1]
	v_pk_mov_b32 v[48:49], v[30:31], v[30:31] op_sel:[0,1]
	;; [unrolled: 1-line block ×5, first 2 shown]
	s_and_b64 s[56:57], s[4:5], vcc
	ds_write2_b32 v89, v62, v62 offset0:2 offset1:3
	ds_write2_b32 v105, v62, v62 offset0:2 offset1:3
	s_waitcnt lgkmcnt(0)
	s_barrier
	s_waitcnt lgkmcnt(0)
	; wave barrier
	s_and_saveexec_b64 s[4:5], s[56:57]
	s_cbranch_execz .LBB132_37
; %bb.36:                               ;   in Loop: Header=BB132_35 Depth=1
	v_bcnt_u32_b32 v18, v18, 0
	v_bcnt_u32_b32 v18, v19, v18
	ds_write_b32 v22, v18
.LBB132_37:                             ;   in Loop: Header=BB132_35 Depth=1
	s_or_b64 exec, exec, s[4:5]
	v_lshrrev_b32_e32 v18, s49, v118
	v_and_b32_e32 v18, s54, v18
	v_lshlrev_b32_e32 v19, 1, v18
	v_add_lshl_u32 v19, v19, v106, 2
	; wave barrier
	v_add_u32_e32 v25, 8, v19
	ds_read_b32 v24, v19 offset:8
	v_and_b32_e32 v19, 1, v18
	v_add_co_u32_e32 v20, vcc, -1, v19
	v_addc_co_u32_e64 v21, s[4:5], 0, -1, vcc
	v_cmp_ne_u32_e32 vcc, 0, v19
	v_lshlrev_b32_e32 v63, 30, v18
	v_xor_b32_e32 v19, vcc_hi, v21
	v_not_b32_e32 v21, v63
	v_xor_b32_e32 v20, vcc_lo, v20
	v_cmp_gt_i64_e32 vcc, 0, v[62:63]
	v_ashrrev_i32_e32 v21, 31, v21
	v_and_b32_e32 v20, exec_lo, v20
	v_xor_b32_e32 v26, vcc_hi, v21
	v_xor_b32_e32 v21, vcc_lo, v21
	v_lshlrev_b32_e32 v63, 29, v18
	v_and_b32_e32 v20, v20, v21
	v_not_b32_e32 v21, v63
	v_and_b32_e32 v19, exec_hi, v19
	v_cmp_gt_i64_e32 vcc, 0, v[62:63]
	v_ashrrev_i32_e32 v21, 31, v21
	v_and_b32_e32 v19, v19, v26
	v_xor_b32_e32 v26, vcc_hi, v21
	v_xor_b32_e32 v21, vcc_lo, v21
	v_lshlrev_b32_e32 v63, 28, v18
	v_and_b32_e32 v20, v20, v21
	v_not_b32_e32 v21, v63
	v_cmp_gt_i64_e32 vcc, 0, v[62:63]
	v_ashrrev_i32_e32 v21, 31, v21
	v_and_b32_e32 v19, v19, v26
	v_xor_b32_e32 v26, vcc_hi, v21
	v_xor_b32_e32 v21, vcc_lo, v21
	v_lshlrev_b32_e32 v63, 27, v18
	v_and_b32_e32 v20, v20, v21
	v_not_b32_e32 v21, v63
	;; [unrolled: 8-line block ×3, first 2 shown]
	v_cmp_gt_i64_e32 vcc, 0, v[62:63]
	v_ashrrev_i32_e32 v21, 31, v21
	v_and_b32_e32 v19, v19, v26
	v_xor_b32_e32 v26, vcc_hi, v21
	v_xor_b32_e32 v21, vcc_lo, v21
	v_lshlrev_b32_e32 v63, 25, v18
	v_and_b32_e32 v20, v20, v21
	v_cmp_gt_i64_e32 vcc, 0, v[62:63]
	v_not_b32_e32 v21, v63
	v_lshlrev_b32_e32 v63, 24, v18
	v_ashrrev_i32_e32 v21, 31, v21
	v_not_b32_e32 v18, v63
	v_and_b32_e32 v19, v19, v26
	v_xor_b32_e32 v26, vcc_hi, v21
	v_xor_b32_e32 v21, vcc_lo, v21
	v_cmp_gt_i64_e32 vcc, 0, v[62:63]
	v_ashrrev_i32_e32 v18, 31, v18
	v_and_b32_e32 v20, v20, v21
	v_xor_b32_e32 v21, vcc_hi, v18
	v_xor_b32_e32 v18, vcc_lo, v18
	v_and_b32_e32 v19, v19, v26
	v_and_b32_e32 v18, v20, v18
	;; [unrolled: 1-line block ×3, first 2 shown]
	v_mbcnt_lo_u32_b32 v20, v18, 0
	v_mbcnt_hi_u32_b32 v26, v19, v20
	v_cmp_eq_u32_e32 vcc, 0, v26
	v_cmp_ne_u64_e64 s[4:5], 0, v[18:19]
	s_and_b64 s[56:57], s[4:5], vcc
	; wave barrier
	s_and_saveexec_b64 s[4:5], s[56:57]
	s_cbranch_execz .LBB132_39
; %bb.38:                               ;   in Loop: Header=BB132_35 Depth=1
	v_bcnt_u32_b32 v18, v18, 0
	v_bcnt_u32_b32 v18, v19, v18
	s_waitcnt lgkmcnt(0)
	v_add_u32_e32 v18, v24, v18
	ds_write_b32 v25, v18
.LBB132_39:                             ;   in Loop: Header=BB132_35 Depth=1
	s_or_b64 exec, exec, s[4:5]
	v_lshrrev_b32_e32 v18, s49, v117
	v_and_b32_e32 v18, s54, v18
	v_lshlrev_b32_e32 v19, 1, v18
	v_add_lshl_u32 v19, v19, v106, 2
	; wave barrier
	v_add_u32_e32 v28, 8, v19
	ds_read_b32 v27, v19 offset:8
	v_and_b32_e32 v19, 1, v18
	v_add_co_u32_e32 v20, vcc, -1, v19
	v_addc_co_u32_e64 v21, s[4:5], 0, -1, vcc
	v_cmp_ne_u32_e32 vcc, 0, v19
	v_lshlrev_b32_e32 v63, 30, v18
	v_xor_b32_e32 v19, vcc_hi, v21
	v_not_b32_e32 v21, v63
	v_xor_b32_e32 v20, vcc_lo, v20
	v_cmp_gt_i64_e32 vcc, 0, v[62:63]
	v_ashrrev_i32_e32 v21, 31, v21
	v_and_b32_e32 v20, exec_lo, v20
	v_xor_b32_e32 v29, vcc_hi, v21
	v_xor_b32_e32 v21, vcc_lo, v21
	v_lshlrev_b32_e32 v63, 29, v18
	v_and_b32_e32 v20, v20, v21
	v_not_b32_e32 v21, v63
	v_and_b32_e32 v19, exec_hi, v19
	v_cmp_gt_i64_e32 vcc, 0, v[62:63]
	v_ashrrev_i32_e32 v21, 31, v21
	v_and_b32_e32 v19, v19, v29
	v_xor_b32_e32 v29, vcc_hi, v21
	v_xor_b32_e32 v21, vcc_lo, v21
	v_lshlrev_b32_e32 v63, 28, v18
	v_and_b32_e32 v20, v20, v21
	v_not_b32_e32 v21, v63
	v_cmp_gt_i64_e32 vcc, 0, v[62:63]
	v_ashrrev_i32_e32 v21, 31, v21
	v_and_b32_e32 v19, v19, v29
	v_xor_b32_e32 v29, vcc_hi, v21
	v_xor_b32_e32 v21, vcc_lo, v21
	v_lshlrev_b32_e32 v63, 27, v18
	v_and_b32_e32 v20, v20, v21
	v_not_b32_e32 v21, v63
	;; [unrolled: 8-line block ×3, first 2 shown]
	v_cmp_gt_i64_e32 vcc, 0, v[62:63]
	v_ashrrev_i32_e32 v21, 31, v21
	v_and_b32_e32 v19, v19, v29
	v_xor_b32_e32 v29, vcc_hi, v21
	v_xor_b32_e32 v21, vcc_lo, v21
	v_lshlrev_b32_e32 v63, 25, v18
	v_and_b32_e32 v20, v20, v21
	v_cmp_gt_i64_e32 vcc, 0, v[62:63]
	v_not_b32_e32 v21, v63
	v_lshlrev_b32_e32 v63, 24, v18
	v_ashrrev_i32_e32 v21, 31, v21
	v_not_b32_e32 v18, v63
	v_and_b32_e32 v19, v19, v29
	v_xor_b32_e32 v29, vcc_hi, v21
	v_xor_b32_e32 v21, vcc_lo, v21
	v_cmp_gt_i64_e32 vcc, 0, v[62:63]
	v_ashrrev_i32_e32 v18, 31, v18
	v_and_b32_e32 v20, v20, v21
	v_xor_b32_e32 v21, vcc_hi, v18
	v_xor_b32_e32 v18, vcc_lo, v18
	v_and_b32_e32 v19, v19, v29
	v_and_b32_e32 v18, v20, v18
	;; [unrolled: 1-line block ×3, first 2 shown]
	v_mbcnt_lo_u32_b32 v20, v18, 0
	v_mbcnt_hi_u32_b32 v29, v19, v20
	v_cmp_eq_u32_e32 vcc, 0, v29
	v_cmp_ne_u64_e64 s[4:5], 0, v[18:19]
	s_and_b64 s[56:57], s[4:5], vcc
	; wave barrier
	s_and_saveexec_b64 s[4:5], s[56:57]
	s_cbranch_execz .LBB132_41
; %bb.40:                               ;   in Loop: Header=BB132_35 Depth=1
	v_bcnt_u32_b32 v18, v18, 0
	v_bcnt_u32_b32 v18, v19, v18
	s_waitcnt lgkmcnt(0)
	v_add_u32_e32 v18, v27, v18
	ds_write_b32 v28, v18
.LBB132_41:                             ;   in Loop: Header=BB132_35 Depth=1
	s_or_b64 exec, exec, s[4:5]
	v_lshrrev_b32_e32 v18, s49, v116
	v_and_b32_e32 v18, s54, v18
	v_lshlrev_b32_e32 v19, 1, v18
	v_add_lshl_u32 v19, v19, v106, 2
	; wave barrier
	v_add_u32_e32 v31, 8, v19
	ds_read_b32 v30, v19 offset:8
	v_and_b32_e32 v19, 1, v18
	v_add_co_u32_e32 v20, vcc, -1, v19
	v_addc_co_u32_e64 v21, s[4:5], 0, -1, vcc
	v_cmp_ne_u32_e32 vcc, 0, v19
	v_lshlrev_b32_e32 v63, 30, v18
	v_xor_b32_e32 v19, vcc_hi, v21
	v_not_b32_e32 v21, v63
	v_xor_b32_e32 v20, vcc_lo, v20
	v_cmp_gt_i64_e32 vcc, 0, v[62:63]
	v_ashrrev_i32_e32 v21, 31, v21
	v_and_b32_e32 v20, exec_lo, v20
	v_xor_b32_e32 v32, vcc_hi, v21
	v_xor_b32_e32 v21, vcc_lo, v21
	v_lshlrev_b32_e32 v63, 29, v18
	v_and_b32_e32 v20, v20, v21
	v_not_b32_e32 v21, v63
	v_and_b32_e32 v19, exec_hi, v19
	v_cmp_gt_i64_e32 vcc, 0, v[62:63]
	v_ashrrev_i32_e32 v21, 31, v21
	v_and_b32_e32 v19, v19, v32
	v_xor_b32_e32 v32, vcc_hi, v21
	v_xor_b32_e32 v21, vcc_lo, v21
	v_lshlrev_b32_e32 v63, 28, v18
	v_and_b32_e32 v20, v20, v21
	v_not_b32_e32 v21, v63
	v_cmp_gt_i64_e32 vcc, 0, v[62:63]
	v_ashrrev_i32_e32 v21, 31, v21
	v_and_b32_e32 v19, v19, v32
	v_xor_b32_e32 v32, vcc_hi, v21
	v_xor_b32_e32 v21, vcc_lo, v21
	v_lshlrev_b32_e32 v63, 27, v18
	v_and_b32_e32 v20, v20, v21
	v_not_b32_e32 v21, v63
	;; [unrolled: 8-line block ×3, first 2 shown]
	v_cmp_gt_i64_e32 vcc, 0, v[62:63]
	v_ashrrev_i32_e32 v21, 31, v21
	v_and_b32_e32 v19, v19, v32
	v_xor_b32_e32 v32, vcc_hi, v21
	v_xor_b32_e32 v21, vcc_lo, v21
	v_lshlrev_b32_e32 v63, 25, v18
	v_and_b32_e32 v20, v20, v21
	v_cmp_gt_i64_e32 vcc, 0, v[62:63]
	v_not_b32_e32 v21, v63
	v_lshlrev_b32_e32 v63, 24, v18
	v_ashrrev_i32_e32 v21, 31, v21
	v_not_b32_e32 v18, v63
	v_and_b32_e32 v19, v19, v32
	v_xor_b32_e32 v32, vcc_hi, v21
	v_xor_b32_e32 v21, vcc_lo, v21
	v_cmp_gt_i64_e32 vcc, 0, v[62:63]
	v_ashrrev_i32_e32 v18, 31, v18
	v_and_b32_e32 v20, v20, v21
	v_xor_b32_e32 v21, vcc_hi, v18
	v_xor_b32_e32 v18, vcc_lo, v18
	v_and_b32_e32 v19, v19, v32
	v_and_b32_e32 v18, v20, v18
	;; [unrolled: 1-line block ×3, first 2 shown]
	v_mbcnt_lo_u32_b32 v20, v18, 0
	v_mbcnt_hi_u32_b32 v32, v19, v20
	v_cmp_eq_u32_e32 vcc, 0, v32
	v_cmp_ne_u64_e64 s[4:5], 0, v[18:19]
	s_and_b64 s[56:57], s[4:5], vcc
	; wave barrier
	s_and_saveexec_b64 s[4:5], s[56:57]
	s_cbranch_execz .LBB132_43
; %bb.42:                               ;   in Loop: Header=BB132_35 Depth=1
	v_bcnt_u32_b32 v18, v18, 0
	v_bcnt_u32_b32 v18, v19, v18
	s_waitcnt lgkmcnt(0)
	v_add_u32_e32 v18, v30, v18
	ds_write_b32 v31, v18
.LBB132_43:                             ;   in Loop: Header=BB132_35 Depth=1
	s_or_b64 exec, exec, s[4:5]
	v_lshrrev_b32_e32 v18, s49, v115
	v_and_b32_e32 v18, s54, v18
	v_lshlrev_b32_e32 v19, 1, v18
	v_add_lshl_u32 v19, v19, v106, 2
	; wave barrier
	v_add_u32_e32 v64, 8, v19
	ds_read_b32 v33, v19 offset:8
	v_and_b32_e32 v19, 1, v18
	v_add_co_u32_e32 v20, vcc, -1, v19
	v_addc_co_u32_e64 v21, s[4:5], 0, -1, vcc
	v_cmp_ne_u32_e32 vcc, 0, v19
	v_lshlrev_b32_e32 v63, 30, v18
	v_xor_b32_e32 v19, vcc_hi, v21
	v_not_b32_e32 v21, v63
	v_xor_b32_e32 v20, vcc_lo, v20
	v_cmp_gt_i64_e32 vcc, 0, v[62:63]
	v_ashrrev_i32_e32 v21, 31, v21
	v_and_b32_e32 v19, exec_hi, v19
	v_xor_b32_e32 v63, vcc_hi, v21
	v_and_b32_e32 v20, exec_lo, v20
	v_xor_b32_e32 v21, vcc_lo, v21
	v_and_b32_e32 v19, v19, v63
	v_lshlrev_b32_e32 v63, 29, v18
	v_and_b32_e32 v20, v20, v21
	v_not_b32_e32 v21, v63
	v_cmp_gt_i64_e32 vcc, 0, v[62:63]
	v_ashrrev_i32_e32 v21, 31, v21
	v_xor_b32_e32 v63, vcc_hi, v21
	v_xor_b32_e32 v21, vcc_lo, v21
	v_and_b32_e32 v19, v19, v63
	v_lshlrev_b32_e32 v63, 28, v18
	v_and_b32_e32 v20, v20, v21
	v_not_b32_e32 v21, v63
	v_cmp_gt_i64_e32 vcc, 0, v[62:63]
	v_ashrrev_i32_e32 v21, 31, v21
	v_xor_b32_e32 v63, vcc_hi, v21
	;; [unrolled: 8-line block ×5, first 2 shown]
	v_and_b32_e32 v19, v19, v63
	v_lshlrev_b32_e32 v63, 24, v18
	v_not_b32_e32 v18, v63
	v_xor_b32_e32 v21, vcc_lo, v21
	v_cmp_gt_i64_e32 vcc, 0, v[62:63]
	v_ashrrev_i32_e32 v18, 31, v18
	v_and_b32_e32 v20, v20, v21
	v_xor_b32_e32 v21, vcc_hi, v18
	v_xor_b32_e32 v18, vcc_lo, v18
	v_and_b32_e32 v18, v20, v18
	v_and_b32_e32 v19, v19, v21
	v_mbcnt_lo_u32_b32 v20, v18, 0
	v_mbcnt_hi_u32_b32 v65, v19, v20
	v_cmp_eq_u32_e32 vcc, 0, v65
	v_cmp_ne_u64_e64 s[4:5], 0, v[18:19]
	s_and_b64 s[56:57], s[4:5], vcc
	; wave barrier
	s_and_saveexec_b64 s[4:5], s[56:57]
	s_cbranch_execz .LBB132_45
; %bb.44:                               ;   in Loop: Header=BB132_35 Depth=1
	v_bcnt_u32_b32 v18, v18, 0
	v_bcnt_u32_b32 v18, v19, v18
	s_waitcnt lgkmcnt(0)
	v_add_u32_e32 v18, v33, v18
	ds_write_b32 v64, v18
.LBB132_45:                             ;   in Loop: Header=BB132_35 Depth=1
	s_or_b64 exec, exec, s[4:5]
	v_lshrrev_b32_e32 v18, s49, v114
	v_and_b32_e32 v18, s54, v18
	v_lshlrev_b32_e32 v19, 1, v18
	v_add_lshl_u32 v19, v19, v106, 2
	; wave barrier
	v_add_u32_e32 v67, 8, v19
	ds_read_b32 v66, v19 offset:8
	v_and_b32_e32 v19, 1, v18
	v_add_co_u32_e32 v20, vcc, -1, v19
	v_addc_co_u32_e64 v21, s[4:5], 0, -1, vcc
	v_cmp_ne_u32_e32 vcc, 0, v19
	v_lshlrev_b32_e32 v63, 30, v18
	v_xor_b32_e32 v19, vcc_hi, v21
	v_not_b32_e32 v21, v63
	v_xor_b32_e32 v20, vcc_lo, v20
	v_cmp_gt_i64_e32 vcc, 0, v[62:63]
	v_ashrrev_i32_e32 v21, 31, v21
	v_and_b32_e32 v19, exec_hi, v19
	v_xor_b32_e32 v63, vcc_hi, v21
	v_and_b32_e32 v20, exec_lo, v20
	v_xor_b32_e32 v21, vcc_lo, v21
	v_and_b32_e32 v19, v19, v63
	v_lshlrev_b32_e32 v63, 29, v18
	v_and_b32_e32 v20, v20, v21
	v_not_b32_e32 v21, v63
	v_cmp_gt_i64_e32 vcc, 0, v[62:63]
	v_ashrrev_i32_e32 v21, 31, v21
	v_xor_b32_e32 v63, vcc_hi, v21
	v_xor_b32_e32 v21, vcc_lo, v21
	v_and_b32_e32 v19, v19, v63
	v_lshlrev_b32_e32 v63, 28, v18
	v_and_b32_e32 v20, v20, v21
	v_not_b32_e32 v21, v63
	v_cmp_gt_i64_e32 vcc, 0, v[62:63]
	v_ashrrev_i32_e32 v21, 31, v21
	v_xor_b32_e32 v63, vcc_hi, v21
	;; [unrolled: 8-line block ×5, first 2 shown]
	v_and_b32_e32 v19, v19, v63
	v_lshlrev_b32_e32 v63, 24, v18
	v_not_b32_e32 v18, v63
	v_xor_b32_e32 v21, vcc_lo, v21
	v_cmp_gt_i64_e32 vcc, 0, v[62:63]
	v_ashrrev_i32_e32 v18, 31, v18
	v_and_b32_e32 v20, v20, v21
	v_xor_b32_e32 v21, vcc_hi, v18
	v_xor_b32_e32 v18, vcc_lo, v18
	v_and_b32_e32 v18, v20, v18
	v_and_b32_e32 v19, v19, v21
	v_mbcnt_lo_u32_b32 v20, v18, 0
	v_mbcnt_hi_u32_b32 v68, v19, v20
	v_cmp_eq_u32_e32 vcc, 0, v68
	v_cmp_ne_u64_e64 s[4:5], 0, v[18:19]
	s_and_b64 s[56:57], s[4:5], vcc
	; wave barrier
	s_and_saveexec_b64 s[4:5], s[56:57]
	s_cbranch_execz .LBB132_47
; %bb.46:                               ;   in Loop: Header=BB132_35 Depth=1
	v_bcnt_u32_b32 v18, v18, 0
	v_bcnt_u32_b32 v18, v19, v18
	s_waitcnt lgkmcnt(0)
	v_add_u32_e32 v18, v66, v18
	ds_write_b32 v67, v18
.LBB132_47:                             ;   in Loop: Header=BB132_35 Depth=1
	s_or_b64 exec, exec, s[4:5]
	v_lshrrev_b32_e32 v18, s49, v113
	v_and_b32_e32 v18, s54, v18
	v_lshlrev_b32_e32 v19, 1, v18
	v_add_lshl_u32 v19, v19, v106, 2
	; wave barrier
	v_add_u32_e32 v70, 8, v19
	ds_read_b32 v69, v19 offset:8
	v_and_b32_e32 v19, 1, v18
	v_add_co_u32_e32 v20, vcc, -1, v19
	v_addc_co_u32_e64 v21, s[4:5], 0, -1, vcc
	v_cmp_ne_u32_e32 vcc, 0, v19
	v_lshlrev_b32_e32 v63, 30, v18
	v_xor_b32_e32 v19, vcc_hi, v21
	v_not_b32_e32 v21, v63
	v_xor_b32_e32 v20, vcc_lo, v20
	v_cmp_gt_i64_e32 vcc, 0, v[62:63]
	v_ashrrev_i32_e32 v21, 31, v21
	v_and_b32_e32 v19, exec_hi, v19
	v_xor_b32_e32 v63, vcc_hi, v21
	v_and_b32_e32 v20, exec_lo, v20
	v_xor_b32_e32 v21, vcc_lo, v21
	v_and_b32_e32 v19, v19, v63
	v_lshlrev_b32_e32 v63, 29, v18
	v_and_b32_e32 v20, v20, v21
	v_not_b32_e32 v21, v63
	v_cmp_gt_i64_e32 vcc, 0, v[62:63]
	v_ashrrev_i32_e32 v21, 31, v21
	v_xor_b32_e32 v63, vcc_hi, v21
	v_xor_b32_e32 v21, vcc_lo, v21
	v_and_b32_e32 v19, v19, v63
	v_lshlrev_b32_e32 v63, 28, v18
	v_and_b32_e32 v20, v20, v21
	v_not_b32_e32 v21, v63
	v_cmp_gt_i64_e32 vcc, 0, v[62:63]
	v_ashrrev_i32_e32 v21, 31, v21
	v_xor_b32_e32 v63, vcc_hi, v21
	;; [unrolled: 8-line block ×5, first 2 shown]
	v_and_b32_e32 v19, v19, v63
	v_lshlrev_b32_e32 v63, 24, v18
	v_not_b32_e32 v18, v63
	v_xor_b32_e32 v21, vcc_lo, v21
	v_cmp_gt_i64_e32 vcc, 0, v[62:63]
	v_ashrrev_i32_e32 v18, 31, v18
	v_and_b32_e32 v20, v20, v21
	v_xor_b32_e32 v21, vcc_hi, v18
	v_xor_b32_e32 v18, vcc_lo, v18
	v_and_b32_e32 v18, v20, v18
	v_and_b32_e32 v19, v19, v21
	v_mbcnt_lo_u32_b32 v20, v18, 0
	v_mbcnt_hi_u32_b32 v71, v19, v20
	v_cmp_eq_u32_e32 vcc, 0, v71
	v_cmp_ne_u64_e64 s[4:5], 0, v[18:19]
	s_and_b64 s[56:57], s[4:5], vcc
	; wave barrier
	s_and_saveexec_b64 s[4:5], s[56:57]
	s_cbranch_execz .LBB132_49
; %bb.48:                               ;   in Loop: Header=BB132_35 Depth=1
	v_bcnt_u32_b32 v18, v18, 0
	v_bcnt_u32_b32 v18, v19, v18
	s_waitcnt lgkmcnt(0)
	v_add_u32_e32 v18, v69, v18
	ds_write_b32 v70, v18
.LBB132_49:                             ;   in Loop: Header=BB132_35 Depth=1
	s_or_b64 exec, exec, s[4:5]
	v_lshrrev_b32_e32 v18, s49, v112
	v_and_b32_e32 v18, s54, v18
	v_lshlrev_b32_e32 v19, 1, v18
	v_add_lshl_u32 v19, v19, v106, 2
	; wave barrier
	v_add_u32_e32 v121, 8, v19
	ds_read_b32 v120, v19 offset:8
	v_and_b32_e32 v19, 1, v18
	v_add_co_u32_e32 v20, vcc, -1, v19
	v_addc_co_u32_e64 v21, s[4:5], 0, -1, vcc
	v_cmp_ne_u32_e32 vcc, 0, v19
	v_lshlrev_b32_e32 v63, 30, v18
	v_xor_b32_e32 v19, vcc_hi, v21
	v_not_b32_e32 v21, v63
	v_xor_b32_e32 v20, vcc_lo, v20
	v_cmp_gt_i64_e32 vcc, 0, v[62:63]
	v_ashrrev_i32_e32 v21, 31, v21
	v_and_b32_e32 v19, exec_hi, v19
	v_xor_b32_e32 v63, vcc_hi, v21
	v_and_b32_e32 v20, exec_lo, v20
	v_xor_b32_e32 v21, vcc_lo, v21
	v_and_b32_e32 v19, v19, v63
	v_lshlrev_b32_e32 v63, 29, v18
	v_and_b32_e32 v20, v20, v21
	v_not_b32_e32 v21, v63
	v_cmp_gt_i64_e32 vcc, 0, v[62:63]
	v_ashrrev_i32_e32 v21, 31, v21
	v_xor_b32_e32 v63, vcc_hi, v21
	v_xor_b32_e32 v21, vcc_lo, v21
	v_and_b32_e32 v19, v19, v63
	v_lshlrev_b32_e32 v63, 28, v18
	v_and_b32_e32 v20, v20, v21
	v_not_b32_e32 v21, v63
	v_cmp_gt_i64_e32 vcc, 0, v[62:63]
	v_ashrrev_i32_e32 v21, 31, v21
	v_xor_b32_e32 v63, vcc_hi, v21
	;; [unrolled: 8-line block ×5, first 2 shown]
	v_and_b32_e32 v19, v19, v63
	v_lshlrev_b32_e32 v63, 24, v18
	v_not_b32_e32 v18, v63
	v_xor_b32_e32 v21, vcc_lo, v21
	v_cmp_gt_i64_e32 vcc, 0, v[62:63]
	v_ashrrev_i32_e32 v18, 31, v18
	v_and_b32_e32 v20, v20, v21
	v_xor_b32_e32 v21, vcc_hi, v18
	v_xor_b32_e32 v18, vcc_lo, v18
	v_and_b32_e32 v18, v20, v18
	v_and_b32_e32 v19, v19, v21
	v_mbcnt_lo_u32_b32 v20, v18, 0
	v_mbcnt_hi_u32_b32 v127, v19, v20
	v_cmp_eq_u32_e32 vcc, 0, v127
	v_cmp_ne_u64_e64 s[4:5], 0, v[18:19]
	s_and_b64 s[54:55], s[4:5], vcc
	; wave barrier
	s_and_saveexec_b64 s[4:5], s[54:55]
	s_cbranch_execz .LBB132_51
; %bb.50:                               ;   in Loop: Header=BB132_35 Depth=1
	v_bcnt_u32_b32 v18, v18, 0
	v_bcnt_u32_b32 v18, v19, v18
	s_waitcnt lgkmcnt(0)
	v_add_u32_e32 v18, v120, v18
	ds_write_b32 v121, v18
.LBB132_51:                             ;   in Loop: Header=BB132_35 Depth=1
	s_or_b64 exec, exec, s[4:5]
	; wave barrier
	s_waitcnt lgkmcnt(0)
	s_barrier
	ds_read2_b32 v[20:21], v89 offset0:2 offset1:3
	ds_read2_b32 v[18:19], v105 offset0:2 offset1:3
	s_waitcnt lgkmcnt(1)
	v_add_u32_e32 v63, v21, v20
	s_waitcnt lgkmcnt(0)
	v_add3_u32 v19, v63, v18, v19
	s_nop 1
	v_mov_b32_dpp v63, v19 row_shr:1 row_mask:0xf bank_mask:0xf
	v_cndmask_b32_e64 v63, v63, 0, s[26:27]
	v_add_u32_e32 v19, v63, v19
	s_nop 1
	v_mov_b32_dpp v63, v19 row_shr:2 row_mask:0xf bank_mask:0xf
	v_cndmask_b32_e64 v63, 0, v63, s[28:29]
	v_add_u32_e32 v19, v19, v63
	;; [unrolled: 4-line block ×4, first 2 shown]
	s_nop 1
	v_mov_b32_dpp v63, v19 row_bcast:15 row_mask:0xf bank_mask:0xf
	v_cndmask_b32_e64 v63, v63, 0, s[36:37]
	v_add_u32_e32 v19, v19, v63
	s_nop 1
	v_mov_b32_dpp v63, v19 row_bcast:31 row_mask:0xf bank_mask:0xf
	v_cndmask_b32_e64 v63, 0, v63, s[16:17]
	v_add_u32_e32 v19, v19, v63
	s_and_saveexec_b64 s[4:5], s[38:39]
	s_cbranch_execz .LBB132_53
; %bb.52:                               ;   in Loop: Header=BB132_35 Depth=1
	ds_write_b32 v108, v19
.LBB132_53:                             ;   in Loop: Header=BB132_35 Depth=1
	s_or_b64 exec, exec, s[4:5]
	s_waitcnt lgkmcnt(0)
	s_barrier
	s_and_saveexec_b64 s[4:5], s[18:19]
	s_cbranch_execz .LBB132_55
; %bb.54:                               ;   in Loop: Header=BB132_35 Depth=1
	ds_read_b32 v63, v88
	s_waitcnt lgkmcnt(0)
	s_nop 0
	v_mov_b32_dpp v122, v63 row_shr:1 row_mask:0xf bank_mask:0xf
	v_cndmask_b32_e64 v122, v122, 0, s[40:41]
	v_add_u32_e32 v63, v122, v63
	ds_write_b32 v88, v63
.LBB132_55:                             ;   in Loop: Header=BB132_35 Depth=1
	s_or_b64 exec, exec, s[4:5]
	v_mov_b32_e32 v63, 0
	s_waitcnt lgkmcnt(0)
	s_barrier
	s_and_saveexec_b64 s[4:5], s[20:21]
	s_cbranch_execz .LBB132_57
; %bb.56:                               ;   in Loop: Header=BB132_35 Depth=1
	ds_read_b32 v63, v109
.LBB132_57:                             ;   in Loop: Header=BB132_35 Depth=1
	s_or_b64 exec, exec, s[4:5]
	s_waitcnt lgkmcnt(0)
	v_add_u32_e32 v19, v63, v19
	ds_bpermute_b32 v19, v107, v19
	s_cmp_gt_u32 s49, 23
	s_waitcnt lgkmcnt(0)
	v_cndmask_b32_e64 v19, v19, v63, s[22:23]
	v_cndmask_b32_e64 v19, v19, 0, s[24:25]
	v_add_u32_e32 v20, v19, v20
	v_add_u32_e32 v21, v20, v21
	;; [unrolled: 1-line block ×3, first 2 shown]
	ds_write2_b32 v89, v19, v20 offset0:2 offset1:3
	ds_write2_b32 v105, v21, v18 offset0:2 offset1:3
	s_waitcnt lgkmcnt(0)
	s_barrier
	ds_read_b32 v18, v22
	ds_read_b32 v19, v25
	;; [unrolled: 1-line block ×8, first 2 shown]
	s_waitcnt lgkmcnt(7)
	v_add_u32_e32 v63, v18, v23
	s_waitcnt lgkmcnt(6)
	v_add3_u32 v121, v26, v24, v19
	s_waitcnt lgkmcnt(5)
	v_add3_u32 v122, v29, v27, v20
	;; [unrolled: 2-line block ×7, first 2 shown]
	s_cbranch_scc0 .LBB132_34
; %bb.58:
                                        ; implicit-def: $vgpr71
                                        ; implicit-def: $vgpr69
                                        ; implicit-def: $vgpr67
                                        ; implicit-def: $vgpr65
                                        ; implicit-def: $vgpr32_vgpr33
                                        ; implicit-def: $vgpr28_vgpr29
                                        ; implicit-def: $vgpr24_vgpr25
                                        ; implicit-def: $vgpr20_vgpr21
                                        ; implicit-def: $sgpr49
                                        ; implicit-def: $sgpr53
.LBB132_59:
	v_lshlrev_b32_e32 v18, 2, v63
	s_barrier
	ds_write_b32 v18, v119
	v_lshlrev_b32_e32 v18, 2, v121
	ds_write_b32 v18, v118
	v_lshlrev_b32_e32 v18, 2, v122
	;; [unrolled: 2-line block ×7, first 2 shown]
	v_lshlrev_b32_e32 v22, 2, v87
	ds_write_b32 v18, v112
	s_waitcnt lgkmcnt(0)
	s_barrier
	ds_read2_b32 v[18:19], v22 offset1:1
	ds_read2_b32 v[20:21], v22 offset0:2 offset1:3
	ds_read2_b32 v[66:67], v22 offset0:4 offset1:5
	;; [unrolled: 1-line block ×3, first 2 shown]
	v_lshlrev_b32_e32 v23, 3, v63
	v_lshlrev_b32_e32 v24, 3, v121
	;; [unrolled: 1-line block ×9, first 2 shown]
	s_waitcnt lgkmcnt(3)
	v_xor_b32_e32 v62, 0x80000000, v18
	v_xor_b32_e32 v64, 0x80000000, v19
	s_waitcnt lgkmcnt(2)
	v_xor_b32_e32 v63, 0x80000000, v20
	v_xor_b32_e32 v65, 0x80000000, v21
	s_waitcnt lgkmcnt(0)
	s_barrier
	ds_write_b64 v23, v[60:61]
	ds_write_b64 v24, v[58:59]
	;; [unrolled: 1-line block ×8, first 2 shown]
	s_waitcnt lgkmcnt(0)
	s_barrier
	ds_read2_b64 v[18:21], v31 offset1:1
	ds_read2_b64 v[22:25], v31 offset0:2 offset1:3
	ds_read2_b64 v[26:29], v31 offset0:4 offset1:5
	;; [unrolled: 1-line block ×3, first 2 shown]
	v_xor_b32_e32 v66, 0x80000000, v66
	v_xor_b32_e32 v0, 0x80000000, v67
	;; [unrolled: 1-line block ×4, first 2 shown]
	s_branch .LBB132_95
.LBB132_60:
	v_mov_b32_e32 v37, 0
	v_lshlrev_b64 v[2:3], 3, v[36:37]
	v_mov_b32_e32 v4, s47
	v_add_co_u32_e32 v2, vcc, s45, v2
	v_addc_co_u32_e32 v3, vcc, v4, v3, vcc
	global_load_dwordx2 v[2:3], v[2:3], off
	v_mov_b32_e32 v4, v37
	v_mov_b32_e32 v5, v37
	;; [unrolled: 1-line block ×14, first 2 shown]
	s_or_b64 exec, exec, s[4:5]
	s_and_saveexec_b64 s[4:5], s[2:3]
	s_cbranch_execz .LBB132_25
.LBB132_61:
	v_mul_lo_u32 v4, v30, s48
	v_mov_b32_e32 v5, 0
	v_lshlrev_b64 v[4:5], 3, v[4:5]
	v_mov_b32_e32 v30, s47
	v_add_co_u32_e32 v4, vcc, s45, v4
	v_addc_co_u32_e32 v5, vcc, v30, v5, vcc
	global_load_dwordx2 v[4:5], v[4:5], off
	s_or_b64 exec, exec, s[4:5]
	s_and_saveexec_b64 s[4:5], s[42:43]
	s_cbranch_execz .LBB132_26
.LBB132_62:
	v_mul_lo_u32 v6, v28, s48
	v_mov_b32_e32 v7, 0
	v_lshlrev_b64 v[6:7], 3, v[6:7]
	v_mov_b32_e32 v28, s47
	v_add_co_u32_e32 v6, vcc, s45, v6
	v_addc_co_u32_e32 v7, vcc, v28, v7, vcc
	global_load_dwordx2 v[6:7], v[6:7], off
	s_or_b64 exec, exec, s[4:5]
	s_and_saveexec_b64 s[4:5], s[6:7]
	s_cbranch_execz .LBB132_27
.LBB132_63:
	v_mul_lo_u32 v8, v26, s48
	v_mov_b32_e32 v9, 0
	v_lshlrev_b64 v[8:9], 3, v[8:9]
	v_mov_b32_e32 v26, s47
	v_add_co_u32_e32 v8, vcc, s45, v8
	v_addc_co_u32_e32 v9, vcc, v26, v9, vcc
	global_load_dwordx2 v[8:9], v[8:9], off
	s_or_b64 exec, exec, s[4:5]
	s_and_saveexec_b64 s[4:5], s[8:9]
	s_cbranch_execz .LBB132_28
.LBB132_64:
	v_mul_lo_u32 v10, v24, s48
	v_mov_b32_e32 v11, 0
	v_lshlrev_b64 v[10:11], 3, v[10:11]
	v_mov_b32_e32 v24, s47
	v_add_co_u32_e32 v10, vcc, s45, v10
	v_addc_co_u32_e32 v11, vcc, v24, v11, vcc
	global_load_dwordx2 v[10:11], v[10:11], off
	s_or_b64 exec, exec, s[4:5]
	s_and_saveexec_b64 s[4:5], s[10:11]
	s_cbranch_execz .LBB132_29
.LBB132_65:
	v_mul_lo_u32 v12, v21, s48
	v_mov_b32_e32 v13, 0
	v_lshlrev_b64 v[12:13], 3, v[12:13]
	v_mov_b32_e32 v21, s47
	v_add_co_u32_e32 v12, vcc, s45, v12
	v_addc_co_u32_e32 v13, vcc, v21, v13, vcc
	global_load_dwordx2 v[12:13], v[12:13], off
	s_or_b64 exec, exec, s[4:5]
	s_and_saveexec_b64 s[4:5], s[12:13]
	s_cbranch_execz .LBB132_30
.LBB132_66:
	v_mul_lo_u32 v14, v19, s48
	v_mov_b32_e32 v15, 0
	v_lshlrev_b64 v[14:15], 3, v[14:15]
	v_mov_b32_e32 v19, s47
	v_add_co_u32_e32 v14, vcc, s45, v14
	v_addc_co_u32_e32 v15, vcc, v19, v15, vcc
	global_load_dwordx2 v[14:15], v[14:15], off
	s_or_b64 exec, exec, s[4:5]
	s_xor_b64 s[4:5], s[34:35], -1
	s_and_saveexec_b64 s[16:17], s[14:15]
	s_cbranch_execnz .LBB132_31
	s_branch .LBB132_32
.LBB132_67:
                                        ; implicit-def: $vgpr48
                                        ; implicit-def: $vgpr1
                                        ; implicit-def: $vgpr0
                                        ; implicit-def: $vgpr66
                                        ; implicit-def: $vgpr65
                                        ; implicit-def: $vgpr63
                                        ; implicit-def: $vgpr64
                                        ; implicit-def: $vgpr62
                                        ; implicit-def: $vgpr32_vgpr33
                                        ; implicit-def: $vgpr28_vgpr29
                                        ; implicit-def: $vgpr24_vgpr25
                                        ; implicit-def: $vgpr20_vgpr21
	s_cbranch_execz .LBB132_95
; %bb.68:
	v_xor_b32_e32 v0, 0x7fffffff, v47
	v_xor_b32_e32 v1, 0x7fffffff, v46
	s_waitcnt lgkmcnt(3)
	v_xor_b32_e32 v18, 0x7fffffff, v45
	v_xor_b32_e32 v19, 0x7fffffff, v44
	;; [unrolled: 1-line block ×4, first 2 shown]
	s_waitcnt lgkmcnt(2)
	v_xor_b32_e32 v22, 0x7fffffff, v41
	v_xor_b32_e32 v23, 0x7fffffff, v40
	ds_write2_b32 v104, v1, v0 offset1:1
	ds_write2_b32 v104, v19, v18 offset0:2 offset1:3
	ds_write2_b32 v104, v21, v20 offset0:4 offset1:5
	;; [unrolled: 1-line block ×3, first 2 shown]
	; wave barrier
	ds_read2st64_b32 v[40:41], v103 offset1:1
	ds_read2st64_b32 v[42:43], v103 offset0:2 offset1:3
	ds_read2st64_b32 v[44:45], v103 offset0:4 offset1:5
	;; [unrolled: 1-line block ×3, first 2 shown]
	s_waitcnt lgkmcnt(0)
	s_barrier
	ds_write2_b64 v102, v[14:15], v[16:17] offset1:1
	ds_write2_b64 v102, v[10:11], v[12:13] offset0:2 offset1:3
	ds_write2_b64 v102, v[6:7], v[8:9] offset0:4 offset1:5
	;; [unrolled: 1-line block ×3, first 2 shown]
	; wave barrier
	ds_read2st64_b64 v[0:3], v101 offset1:1
	ds_read2st64_b64 v[4:7], v101 offset0:2 offset1:3
	ds_read2st64_b64 v[8:11], v101 offset0:4 offset1:5
	;; [unrolled: 1-line block ×3, first 2 shown]
	s_waitcnt lgkmcnt(0)
	s_barrier
	s_load_dword s16, s[50:51], 0xc
	s_getpc_b64 s[4:5]
	s_add_u32 s4, s4, _ZN7rocprim17ROCPRIM_400000_NS16block_radix_sortIiLj128ELj8ElLj1ELj1ELj0ELNS0_26block_radix_rank_algorithmE1ELNS0_18block_padding_hintE2ELNS0_4arch9wavefront6targetE1EE19radix_bits_per_passE@rel32@lo+4
	s_addc_u32 s5, s5, _ZN7rocprim17ROCPRIM_400000_NS16block_radix_sortIiLj128ELj8ElLj1ELj1ELj0ELNS0_26block_radix_rank_algorithmE1ELNS0_18block_padding_hintE2ELNS0_4arch9wavefront6targetE1EE19radix_bits_per_passE@rel32@hi+12
	s_load_dword s49, s[4:5], 0x0
	v_cmp_lt_i32_e32 vcc, v92, v98
	v_cmp_gt_u32_e64 s[30:31], 2, v38
	s_waitcnt lgkmcnt(0)
	s_lshr_b32 s4, s16, 16
	s_and_b32 s5, s16, 0xffff
	v_mad_u32_u24 v16, v100, s4, v99
	v_mad_u64_u32 v[16:17], s[4:5], v16, s5, v[38:39]
	v_lshrrev_b32_e32 v49, 6, v16
	v_or_b32_e32 v16, 63, v97
	v_cmp_eq_u32_e64 s[28:29], v16, v38
	v_cmp_lt_u32_e64 s[34:35], 63, v38
	v_cndmask_b32_e32 v16, v92, v90, vcc
	v_cmp_eq_u32_e64 s[38:39], 0, v38
	v_and_b32_e32 v38, 60, v93
	v_or_b32_e32 v48, 8, v89
	s_mov_b32 s50, 0
	v_cmp_eq_u32_e64 s[16:17], 0, v95
	v_cmp_lt_u32_e64 s[18:19], 1, v95
	v_cmp_lt_u32_e64 s[20:21], 3, v95
	;; [unrolled: 1-line block ×3, first 2 shown]
	v_cmp_eq_u32_e64 s[24:25], 0, v96
	v_cmp_lt_u32_e64 s[26:27], 31, v90
	v_lshlrev_b32_e32 v50, 2, v16
	v_cmp_eq_u32_e64 s[36:37], 0, v90
	v_cmp_eq_u32_e64 s[40:41], 0, v94
	v_add_u32_e32 v51, -4, v38
	v_lshlrev_b32_e32 v52, 2, v91
	v_lshlrev_b32_e32 v53, 3, v91
	s_mov_b32 s51, 32
	v_mov_b32_e32 v32, 0
	s_branch .LBB132_70
.LBB132_69:                             ;   in Loop: Header=BB132_70 Depth=1
	v_lshlrev_b32_e32 v0, 2, v33
	s_barrier
	ds_write_b32 v0, v61
	v_lshlrev_b32_e32 v0, 2, v63
	ds_write_b32 v0, v60
	v_lshlrev_b32_e32 v0, 2, v64
	;; [unrolled: 2-line block ×8, first 2 shown]
	s_waitcnt lgkmcnt(0)
	s_barrier
	ds_read2st64_b32 v[40:41], v52 offset1:1
	ds_read2st64_b32 v[42:43], v52 offset0:2 offset1:3
	ds_read2st64_b32 v[44:45], v52 offset0:4 offset1:5
	;; [unrolled: 1-line block ×3, first 2 shown]
	s_waitcnt lgkmcnt(0)
	s_barrier
	ds_write_b64 v0, v[30:31]
	v_lshlrev_b32_e32 v0, 3, v63
	ds_write_b64 v0, v[28:29]
	v_lshlrev_b32_e32 v0, 3, v64
	ds_write_b64 v0, v[26:27]
	v_lshlrev_b32_e32 v0, 3, v65
	ds_write_b64 v0, v[24:25]
	v_lshlrev_b32_e32 v0, 3, v66
	ds_write_b64 v0, v[22:23]
	v_lshlrev_b32_e32 v0, 3, v67
	ds_write_b64 v0, v[20:21]
	v_lshlrev_b32_e32 v0, 3, v68
	ds_write_b64 v0, v[18:19]
	v_lshlrev_b32_e32 v0, 3, v62
	ds_write_b64 v0, v[16:17]
	s_waitcnt lgkmcnt(0)
	s_barrier
	ds_read2st64_b64 v[0:3], v53 offset1:1
	ds_read2st64_b64 v[4:7], v53 offset0:2 offset1:3
	ds_read2st64_b64 v[8:11], v53 offset0:4 offset1:5
	;; [unrolled: 1-line block ×3, first 2 shown]
	s_add_i32 s50, s50, 8
	s_add_i32 s51, s51, -8
	s_waitcnt lgkmcnt(0)
	s_barrier
	s_cbranch_execz .LBB132_94
.LBB132_70:                             ; =>This Inner Loop Header: Depth=1
	s_min_u32 s4, s49, s51
	v_mov_b32_e32 v61, v40
	s_lshl_b32 s4, -1, s4
	v_pk_mov_b32 v[30:31], v[0:1], v[0:1] op_sel:[0,1]
	s_not_b32 s52, s4
	v_lshrrev_b32_e32 v0, s50, v61
	v_and_b32_e32 v0, s52, v0
	v_lshl_add_u32 v1, v0, 1, v49
	v_pk_mov_b32 v[26:27], v[4:5], v[4:5] op_sel:[0,1]
	v_lshl_add_u32 v4, v1, 2, 8
	v_and_b32_e32 v1, 1, v0
	v_pk_mov_b32 v[28:29], v[2:3], v[2:3] op_sel:[0,1]
	v_add_co_u32_e32 v2, vcc, -1, v1
	v_addc_co_u32_e64 v3, s[4:5], 0, -1, vcc
	v_cmp_ne_u32_e32 vcc, 0, v1
	v_lshlrev_b32_e32 v33, 30, v0
	v_xor_b32_e32 v1, vcc_hi, v3
	v_not_b32_e32 v3, v33
	v_xor_b32_e32 v2, vcc_lo, v2
	v_cmp_gt_i64_e32 vcc, 0, v[32:33]
	v_ashrrev_i32_e32 v3, 31, v3
	v_and_b32_e32 v2, exec_lo, v2
	v_xor_b32_e32 v5, vcc_hi, v3
	v_xor_b32_e32 v3, vcc_lo, v3
	v_lshlrev_b32_e32 v33, 29, v0
	v_and_b32_e32 v2, v2, v3
	v_not_b32_e32 v3, v33
	v_and_b32_e32 v1, exec_hi, v1
	v_cmp_gt_i64_e32 vcc, 0, v[32:33]
	v_ashrrev_i32_e32 v3, 31, v3
	v_and_b32_e32 v1, v1, v5
	v_xor_b32_e32 v5, vcc_hi, v3
	v_xor_b32_e32 v3, vcc_lo, v3
	v_lshlrev_b32_e32 v33, 28, v0
	v_and_b32_e32 v2, v2, v3
	v_not_b32_e32 v3, v33
	v_cmp_gt_i64_e32 vcc, 0, v[32:33]
	v_ashrrev_i32_e32 v3, 31, v3
	v_and_b32_e32 v1, v1, v5
	v_xor_b32_e32 v5, vcc_hi, v3
	v_xor_b32_e32 v3, vcc_lo, v3
	v_lshlrev_b32_e32 v33, 27, v0
	v_and_b32_e32 v2, v2, v3
	v_not_b32_e32 v3, v33
	;; [unrolled: 8-line block ×3, first 2 shown]
	v_cmp_gt_i64_e32 vcc, 0, v[32:33]
	v_ashrrev_i32_e32 v3, 31, v3
	v_and_b32_e32 v1, v1, v5
	v_xor_b32_e32 v5, vcc_hi, v3
	v_xor_b32_e32 v3, vcc_lo, v3
	v_lshlrev_b32_e32 v33, 25, v0
	v_and_b32_e32 v2, v2, v3
	v_cmp_gt_i64_e32 vcc, 0, v[32:33]
	v_not_b32_e32 v3, v33
	v_lshlrev_b32_e32 v33, 24, v0
	v_ashrrev_i32_e32 v3, 31, v3
	v_not_b32_e32 v0, v33
	v_and_b32_e32 v1, v1, v5
	v_xor_b32_e32 v5, vcc_hi, v3
	v_xor_b32_e32 v3, vcc_lo, v3
	v_cmp_gt_i64_e32 vcc, 0, v[32:33]
	v_ashrrev_i32_e32 v0, 31, v0
	v_and_b32_e32 v2, v2, v3
	v_xor_b32_e32 v3, vcc_hi, v0
	v_xor_b32_e32 v0, vcc_lo, v0
	v_and_b32_e32 v1, v1, v5
	v_and_b32_e32 v0, v2, v0
	;; [unrolled: 1-line block ×3, first 2 shown]
	v_mbcnt_lo_u32_b32 v2, v0, 0
	v_mbcnt_hi_u32_b32 v5, v1, v2
	v_cmp_eq_u32_e32 vcc, 0, v5
	v_cmp_ne_u64_e64 s[4:5], 0, v[0:1]
	v_mov_b32_e32 v54, v47
	v_mov_b32_e32 v55, v46
	;; [unrolled: 1-line block ×7, first 2 shown]
	v_pk_mov_b32 v[16:17], v[14:15], v[14:15] op_sel:[0,1]
	v_pk_mov_b32 v[18:19], v[12:13], v[12:13] op_sel:[0,1]
	;; [unrolled: 1-line block ×5, first 2 shown]
	s_and_b64 s[54:55], s[4:5], vcc
	ds_write2_b32 v89, v32, v32 offset0:2 offset1:3
	ds_write2_b32 v48, v32, v32 offset0:2 offset1:3
	s_waitcnt lgkmcnt(0)
	s_barrier
	s_waitcnt lgkmcnt(0)
	; wave barrier
	s_and_saveexec_b64 s[4:5], s[54:55]
	s_cbranch_execz .LBB132_72
; %bb.71:                               ;   in Loop: Header=BB132_70 Depth=1
	v_bcnt_u32_b32 v0, v0, 0
	v_bcnt_u32_b32 v0, v1, v0
	ds_write_b32 v4, v0
.LBB132_72:                             ;   in Loop: Header=BB132_70 Depth=1
	s_or_b64 exec, exec, s[4:5]
	v_lshrrev_b32_e32 v0, s50, v60
	v_and_b32_e32 v0, s52, v0
	v_lshlrev_b32_e32 v1, 1, v0
	v_add_lshl_u32 v1, v1, v49, 2
	; wave barrier
	v_add_u32_e32 v7, 8, v1
	ds_read_b32 v6, v1 offset:8
	v_and_b32_e32 v1, 1, v0
	v_add_co_u32_e32 v2, vcc, -1, v1
	v_addc_co_u32_e64 v3, s[4:5], 0, -1, vcc
	v_cmp_ne_u32_e32 vcc, 0, v1
	v_lshlrev_b32_e32 v33, 30, v0
	v_xor_b32_e32 v1, vcc_hi, v3
	v_not_b32_e32 v3, v33
	v_xor_b32_e32 v2, vcc_lo, v2
	v_cmp_gt_i64_e32 vcc, 0, v[32:33]
	v_ashrrev_i32_e32 v3, 31, v3
	v_and_b32_e32 v2, exec_lo, v2
	v_xor_b32_e32 v8, vcc_hi, v3
	v_xor_b32_e32 v3, vcc_lo, v3
	v_lshlrev_b32_e32 v33, 29, v0
	v_and_b32_e32 v2, v2, v3
	v_not_b32_e32 v3, v33
	v_and_b32_e32 v1, exec_hi, v1
	v_cmp_gt_i64_e32 vcc, 0, v[32:33]
	v_ashrrev_i32_e32 v3, 31, v3
	v_and_b32_e32 v1, v1, v8
	v_xor_b32_e32 v8, vcc_hi, v3
	v_xor_b32_e32 v3, vcc_lo, v3
	v_lshlrev_b32_e32 v33, 28, v0
	v_and_b32_e32 v2, v2, v3
	v_not_b32_e32 v3, v33
	v_cmp_gt_i64_e32 vcc, 0, v[32:33]
	v_ashrrev_i32_e32 v3, 31, v3
	v_and_b32_e32 v1, v1, v8
	v_xor_b32_e32 v8, vcc_hi, v3
	v_xor_b32_e32 v3, vcc_lo, v3
	v_lshlrev_b32_e32 v33, 27, v0
	v_and_b32_e32 v2, v2, v3
	v_not_b32_e32 v3, v33
	;; [unrolled: 8-line block ×3, first 2 shown]
	v_cmp_gt_i64_e32 vcc, 0, v[32:33]
	v_ashrrev_i32_e32 v3, 31, v3
	v_and_b32_e32 v1, v1, v8
	v_xor_b32_e32 v8, vcc_hi, v3
	v_xor_b32_e32 v3, vcc_lo, v3
	v_lshlrev_b32_e32 v33, 25, v0
	v_and_b32_e32 v2, v2, v3
	v_cmp_gt_i64_e32 vcc, 0, v[32:33]
	v_not_b32_e32 v3, v33
	v_lshlrev_b32_e32 v33, 24, v0
	v_ashrrev_i32_e32 v3, 31, v3
	v_not_b32_e32 v0, v33
	v_and_b32_e32 v1, v1, v8
	v_xor_b32_e32 v8, vcc_hi, v3
	v_xor_b32_e32 v3, vcc_lo, v3
	v_cmp_gt_i64_e32 vcc, 0, v[32:33]
	v_ashrrev_i32_e32 v0, 31, v0
	v_and_b32_e32 v2, v2, v3
	v_xor_b32_e32 v3, vcc_hi, v0
	v_xor_b32_e32 v0, vcc_lo, v0
	v_and_b32_e32 v1, v1, v8
	v_and_b32_e32 v0, v2, v0
	;; [unrolled: 1-line block ×3, first 2 shown]
	v_mbcnt_lo_u32_b32 v2, v0, 0
	v_mbcnt_hi_u32_b32 v8, v1, v2
	v_cmp_eq_u32_e32 vcc, 0, v8
	v_cmp_ne_u64_e64 s[4:5], 0, v[0:1]
	s_and_b64 s[54:55], s[4:5], vcc
	; wave barrier
	s_and_saveexec_b64 s[4:5], s[54:55]
	s_cbranch_execz .LBB132_74
; %bb.73:                               ;   in Loop: Header=BB132_70 Depth=1
	v_bcnt_u32_b32 v0, v0, 0
	v_bcnt_u32_b32 v0, v1, v0
	s_waitcnt lgkmcnt(0)
	v_add_u32_e32 v0, v6, v0
	ds_write_b32 v7, v0
.LBB132_74:                             ;   in Loop: Header=BB132_70 Depth=1
	s_or_b64 exec, exec, s[4:5]
	v_lshrrev_b32_e32 v0, s50, v59
	v_and_b32_e32 v0, s52, v0
	v_lshlrev_b32_e32 v1, 1, v0
	v_add_lshl_u32 v1, v1, v49, 2
	; wave barrier
	v_add_u32_e32 v10, 8, v1
	ds_read_b32 v9, v1 offset:8
	v_and_b32_e32 v1, 1, v0
	v_add_co_u32_e32 v2, vcc, -1, v1
	v_addc_co_u32_e64 v3, s[4:5], 0, -1, vcc
	v_cmp_ne_u32_e32 vcc, 0, v1
	v_lshlrev_b32_e32 v33, 30, v0
	v_xor_b32_e32 v1, vcc_hi, v3
	v_not_b32_e32 v3, v33
	v_xor_b32_e32 v2, vcc_lo, v2
	v_cmp_gt_i64_e32 vcc, 0, v[32:33]
	v_ashrrev_i32_e32 v3, 31, v3
	v_and_b32_e32 v2, exec_lo, v2
	v_xor_b32_e32 v11, vcc_hi, v3
	v_xor_b32_e32 v3, vcc_lo, v3
	v_lshlrev_b32_e32 v33, 29, v0
	v_and_b32_e32 v2, v2, v3
	v_not_b32_e32 v3, v33
	v_and_b32_e32 v1, exec_hi, v1
	v_cmp_gt_i64_e32 vcc, 0, v[32:33]
	v_ashrrev_i32_e32 v3, 31, v3
	v_and_b32_e32 v1, v1, v11
	v_xor_b32_e32 v11, vcc_hi, v3
	v_xor_b32_e32 v3, vcc_lo, v3
	v_lshlrev_b32_e32 v33, 28, v0
	v_and_b32_e32 v2, v2, v3
	v_not_b32_e32 v3, v33
	v_cmp_gt_i64_e32 vcc, 0, v[32:33]
	v_ashrrev_i32_e32 v3, 31, v3
	v_and_b32_e32 v1, v1, v11
	v_xor_b32_e32 v11, vcc_hi, v3
	v_xor_b32_e32 v3, vcc_lo, v3
	v_lshlrev_b32_e32 v33, 27, v0
	v_and_b32_e32 v2, v2, v3
	v_not_b32_e32 v3, v33
	;; [unrolled: 8-line block ×3, first 2 shown]
	v_cmp_gt_i64_e32 vcc, 0, v[32:33]
	v_ashrrev_i32_e32 v3, 31, v3
	v_and_b32_e32 v1, v1, v11
	v_xor_b32_e32 v11, vcc_hi, v3
	v_xor_b32_e32 v3, vcc_lo, v3
	v_lshlrev_b32_e32 v33, 25, v0
	v_and_b32_e32 v2, v2, v3
	v_cmp_gt_i64_e32 vcc, 0, v[32:33]
	v_not_b32_e32 v3, v33
	v_lshlrev_b32_e32 v33, 24, v0
	v_ashrrev_i32_e32 v3, 31, v3
	v_not_b32_e32 v0, v33
	v_and_b32_e32 v1, v1, v11
	v_xor_b32_e32 v11, vcc_hi, v3
	v_xor_b32_e32 v3, vcc_lo, v3
	v_cmp_gt_i64_e32 vcc, 0, v[32:33]
	v_ashrrev_i32_e32 v0, 31, v0
	v_and_b32_e32 v2, v2, v3
	v_xor_b32_e32 v3, vcc_hi, v0
	v_xor_b32_e32 v0, vcc_lo, v0
	v_and_b32_e32 v1, v1, v11
	v_and_b32_e32 v0, v2, v0
	;; [unrolled: 1-line block ×3, first 2 shown]
	v_mbcnt_lo_u32_b32 v2, v0, 0
	v_mbcnt_hi_u32_b32 v11, v1, v2
	v_cmp_eq_u32_e32 vcc, 0, v11
	v_cmp_ne_u64_e64 s[4:5], 0, v[0:1]
	s_and_b64 s[54:55], s[4:5], vcc
	; wave barrier
	s_and_saveexec_b64 s[4:5], s[54:55]
	s_cbranch_execz .LBB132_76
; %bb.75:                               ;   in Loop: Header=BB132_70 Depth=1
	v_bcnt_u32_b32 v0, v0, 0
	v_bcnt_u32_b32 v0, v1, v0
	s_waitcnt lgkmcnt(0)
	v_add_u32_e32 v0, v9, v0
	ds_write_b32 v10, v0
.LBB132_76:                             ;   in Loop: Header=BB132_70 Depth=1
	s_or_b64 exec, exec, s[4:5]
	v_lshrrev_b32_e32 v0, s50, v58
	v_and_b32_e32 v0, s52, v0
	v_lshlrev_b32_e32 v1, 1, v0
	v_add_lshl_u32 v1, v1, v49, 2
	; wave barrier
	v_add_u32_e32 v13, 8, v1
	ds_read_b32 v12, v1 offset:8
	v_and_b32_e32 v1, 1, v0
	v_add_co_u32_e32 v2, vcc, -1, v1
	v_addc_co_u32_e64 v3, s[4:5], 0, -1, vcc
	v_cmp_ne_u32_e32 vcc, 0, v1
	v_lshlrev_b32_e32 v33, 30, v0
	v_xor_b32_e32 v1, vcc_hi, v3
	v_not_b32_e32 v3, v33
	v_xor_b32_e32 v2, vcc_lo, v2
	v_cmp_gt_i64_e32 vcc, 0, v[32:33]
	v_ashrrev_i32_e32 v3, 31, v3
	v_and_b32_e32 v2, exec_lo, v2
	v_xor_b32_e32 v14, vcc_hi, v3
	v_xor_b32_e32 v3, vcc_lo, v3
	v_lshlrev_b32_e32 v33, 29, v0
	v_and_b32_e32 v2, v2, v3
	v_not_b32_e32 v3, v33
	v_and_b32_e32 v1, exec_hi, v1
	v_cmp_gt_i64_e32 vcc, 0, v[32:33]
	v_ashrrev_i32_e32 v3, 31, v3
	v_and_b32_e32 v1, v1, v14
	v_xor_b32_e32 v14, vcc_hi, v3
	v_xor_b32_e32 v3, vcc_lo, v3
	v_lshlrev_b32_e32 v33, 28, v0
	v_and_b32_e32 v2, v2, v3
	v_not_b32_e32 v3, v33
	v_cmp_gt_i64_e32 vcc, 0, v[32:33]
	v_ashrrev_i32_e32 v3, 31, v3
	v_and_b32_e32 v1, v1, v14
	v_xor_b32_e32 v14, vcc_hi, v3
	v_xor_b32_e32 v3, vcc_lo, v3
	v_lshlrev_b32_e32 v33, 27, v0
	v_and_b32_e32 v2, v2, v3
	v_not_b32_e32 v3, v33
	;; [unrolled: 8-line block ×3, first 2 shown]
	v_cmp_gt_i64_e32 vcc, 0, v[32:33]
	v_ashrrev_i32_e32 v3, 31, v3
	v_and_b32_e32 v1, v1, v14
	v_xor_b32_e32 v14, vcc_hi, v3
	v_xor_b32_e32 v3, vcc_lo, v3
	v_lshlrev_b32_e32 v33, 25, v0
	v_and_b32_e32 v2, v2, v3
	v_cmp_gt_i64_e32 vcc, 0, v[32:33]
	v_not_b32_e32 v3, v33
	v_lshlrev_b32_e32 v33, 24, v0
	v_ashrrev_i32_e32 v3, 31, v3
	v_not_b32_e32 v0, v33
	v_and_b32_e32 v1, v1, v14
	v_xor_b32_e32 v14, vcc_hi, v3
	v_xor_b32_e32 v3, vcc_lo, v3
	v_cmp_gt_i64_e32 vcc, 0, v[32:33]
	v_ashrrev_i32_e32 v0, 31, v0
	v_and_b32_e32 v2, v2, v3
	v_xor_b32_e32 v3, vcc_hi, v0
	v_xor_b32_e32 v0, vcc_lo, v0
	v_and_b32_e32 v1, v1, v14
	v_and_b32_e32 v0, v2, v0
	;; [unrolled: 1-line block ×3, first 2 shown]
	v_mbcnt_lo_u32_b32 v2, v0, 0
	v_mbcnt_hi_u32_b32 v14, v1, v2
	v_cmp_eq_u32_e32 vcc, 0, v14
	v_cmp_ne_u64_e64 s[4:5], 0, v[0:1]
	s_and_b64 s[54:55], s[4:5], vcc
	; wave barrier
	s_and_saveexec_b64 s[4:5], s[54:55]
	s_cbranch_execz .LBB132_78
; %bb.77:                               ;   in Loop: Header=BB132_70 Depth=1
	v_bcnt_u32_b32 v0, v0, 0
	v_bcnt_u32_b32 v0, v1, v0
	s_waitcnt lgkmcnt(0)
	v_add_u32_e32 v0, v12, v0
	ds_write_b32 v13, v0
.LBB132_78:                             ;   in Loop: Header=BB132_70 Depth=1
	s_or_b64 exec, exec, s[4:5]
	v_lshrrev_b32_e32 v0, s50, v57
	v_and_b32_e32 v0, s52, v0
	v_lshlrev_b32_e32 v1, 1, v0
	v_add_lshl_u32 v1, v1, v49, 2
	; wave barrier
	v_add_u32_e32 v40, 8, v1
	ds_read_b32 v15, v1 offset:8
	v_and_b32_e32 v1, 1, v0
	v_add_co_u32_e32 v2, vcc, -1, v1
	v_addc_co_u32_e64 v3, s[4:5], 0, -1, vcc
	v_cmp_ne_u32_e32 vcc, 0, v1
	v_lshlrev_b32_e32 v33, 30, v0
	v_xor_b32_e32 v1, vcc_hi, v3
	v_not_b32_e32 v3, v33
	v_xor_b32_e32 v2, vcc_lo, v2
	v_cmp_gt_i64_e32 vcc, 0, v[32:33]
	v_ashrrev_i32_e32 v3, 31, v3
	v_and_b32_e32 v1, exec_hi, v1
	v_xor_b32_e32 v33, vcc_hi, v3
	v_and_b32_e32 v2, exec_lo, v2
	v_xor_b32_e32 v3, vcc_lo, v3
	v_and_b32_e32 v1, v1, v33
	v_lshlrev_b32_e32 v33, 29, v0
	v_and_b32_e32 v2, v2, v3
	v_not_b32_e32 v3, v33
	v_cmp_gt_i64_e32 vcc, 0, v[32:33]
	v_ashrrev_i32_e32 v3, 31, v3
	v_xor_b32_e32 v33, vcc_hi, v3
	v_xor_b32_e32 v3, vcc_lo, v3
	v_and_b32_e32 v1, v1, v33
	v_lshlrev_b32_e32 v33, 28, v0
	v_and_b32_e32 v2, v2, v3
	v_not_b32_e32 v3, v33
	v_cmp_gt_i64_e32 vcc, 0, v[32:33]
	v_ashrrev_i32_e32 v3, 31, v3
	v_xor_b32_e32 v33, vcc_hi, v3
	;; [unrolled: 8-line block ×5, first 2 shown]
	v_and_b32_e32 v1, v1, v33
	v_lshlrev_b32_e32 v33, 24, v0
	v_not_b32_e32 v0, v33
	v_xor_b32_e32 v3, vcc_lo, v3
	v_cmp_gt_i64_e32 vcc, 0, v[32:33]
	v_ashrrev_i32_e32 v0, 31, v0
	v_and_b32_e32 v2, v2, v3
	v_xor_b32_e32 v3, vcc_hi, v0
	v_xor_b32_e32 v0, vcc_lo, v0
	v_and_b32_e32 v0, v2, v0
	v_and_b32_e32 v1, v1, v3
	v_mbcnt_lo_u32_b32 v2, v0, 0
	v_mbcnt_hi_u32_b32 v41, v1, v2
	v_cmp_eq_u32_e32 vcc, 0, v41
	v_cmp_ne_u64_e64 s[4:5], 0, v[0:1]
	s_and_b64 s[54:55], s[4:5], vcc
	; wave barrier
	s_and_saveexec_b64 s[4:5], s[54:55]
	s_cbranch_execz .LBB132_80
; %bb.79:                               ;   in Loop: Header=BB132_70 Depth=1
	v_bcnt_u32_b32 v0, v0, 0
	v_bcnt_u32_b32 v0, v1, v0
	s_waitcnt lgkmcnt(0)
	v_add_u32_e32 v0, v15, v0
	ds_write_b32 v40, v0
.LBB132_80:                             ;   in Loop: Header=BB132_70 Depth=1
	s_or_b64 exec, exec, s[4:5]
	v_lshrrev_b32_e32 v0, s50, v56
	v_and_b32_e32 v0, s52, v0
	v_lshlrev_b32_e32 v1, 1, v0
	v_add_lshl_u32 v1, v1, v49, 2
	; wave barrier
	v_add_u32_e32 v43, 8, v1
	ds_read_b32 v42, v1 offset:8
	v_and_b32_e32 v1, 1, v0
	v_add_co_u32_e32 v2, vcc, -1, v1
	v_addc_co_u32_e64 v3, s[4:5], 0, -1, vcc
	v_cmp_ne_u32_e32 vcc, 0, v1
	v_lshlrev_b32_e32 v33, 30, v0
	v_xor_b32_e32 v1, vcc_hi, v3
	v_not_b32_e32 v3, v33
	v_xor_b32_e32 v2, vcc_lo, v2
	v_cmp_gt_i64_e32 vcc, 0, v[32:33]
	v_ashrrev_i32_e32 v3, 31, v3
	v_and_b32_e32 v1, exec_hi, v1
	v_xor_b32_e32 v33, vcc_hi, v3
	v_and_b32_e32 v2, exec_lo, v2
	v_xor_b32_e32 v3, vcc_lo, v3
	v_and_b32_e32 v1, v1, v33
	v_lshlrev_b32_e32 v33, 29, v0
	v_and_b32_e32 v2, v2, v3
	v_not_b32_e32 v3, v33
	v_cmp_gt_i64_e32 vcc, 0, v[32:33]
	v_ashrrev_i32_e32 v3, 31, v3
	v_xor_b32_e32 v33, vcc_hi, v3
	v_xor_b32_e32 v3, vcc_lo, v3
	v_and_b32_e32 v1, v1, v33
	v_lshlrev_b32_e32 v33, 28, v0
	v_and_b32_e32 v2, v2, v3
	v_not_b32_e32 v3, v33
	v_cmp_gt_i64_e32 vcc, 0, v[32:33]
	v_ashrrev_i32_e32 v3, 31, v3
	v_xor_b32_e32 v33, vcc_hi, v3
	;; [unrolled: 8-line block ×5, first 2 shown]
	v_and_b32_e32 v1, v1, v33
	v_lshlrev_b32_e32 v33, 24, v0
	v_not_b32_e32 v0, v33
	v_xor_b32_e32 v3, vcc_lo, v3
	v_cmp_gt_i64_e32 vcc, 0, v[32:33]
	v_ashrrev_i32_e32 v0, 31, v0
	v_and_b32_e32 v2, v2, v3
	v_xor_b32_e32 v3, vcc_hi, v0
	v_xor_b32_e32 v0, vcc_lo, v0
	v_and_b32_e32 v0, v2, v0
	v_and_b32_e32 v1, v1, v3
	v_mbcnt_lo_u32_b32 v2, v0, 0
	v_mbcnt_hi_u32_b32 v44, v1, v2
	v_cmp_eq_u32_e32 vcc, 0, v44
	v_cmp_ne_u64_e64 s[4:5], 0, v[0:1]
	s_and_b64 s[54:55], s[4:5], vcc
	; wave barrier
	s_and_saveexec_b64 s[4:5], s[54:55]
	s_cbranch_execz .LBB132_82
; %bb.81:                               ;   in Loop: Header=BB132_70 Depth=1
	v_bcnt_u32_b32 v0, v0, 0
	v_bcnt_u32_b32 v0, v1, v0
	s_waitcnt lgkmcnt(0)
	v_add_u32_e32 v0, v42, v0
	ds_write_b32 v43, v0
.LBB132_82:                             ;   in Loop: Header=BB132_70 Depth=1
	s_or_b64 exec, exec, s[4:5]
	v_lshrrev_b32_e32 v0, s50, v55
	v_and_b32_e32 v0, s52, v0
	v_lshlrev_b32_e32 v1, 1, v0
	v_add_lshl_u32 v1, v1, v49, 2
	; wave barrier
	v_add_u32_e32 v46, 8, v1
	ds_read_b32 v45, v1 offset:8
	v_and_b32_e32 v1, 1, v0
	v_add_co_u32_e32 v2, vcc, -1, v1
	v_addc_co_u32_e64 v3, s[4:5], 0, -1, vcc
	v_cmp_ne_u32_e32 vcc, 0, v1
	v_lshlrev_b32_e32 v33, 30, v0
	v_xor_b32_e32 v1, vcc_hi, v3
	v_not_b32_e32 v3, v33
	v_xor_b32_e32 v2, vcc_lo, v2
	v_cmp_gt_i64_e32 vcc, 0, v[32:33]
	v_ashrrev_i32_e32 v3, 31, v3
	v_and_b32_e32 v1, exec_hi, v1
	v_xor_b32_e32 v33, vcc_hi, v3
	v_and_b32_e32 v2, exec_lo, v2
	v_xor_b32_e32 v3, vcc_lo, v3
	v_and_b32_e32 v1, v1, v33
	v_lshlrev_b32_e32 v33, 29, v0
	v_and_b32_e32 v2, v2, v3
	v_not_b32_e32 v3, v33
	v_cmp_gt_i64_e32 vcc, 0, v[32:33]
	v_ashrrev_i32_e32 v3, 31, v3
	v_xor_b32_e32 v33, vcc_hi, v3
	v_xor_b32_e32 v3, vcc_lo, v3
	v_and_b32_e32 v1, v1, v33
	v_lshlrev_b32_e32 v33, 28, v0
	v_and_b32_e32 v2, v2, v3
	v_not_b32_e32 v3, v33
	v_cmp_gt_i64_e32 vcc, 0, v[32:33]
	v_ashrrev_i32_e32 v3, 31, v3
	v_xor_b32_e32 v33, vcc_hi, v3
	;; [unrolled: 8-line block ×5, first 2 shown]
	v_and_b32_e32 v1, v1, v33
	v_lshlrev_b32_e32 v33, 24, v0
	v_not_b32_e32 v0, v33
	v_xor_b32_e32 v3, vcc_lo, v3
	v_cmp_gt_i64_e32 vcc, 0, v[32:33]
	v_ashrrev_i32_e32 v0, 31, v0
	v_and_b32_e32 v2, v2, v3
	v_xor_b32_e32 v3, vcc_hi, v0
	v_xor_b32_e32 v0, vcc_lo, v0
	v_and_b32_e32 v0, v2, v0
	v_and_b32_e32 v1, v1, v3
	v_mbcnt_lo_u32_b32 v2, v0, 0
	v_mbcnt_hi_u32_b32 v47, v1, v2
	v_cmp_eq_u32_e32 vcc, 0, v47
	v_cmp_ne_u64_e64 s[4:5], 0, v[0:1]
	s_and_b64 s[54:55], s[4:5], vcc
	; wave barrier
	s_and_saveexec_b64 s[4:5], s[54:55]
	s_cbranch_execz .LBB132_84
; %bb.83:                               ;   in Loop: Header=BB132_70 Depth=1
	v_bcnt_u32_b32 v0, v0, 0
	v_bcnt_u32_b32 v0, v1, v0
	s_waitcnt lgkmcnt(0)
	v_add_u32_e32 v0, v45, v0
	ds_write_b32 v46, v0
.LBB132_84:                             ;   in Loop: Header=BB132_70 Depth=1
	s_or_b64 exec, exec, s[4:5]
	v_lshrrev_b32_e32 v0, s50, v54
	v_and_b32_e32 v0, s52, v0
	v_lshlrev_b32_e32 v1, 1, v0
	v_add_lshl_u32 v1, v1, v49, 2
	; wave barrier
	v_add_u32_e32 v63, 8, v1
	ds_read_b32 v62, v1 offset:8
	v_and_b32_e32 v1, 1, v0
	v_add_co_u32_e32 v2, vcc, -1, v1
	v_addc_co_u32_e64 v3, s[4:5], 0, -1, vcc
	v_cmp_ne_u32_e32 vcc, 0, v1
	v_lshlrev_b32_e32 v33, 30, v0
	v_xor_b32_e32 v1, vcc_hi, v3
	v_not_b32_e32 v3, v33
	v_xor_b32_e32 v2, vcc_lo, v2
	v_cmp_gt_i64_e32 vcc, 0, v[32:33]
	v_ashrrev_i32_e32 v3, 31, v3
	v_and_b32_e32 v1, exec_hi, v1
	v_xor_b32_e32 v33, vcc_hi, v3
	v_and_b32_e32 v2, exec_lo, v2
	v_xor_b32_e32 v3, vcc_lo, v3
	v_and_b32_e32 v1, v1, v33
	v_lshlrev_b32_e32 v33, 29, v0
	v_and_b32_e32 v2, v2, v3
	v_not_b32_e32 v3, v33
	v_cmp_gt_i64_e32 vcc, 0, v[32:33]
	v_ashrrev_i32_e32 v3, 31, v3
	v_xor_b32_e32 v33, vcc_hi, v3
	v_xor_b32_e32 v3, vcc_lo, v3
	v_and_b32_e32 v1, v1, v33
	v_lshlrev_b32_e32 v33, 28, v0
	v_and_b32_e32 v2, v2, v3
	v_not_b32_e32 v3, v33
	v_cmp_gt_i64_e32 vcc, 0, v[32:33]
	v_ashrrev_i32_e32 v3, 31, v3
	v_xor_b32_e32 v33, vcc_hi, v3
	;; [unrolled: 8-line block ×5, first 2 shown]
	v_and_b32_e32 v1, v1, v33
	v_lshlrev_b32_e32 v33, 24, v0
	v_not_b32_e32 v0, v33
	v_xor_b32_e32 v3, vcc_lo, v3
	v_cmp_gt_i64_e32 vcc, 0, v[32:33]
	v_ashrrev_i32_e32 v0, 31, v0
	v_and_b32_e32 v2, v2, v3
	v_xor_b32_e32 v3, vcc_hi, v0
	v_xor_b32_e32 v0, vcc_lo, v0
	v_and_b32_e32 v0, v2, v0
	v_and_b32_e32 v1, v1, v3
	v_mbcnt_lo_u32_b32 v2, v0, 0
	v_mbcnt_hi_u32_b32 v69, v1, v2
	v_cmp_eq_u32_e32 vcc, 0, v69
	v_cmp_ne_u64_e64 s[4:5], 0, v[0:1]
	s_and_b64 s[52:53], s[4:5], vcc
	; wave barrier
	s_and_saveexec_b64 s[4:5], s[52:53]
	s_cbranch_execz .LBB132_86
; %bb.85:                               ;   in Loop: Header=BB132_70 Depth=1
	v_bcnt_u32_b32 v0, v0, 0
	v_bcnt_u32_b32 v0, v1, v0
	s_waitcnt lgkmcnt(0)
	v_add_u32_e32 v0, v62, v0
	ds_write_b32 v63, v0
.LBB132_86:                             ;   in Loop: Header=BB132_70 Depth=1
	s_or_b64 exec, exec, s[4:5]
	; wave barrier
	s_waitcnt lgkmcnt(0)
	s_barrier
	ds_read2_b32 v[2:3], v89 offset0:2 offset1:3
	ds_read2_b32 v[0:1], v48 offset0:2 offset1:3
	s_waitcnt lgkmcnt(1)
	v_add_u32_e32 v33, v3, v2
	s_waitcnt lgkmcnt(0)
	v_add3_u32 v1, v33, v0, v1
	s_nop 1
	v_mov_b32_dpp v33, v1 row_shr:1 row_mask:0xf bank_mask:0xf
	v_cndmask_b32_e64 v33, v33, 0, s[16:17]
	v_add_u32_e32 v1, v33, v1
	s_nop 1
	v_mov_b32_dpp v33, v1 row_shr:2 row_mask:0xf bank_mask:0xf
	v_cndmask_b32_e64 v33, 0, v33, s[18:19]
	v_add_u32_e32 v1, v1, v33
	;; [unrolled: 4-line block ×4, first 2 shown]
	s_nop 1
	v_mov_b32_dpp v33, v1 row_bcast:15 row_mask:0xf bank_mask:0xf
	v_cndmask_b32_e64 v33, v33, 0, s[24:25]
	v_add_u32_e32 v1, v1, v33
	s_nop 1
	v_mov_b32_dpp v33, v1 row_bcast:31 row_mask:0xf bank_mask:0xf
	v_cndmask_b32_e64 v33, 0, v33, s[26:27]
	v_add_u32_e32 v1, v1, v33
	s_and_saveexec_b64 s[4:5], s[28:29]
	s_cbranch_execz .LBB132_88
; %bb.87:                               ;   in Loop: Header=BB132_70 Depth=1
	ds_write_b32 v38, v1
.LBB132_88:                             ;   in Loop: Header=BB132_70 Depth=1
	s_or_b64 exec, exec, s[4:5]
	s_waitcnt lgkmcnt(0)
	s_barrier
	s_and_saveexec_b64 s[4:5], s[30:31]
	s_cbranch_execz .LBB132_90
; %bb.89:                               ;   in Loop: Header=BB132_70 Depth=1
	ds_read_b32 v33, v88
	s_waitcnt lgkmcnt(0)
	s_nop 0
	v_mov_b32_dpp v64, v33 row_shr:1 row_mask:0xf bank_mask:0xf
	v_cndmask_b32_e64 v64, v64, 0, s[40:41]
	v_add_u32_e32 v33, v64, v33
	ds_write_b32 v88, v33
.LBB132_90:                             ;   in Loop: Header=BB132_70 Depth=1
	s_or_b64 exec, exec, s[4:5]
	v_mov_b32_e32 v33, 0
	s_waitcnt lgkmcnt(0)
	s_barrier
	s_and_saveexec_b64 s[4:5], s[34:35]
	s_cbranch_execz .LBB132_92
; %bb.91:                               ;   in Loop: Header=BB132_70 Depth=1
	ds_read_b32 v33, v51
.LBB132_92:                             ;   in Loop: Header=BB132_70 Depth=1
	s_or_b64 exec, exec, s[4:5]
	s_waitcnt lgkmcnt(0)
	v_add_u32_e32 v1, v33, v1
	ds_bpermute_b32 v1, v50, v1
	s_cmp_gt_u32 s50, 23
	s_waitcnt lgkmcnt(0)
	v_cndmask_b32_e64 v1, v1, v33, s[36:37]
	v_cndmask_b32_e64 v1, v1, 0, s[38:39]
	v_add_u32_e32 v2, v1, v2
	v_add_u32_e32 v3, v2, v3
	v_add_u32_e32 v0, v3, v0
	ds_write2_b32 v89, v1, v2 offset0:2 offset1:3
	ds_write2_b32 v48, v3, v0 offset0:2 offset1:3
	s_waitcnt lgkmcnt(0)
	s_barrier
	ds_read_b32 v0, v4
	ds_read_b32 v1, v7
	;; [unrolled: 1-line block ×8, first 2 shown]
	s_waitcnt lgkmcnt(7)
	v_add_u32_e32 v33, v0, v5
	s_waitcnt lgkmcnt(6)
	v_add3_u32 v63, v8, v6, v1
	s_waitcnt lgkmcnt(5)
	v_add3_u32 v64, v11, v9, v2
	;; [unrolled: 2-line block ×7, first 2 shown]
	s_cbranch_scc0 .LBB132_69
; %bb.93:
                                        ; implicit-def: $vgpr47
                                        ; implicit-def: $vgpr45
                                        ; implicit-def: $vgpr43
                                        ; implicit-def: $vgpr41
                                        ; implicit-def: $vgpr14_vgpr15
                                        ; implicit-def: $vgpr10_vgpr11
                                        ; implicit-def: $vgpr6_vgpr7
                                        ; implicit-def: $vgpr2_vgpr3
                                        ; implicit-def: $sgpr50
                                        ; implicit-def: $sgpr51
.LBB132_94:
	v_lshlrev_b32_e32 v0, 2, v33
	s_barrier
	ds_write_b32 v0, v61
	v_lshlrev_b32_e32 v0, 2, v63
	ds_write_b32 v0, v60
	v_lshlrev_b32_e32 v0, 2, v64
	;; [unrolled: 2-line block ×7, first 2 shown]
	v_lshlrev_b32_e32 v6, 2, v87
	v_lshlrev_b32_e32 v8, 3, v33
	;; [unrolled: 1-line block ×3, first 2 shown]
	ds_write_b32 v0, v54
	s_waitcnt lgkmcnt(0)
	s_barrier
	v_lshlrev_b32_e32 v9, 3, v63
	v_lshlrev_b32_e32 v10, 3, v64
	;; [unrolled: 1-line block ×7, first 2 shown]
	ds_read2_b32 v[0:1], v6 offset1:1
	ds_read2_b32 v[2:3], v6 offset0:2 offset1:3
	ds_read2_b32 v[4:5], v6 offset0:4 offset1:5
	;; [unrolled: 1-line block ×3, first 2 shown]
	s_waitcnt lgkmcnt(0)
	s_barrier
	ds_write_b64 v8, v[30:31]
	ds_write_b64 v9, v[28:29]
	;; [unrolled: 1-line block ×8, first 2 shown]
	s_waitcnt lgkmcnt(0)
	s_barrier
	ds_read2_b64 v[18:21], v32 offset1:1
	ds_read2_b64 v[22:25], v32 offset0:2 offset1:3
	ds_read2_b64 v[26:29], v32 offset0:4 offset1:5
	ds_read2_b64 v[30:33], v32 offset0:6 offset1:7
	v_xor_b32_e32 v62, 0x7fffffff, v0
	v_xor_b32_e32 v64, 0x7fffffff, v1
	;; [unrolled: 1-line block ×8, first 2 shown]
.LBB132_95:
	s_waitcnt lgkmcnt(0)
	s_barrier
	ds_write2_b32 v78, v62, v64 offset1:1
	ds_write2_b32 v78, v63, v65 offset0:2 offset1:3
	ds_write2_b32 v78, v66, v0 offset0:4 offset1:5
	ds_write2_b32 v78, v1, v48 offset0:6 offset1:7
	s_waitcnt lgkmcnt(0)
	s_barrier
	ds_read_b32 v8, v35 offset:512
	ds_read_b32 v7, v72 offset:1024
	;; [unrolled: 1-line block ×7, first 2 shown]
	v_mov_b32_e32 v35, 0
	v_lshlrev_b64 v[0:1], 2, v[34:35]
	v_mov_b32_e32 v9, s44
	v_add_co_u32_e32 v0, vcc, s33, v0
	v_addc_co_u32_e32 v1, vcc, v9, v1, vcc
	s_and_saveexec_b64 s[4:5], s[0:1]
	s_cbranch_execnz .LBB132_114
; %bb.96:
	s_or_b64 exec, exec, s[4:5]
	s_and_saveexec_b64 s[4:5], s[2:3]
	s_cbranch_execnz .LBB132_115
.LBB132_97:
	s_or_b64 exec, exec, s[4:5]
	s_and_saveexec_b64 s[4:5], s[42:43]
	s_cbranch_execnz .LBB132_116
.LBB132_98:
	s_or_b64 exec, exec, s[4:5]
	s_and_saveexec_b64 s[4:5], s[6:7]
	s_cbranch_execnz .LBB132_117
.LBB132_99:
	s_or_b64 exec, exec, s[4:5]
	s_and_saveexec_b64 s[4:5], s[8:9]
	s_cbranch_execnz .LBB132_118
.LBB132_100:
	s_or_b64 exec, exec, s[4:5]
	s_and_saveexec_b64 s[4:5], s[10:11]
	s_cbranch_execnz .LBB132_119
.LBB132_101:
	s_or_b64 exec, exec, s[4:5]
	s_and_saveexec_b64 s[4:5], s[12:13]
	s_cbranch_execnz .LBB132_120
.LBB132_102:
	s_or_b64 exec, exec, s[4:5]
	s_and_saveexec_b64 s[4:5], s[14:15]
	s_cbranch_execz .LBB132_104
.LBB132_103:
	s_mul_i32 s16, s46, 0x380
	s_mov_b32 s17, 0
	s_lshl_b64 s[16:17], s[16:17], 2
	s_waitcnt lgkmcnt(1)
	v_mov_b32_e32 v3, s17
	v_add_co_u32_e32 v0, vcc, s16, v0
	v_addc_co_u32_e32 v1, vcc, v1, v3, vcc
	s_waitcnt lgkmcnt(0)
	global_store_dword v[0:1], v2, off
.LBB132_104:
	s_or_b64 exec, exec, s[4:5]
	s_waitcnt lgkmcnt(0)
	s_barrier
	ds_write2_b64 v86, v[18:19], v[20:21] offset1:1
	ds_write2_b64 v86, v[22:23], v[24:25] offset0:2 offset1:3
	ds_write2_b64 v86, v[26:27], v[28:29] offset0:4 offset1:5
	;; [unrolled: 1-line block ×3, first 2 shown]
	s_waitcnt lgkmcnt(0)
	s_barrier
	ds_read_b64 v[14:15], v37 offset:1024
	ds_read_b64 v[12:13], v80 offset:2048
	;; [unrolled: 1-line block ×7, first 2 shown]
	v_mov_b32_e32 v37, 0
	v_lshlrev_b64 v[2:3], 3, v[36:37]
	v_mov_b32_e32 v16, s47
	v_add_co_u32_e32 v2, vcc, s45, v2
	v_addc_co_u32_e32 v3, vcc, v16, v3, vcc
	s_and_saveexec_b64 s[4:5], s[0:1]
	s_cbranch_execnz .LBB132_121
; %bb.105:
	s_or_b64 exec, exec, s[4:5]
	s_and_saveexec_b64 s[0:1], s[2:3]
	s_cbranch_execnz .LBB132_122
.LBB132_106:
	s_or_b64 exec, exec, s[0:1]
	s_and_saveexec_b64 s[0:1], s[42:43]
	s_cbranch_execnz .LBB132_123
.LBB132_107:
	s_or_b64 exec, exec, s[0:1]
	s_and_saveexec_b64 s[0:1], s[6:7]
	s_cbranch_execnz .LBB132_124
.LBB132_108:
	s_or_b64 exec, exec, s[0:1]
	s_and_saveexec_b64 s[0:1], s[8:9]
	s_cbranch_execnz .LBB132_125
.LBB132_109:
	s_or_b64 exec, exec, s[0:1]
	s_and_saveexec_b64 s[0:1], s[10:11]
	s_cbranch_execnz .LBB132_126
.LBB132_110:
	s_or_b64 exec, exec, s[0:1]
	s_and_saveexec_b64 s[0:1], s[12:13]
	s_cbranch_execnz .LBB132_127
.LBB132_111:
	s_or_b64 exec, exec, s[0:1]
	s_and_saveexec_b64 s[0:1], s[14:15]
	s_cbranch_execz .LBB132_113
.LBB132_112:
	s_mul_i32 s0, s48, 0x380
	s_mov_b32 s1, 0
	s_lshl_b64 s[0:1], s[0:1], 3
	s_waitcnt lgkmcnt(1)
	v_mov_b32_e32 v4, s1
	v_add_co_u32_e32 v2, vcc, s0, v2
	v_addc_co_u32_e32 v3, vcc, v3, v4, vcc
	s_waitcnt lgkmcnt(0)
	global_store_dwordx2 v[2:3], v[0:1], off
.LBB132_113:
	s_endpgm
.LBB132_114:
	ds_read_b32 v9, v39
	s_waitcnt lgkmcnt(0)
	global_store_dword v[0:1], v9, off
	s_or_b64 exec, exec, s[4:5]
	s_and_saveexec_b64 s[4:5], s[2:3]
	s_cbranch_execz .LBB132_97
.LBB132_115:
	s_lshl_b32 s16, s46, 7
	s_mov_b32 s17, 0
	s_lshl_b64 s[16:17], s[16:17], 2
	v_mov_b32_e32 v9, s17
	v_add_co_u32_e32 v10, vcc, s16, v0
	v_addc_co_u32_e32 v11, vcc, v1, v9, vcc
	s_waitcnt lgkmcnt(6)
	global_store_dword v[10:11], v8, off
	s_or_b64 exec, exec, s[4:5]
	s_and_saveexec_b64 s[4:5], s[42:43]
	s_cbranch_execz .LBB132_98
.LBB132_116:
	s_lshl_b32 s16, s46, 8
	s_mov_b32 s17, 0
	s_lshl_b64 s[16:17], s[16:17], 2
	v_mov_b32_e32 v9, s17
	s_waitcnt lgkmcnt(6)
	v_add_co_u32_e32 v8, vcc, s16, v0
	v_addc_co_u32_e32 v9, vcc, v1, v9, vcc
	s_waitcnt lgkmcnt(5)
	global_store_dword v[8:9], v7, off
	s_or_b64 exec, exec, s[4:5]
	s_and_saveexec_b64 s[4:5], s[6:7]
	s_cbranch_execz .LBB132_99
.LBB132_117:
	s_mul_i32 s16, s46, 0x180
	s_mov_b32 s17, 0
	s_lshl_b64 s[16:17], s[16:17], 2
	s_waitcnt lgkmcnt(5)
	v_mov_b32_e32 v7, s17
	v_add_co_u32_e32 v8, vcc, s16, v0
	v_addc_co_u32_e32 v9, vcc, v1, v7, vcc
	s_waitcnt lgkmcnt(4)
	global_store_dword v[8:9], v6, off
	s_or_b64 exec, exec, s[4:5]
	s_and_saveexec_b64 s[4:5], s[8:9]
	s_cbranch_execz .LBB132_100
.LBB132_118:
	s_lshl_b32 s16, s46, 9
	s_mov_b32 s17, 0
	s_lshl_b64 s[16:17], s[16:17], 2
	s_waitcnt lgkmcnt(5)
	v_mov_b32_e32 v7, s17
	s_waitcnt lgkmcnt(4)
	v_add_co_u32_e32 v6, vcc, s16, v0
	v_addc_co_u32_e32 v7, vcc, v1, v7, vcc
	s_waitcnt lgkmcnt(3)
	global_store_dword v[6:7], v5, off
	s_or_b64 exec, exec, s[4:5]
	s_and_saveexec_b64 s[4:5], s[10:11]
	s_cbranch_execz .LBB132_101
.LBB132_119:
	s_mul_i32 s16, s46, 0x280
	s_mov_b32 s17, 0
	s_lshl_b64 s[16:17], s[16:17], 2
	s_waitcnt lgkmcnt(3)
	v_mov_b32_e32 v5, s17
	v_add_co_u32_e32 v6, vcc, s16, v0
	v_addc_co_u32_e32 v7, vcc, v1, v5, vcc
	s_waitcnt lgkmcnt(2)
	global_store_dword v[6:7], v4, off
	s_or_b64 exec, exec, s[4:5]
	s_and_saveexec_b64 s[4:5], s[12:13]
	s_cbranch_execz .LBB132_102
.LBB132_120:
	s_mul_i32 s16, s46, 0x300
	s_mov_b32 s17, 0
	s_lshl_b64 s[16:17], s[16:17], 2
	s_waitcnt lgkmcnt(3)
	v_mov_b32_e32 v5, s17
	s_waitcnt lgkmcnt(2)
	v_add_co_u32_e32 v4, vcc, s16, v0
	v_addc_co_u32_e32 v5, vcc, v1, v5, vcc
	s_waitcnt lgkmcnt(1)
	global_store_dword v[4:5], v3, off
	s_or_b64 exec, exec, s[4:5]
	s_and_saveexec_b64 s[4:5], s[14:15]
	s_cbranch_execnz .LBB132_103
	s_branch .LBB132_104
.LBB132_121:
	ds_read_b64 v[16:17], v79
	s_waitcnt lgkmcnt(0)
	global_store_dwordx2 v[2:3], v[16:17], off
	s_or_b64 exec, exec, s[4:5]
	s_and_saveexec_b64 s[0:1], s[2:3]
	s_cbranch_execz .LBB132_106
.LBB132_122:
	s_lshl_b32 s2, s48, 7
	s_mov_b32 s3, 0
	s_lshl_b64 s[2:3], s[2:3], 3
	v_mov_b32_e32 v17, s3
	v_add_co_u32_e32 v16, vcc, s2, v2
	v_addc_co_u32_e32 v17, vcc, v3, v17, vcc
	s_waitcnt lgkmcnt(6)
	global_store_dwordx2 v[16:17], v[14:15], off
	s_or_b64 exec, exec, s[0:1]
	s_and_saveexec_b64 s[0:1], s[42:43]
	s_cbranch_execz .LBB132_107
.LBB132_123:
	s_lshl_b32 s2, s48, 8
	s_mov_b32 s3, 0
	s_lshl_b64 s[2:3], s[2:3], 3
	s_waitcnt lgkmcnt(6)
	v_mov_b32_e32 v15, s3
	v_add_co_u32_e32 v14, vcc, s2, v2
	v_addc_co_u32_e32 v15, vcc, v3, v15, vcc
	s_waitcnt lgkmcnt(5)
	global_store_dwordx2 v[14:15], v[12:13], off
	s_or_b64 exec, exec, s[0:1]
	s_and_saveexec_b64 s[0:1], s[6:7]
	s_cbranch_execz .LBB132_108
.LBB132_124:
	s_mul_i32 s2, s48, 0x180
	s_mov_b32 s3, 0
	s_lshl_b64 s[2:3], s[2:3], 3
	s_waitcnt lgkmcnt(5)
	v_mov_b32_e32 v13, s3
	v_add_co_u32_e32 v12, vcc, s2, v2
	v_addc_co_u32_e32 v13, vcc, v3, v13, vcc
	s_waitcnt lgkmcnt(4)
	global_store_dwordx2 v[12:13], v[10:11], off
	s_or_b64 exec, exec, s[0:1]
	s_and_saveexec_b64 s[0:1], s[8:9]
	s_cbranch_execz .LBB132_109
.LBB132_125:
	s_lshl_b32 s2, s48, 9
	s_mov_b32 s3, 0
	s_lshl_b64 s[2:3], s[2:3], 3
	s_waitcnt lgkmcnt(4)
	v_mov_b32_e32 v11, s3
	v_add_co_u32_e32 v10, vcc, s2, v2
	v_addc_co_u32_e32 v11, vcc, v3, v11, vcc
	s_waitcnt lgkmcnt(3)
	global_store_dwordx2 v[10:11], v[8:9], off
	s_or_b64 exec, exec, s[0:1]
	s_and_saveexec_b64 s[0:1], s[10:11]
	s_cbranch_execz .LBB132_110
.LBB132_126:
	s_mul_i32 s2, s48, 0x280
	s_mov_b32 s3, 0
	s_lshl_b64 s[2:3], s[2:3], 3
	s_waitcnt lgkmcnt(3)
	v_mov_b32_e32 v9, s3
	v_add_co_u32_e32 v8, vcc, s2, v2
	v_addc_co_u32_e32 v9, vcc, v3, v9, vcc
	s_waitcnt lgkmcnt(2)
	global_store_dwordx2 v[8:9], v[6:7], off
	s_or_b64 exec, exec, s[0:1]
	s_and_saveexec_b64 s[0:1], s[12:13]
	s_cbranch_execz .LBB132_111
.LBB132_127:
	s_mul_i32 s2, s48, 0x300
	s_mov_b32 s3, 0
	s_lshl_b64 s[2:3], s[2:3], 3
	s_waitcnt lgkmcnt(2)
	v_mov_b32_e32 v7, s3
	v_add_co_u32_e32 v6, vcc, s2, v2
	v_addc_co_u32_e32 v7, vcc, v3, v7, vcc
	s_waitcnt lgkmcnt(1)
	global_store_dwordx2 v[6:7], v[4:5], off
	s_or_b64 exec, exec, s[0:1]
	s_and_saveexec_b64 s[0:1], s[14:15]
	s_cbranch_execnz .LBB132_112
	s_branch .LBB132_113
	.section	.rodata,"a",@progbits
	.p2align	6, 0x0
	.amdhsa_kernel _ZN2at6native18radixSortKVInPlaceILin1ELin1ELi128ELi8EiljEEvNS_4cuda6detail10TensorInfoIT3_T5_EES6_S6_S6_NS4_IT4_S6_EES6_b
		.amdhsa_group_segment_fixed_size 8448
		.amdhsa_private_segment_fixed_size 0
		.amdhsa_kernarg_size 712
		.amdhsa_user_sgpr_count 6
		.amdhsa_user_sgpr_private_segment_buffer 1
		.amdhsa_user_sgpr_dispatch_ptr 0
		.amdhsa_user_sgpr_queue_ptr 0
		.amdhsa_user_sgpr_kernarg_segment_ptr 1
		.amdhsa_user_sgpr_dispatch_id 0
		.amdhsa_user_sgpr_flat_scratch_init 0
		.amdhsa_user_sgpr_kernarg_preload_length 0
		.amdhsa_user_sgpr_kernarg_preload_offset 0
		.amdhsa_user_sgpr_private_segment_size 0
		.amdhsa_uses_dynamic_stack 0
		.amdhsa_system_sgpr_private_segment_wavefront_offset 0
		.amdhsa_system_sgpr_workgroup_id_x 1
		.amdhsa_system_sgpr_workgroup_id_y 1
		.amdhsa_system_sgpr_workgroup_id_z 1
		.amdhsa_system_sgpr_workgroup_info 0
		.amdhsa_system_vgpr_workitem_id 2
		.amdhsa_next_free_vgpr 128
		.amdhsa_next_free_sgpr 58
		.amdhsa_accum_offset 128
		.amdhsa_reserve_vcc 1
		.amdhsa_reserve_flat_scratch 0
		.amdhsa_float_round_mode_32 0
		.amdhsa_float_round_mode_16_64 0
		.amdhsa_float_denorm_mode_32 3
		.amdhsa_float_denorm_mode_16_64 3
		.amdhsa_dx10_clamp 1
		.amdhsa_ieee_mode 1
		.amdhsa_fp16_overflow 0
		.amdhsa_tg_split 0
		.amdhsa_exception_fp_ieee_invalid_op 0
		.amdhsa_exception_fp_denorm_src 0
		.amdhsa_exception_fp_ieee_div_zero 0
		.amdhsa_exception_fp_ieee_overflow 0
		.amdhsa_exception_fp_ieee_underflow 0
		.amdhsa_exception_fp_ieee_inexact 0
		.amdhsa_exception_int_div_zero 0
	.end_amdhsa_kernel
	.section	.text._ZN2at6native18radixSortKVInPlaceILin1ELin1ELi128ELi8EiljEEvNS_4cuda6detail10TensorInfoIT3_T5_EES6_S6_S6_NS4_IT4_S6_EES6_b,"axG",@progbits,_ZN2at6native18radixSortKVInPlaceILin1ELin1ELi128ELi8EiljEEvNS_4cuda6detail10TensorInfoIT3_T5_EES6_S6_S6_NS4_IT4_S6_EES6_b,comdat
.Lfunc_end132:
	.size	_ZN2at6native18radixSortKVInPlaceILin1ELin1ELi128ELi8EiljEEvNS_4cuda6detail10TensorInfoIT3_T5_EES6_S6_S6_NS4_IT4_S6_EES6_b, .Lfunc_end132-_ZN2at6native18radixSortKVInPlaceILin1ELin1ELi128ELi8EiljEEvNS_4cuda6detail10TensorInfoIT3_T5_EES6_S6_S6_NS4_IT4_S6_EES6_b
                                        ; -- End function
	.section	.AMDGPU.csdata,"",@progbits
; Kernel info:
; codeLenInByte = 13092
; NumSgprs: 62
; NumVgprs: 128
; NumAgprs: 0
; TotalNumVgprs: 128
; ScratchSize: 0
; MemoryBound: 0
; FloatMode: 240
; IeeeMode: 1
; LDSByteSize: 8448 bytes/workgroup (compile time only)
; SGPRBlocks: 7
; VGPRBlocks: 15
; NumSGPRsForWavesPerEU: 62
; NumVGPRsForWavesPerEU: 128
; AccumOffset: 128
; Occupancy: 4
; WaveLimiterHint : 1
; COMPUTE_PGM_RSRC2:SCRATCH_EN: 0
; COMPUTE_PGM_RSRC2:USER_SGPR: 6
; COMPUTE_PGM_RSRC2:TRAP_HANDLER: 0
; COMPUTE_PGM_RSRC2:TGID_X_EN: 1
; COMPUTE_PGM_RSRC2:TGID_Y_EN: 1
; COMPUTE_PGM_RSRC2:TGID_Z_EN: 1
; COMPUTE_PGM_RSRC2:TIDIG_COMP_CNT: 2
; COMPUTE_PGM_RSRC3_GFX90A:ACCUM_OFFSET: 31
; COMPUTE_PGM_RSRC3_GFX90A:TG_SPLIT: 0
	.section	.text._ZN2at6native18radixSortKVInPlaceILin1ELin1ELi32ELi4EiljEEvNS_4cuda6detail10TensorInfoIT3_T5_EES6_S6_S6_NS4_IT4_S6_EES6_b,"axG",@progbits,_ZN2at6native18radixSortKVInPlaceILin1ELin1ELi32ELi4EiljEEvNS_4cuda6detail10TensorInfoIT3_T5_EES6_S6_S6_NS4_IT4_S6_EES6_b,comdat
	.protected	_ZN2at6native18radixSortKVInPlaceILin1ELin1ELi32ELi4EiljEEvNS_4cuda6detail10TensorInfoIT3_T5_EES6_S6_S6_NS4_IT4_S6_EES6_b ; -- Begin function _ZN2at6native18radixSortKVInPlaceILin1ELin1ELi32ELi4EiljEEvNS_4cuda6detail10TensorInfoIT3_T5_EES6_S6_S6_NS4_IT4_S6_EES6_b
	.globl	_ZN2at6native18radixSortKVInPlaceILin1ELin1ELi32ELi4EiljEEvNS_4cuda6detail10TensorInfoIT3_T5_EES6_S6_S6_NS4_IT4_S6_EES6_b
	.p2align	8
	.type	_ZN2at6native18radixSortKVInPlaceILin1ELin1ELi32ELi4EiljEEvNS_4cuda6detail10TensorInfoIT3_T5_EES6_S6_S6_NS4_IT4_S6_EES6_b,@function
_ZN2at6native18radixSortKVInPlaceILin1ELin1ELi32ELi4EiljEEvNS_4cuda6detail10TensorInfoIT3_T5_EES6_S6_S6_NS4_IT4_S6_EES6_b: ; @_ZN2at6native18radixSortKVInPlaceILin1ELin1ELi32ELi4EiljEEvNS_4cuda6detail10TensorInfoIT3_T5_EES6_S6_S6_NS4_IT4_S6_EES6_b
; %bb.0:
	s_load_dwordx2 s[0:1], s[4:5], 0x1c8
	s_load_dwordx4 s[28:31], s[4:5], 0xd8
	s_waitcnt lgkmcnt(0)
	s_mul_i32 s1, s1, s8
	s_add_i32 s1, s1, s7
	s_mul_i32 s0, s1, s0
	s_add_i32 s16, s0, s6
	s_cmp_ge_u32 s16, s28
	s_cbranch_scc1 .LBB133_63
; %bb.1:
	s_load_dword s2, s[4:5], 0xd0
	s_mov_b32 s1, 0
	s_mov_b32 s0, s16
	s_waitcnt lgkmcnt(0)
	s_cmp_lt_i32 s2, 2
	s_cbranch_scc1 .LBB133_4
; %bb.2:
	s_add_i32 s0, s2, -1
	s_add_i32 s6, s2, 1
	s_lshl_b64 s[2:3], s[0:1], 2
	s_add_u32 s0, s2, s4
	s_addc_u32 s3, s3, s5
	s_add_u32 s2, s0, 8
	s_addc_u32 s3, s3, 0
	s_mov_b32 s0, s16
.LBB133_3:                              ; =>This Inner Loop Header: Depth=1
	s_load_dword s7, s[2:3], 0x0
	s_load_dword s9, s[2:3], 0x64
	s_mov_b32 s8, s0
	s_waitcnt lgkmcnt(0)
	v_cvt_f32_u32_e32 v1, s7
	s_sub_i32 s0, 0, s7
	v_rcp_iflag_f32_e32 v1, v1
	v_mul_f32_e32 v1, 0x4f7ffffe, v1
	v_cvt_u32_f32_e32 v1, v1
	v_readfirstlane_b32 s10, v1
	s_mul_i32 s0, s0, s10
	s_mul_hi_u32 s0, s10, s0
	s_add_i32 s10, s10, s0
	s_mul_hi_u32 s0, s8, s10
	s_mul_i32 s10, s0, s7
	s_sub_i32 s10, s8, s10
	s_add_i32 s11, s0, 1
	s_sub_i32 s12, s10, s7
	s_cmp_ge_u32 s10, s7
	s_cselect_b32 s0, s11, s0
	s_cselect_b32 s10, s12, s10
	s_add_i32 s11, s0, 1
	s_cmp_ge_u32 s10, s7
	s_cselect_b32 s0, s11, s0
	s_mul_i32 s7, s0, s7
	s_sub_i32 s7, s8, s7
	s_mul_i32 s7, s9, s7
	s_add_i32 s6, s6, -1
	s_add_i32 s1, s7, s1
	s_add_u32 s2, s2, -4
	s_addc_u32 s3, s3, -1
	s_cmp_gt_u32 s6, 2
	s_cbranch_scc1 .LBB133_3
.LBB133_4:
	s_load_dword s2, s[4:5], 0x1b8
	s_mov_b32 s15, 0
	s_waitcnt lgkmcnt(0)
	s_cmp_lt_i32 s2, 2
	s_cbranch_scc1 .LBB133_7
; %bb.5:
	s_add_i32 s14, s2, -1
	s_add_i32 s6, s2, 1
	s_lshl_b64 s[2:3], s[14:15], 2
	s_add_u32 s2, s2, s4
	s_addc_u32 s3, s3, s5
	s_add_u32 s2, s2, 0xf0
	s_addc_u32 s3, s3, 0
.LBB133_6:                              ; =>This Inner Loop Header: Depth=1
	s_load_dword s7, s[2:3], 0x0
	s_load_dword s9, s[2:3], 0x64
	s_mov_b32 s8, s16
	s_waitcnt lgkmcnt(0)
	v_cvt_f32_u32_e32 v1, s7
	s_sub_i32 s10, 0, s7
	v_rcp_iflag_f32_e32 v1, v1
	v_mul_f32_e32 v1, 0x4f7ffffe, v1
	v_cvt_u32_f32_e32 v1, v1
	v_readfirstlane_b32 s11, v1
	s_mul_i32 s10, s10, s11
	s_mul_hi_u32 s10, s11, s10
	s_add_i32 s11, s11, s10
	s_mul_hi_u32 s10, s16, s11
	s_mul_i32 s11, s10, s7
	s_sub_i32 s11, s16, s11
	s_add_i32 s12, s10, 1
	s_sub_i32 s13, s11, s7
	s_cmp_ge_u32 s11, s7
	s_cselect_b32 s10, s12, s10
	s_cselect_b32 s11, s13, s11
	s_add_i32 s12, s10, 1
	s_cmp_ge_u32 s11, s7
	s_cselect_b32 s16, s12, s10
	s_mul_i32 s7, s16, s7
	s_sub_i32 s7, s8, s7
	s_mul_i32 s7, s9, s7
	s_add_i32 s6, s6, -1
	s_add_i32 s15, s7, s15
	s_add_u32 s2, s2, -4
	s_addc_u32 s3, s3, -1
	s_cmp_gt_u32 s6, 2
	s_cbranch_scc1 .LBB133_6
.LBB133_7:
	s_load_dword s2, s[4:5], 0x6c
	s_load_dwordx2 s[26:27], s[4:5], 0x1c0
	s_brev_b32 s8, 1
	v_mul_lo_u32 v22, v0, s30
	s_waitcnt lgkmcnt(0)
	s_mul_i32 s0, s2, s0
	s_add_i32 s0, s0, s1
	s_load_dwordx2 s[2:3], s[4:5], 0x0
	s_bitcmp1_b32 s27, 0
	s_cselect_b64 s[12:13], -1, 0
	s_and_b64 s[6:7], s[12:13], exec
	s_cselect_b32 s8, s8, 0x7fffffff
	s_mov_b32 s1, 0
	s_lshl_b64 s[0:1], s[0:1], 2
	s_mov_b32 s9, s8
	s_waitcnt lgkmcnt(0)
	s_add_u32 s27, s2, s0
	s_mov_b32 s10, s8
	s_mov_b32 s11, s8
	v_pk_mov_b32 v[2:3], s[8:9], s[8:9] op_sel:[0,1]
	s_addc_u32 s31, s3, s1
	v_cmp_gt_u32_e64 s[0:1], s29, v0
	v_pk_mov_b32 v[4:5], s[10:11], s[10:11] op_sel:[0,1]
	v_mov_b32_e32 v6, s8
	s_and_saveexec_b64 s[2:3], s[0:1]
	s_cbranch_execz .LBB133_9
; %bb.8:
	v_mov_b32_e32 v23, 0
	v_lshlrev_b64 v[2:3], 2, v[22:23]
	v_mov_b32_e32 v1, s31
	v_add_co_u32_e32 v2, vcc, s27, v2
	v_addc_co_u32_e32 v3, vcc, v1, v3, vcc
	global_load_dword v6, v[2:3], off
	v_pk_mov_b32 v[2:3], s[8:9], s[8:9] op_sel:[0,1]
	v_pk_mov_b32 v[4:5], s[10:11], s[10:11] op_sel:[0,1]
                                        ; kill: def $vgpr2 killed $vgpr6 killed $exec
.LBB133_9:
	s_or_b64 exec, exec, s[2:3]
	v_or_b32_e32 v1, 32, v0
	v_cmp_gt_u32_e64 s[2:3], s29, v1
	s_and_saveexec_b64 s[6:7], s[2:3]
	s_cbranch_execz .LBB133_11
; %bb.10:
	v_mul_lo_u32 v2, v1, s30
	v_mov_b32_e32 v3, 0
	v_lshlrev_b64 v[2:3], 2, v[2:3]
	v_mov_b32_e32 v7, s31
	v_add_co_u32_e32 v2, vcc, s27, v2
	v_addc_co_u32_e32 v3, vcc, v7, v3, vcc
	global_load_dword v3, v[2:3], off
.LBB133_11:
	s_or_b64 exec, exec, s[6:7]
	s_load_dwordx2 s[8:9], s[4:5], 0xe8
	v_or_b32_e32 v11, 64, v0
	v_cmp_gt_u32_e64 s[24:25], s29, v11
	s_and_saveexec_b64 s[6:7], s[24:25]
	s_cbranch_execz .LBB133_13
; %bb.12:
	v_mul_lo_u32 v8, v11, s30
	v_mov_b32_e32 v9, 0
	v_lshlrev_b64 v[8:9], 2, v[8:9]
	v_mov_b32_e32 v2, s31
	v_add_co_u32_e32 v8, vcc, s27, v8
	v_addc_co_u32_e32 v9, vcc, v2, v9, vcc
	global_load_dword v4, v[8:9], off
.LBB133_13:
	s_or_b64 exec, exec, s[6:7]
	s_load_dword s10, s[4:5], 0x154
	v_or_b32_e32 v10, 0x60, v0
	v_cmp_gt_u32_e64 s[6:7], s29, v10
	s_and_saveexec_b64 s[4:5], s[6:7]
	s_cbranch_execz .LBB133_15
; %bb.14:
	v_mul_lo_u32 v8, v10, s30
	v_mov_b32_e32 v9, 0
	v_lshlrev_b64 v[8:9], 2, v[8:9]
	v_mov_b32_e32 v2, s31
	v_add_co_u32_e32 v8, vcc, s27, v8
	v_addc_co_u32_e32 v9, vcc, v2, v9, vcc
	global_load_dword v5, v[8:9], off
.LBB133_15:
	s_or_b64 exec, exec, s[4:5]
	v_lshrrev_b32_e32 v2, 5, v1
	v_add_u32_e32 v15, v2, v0
	v_lshrrev_b32_e32 v2, 5, v11
	v_add_u32_e32 v13, v2, v0
	v_lshrrev_b32_e32 v2, 5, v10
	v_lshlrev_b32_e32 v38, 2, v0
	v_add_u32_e32 v12, v2, v0
	v_lshrrev_b32_e32 v2, 3, v0
	v_or_b32_e32 v14, v2, v38
	v_lshlrev_b32_e32 v23, 2, v15
	v_lshlrev_b32_e32 v39, 2, v13
	;; [unrolled: 1-line block ×4, first 2 shown]
	s_waitcnt lgkmcnt(0)
	s_mul_i32 s4, s10, s16
	s_waitcnt vmcnt(0)
	ds_write_b32 v38, v6
	ds_write_b32 v23, v3 offset:128
	ds_write_b32 v39, v4 offset:256
	;; [unrolled: 1-line block ×3, first 2 shown]
	s_waitcnt lgkmcnt(0)
	; wave barrier
	s_waitcnt lgkmcnt(0)
	ds_read2_b32 v[28:29], v41 offset1:1
	ds_read2_b32 v[26:27], v41 offset0:2 offset1:3
	s_add_i32 s16, s4, s15
	s_mov_b32 s17, 0
	s_lshl_b64 s[4:5], s[16:17], 3
	s_mov_b32 s16, s17
	s_add_u32 s33, s8, s4
	s_mov_b32 s18, s17
	s_mov_b32 s19, s17
	;; [unrolled: 1-line block ×6, first 2 shown]
	v_pk_mov_b32 v[2:3], s[16:17], s[16:17] op_sel:[0,1]
	s_addc_u32 s38, s9, s5
	v_pk_mov_b32 v[4:5], s[18:19], s[18:19] op_sel:[0,1]
	v_pk_mov_b32 v[6:7], s[20:21], s[20:21] op_sel:[0,1]
	;; [unrolled: 1-line block ×3, first 2 shown]
	v_pk_mov_b32 v[2:3], 0, 0
	v_mul_lo_u32 v24, v0, s26
	s_waitcnt lgkmcnt(0)
	; wave barrier
	s_waitcnt lgkmcnt(0)
	s_and_saveexec_b64 s[4:5], s[0:1]
	s_cbranch_execnz .LBB133_35
; %bb.16:
	s_or_b64 exec, exec, s[4:5]
	s_and_saveexec_b64 s[4:5], s[2:3]
	s_cbranch_execnz .LBB133_36
.LBB133_17:
	s_or_b64 exec, exec, s[4:5]
	s_and_saveexec_b64 s[4:5], s[24:25]
	s_cbranch_execnz .LBB133_37
.LBB133_18:
	s_or_b64 exec, exec, s[4:5]
	s_xor_b64 s[4:5], s[12:13], -1
	s_and_saveexec_b64 s[8:9], s[6:7]
	s_cbranch_execz .LBB133_20
.LBB133_19:
	v_mul_lo_u32 v8, v10, s26
	v_mov_b32_e32 v9, 0
	v_lshlrev_b64 v[8:9], 3, v[8:9]
	v_mov_b32_e32 v10, s38
	v_add_co_u32_e32 v8, vcc, s33, v8
	v_addc_co_u32_e32 v9, vcc, v10, v9, vcc
	global_load_dwordx2 v[8:9], v[8:9], off
.LBB133_20:
	s_or_b64 exec, exec, s[8:9]
	v_mbcnt_lo_u32_b32 v10, -1, 0
	v_mbcnt_hi_u32_b32 v10, -1, v10
	v_lshlrev_b32_e32 v42, 3, v0
	v_lshlrev_b32_e32 v25, 3, v15
	;; [unrolled: 1-line block ×5, first 2 shown]
	s_getpc_b64 s[8:9]
	s_add_u32 s8, s8, _ZN7rocprim17ROCPRIM_400000_NS16block_radix_sortIiLj32ELj4ElLj1ELj1ELj0ELNS0_26block_radix_rank_algorithmE1ELNS0_18block_padding_hintE2ELNS0_4arch9wavefront6targetE1EE19radix_bits_per_passE@rel32@lo+4
	s_addc_u32 s9, s9, _ZN7rocprim17ROCPRIM_400000_NS16block_radix_sortIiLj32ELj4ElLj1ELj1ELj0ELNS0_26block_radix_rank_algorithmE1ELNS0_18block_padding_hintE2ELNS0_4arch9wavefront6targetE1EE19radix_bits_per_passE@rel32@hi+12
	v_and_b32_e32 v11, 15, v10
	s_waitcnt vmcnt(0)
	ds_write_b64 v42, v[2:3]
	ds_write_b64 v25, v[4:5] offset:256
	ds_write_b64 v43, v[6:7] offset:512
	;; [unrolled: 1-line block ×3, first 2 shown]
	s_waitcnt lgkmcnt(0)
	; wave barrier
	s_waitcnt lgkmcnt(0)
	ds_read2_b64 v[2:5], v45 offset1:1
	ds_read2_b64 v[6:9], v45 offset0:2 offset1:3
	s_load_dword s39, s[8:9], 0x0
	v_cmp_eq_u32_e64 s[10:11], 0, v11
	v_cmp_lt_u32_e64 s[12:13], 1, v11
	v_cmp_lt_u32_e64 s[14:15], 3, v11
	;; [unrolled: 1-line block ×3, first 2 shown]
	v_and_b32_e32 v11, 16, v10
	v_cmp_eq_u32_e64 s[18:19], 0, v11
	v_add_u32_e32 v11, -1, v10
	v_and_b32_e32 v12, 0x60, v10
	v_cmp_lt_i32_e32 vcc, v11, v12
	s_movk_i32 s8, 0x100
	v_cndmask_b32_e32 v11, v11, v10, vcc
	v_cmp_gt_u32_e64 s[8:9], s8, v0
	v_lshlrev_b32_e32 v48, 5, v0
	s_mov_b32 s40, 0
	v_cmp_eq_u32_e64 s[20:21], 31, v0
	v_lshlrev_b32_e32 v49, 2, v11
	v_cmp_eq_u32_e64 s[22:23], 0, v10
	v_lshlrev_b32_e32 v47, 2, v38
	v_lshlrev_b32_e32 v46, 3, v38
	s_and_b64 vcc, exec, s[4:5]
	v_add_u32_e64 v50, 7, 2
	s_waitcnt lgkmcnt(0)
	; wave barrier
	s_waitcnt lgkmcnt(0)
	s_cbranch_vccz .LBB133_38
; %bb.21:
	v_xor_b32_e32 v34, 0x80000000, v28
	v_xor_b32_e32 v35, 0x80000000, v29
	;; [unrolled: 1-line block ×4, first 2 shown]
	v_and_b32_e32 v51, 14, v50
	v_mov_b32_e32 v52, 0
	s_movk_i32 s41, 0xe0
	v_pk_mov_b32 v[10:11], v[2:3], v[2:3] op_sel:[0,1]
	v_pk_mov_b32 v[12:13], v[4:5], v[4:5] op_sel:[0,1]
	;; [unrolled: 1-line block ×4, first 2 shown]
	s_branch .LBB133_23
.LBB133_22:                             ;   in Loop: Header=BB133_23 Depth=1
	v_lshlrev_b32_e32 v10, 2, v57
	s_waitcnt lgkmcnt(0)
	; wave barrier
	ds_write_b32 v10, v56
	v_lshlrev_b32_e32 v10, 2, v58
	ds_write_b32 v10, v55
	v_lshlrev_b32_e32 v10, 2, v59
	;; [unrolled: 2-line block ×4, first 2 shown]
	s_waitcnt lgkmcnt(0)
	; wave barrier
	s_waitcnt lgkmcnt(0)
	ds_read2_b32 v[34:35], v47 offset1:1
	ds_read2_b32 v[36:37], v47 offset0:2 offset1:3
	s_waitcnt lgkmcnt(0)
	; wave barrier
	s_waitcnt lgkmcnt(0)
	ds_write_b64 v10, v[32:33]
	v_lshlrev_b32_e32 v10, 3, v58
	ds_write_b64 v10, v[30:31]
	v_lshlrev_b32_e32 v10, 3, v59
	;; [unrolled: 2-line block ×3, first 2 shown]
	ds_write_b64 v10, v[18:19]
	s_waitcnt lgkmcnt(0)
	; wave barrier
	s_waitcnt lgkmcnt(0)
	ds_read2_b64 v[10:13], v46 offset1:1
	ds_read2_b64 v[14:17], v46 offset0:2 offset1:3
	s_add_i32 s40, s40, 4
	s_waitcnt lgkmcnt(0)
	; wave barrier
	s_waitcnt lgkmcnt(0)
	s_cbranch_execz .LBB133_34
.LBB133_23:                             ; =>This Loop Header: Depth=1
                                        ;     Child Loop BB133_26 Depth 2
	v_mov_b32_e32 v53, v37
	v_mov_b32_e32 v54, v36
	;; [unrolled: 1-line block ×4, first 2 shown]
	v_pk_mov_b32 v[18:19], v[16:17], v[16:17] op_sel:[0,1]
	v_pk_mov_b32 v[20:21], v[14:15], v[14:15] op_sel:[0,1]
	;; [unrolled: 1-line block ×4, first 2 shown]
	s_and_saveexec_b64 s[4:5], s[8:9]
	s_cbranch_execz .LBB133_30
; %bb.24:                               ;   in Loop: Header=BB133_23 Depth=1
	s_mov_b32 s42, 0
	s_mov_b64 s[28:29], 0
	v_pk_mov_b32 v[10:11], v[0:1], v[0:1] op_sel:[0,1]
	s_branch .LBB133_26
.LBB133_25:                             ;   in Loop: Header=BB133_26 Depth=2
	s_or_b64 exec, exec, s[36:37]
	s_add_i32 s42, s42, 2
	v_cmp_eq_u32_e32 vcc, s42, v51
	v_add_u32_e32 v11, 64, v11
	s_or_b64 s[28:29], vcc, s[28:29]
	v_add_u32_e32 v10, 64, v10
	s_andn2_b64 exec, exec, s[28:29]
	s_cbranch_execz .LBB133_30
.LBB133_26:                             ;   Parent Loop BB133_23 Depth=1
                                        ; =>  This Inner Loop Header: Depth=2
	s_or_b32 s34, s42, 1
	v_cmp_le_u32_e64 s[34:35], s34, 7
	v_cmp_le_u32_e64 s[44:45], s42, 7
	s_and_saveexec_b64 s[36:37], s[44:45]
	s_cbranch_execz .LBB133_28
; %bb.27:                               ;   in Loop: Header=BB133_26 Depth=2
	v_lshlrev_b32_e32 v12, 2, v10
	ds_write_b32 v12, v52
.LBB133_28:                             ;   in Loop: Header=BB133_26 Depth=2
	s_or_b64 exec, exec, s[36:37]
	s_and_saveexec_b64 s[36:37], s[34:35]
	s_cbranch_execz .LBB133_25
; %bb.29:                               ;   in Loop: Header=BB133_26 Depth=2
	v_lshlrev_b32_e32 v12, 2, v11
	ds_write_b32 v12, v52
	s_branch .LBB133_25
.LBB133_30:                             ;   in Loop: Header=BB133_23 Depth=1
	s_or_b64 exec, exec, s[4:5]
	s_sub_i32 s4, 32, s40
	s_min_u32 s4, s39, s4
	s_lshl_b32 s4, -1, s4
	s_not_b32 s4, s4
	v_lshrrev_b32_e32 v10, s40, v56
	v_and_b32_e32 v10, s4, v10
	v_lshrrev_b32_e32 v11, 3, v10
	v_lshlrev_b32_e32 v10, 5, v10
	v_and_or_b32 v10, v10, s41, v0
	v_lshlrev_b32_e32 v10, 1, v10
	v_add_lshl_u32 v35, v10, v11, 1
	ds_read_u16 v34, v35
	v_lshrrev_b32_e32 v10, s40, v55
	v_and_b32_e32 v10, s4, v10
	s_waitcnt lgkmcnt(0)
	v_add_u16_e32 v11, 1, v34
	ds_write_b16 v35, v11
	v_lshrrev_b32_e32 v11, 3, v10
	v_lshlrev_b32_e32 v10, 5, v10
	v_and_or_b32 v10, v10, s41, v0
	v_lshlrev_b32_e32 v10, 1, v10
	v_add_lshl_u32 v37, v10, v11, 1
	ds_read_u16 v36, v37
	s_waitcnt lgkmcnt(0)
	v_add_u16_e32 v10, 1, v36
	ds_write_b16 v37, v10
	v_lshrrev_b32_e32 v10, s40, v54
	v_and_b32_e32 v10, s4, v10
	v_lshrrev_b32_e32 v11, 3, v10
	v_lshlrev_b32_e32 v10, 5, v10
	v_and_or_b32 v10, v10, s41, v0
	v_lshlrev_b32_e32 v10, 1, v10
	v_add_lshl_u32 v57, v10, v11, 1
	ds_read_u16 v59, v57
	s_waitcnt lgkmcnt(0)
	v_add_u16_e32 v10, 1, v59
	ds_write_b16 v57, v10
	v_lshrrev_b32_e32 v10, s40, v53
	v_and_b32_e32 v10, s4, v10
	v_lshrrev_b32_e32 v11, 3, v10
	v_lshlrev_b32_e32 v10, 5, v10
	v_and_or_b32 v10, v10, s41, v0
	v_lshlrev_b32_e32 v10, 1, v10
	v_add_lshl_u32 v58, v10, v11, 1
	ds_read_u16 v60, v58
	s_waitcnt lgkmcnt(0)
	v_add_u16_e32 v10, 1, v60
	ds_write_b16 v58, v10
	s_waitcnt lgkmcnt(0)
	; wave barrier
	s_waitcnt lgkmcnt(0)
	ds_read2_b32 v[16:17], v48 offset1:1
	ds_read2_b32 v[14:15], v48 offset0:2 offset1:3
	ds_read2_b32 v[10:11], v48 offset0:4 offset1:5
	;; [unrolled: 1-line block ×3, first 2 shown]
	s_waitcnt lgkmcnt(3)
	v_add_u32_e32 v61, v17, v16
	s_waitcnt lgkmcnt(2)
	v_add3_u32 v61, v61, v14, v15
	s_waitcnt lgkmcnt(1)
	v_add3_u32 v61, v61, v10, v11
	;; [unrolled: 2-line block ×3, first 2 shown]
	s_nop 1
	v_mov_b32_dpp v61, v13 row_shr:1 row_mask:0xf bank_mask:0xf
	v_cndmask_b32_e64 v61, v61, 0, s[10:11]
	v_add_u32_e32 v13, v61, v13
	s_nop 1
	v_mov_b32_dpp v61, v13 row_shr:2 row_mask:0xf bank_mask:0xf
	v_cndmask_b32_e64 v61, 0, v61, s[12:13]
	v_add_u32_e32 v13, v13, v61
	;; [unrolled: 4-line block ×4, first 2 shown]
	s_nop 1
	v_mov_b32_dpp v61, v13 row_bcast:15 row_mask:0xf bank_mask:0xf
	v_cndmask_b32_e64 v61, v61, 0, s[18:19]
	v_add_u32_e32 v13, v13, v61
	s_and_saveexec_b64 s[4:5], s[20:21]
	s_cbranch_execz .LBB133_32
; %bb.31:                               ;   in Loop: Header=BB133_23 Depth=1
	ds_write_b32 v52, v13 offset:1024
.LBB133_32:                             ;   in Loop: Header=BB133_23 Depth=1
	s_or_b64 exec, exec, s[4:5]
	ds_bpermute_b32 v13, v49, v13
	s_waitcnt lgkmcnt(0)
	; wave barrier
	s_waitcnt lgkmcnt(0)
	ds_read_b32 v61, v52 offset:1024
	s_cmp_gt_u32 s40, 27
	v_cndmask_b32_e64 v13, v13, 0, s[22:23]
	s_waitcnt lgkmcnt(0)
	v_lshl_add_u32 v13, v61, 16, v13
	v_add_u32_e32 v16, v13, v16
	v_add_u32_e32 v17, v16, v17
	ds_write2_b32 v48, v13, v16 offset1:1
	v_add_u32_e32 v13, v17, v14
	v_add_u32_e32 v14, v13, v15
	;; [unrolled: 1-line block ×5, first 2 shown]
	ds_write2_b32 v48, v17, v13 offset0:2 offset1:3
	ds_write2_b32 v48, v14, v10 offset0:4 offset1:5
	;; [unrolled: 1-line block ×3, first 2 shown]
	s_waitcnt lgkmcnt(0)
	; wave barrier
	s_waitcnt lgkmcnt(0)
	ds_read_u16 v10, v35
	ds_read_u16 v11, v37
	;; [unrolled: 1-line block ×4, first 2 shown]
	s_waitcnt lgkmcnt(3)
	v_add_u32_sdwa v57, v10, v34 dst_sel:DWORD dst_unused:UNUSED_PAD src0_sel:DWORD src1_sel:WORD_0
	s_waitcnt lgkmcnt(2)
	v_add_u32_sdwa v58, v11, v36 dst_sel:DWORD dst_unused:UNUSED_PAD src0_sel:DWORD src1_sel:WORD_0
	;; [unrolled: 2-line block ×4, first 2 shown]
	s_cbranch_scc0 .LBB133_22
; %bb.33:
                                        ; implicit-def: $vgpr37
                                        ; implicit-def: $vgpr35
                                        ; implicit-def: $vgpr16_vgpr17
                                        ; implicit-def: $vgpr12_vgpr13
                                        ; implicit-def: $sgpr40
.LBB133_34:
	v_lshlrev_b32_e32 v10, 2, v57
	s_waitcnt lgkmcnt(0)
	; wave barrier
	ds_write_b32 v10, v56
	v_lshlrev_b32_e32 v10, 2, v58
	ds_write_b32 v10, v55
	v_lshlrev_b32_e32 v10, 2, v59
	;; [unrolled: 2-line block ×4, first 2 shown]
	v_lshlrev_b32_e32 v11, 3, v58
	v_lshlrev_b32_e32 v12, 3, v59
	v_lshlrev_b32_e32 v13, 3, v60
	s_waitcnt lgkmcnt(0)
	; wave barrier
	s_waitcnt lgkmcnt(0)
	ds_read2_b32 v[34:35], v47 offset1:1
	ds_read2_b32 v[36:37], v47 offset0:2 offset1:3
	s_waitcnt lgkmcnt(0)
	; wave barrier
	s_waitcnt lgkmcnt(0)
	ds_write_b64 v10, v[32:33]
	ds_write_b64 v11, v[30:31]
	;; [unrolled: 1-line block ×4, first 2 shown]
	s_waitcnt lgkmcnt(0)
	; wave barrier
	s_waitcnt lgkmcnt(0)
	ds_read2_b64 v[10:13], v46 offset1:1
	ds_read2_b64 v[14:17], v46 offset0:2 offset1:3
	v_xor_b32_e32 v21, 0x80000000, v37
	v_xor_b32_e32 v20, 0x80000000, v36
	;; [unrolled: 1-line block ×4, first 2 shown]
	s_branch .LBB133_53
.LBB133_35:
	v_mov_b32_e32 v25, 0
	v_lshlrev_b64 v[2:3], 3, v[24:25]
	v_mov_b32_e32 v4, s38
	v_add_co_u32_e32 v2, vcc, s33, v2
	v_addc_co_u32_e32 v3, vcc, v4, v3, vcc
	global_load_dwordx2 v[2:3], v[2:3], off
	v_mov_b32_e32 v4, v25
	v_mov_b32_e32 v5, v25
	v_mov_b32_e32 v6, v25
	v_mov_b32_e32 v7, v25
	v_mov_b32_e32 v8, v25
	v_mov_b32_e32 v9, v25
	s_or_b64 exec, exec, s[4:5]
	s_and_saveexec_b64 s[4:5], s[2:3]
	s_cbranch_execz .LBB133_17
.LBB133_36:
	v_mul_lo_u32 v4, v1, s26
	v_mov_b32_e32 v5, 0
	v_lshlrev_b64 v[4:5], 3, v[4:5]
	v_mov_b32_e32 v16, s38
	v_add_co_u32_e32 v4, vcc, s33, v4
	v_addc_co_u32_e32 v5, vcc, v16, v5, vcc
	global_load_dwordx2 v[4:5], v[4:5], off
	s_or_b64 exec, exec, s[4:5]
	s_and_saveexec_b64 s[4:5], s[24:25]
	s_cbranch_execz .LBB133_18
.LBB133_37:
	v_mul_lo_u32 v6, v11, s26
	v_mov_b32_e32 v7, 0
	v_lshlrev_b64 v[6:7], 3, v[6:7]
	v_mov_b32_e32 v11, s38
	v_add_co_u32_e32 v6, vcc, s33, v6
	v_addc_co_u32_e32 v7, vcc, v11, v7, vcc
	global_load_dwordx2 v[6:7], v[6:7], off
	s_or_b64 exec, exec, s[4:5]
	s_xor_b64 s[4:5], s[12:13], -1
	s_and_saveexec_b64 s[8:9], s[6:7]
	s_cbranch_execnz .LBB133_19
	s_branch .LBB133_20
.LBB133_38:
                                        ; implicit-def: $vgpr16_vgpr17
                                        ; implicit-def: $vgpr12_vgpr13
                                        ; implicit-def: $vgpr18_vgpr19_vgpr20_vgpr21
	s_cbranch_execz .LBB133_53
; %bb.39:
	v_xor_b32_e32 v18, 0x7fffffff, v28
	v_xor_b32_e32 v19, 0x7fffffff, v29
	v_xor_b32_e32 v20, 0x7fffffff, v26
	v_xor_b32_e32 v21, 0x7fffffff, v27
	v_and_b32_e32 v26, 14, v50
	s_mov_b32 s41, 0
	v_mov_b32_e32 v27, 0
	s_movk_i32 s40, 0xe0
	s_branch .LBB133_41
.LBB133_40:                             ;   in Loop: Header=BB133_41 Depth=1
	v_lshlrev_b32_e32 v2, 2, v32
	s_waitcnt lgkmcnt(0)
	; wave barrier
	ds_write_b32 v2, v31
	v_lshlrev_b32_e32 v2, 2, v33
	ds_write_b32 v2, v30
	v_lshlrev_b32_e32 v2, 2, v34
	;; [unrolled: 2-line block ×4, first 2 shown]
	s_waitcnt lgkmcnt(0)
	; wave barrier
	s_waitcnt lgkmcnt(0)
	ds_read2_b32 v[18:19], v47 offset1:1
	ds_read2_b32 v[20:21], v47 offset0:2 offset1:3
	s_waitcnt lgkmcnt(0)
	; wave barrier
	s_waitcnt lgkmcnt(0)
	ds_write_b64 v2, v[16:17]
	v_lshlrev_b32_e32 v2, 3, v33
	ds_write_b64 v2, v[14:15]
	v_lshlrev_b32_e32 v2, 3, v34
	;; [unrolled: 2-line block ×3, first 2 shown]
	ds_write_b64 v2, v[10:11]
	s_waitcnt lgkmcnt(0)
	; wave barrier
	s_waitcnt lgkmcnt(0)
	ds_read2_b64 v[2:5], v46 offset1:1
	ds_read2_b64 v[6:9], v46 offset0:2 offset1:3
	s_add_i32 s41, s41, 4
	s_waitcnt lgkmcnt(0)
	; wave barrier
	s_waitcnt lgkmcnt(0)
	s_cbranch_execz .LBB133_52
.LBB133_41:                             ; =>This Loop Header: Depth=1
                                        ;     Child Loop BB133_44 Depth 2
	v_mov_b32_e32 v28, v21
	v_mov_b32_e32 v29, v20
	;; [unrolled: 1-line block ×4, first 2 shown]
	s_waitcnt lgkmcnt(1)
	v_pk_mov_b32 v[10:11], v[8:9], v[8:9] op_sel:[0,1]
	v_pk_mov_b32 v[12:13], v[6:7], v[6:7] op_sel:[0,1]
	s_waitcnt lgkmcnt(0)
	v_pk_mov_b32 v[14:15], v[4:5], v[4:5] op_sel:[0,1]
	v_pk_mov_b32 v[16:17], v[2:3], v[2:3] op_sel:[0,1]
	s_and_saveexec_b64 s[4:5], s[8:9]
	s_cbranch_execz .LBB133_48
; %bb.42:                               ;   in Loop: Header=BB133_41 Depth=1
	s_mov_b32 s42, 0
	s_mov_b64 s[28:29], 0
	v_pk_mov_b32 v[2:3], v[0:1], v[0:1] op_sel:[0,1]
	s_branch .LBB133_44
.LBB133_43:                             ;   in Loop: Header=BB133_44 Depth=2
	s_or_b64 exec, exec, s[36:37]
	s_add_i32 s42, s42, 2
	v_cmp_eq_u32_e32 vcc, s42, v26
	v_add_u32_e32 v3, 64, v3
	s_or_b64 s[28:29], vcc, s[28:29]
	v_add_u32_e32 v2, 64, v2
	s_andn2_b64 exec, exec, s[28:29]
	s_cbranch_execz .LBB133_48
.LBB133_44:                             ;   Parent Loop BB133_41 Depth=1
                                        ; =>  This Inner Loop Header: Depth=2
	s_or_b32 s34, s42, 1
	v_cmp_le_u32_e64 s[34:35], s34, 7
	v_cmp_le_u32_e64 s[44:45], s42, 7
	s_and_saveexec_b64 s[36:37], s[44:45]
	s_cbranch_execz .LBB133_46
; %bb.45:                               ;   in Loop: Header=BB133_44 Depth=2
	v_lshlrev_b32_e32 v4, 2, v2
	ds_write_b32 v4, v27
.LBB133_46:                             ;   in Loop: Header=BB133_44 Depth=2
	s_or_b64 exec, exec, s[36:37]
	s_and_saveexec_b64 s[36:37], s[34:35]
	s_cbranch_execz .LBB133_43
; %bb.47:                               ;   in Loop: Header=BB133_44 Depth=2
	v_lshlrev_b32_e32 v4, 2, v3
	ds_write_b32 v4, v27
	s_branch .LBB133_43
.LBB133_48:                             ;   in Loop: Header=BB133_41 Depth=1
	s_or_b64 exec, exec, s[4:5]
	s_sub_i32 s4, 32, s41
	s_min_u32 s4, s39, s4
	s_lshl_b32 s4, -1, s4
	s_not_b32 s4, s4
	v_lshrrev_b32_e32 v2, s41, v31
	v_and_b32_e32 v2, s4, v2
	v_lshrrev_b32_e32 v3, 3, v2
	v_lshlrev_b32_e32 v2, 5, v2
	v_and_or_b32 v2, v2, s40, v0
	v_lshlrev_b32_e32 v2, 1, v2
	v_add_lshl_u32 v19, v2, v3, 1
	ds_read_u16 v18, v19
	v_lshrrev_b32_e32 v2, s41, v30
	v_and_b32_e32 v2, s4, v2
	s_waitcnt lgkmcnt(0)
	v_add_u16_e32 v3, 1, v18
	ds_write_b16 v19, v3
	v_lshrrev_b32_e32 v3, 3, v2
	v_lshlrev_b32_e32 v2, 5, v2
	v_and_or_b32 v2, v2, s40, v0
	v_lshlrev_b32_e32 v2, 1, v2
	v_add_lshl_u32 v21, v2, v3, 1
	ds_read_u16 v20, v21
	s_waitcnt lgkmcnt(0)
	v_add_u16_e32 v2, 1, v20
	ds_write_b16 v21, v2
	v_lshrrev_b32_e32 v2, s41, v29
	v_and_b32_e32 v2, s4, v2
	v_lshrrev_b32_e32 v3, 3, v2
	v_lshlrev_b32_e32 v2, 5, v2
	v_and_or_b32 v2, v2, s40, v0
	v_lshlrev_b32_e32 v2, 1, v2
	v_add_lshl_u32 v32, v2, v3, 1
	ds_read_u16 v34, v32
	s_waitcnt lgkmcnt(0)
	v_add_u16_e32 v2, 1, v34
	ds_write_b16 v32, v2
	v_lshrrev_b32_e32 v2, s41, v28
	v_and_b32_e32 v2, s4, v2
	v_lshrrev_b32_e32 v3, 3, v2
	v_lshlrev_b32_e32 v2, 5, v2
	v_and_or_b32 v2, v2, s40, v0
	v_lshlrev_b32_e32 v2, 1, v2
	v_add_lshl_u32 v33, v2, v3, 1
	ds_read_u16 v35, v33
	s_waitcnt lgkmcnt(0)
	v_add_u16_e32 v2, 1, v35
	ds_write_b16 v33, v2
	s_waitcnt lgkmcnt(0)
	; wave barrier
	s_waitcnt lgkmcnt(0)
	ds_read2_b32 v[8:9], v48 offset1:1
	ds_read2_b32 v[6:7], v48 offset0:2 offset1:3
	ds_read2_b32 v[2:3], v48 offset0:4 offset1:5
	;; [unrolled: 1-line block ×3, first 2 shown]
	s_waitcnt lgkmcnt(3)
	v_add_u32_e32 v36, v9, v8
	s_waitcnt lgkmcnt(2)
	v_add3_u32 v36, v36, v6, v7
	s_waitcnt lgkmcnt(1)
	v_add3_u32 v36, v36, v2, v3
	;; [unrolled: 2-line block ×3, first 2 shown]
	s_nop 1
	v_mov_b32_dpp v36, v5 row_shr:1 row_mask:0xf bank_mask:0xf
	v_cndmask_b32_e64 v36, v36, 0, s[10:11]
	v_add_u32_e32 v5, v36, v5
	s_nop 1
	v_mov_b32_dpp v36, v5 row_shr:2 row_mask:0xf bank_mask:0xf
	v_cndmask_b32_e64 v36, 0, v36, s[12:13]
	v_add_u32_e32 v5, v5, v36
	;; [unrolled: 4-line block ×4, first 2 shown]
	s_nop 1
	v_mov_b32_dpp v36, v5 row_bcast:15 row_mask:0xf bank_mask:0xf
	v_cndmask_b32_e64 v36, v36, 0, s[18:19]
	v_add_u32_e32 v5, v5, v36
	s_and_saveexec_b64 s[4:5], s[20:21]
	s_cbranch_execz .LBB133_50
; %bb.49:                               ;   in Loop: Header=BB133_41 Depth=1
	ds_write_b32 v27, v5 offset:1024
.LBB133_50:                             ;   in Loop: Header=BB133_41 Depth=1
	s_or_b64 exec, exec, s[4:5]
	ds_bpermute_b32 v5, v49, v5
	s_waitcnt lgkmcnt(0)
	; wave barrier
	s_waitcnt lgkmcnt(0)
	ds_read_b32 v36, v27 offset:1024
	s_cmp_gt_u32 s41, 27
	v_cndmask_b32_e64 v5, v5, 0, s[22:23]
	s_waitcnt lgkmcnt(0)
	v_lshl_add_u32 v5, v36, 16, v5
	v_add_u32_e32 v8, v5, v8
	v_add_u32_e32 v9, v8, v9
	ds_write2_b32 v48, v5, v8 offset1:1
	v_add_u32_e32 v5, v9, v6
	v_add_u32_e32 v6, v5, v7
	;; [unrolled: 1-line block ×5, first 2 shown]
	ds_write2_b32 v48, v9, v5 offset0:2 offset1:3
	ds_write2_b32 v48, v6, v2 offset0:4 offset1:5
	;; [unrolled: 1-line block ×3, first 2 shown]
	s_waitcnt lgkmcnt(0)
	; wave barrier
	s_waitcnt lgkmcnt(0)
	ds_read_u16 v2, v19
	ds_read_u16 v3, v21
	;; [unrolled: 1-line block ×4, first 2 shown]
	s_waitcnt lgkmcnt(3)
	v_add_u32_sdwa v32, v2, v18 dst_sel:DWORD dst_unused:UNUSED_PAD src0_sel:DWORD src1_sel:WORD_0
	s_waitcnt lgkmcnt(2)
	v_add_u32_sdwa v33, v3, v20 dst_sel:DWORD dst_unused:UNUSED_PAD src0_sel:DWORD src1_sel:WORD_0
	;; [unrolled: 2-line block ×4, first 2 shown]
	s_cbranch_scc0 .LBB133_40
; %bb.51:
                                        ; implicit-def: $vgpr21
                                        ; implicit-def: $vgpr19
                                        ; implicit-def: $vgpr8_vgpr9
                                        ; implicit-def: $vgpr4_vgpr5
                                        ; implicit-def: $sgpr41
.LBB133_52:
	v_lshlrev_b32_e32 v0, 2, v32
	s_waitcnt lgkmcnt(0)
	; wave barrier
	ds_write_b32 v0, v31
	v_lshlrev_b32_e32 v0, 2, v33
	ds_write_b32 v0, v30
	v_lshlrev_b32_e32 v0, 2, v34
	;; [unrolled: 2-line block ×3, first 2 shown]
	v_lshlrev_b32_e32 v4, 3, v32
	ds_write_b32 v0, v28
	s_waitcnt lgkmcnt(0)
	; wave barrier
	s_waitcnt lgkmcnt(0)
	v_lshlrev_b32_e32 v5, 3, v33
	v_lshlrev_b32_e32 v6, 3, v34
	;; [unrolled: 1-line block ×3, first 2 shown]
	ds_read2_b32 v[0:1], v47 offset1:1
	ds_read2_b32 v[2:3], v47 offset0:2 offset1:3
	s_waitcnt lgkmcnt(0)
	; wave barrier
	s_waitcnt lgkmcnt(0)
	ds_write_b64 v4, v[16:17]
	ds_write_b64 v5, v[14:15]
	;; [unrolled: 1-line block ×4, first 2 shown]
	s_waitcnt lgkmcnt(0)
	; wave barrier
	s_waitcnt lgkmcnt(0)
	ds_read2_b64 v[10:13], v46 offset1:1
	ds_read2_b64 v[14:17], v46 offset0:2 offset1:3
	v_xor_b32_e32 v21, 0x7fffffff, v3
	v_xor_b32_e32 v20, 0x7fffffff, v2
	;; [unrolled: 1-line block ×4, first 2 shown]
.LBB133_53:
	s_waitcnt lgkmcnt(0)
	; wave barrier
	s_waitcnt lgkmcnt(0)
	ds_write2_b32 v41, v18, v19 offset1:1
	ds_write2_b32 v41, v20, v21 offset0:2 offset1:3
	s_waitcnt lgkmcnt(0)
	; wave barrier
	s_waitcnt lgkmcnt(0)
	ds_read_b32 v4, v23 offset:128
	ds_read_b32 v3, v39 offset:256
	;; [unrolled: 1-line block ×3, first 2 shown]
	v_mov_b32_e32 v23, 0
	v_lshlrev_b64 v[0:1], 2, v[22:23]
	v_mov_b32_e32 v5, s31
	v_add_co_u32_e32 v0, vcc, s27, v0
	v_addc_co_u32_e32 v1, vcc, v5, v1, vcc
	s_and_saveexec_b64 s[4:5], s[0:1]
	s_cbranch_execnz .LBB133_64
; %bb.54:
	s_or_b64 exec, exec, s[4:5]
	s_and_saveexec_b64 s[4:5], s[2:3]
	s_cbranch_execnz .LBB133_65
.LBB133_55:
	s_or_b64 exec, exec, s[4:5]
	s_and_saveexec_b64 s[4:5], s[24:25]
	s_cbranch_execnz .LBB133_66
.LBB133_56:
	s_or_b64 exec, exec, s[4:5]
	s_and_saveexec_b64 s[4:5], s[6:7]
	s_cbranch_execz .LBB133_58
.LBB133_57:
	s_mul_i32 s8, s30, 0x60
	s_mov_b32 s9, 0
	s_lshl_b64 s[8:9], s[8:9], 2
	s_waitcnt lgkmcnt(1)
	v_mov_b32_e32 v3, s9
	v_add_co_u32_e32 v0, vcc, s8, v0
	v_addc_co_u32_e32 v1, vcc, v1, v3, vcc
	s_waitcnt lgkmcnt(0)
	global_store_dword v[0:1], v2, off
.LBB133_58:
	s_or_b64 exec, exec, s[4:5]
	s_waitcnt lgkmcnt(0)
	; wave barrier
	s_waitcnt lgkmcnt(0)
	ds_write2_b64 v45, v[10:11], v[12:13] offset1:1
	ds_write2_b64 v45, v[14:15], v[16:17] offset0:2 offset1:3
	s_waitcnt lgkmcnt(0)
	; wave barrier
	s_waitcnt lgkmcnt(0)
	ds_read_b64 v[6:7], v25 offset:256
	ds_read_b64 v[4:5], v43 offset:512
	;; [unrolled: 1-line block ×3, first 2 shown]
	v_mov_b32_e32 v25, 0
	v_lshlrev_b64 v[2:3], 3, v[24:25]
	v_mov_b32_e32 v8, s38
	v_add_co_u32_e32 v2, vcc, s33, v2
	v_addc_co_u32_e32 v3, vcc, v8, v3, vcc
	s_and_saveexec_b64 s[4:5], s[0:1]
	s_cbranch_execnz .LBB133_67
; %bb.59:
	s_or_b64 exec, exec, s[4:5]
	s_and_saveexec_b64 s[0:1], s[2:3]
	s_cbranch_execnz .LBB133_68
.LBB133_60:
	s_or_b64 exec, exec, s[0:1]
	s_and_saveexec_b64 s[0:1], s[24:25]
	s_cbranch_execnz .LBB133_69
.LBB133_61:
	s_or_b64 exec, exec, s[0:1]
	s_and_saveexec_b64 s[0:1], s[6:7]
	s_cbranch_execz .LBB133_63
.LBB133_62:
	s_mul_i32 s0, s26, 0x60
	s_mov_b32 s1, 0
	s_lshl_b64 s[0:1], s[0:1], 3
	s_waitcnt lgkmcnt(1)
	v_mov_b32_e32 v4, s1
	v_add_co_u32_e32 v2, vcc, s0, v2
	v_addc_co_u32_e32 v3, vcc, v3, v4, vcc
	s_waitcnt lgkmcnt(0)
	global_store_dwordx2 v[2:3], v[0:1], off
.LBB133_63:
	s_endpgm
.LBB133_64:
	ds_read_b32 v5, v38
	s_waitcnt lgkmcnt(0)
	global_store_dword v[0:1], v5, off
	s_or_b64 exec, exec, s[4:5]
	s_and_saveexec_b64 s[4:5], s[2:3]
	s_cbranch_execz .LBB133_55
.LBB133_65:
	s_lshl_b32 s8, s30, 5
	s_mov_b32 s9, 0
	s_lshl_b64 s[8:9], s[8:9], 2
	v_mov_b32_e32 v5, s9
	v_add_co_u32_e32 v6, vcc, s8, v0
	v_addc_co_u32_e32 v7, vcc, v1, v5, vcc
	s_waitcnt lgkmcnt(2)
	global_store_dword v[6:7], v4, off
	s_or_b64 exec, exec, s[4:5]
	s_and_saveexec_b64 s[4:5], s[24:25]
	s_cbranch_execz .LBB133_56
.LBB133_66:
	s_lshl_b32 s8, s30, 6
	s_mov_b32 s9, 0
	s_lshl_b64 s[8:9], s[8:9], 2
	v_mov_b32_e32 v5, s9
	s_waitcnt lgkmcnt(2)
	v_add_co_u32_e32 v4, vcc, s8, v0
	v_addc_co_u32_e32 v5, vcc, v1, v5, vcc
	s_waitcnt lgkmcnt(1)
	global_store_dword v[4:5], v3, off
	s_or_b64 exec, exec, s[4:5]
	s_and_saveexec_b64 s[4:5], s[6:7]
	s_cbranch_execnz .LBB133_57
	s_branch .LBB133_58
.LBB133_67:
	ds_read_b64 v[8:9], v42
	s_waitcnt lgkmcnt(0)
	global_store_dwordx2 v[2:3], v[8:9], off
	s_or_b64 exec, exec, s[4:5]
	s_and_saveexec_b64 s[0:1], s[2:3]
	s_cbranch_execz .LBB133_60
.LBB133_68:
	s_lshl_b32 s2, s26, 5
	s_mov_b32 s3, 0
	s_lshl_b64 s[2:3], s[2:3], 3
	v_mov_b32_e32 v9, s3
	v_add_co_u32_e32 v8, vcc, s2, v2
	v_addc_co_u32_e32 v9, vcc, v3, v9, vcc
	s_waitcnt lgkmcnt(2)
	global_store_dwordx2 v[8:9], v[6:7], off
	s_or_b64 exec, exec, s[0:1]
	s_and_saveexec_b64 s[0:1], s[24:25]
	s_cbranch_execz .LBB133_61
.LBB133_69:
	s_lshl_b32 s2, s26, 6
	s_mov_b32 s3, 0
	s_lshl_b64 s[2:3], s[2:3], 3
	s_waitcnt lgkmcnt(2)
	v_mov_b32_e32 v7, s3
	v_add_co_u32_e32 v6, vcc, s2, v2
	v_addc_co_u32_e32 v7, vcc, v3, v7, vcc
	s_waitcnt lgkmcnt(1)
	global_store_dwordx2 v[6:7], v[4:5], off
	s_or_b64 exec, exec, s[0:1]
	s_and_saveexec_b64 s[0:1], s[6:7]
	s_cbranch_execnz .LBB133_62
	s_branch .LBB133_63
	.section	.rodata,"a",@progbits
	.p2align	6, 0x0
	.amdhsa_kernel _ZN2at6native18radixSortKVInPlaceILin1ELin1ELi32ELi4EiljEEvNS_4cuda6detail10TensorInfoIT3_T5_EES6_S6_S6_NS4_IT4_S6_EES6_b
		.amdhsa_group_segment_fixed_size 1056
		.amdhsa_private_segment_fixed_size 0
		.amdhsa_kernarg_size 712
		.amdhsa_user_sgpr_count 6
		.amdhsa_user_sgpr_private_segment_buffer 1
		.amdhsa_user_sgpr_dispatch_ptr 0
		.amdhsa_user_sgpr_queue_ptr 0
		.amdhsa_user_sgpr_kernarg_segment_ptr 1
		.amdhsa_user_sgpr_dispatch_id 0
		.amdhsa_user_sgpr_flat_scratch_init 0
		.amdhsa_user_sgpr_kernarg_preload_length 0
		.amdhsa_user_sgpr_kernarg_preload_offset 0
		.amdhsa_user_sgpr_private_segment_size 0
		.amdhsa_uses_dynamic_stack 0
		.amdhsa_system_sgpr_private_segment_wavefront_offset 0
		.amdhsa_system_sgpr_workgroup_id_x 1
		.amdhsa_system_sgpr_workgroup_id_y 1
		.amdhsa_system_sgpr_workgroup_id_z 1
		.amdhsa_system_sgpr_workgroup_info 0
		.amdhsa_system_vgpr_workitem_id 0
		.amdhsa_next_free_vgpr 62
		.amdhsa_next_free_sgpr 46
		.amdhsa_accum_offset 64
		.amdhsa_reserve_vcc 1
		.amdhsa_reserve_flat_scratch 0
		.amdhsa_float_round_mode_32 0
		.amdhsa_float_round_mode_16_64 0
		.amdhsa_float_denorm_mode_32 3
		.amdhsa_float_denorm_mode_16_64 3
		.amdhsa_dx10_clamp 1
		.amdhsa_ieee_mode 1
		.amdhsa_fp16_overflow 0
		.amdhsa_tg_split 0
		.amdhsa_exception_fp_ieee_invalid_op 0
		.amdhsa_exception_fp_denorm_src 0
		.amdhsa_exception_fp_ieee_div_zero 0
		.amdhsa_exception_fp_ieee_overflow 0
		.amdhsa_exception_fp_ieee_underflow 0
		.amdhsa_exception_fp_ieee_inexact 0
		.amdhsa_exception_int_div_zero 0
	.end_amdhsa_kernel
	.section	.text._ZN2at6native18radixSortKVInPlaceILin1ELin1ELi32ELi4EiljEEvNS_4cuda6detail10TensorInfoIT3_T5_EES6_S6_S6_NS4_IT4_S6_EES6_b,"axG",@progbits,_ZN2at6native18radixSortKVInPlaceILin1ELin1ELi32ELi4EiljEEvNS_4cuda6detail10TensorInfoIT3_T5_EES6_S6_S6_NS4_IT4_S6_EES6_b,comdat
.Lfunc_end133:
	.size	_ZN2at6native18radixSortKVInPlaceILin1ELin1ELi32ELi4EiljEEvNS_4cuda6detail10TensorInfoIT3_T5_EES6_S6_S6_NS4_IT4_S6_EES6_b, .Lfunc_end133-_ZN2at6native18radixSortKVInPlaceILin1ELin1ELi32ELi4EiljEEvNS_4cuda6detail10TensorInfoIT3_T5_EES6_S6_S6_NS4_IT4_S6_EES6_b
                                        ; -- End function
	.section	.AMDGPU.csdata,"",@progbits
; Kernel info:
; codeLenInByte = 4812
; NumSgprs: 50
; NumVgprs: 62
; NumAgprs: 0
; TotalNumVgprs: 62
; ScratchSize: 0
; MemoryBound: 0
; FloatMode: 240
; IeeeMode: 1
; LDSByteSize: 1056 bytes/workgroup (compile time only)
; SGPRBlocks: 6
; VGPRBlocks: 7
; NumSGPRsForWavesPerEU: 50
; NumVGPRsForWavesPerEU: 62
; AccumOffset: 64
; Occupancy: 8
; WaveLimiterHint : 1
; COMPUTE_PGM_RSRC2:SCRATCH_EN: 0
; COMPUTE_PGM_RSRC2:USER_SGPR: 6
; COMPUTE_PGM_RSRC2:TRAP_HANDLER: 0
; COMPUTE_PGM_RSRC2:TGID_X_EN: 1
; COMPUTE_PGM_RSRC2:TGID_Y_EN: 1
; COMPUTE_PGM_RSRC2:TGID_Z_EN: 1
; COMPUTE_PGM_RSRC2:TIDIG_COMP_CNT: 0
; COMPUTE_PGM_RSRC3_GFX90A:ACCUM_OFFSET: 15
; COMPUTE_PGM_RSRC3_GFX90A:TG_SPLIT: 0
	.section	.text._ZN2at6native18radixSortKVInPlaceILin1ELin1ELi16ELi2EiljEEvNS_4cuda6detail10TensorInfoIT3_T5_EES6_S6_S6_NS4_IT4_S6_EES6_b,"axG",@progbits,_ZN2at6native18radixSortKVInPlaceILin1ELin1ELi16ELi2EiljEEvNS_4cuda6detail10TensorInfoIT3_T5_EES6_S6_S6_NS4_IT4_S6_EES6_b,comdat
	.protected	_ZN2at6native18radixSortKVInPlaceILin1ELin1ELi16ELi2EiljEEvNS_4cuda6detail10TensorInfoIT3_T5_EES6_S6_S6_NS4_IT4_S6_EES6_b ; -- Begin function _ZN2at6native18radixSortKVInPlaceILin1ELin1ELi16ELi2EiljEEvNS_4cuda6detail10TensorInfoIT3_T5_EES6_S6_S6_NS4_IT4_S6_EES6_b
	.globl	_ZN2at6native18radixSortKVInPlaceILin1ELin1ELi16ELi2EiljEEvNS_4cuda6detail10TensorInfoIT3_T5_EES6_S6_S6_NS4_IT4_S6_EES6_b
	.p2align	8
	.type	_ZN2at6native18radixSortKVInPlaceILin1ELin1ELi16ELi2EiljEEvNS_4cuda6detail10TensorInfoIT3_T5_EES6_S6_S6_NS4_IT4_S6_EES6_b,@function
_ZN2at6native18radixSortKVInPlaceILin1ELin1ELi16ELi2EiljEEvNS_4cuda6detail10TensorInfoIT3_T5_EES6_S6_S6_NS4_IT4_S6_EES6_b: ; @_ZN2at6native18radixSortKVInPlaceILin1ELin1ELi16ELi2EiljEEvNS_4cuda6detail10TensorInfoIT3_T5_EES6_S6_S6_NS4_IT4_S6_EES6_b
; %bb.0:
	s_load_dwordx2 s[0:1], s[4:5], 0x1c8
	s_load_dwordx4 s[16:19], s[4:5], 0xd8
	s_waitcnt lgkmcnt(0)
	s_mul_i32 s1, s1, s8
	s_add_i32 s1, s1, s7
	s_mul_i32 s0, s1, s0
	s_add_i32 s14, s0, s6
	s_cmp_ge_u32 s14, s16
	s_cbranch_scc1 .LBB134_53
; %bb.1:
	s_load_dword s2, s[4:5], 0xd0
	s_mov_b32 s1, 0
	s_mov_b32 s0, s14
	s_waitcnt lgkmcnt(0)
	s_cmp_lt_i32 s2, 2
	s_cbranch_scc1 .LBB134_4
; %bb.2:
	s_add_i32 s0, s2, -1
	s_add_i32 s6, s2, 1
	s_lshl_b64 s[2:3], s[0:1], 2
	s_add_u32 s0, s2, s4
	s_addc_u32 s3, s3, s5
	s_add_u32 s2, s0, 8
	s_addc_u32 s3, s3, 0
	s_mov_b32 s0, s14
.LBB134_3:                              ; =>This Inner Loop Header: Depth=1
	s_load_dword s7, s[2:3], 0x0
	s_load_dword s9, s[2:3], 0x64
	s_mov_b32 s8, s0
	s_waitcnt lgkmcnt(0)
	v_cvt_f32_u32_e32 v1, s7
	s_sub_i32 s0, 0, s7
	v_rcp_iflag_f32_e32 v1, v1
	v_mul_f32_e32 v1, 0x4f7ffffe, v1
	v_cvt_u32_f32_e32 v1, v1
	v_readfirstlane_b32 s10, v1
	s_mul_i32 s0, s0, s10
	s_mul_hi_u32 s0, s10, s0
	s_add_i32 s10, s10, s0
	s_mul_hi_u32 s0, s8, s10
	s_mul_i32 s10, s0, s7
	s_sub_i32 s10, s8, s10
	s_add_i32 s11, s0, 1
	s_sub_i32 s12, s10, s7
	s_cmp_ge_u32 s10, s7
	s_cselect_b32 s0, s11, s0
	s_cselect_b32 s10, s12, s10
	s_add_i32 s11, s0, 1
	s_cmp_ge_u32 s10, s7
	s_cselect_b32 s0, s11, s0
	s_mul_i32 s7, s0, s7
	s_sub_i32 s7, s8, s7
	s_mul_i32 s7, s9, s7
	s_add_i32 s6, s6, -1
	s_add_i32 s1, s7, s1
	s_add_u32 s2, s2, -4
	s_addc_u32 s3, s3, -1
	s_cmp_gt_u32 s6, 2
	s_cbranch_scc1 .LBB134_3
.LBB134_4:
	s_load_dword s2, s[4:5], 0x1b8
	s_mov_b32 s7, 0
	s_waitcnt lgkmcnt(0)
	s_cmp_lt_i32 s2, 2
	s_cbranch_scc1 .LBB134_7
; %bb.5:
	s_add_i32 s6, s2, -1
	s_add_i32 s8, s2, 1
	s_lshl_b64 s[2:3], s[6:7], 2
	s_add_u32 s2, s2, s4
	s_addc_u32 s3, s3, s5
	s_add_u32 s2, s2, 0xf0
	s_addc_u32 s3, s3, 0
.LBB134_6:                              ; =>This Inner Loop Header: Depth=1
	s_load_dword s6, s[2:3], 0x0
	s_load_dword s10, s[2:3], 0x64
	s_mov_b32 s9, s14
	s_waitcnt lgkmcnt(0)
	v_cvt_f32_u32_e32 v1, s6
	s_sub_i32 s11, 0, s6
	v_rcp_iflag_f32_e32 v1, v1
	v_mul_f32_e32 v1, 0x4f7ffffe, v1
	v_cvt_u32_f32_e32 v1, v1
	v_readfirstlane_b32 s12, v1
	s_mul_i32 s11, s11, s12
	s_mul_hi_u32 s11, s12, s11
	s_add_i32 s12, s12, s11
	s_mul_hi_u32 s11, s14, s12
	s_mul_i32 s12, s11, s6
	s_sub_i32 s12, s14, s12
	s_add_i32 s13, s11, 1
	s_sub_i32 s14, s12, s6
	s_cmp_ge_u32 s12, s6
	s_cselect_b32 s11, s13, s11
	s_cselect_b32 s12, s14, s12
	s_add_i32 s13, s11, 1
	s_cmp_ge_u32 s12, s6
	s_cselect_b32 s14, s13, s11
	s_mul_i32 s6, s14, s6
	s_sub_i32 s6, s9, s6
	s_mul_i32 s6, s10, s6
	s_add_i32 s8, s8, -1
	s_add_i32 s7, s6, s7
	s_add_u32 s2, s2, -4
	s_addc_u32 s3, s3, -1
	s_cmp_gt_u32 s8, 2
	s_cbranch_scc1 .LBB134_6
.LBB134_7:
	s_load_dword s2, s[4:5], 0x6c
	s_load_dwordx2 s[20:21], s[4:5], 0x1c0
	s_load_dwordx2 s[12:13], s[4:5], 0x0
	;; [unrolled: 1-line block ×3, first 2 shown]
	v_mul_lo_u32 v10, v0, s18
	s_waitcnt lgkmcnt(0)
	s_mul_i32 s0, s2, s0
	s_add_i32 s0, s0, s1
	s_bitcmp1_b32 s21, 0
	s_cselect_b64 s[8:9], -1, 0
	s_brev_b32 s1, 1
	s_and_b64 s[2:3], s[8:9], exec
	s_cselect_b32 s2, s1, 0x7fffffff
	s_mov_b32 s1, 0
	s_lshl_b64 s[0:1], s[0:1], 2
	s_add_u32 s19, s12, s0
	s_mov_b32 s3, s2
	s_addc_u32 s21, s13, s1
	v_cmp_gt_u32_e64 s[0:1], s17, v0
	v_pk_mov_b32 v[2:3], s[2:3], s[2:3] op_sel:[0,1]
	s_and_saveexec_b64 s[12:13], s[0:1]
	s_cbranch_execz .LBB134_9
; %bb.8:
	v_mov_b32_e32 v11, 0
	v_lshlrev_b64 v[2:3], 2, v[10:11]
	v_mov_b32_e32 v1, s21
	v_add_co_u32_e32 v2, vcc, s19, v2
	v_addc_co_u32_e32 v3, vcc, v1, v3, vcc
	global_load_dword v2, v[2:3], off
	v_mov_b32_e32 v3, s2
.LBB134_9:
	s_or_b64 exec, exec, s[12:13]
	s_load_dword s6, s[4:5], 0x154
	v_or_b32_e32 v1, 16, v0
	v_cmp_gt_u32_e64 s[2:3], s17, v1
	s_and_saveexec_b64 s[4:5], s[2:3]
	s_cbranch_execz .LBB134_11
; %bb.10:
	v_mul_lo_u32 v4, v1, s18
	v_mov_b32_e32 v5, 0
	v_lshlrev_b64 v[4:5], 2, v[4:5]
	v_mov_b32_e32 v3, s21
	v_add_co_u32_e32 v4, vcc, s19, v4
	v_addc_co_u32_e32 v5, vcc, v3, v5, vcc
	global_load_dword v3, v[4:5], off
.LBB134_11:
	s_or_b64 exec, exec, s[4:5]
	s_waitcnt lgkmcnt(0)
	s_mul_i32 s4, s6, s14
	v_lshlrev_b32_e32 v25, 2, v0
	v_lshlrev_b32_e32 v24, 3, v0
	s_add_i32 s4, s4, s7
	s_mov_b32 s5, 0
	s_waitcnt vmcnt(0)
	ds_write2_b32 v25, v2, v3 offset1:16
	s_waitcnt lgkmcnt(0)
	; wave barrier
	s_waitcnt lgkmcnt(0)
	ds_read2_b32 v[14:15], v24 offset1:1
	s_lshl_b64 s[6:7], s[4:5], 3
	s_add_u32 s30, s10, s6
	s_mov_b32 s4, s5
	s_addc_u32 s31, s11, s7
	s_mov_b32 s6, s5
	s_mov_b32 s7, s5
	v_pk_mov_b32 v[2:3], s[4:5], s[4:5] op_sel:[0,1]
	v_pk_mov_b32 v[4:5], s[6:7], s[6:7] op_sel:[0,1]
	v_pk_mov_b32 v[2:3], 0, 0
	v_mul_lo_u32 v12, v0, s20
	s_waitcnt lgkmcnt(0)
	; wave barrier
	s_waitcnt lgkmcnt(0)
	s_and_saveexec_b64 s[4:5], s[0:1]
	s_cbranch_execz .LBB134_13
; %bb.12:
	v_mov_b32_e32 v13, 0
	v_lshlrev_b64 v[2:3], 3, v[12:13]
	v_mov_b32_e32 v4, s31
	v_add_co_u32_e32 v2, vcc, s30, v2
	v_addc_co_u32_e32 v3, vcc, v4, v3, vcc
	global_load_dwordx2 v[2:3], v[2:3], off
	v_mov_b32_e32 v4, v13
	v_mov_b32_e32 v5, v13
.LBB134_13:
	s_or_b64 exec, exec, s[4:5]
	s_xor_b64 s[22:23], s[8:9], -1
	v_lshlrev_b32_e32 v6, 1, v0
	s_and_saveexec_b64 s[4:5], s[2:3]
	s_cbranch_execz .LBB134_15
; %bb.14:
	v_mul_lo_u32 v4, v1, s20
	v_mov_b32_e32 v5, 0
	v_lshlrev_b64 v[4:5], 3, v[4:5]
	v_mov_b32_e32 v7, s31
	v_add_co_u32_e32 v4, vcc, s30, v4
	v_addc_co_u32_e32 v5, vcc, v7, v5, vcc
	global_load_dwordx2 v[4:5], v[4:5], off
.LBB134_15:
	s_or_b64 exec, exec, s[4:5]
	v_mbcnt_lo_u32_b32 v7, -1, 0
	v_lshlrev_b32_e32 v13, 3, v6
	s_getpc_b64 s[4:5]
	s_add_u32 s4, s4, _ZN7rocprim17ROCPRIM_400000_NS16block_radix_sortIiLj16ELj2ElLj1ELj1ELj0ELNS0_26block_radix_rank_algorithmE1ELNS0_18block_padding_hintE2ELNS0_4arch9wavefront6targetE1EE19radix_bits_per_passE@rel32@lo+4
	s_addc_u32 s5, s5, _ZN7rocprim17ROCPRIM_400000_NS16block_radix_sortIiLj16ELj2ElLj1ELj1ELj0ELNS0_26block_radix_rank_algorithmE1ELNS0_18block_padding_hintE2ELNS0_4arch9wavefront6targetE1EE19radix_bits_per_passE@rel32@hi+12
	v_mbcnt_hi_u32_b32 v7, -1, v7
	s_waitcnt vmcnt(0)
	ds_write2_b64 v24, v[2:3], v[4:5] offset1:16
	s_waitcnt lgkmcnt(0)
	; wave barrier
	s_waitcnt lgkmcnt(0)
	ds_read2_b64 v[2:5], v13 offset1:1
	s_load_dword s33, s[4:5], 0x0
	v_and_b32_e32 v8, 15, v7
	v_cmp_eq_u32_e64 s[6:7], 0, v8
	v_cmp_lt_u32_e64 s[8:9], 1, v8
	v_cmp_lt_u32_e64 s[10:11], 3, v8
	;; [unrolled: 1-line block ×3, first 2 shown]
	v_add_u32_e32 v8, -1, v7
	v_and_b32_e32 v9, 0x70, v7
	v_cmp_lt_i32_e32 vcc, v8, v9
	s_movk_i32 s4, 0x80
	v_cndmask_b32_e32 v8, v8, v7, vcc
	v_cmp_gt_u32_e64 s[4:5], s4, v0
	v_lshlrev_b32_e32 v11, 5, v0
	s_mov_b32 s34, 0
	v_cmp_eq_u32_e64 s[14:15], 15, v0
	s_movk_i32 s35, 0x70
	v_lshlrev_b32_e32 v27, 2, v8
	v_cmp_eq_u32_e64 s[16:17], 0, v7
	v_lshlrev_b32_e32 v26, 2, v6
	s_and_b64 vcc, exec, s[22:23]
	v_add_u32_e64 v28, 7, 2
	s_waitcnt lgkmcnt(0)
	; wave barrier
	s_waitcnt lgkmcnt(0)
	s_cbranch_vccz .LBB134_30
; %bb.16:
	v_xor_b32_e32 v20, 0x80000000, v14
	v_xor_b32_e32 v21, 0x80000000, v15
	v_and_b32_e32 v29, 14, v28
	v_mov_b32_e32 v30, 0
	v_pk_mov_b32 v[6:7], v[2:3], v[2:3] op_sel:[0,1]
	v_pk_mov_b32 v[8:9], v[4:5], v[4:5] op_sel:[0,1]
	s_branch .LBB134_18
.LBB134_17:                             ;   in Loop: Header=BB134_18 Depth=1
	v_lshlrev_b32_e32 v6, 2, v22
	s_waitcnt lgkmcnt(0)
	; wave barrier
	ds_write_b32 v6, v32
	v_lshlrev_b32_e32 v6, 2, v23
	ds_write_b32 v6, v31
	v_lshlrev_b32_e32 v6, 3, v22
	s_waitcnt lgkmcnt(0)
	; wave barrier
	s_waitcnt lgkmcnt(0)
	ds_read2_b32 v[20:21], v26 offset1:1
	s_waitcnt lgkmcnt(0)
	; wave barrier
	s_waitcnt lgkmcnt(0)
	ds_write_b64 v6, v[18:19]
	v_lshlrev_b32_e32 v6, 3, v23
	ds_write_b64 v6, v[16:17]
	s_waitcnt lgkmcnt(0)
	; wave barrier
	s_waitcnt lgkmcnt(0)
	ds_read2_b64 v[6:9], v13 offset1:1
	s_add_i32 s34, s34, 4
	s_waitcnt lgkmcnt(0)
	; wave barrier
	s_waitcnt lgkmcnt(0)
	s_cbranch_execz .LBB134_29
.LBB134_18:                             ; =>This Loop Header: Depth=1
                                        ;     Child Loop BB134_21 Depth 2
	v_mov_b32_e32 v31, v21
	v_mov_b32_e32 v32, v20
	v_pk_mov_b32 v[16:17], v[8:9], v[8:9] op_sel:[0,1]
	v_pk_mov_b32 v[18:19], v[6:7], v[6:7] op_sel:[0,1]
	s_and_saveexec_b64 s[22:23], s[4:5]
	s_cbranch_execz .LBB134_25
; %bb.19:                               ;   in Loop: Header=BB134_18 Depth=1
	s_mov_b32 s36, 0
	s_mov_b64 s[24:25], 0
	v_pk_mov_b32 v[6:7], v[0:1], v[0:1] op_sel:[0,1]
	s_branch .LBB134_21
.LBB134_20:                             ;   in Loop: Header=BB134_21 Depth=2
	s_or_b64 exec, exec, s[28:29]
	s_add_i32 s36, s36, 2
	v_cmp_eq_u32_e32 vcc, s36, v29
	v_add_u32_e32 v7, 32, v7
	s_or_b64 s[24:25], vcc, s[24:25]
	v_add_u32_e32 v6, 32, v6
	s_andn2_b64 exec, exec, s[24:25]
	s_cbranch_execz .LBB134_25
.LBB134_21:                             ;   Parent Loop BB134_18 Depth=1
                                        ; =>  This Inner Loop Header: Depth=2
	s_or_b32 s26, s36, 1
	v_cmp_le_u32_e64 s[26:27], s26, 7
	v_cmp_le_u32_e64 s[38:39], s36, 7
	s_and_saveexec_b64 s[28:29], s[38:39]
	s_cbranch_execz .LBB134_23
; %bb.22:                               ;   in Loop: Header=BB134_21 Depth=2
	v_lshlrev_b32_e32 v8, 2, v6
	ds_write_b32 v8, v30
.LBB134_23:                             ;   in Loop: Header=BB134_21 Depth=2
	s_or_b64 exec, exec, s[28:29]
	s_and_saveexec_b64 s[28:29], s[26:27]
	s_cbranch_execz .LBB134_20
; %bb.24:                               ;   in Loop: Header=BB134_21 Depth=2
	v_lshlrev_b32_e32 v8, 2, v7
	ds_write_b32 v8, v30
	s_branch .LBB134_20
.LBB134_25:                             ;   in Loop: Header=BB134_18 Depth=1
	s_or_b64 exec, exec, s[22:23]
	s_sub_i32 s22, 32, s34
	s_min_u32 s22, s33, s22
	s_lshl_b32 s22, -1, s22
	s_not_b32 s22, s22
	v_lshrrev_b32_e32 v6, s34, v32
	v_and_b32_e32 v6, s22, v6
	v_lshrrev_b32_e32 v7, 3, v6
	v_lshlrev_b32_e32 v6, 4, v6
	v_and_or_b32 v6, v6, s35, v0
	v_lshlrev_b32_e32 v6, 1, v6
	v_add_lshl_u32 v34, v6, v7, 1
	ds_read_u16 v33, v34
	v_lshrrev_b32_e32 v6, s34, v31
	v_and_b32_e32 v6, s22, v6
	s_waitcnt lgkmcnt(0)
	v_add_u16_e32 v7, 1, v33
	ds_write_b16 v34, v7
	v_lshrrev_b32_e32 v7, 3, v6
	v_lshlrev_b32_e32 v6, 4, v6
	v_and_or_b32 v6, v6, s35, v0
	v_lshlrev_b32_e32 v6, 1, v6
	v_add_lshl_u32 v36, v6, v7, 1
	ds_read_u16 v35, v36
	s_waitcnt lgkmcnt(0)
	v_add_u16_e32 v6, 1, v35
	ds_write_b16 v36, v6
	s_waitcnt lgkmcnt(0)
	; wave barrier
	s_waitcnt lgkmcnt(0)
	ds_read2_b32 v[22:23], v11 offset1:1
	ds_read2_b32 v[20:21], v11 offset0:2 offset1:3
	ds_read2_b32 v[6:7], v11 offset0:4 offset1:5
	;; [unrolled: 1-line block ×3, first 2 shown]
	s_waitcnt lgkmcnt(3)
	v_add_u32_e32 v37, v23, v22
	s_waitcnt lgkmcnt(2)
	v_add3_u32 v37, v37, v20, v21
	s_waitcnt lgkmcnt(1)
	v_add3_u32 v37, v37, v6, v7
	;; [unrolled: 2-line block ×3, first 2 shown]
	s_nop 1
	v_mov_b32_dpp v37, v9 row_shr:1 row_mask:0xf bank_mask:0xf
	v_cndmask_b32_e64 v37, v37, 0, s[6:7]
	v_add_u32_e32 v9, v37, v9
	s_nop 1
	v_mov_b32_dpp v37, v9 row_shr:2 row_mask:0xf bank_mask:0xf
	v_cndmask_b32_e64 v37, 0, v37, s[8:9]
	v_add_u32_e32 v9, v9, v37
	;; [unrolled: 4-line block ×4, first 2 shown]
	s_and_saveexec_b64 s[22:23], s[14:15]
	s_cbranch_execz .LBB134_27
; %bb.26:                               ;   in Loop: Header=BB134_18 Depth=1
	ds_write_b32 v30, v9 offset:512
.LBB134_27:                             ;   in Loop: Header=BB134_18 Depth=1
	s_or_b64 exec, exec, s[22:23]
	ds_bpermute_b32 v9, v27, v9
	s_waitcnt lgkmcnt(0)
	; wave barrier
	s_waitcnt lgkmcnt(0)
	ds_read_b32 v37, v30 offset:512
	s_cmp_gt_u32 s34, 27
	v_cndmask_b32_e64 v9, v9, 0, s[16:17]
	s_waitcnt lgkmcnt(0)
	v_lshl_add_u32 v9, v37, 16, v9
	v_add_u32_e32 v22, v9, v22
	v_add_u32_e32 v23, v22, v23
	ds_write2_b32 v11, v9, v22 offset1:1
	v_add_u32_e32 v9, v23, v20
	v_add_u32_e32 v20, v9, v21
	;; [unrolled: 1-line block ×5, first 2 shown]
	ds_write2_b32 v11, v23, v9 offset0:2 offset1:3
	ds_write2_b32 v11, v20, v6 offset0:4 offset1:5
	;; [unrolled: 1-line block ×3, first 2 shown]
	s_waitcnt lgkmcnt(0)
	; wave barrier
	s_waitcnt lgkmcnt(0)
	ds_read_u16 v6, v34
	ds_read_u16 v7, v36
	s_waitcnt lgkmcnt(1)
	v_add_u32_sdwa v22, v6, v33 dst_sel:DWORD dst_unused:UNUSED_PAD src0_sel:DWORD src1_sel:WORD_0
	s_waitcnt lgkmcnt(0)
	v_add_u32_sdwa v23, v7, v35 dst_sel:DWORD dst_unused:UNUSED_PAD src0_sel:DWORD src1_sel:WORD_0
	s_cbranch_scc0 .LBB134_17
; %bb.28:
                                        ; implicit-def: $vgpr21
                                        ; implicit-def: $vgpr8_vgpr9
                                        ; implicit-def: $sgpr34
.LBB134_29:
	v_lshlrev_b32_e32 v6, 2, v22
	s_waitcnt lgkmcnt(0)
	; wave barrier
	ds_write_b32 v6, v32
	v_lshlrev_b32_e32 v6, 2, v23
	ds_write_b32 v6, v31
	s_waitcnt lgkmcnt(0)
	; wave barrier
	s_waitcnt lgkmcnt(0)
	v_lshlrev_b32_e32 v6, 3, v22
	v_lshlrev_b32_e32 v7, 3, v23
	ds_read2_b32 v[20:21], v26 offset1:1
	s_waitcnt lgkmcnt(0)
	; wave barrier
	s_waitcnt lgkmcnt(0)
	ds_write_b64 v6, v[18:19]
	ds_write_b64 v7, v[16:17]
	s_waitcnt lgkmcnt(0)
	; wave barrier
	s_waitcnt lgkmcnt(0)
	ds_read2_b64 v[6:9], v13 offset1:1
	v_xor_b32_e32 v17, 0x80000000, v21
	v_xor_b32_e32 v16, 0x80000000, v20
	s_branch .LBB134_45
.LBB134_30:
                                        ; implicit-def: $vgpr8_vgpr9
                                        ; implicit-def: $vgpr16_vgpr17
	s_cbranch_execz .LBB134_45
; %bb.31:
	v_xor_b32_e32 v14, 0x7fffffff, v14
	v_xor_b32_e32 v15, 0x7fffffff, v15
	v_and_b32_e32 v18, 14, v28
	s_mov_b32 s35, 0
	v_mov_b32_e32 v19, 0
	s_movk_i32 s34, 0x70
	s_branch .LBB134_33
.LBB134_32:                             ;   in Loop: Header=BB134_33 Depth=1
	v_lshlrev_b32_e32 v2, 2, v16
	s_waitcnt lgkmcnt(0)
	; wave barrier
	ds_write_b32 v2, v21
	v_lshlrev_b32_e32 v2, 2, v17
	ds_write_b32 v2, v20
	v_lshlrev_b32_e32 v2, 3, v16
	s_waitcnt lgkmcnt(0)
	; wave barrier
	s_waitcnt lgkmcnt(0)
	ds_read2_b32 v[14:15], v26 offset1:1
	s_waitcnt lgkmcnt(0)
	; wave barrier
	s_waitcnt lgkmcnt(0)
	ds_write_b64 v2, v[8:9]
	v_lshlrev_b32_e32 v2, 3, v17
	ds_write_b64 v2, v[6:7]
	s_waitcnt lgkmcnt(0)
	; wave barrier
	s_waitcnt lgkmcnt(0)
	ds_read2_b64 v[2:5], v13 offset1:1
	s_add_i32 s35, s35, 4
	s_waitcnt lgkmcnt(0)
	; wave barrier
	s_waitcnt lgkmcnt(0)
	s_cbranch_execz .LBB134_44
.LBB134_33:                             ; =>This Loop Header: Depth=1
                                        ;     Child Loop BB134_36 Depth 2
	v_mov_b32_e32 v20, v15
	v_mov_b32_e32 v21, v14
	s_waitcnt lgkmcnt(0)
	v_pk_mov_b32 v[6:7], v[4:5], v[4:5] op_sel:[0,1]
	v_pk_mov_b32 v[8:9], v[2:3], v[2:3] op_sel:[0,1]
	s_and_saveexec_b64 s[22:23], s[4:5]
	s_cbranch_execz .LBB134_40
; %bb.34:                               ;   in Loop: Header=BB134_33 Depth=1
	s_mov_b32 s36, 0
	s_mov_b64 s[24:25], 0
	v_pk_mov_b32 v[2:3], v[0:1], v[0:1] op_sel:[0,1]
	s_branch .LBB134_36
.LBB134_35:                             ;   in Loop: Header=BB134_36 Depth=2
	s_or_b64 exec, exec, s[28:29]
	s_add_i32 s36, s36, 2
	v_cmp_eq_u32_e32 vcc, s36, v18
	v_add_u32_e32 v3, 32, v3
	s_or_b64 s[24:25], vcc, s[24:25]
	v_add_u32_e32 v2, 32, v2
	s_andn2_b64 exec, exec, s[24:25]
	s_cbranch_execz .LBB134_40
.LBB134_36:                             ;   Parent Loop BB134_33 Depth=1
                                        ; =>  This Inner Loop Header: Depth=2
	s_or_b32 s26, s36, 1
	v_cmp_le_u32_e64 s[26:27], s26, 7
	v_cmp_le_u32_e64 s[38:39], s36, 7
	s_and_saveexec_b64 s[28:29], s[38:39]
	s_cbranch_execz .LBB134_38
; %bb.37:                               ;   in Loop: Header=BB134_36 Depth=2
	v_lshlrev_b32_e32 v4, 2, v2
	ds_write_b32 v4, v19
.LBB134_38:                             ;   in Loop: Header=BB134_36 Depth=2
	s_or_b64 exec, exec, s[28:29]
	s_and_saveexec_b64 s[28:29], s[26:27]
	s_cbranch_execz .LBB134_35
; %bb.39:                               ;   in Loop: Header=BB134_36 Depth=2
	v_lshlrev_b32_e32 v4, 2, v3
	ds_write_b32 v4, v19
	s_branch .LBB134_35
.LBB134_40:                             ;   in Loop: Header=BB134_33 Depth=1
	s_or_b64 exec, exec, s[22:23]
	s_sub_i32 s22, 32, s35
	s_min_u32 s22, s33, s22
	s_lshl_b32 s22, -1, s22
	s_not_b32 s22, s22
	v_lshrrev_b32_e32 v2, s35, v21
	v_and_b32_e32 v2, s22, v2
	v_lshrrev_b32_e32 v3, 3, v2
	v_lshlrev_b32_e32 v2, 4, v2
	v_and_or_b32 v2, v2, s34, v0
	v_lshlrev_b32_e32 v2, 1, v2
	v_add_lshl_u32 v23, v2, v3, 1
	ds_read_u16 v22, v23
	v_lshrrev_b32_e32 v2, s35, v20
	v_and_b32_e32 v2, s22, v2
	s_waitcnt lgkmcnt(0)
	v_add_u16_e32 v3, 1, v22
	ds_write_b16 v23, v3
	v_lshrrev_b32_e32 v3, 3, v2
	v_lshlrev_b32_e32 v2, 4, v2
	v_and_or_b32 v2, v2, s34, v0
	v_lshlrev_b32_e32 v2, 1, v2
	v_add_lshl_u32 v29, v2, v3, 1
	ds_read_u16 v28, v29
	s_waitcnt lgkmcnt(0)
	v_add_u16_e32 v2, 1, v28
	ds_write_b16 v29, v2
	s_waitcnt lgkmcnt(0)
	; wave barrier
	s_waitcnt lgkmcnt(0)
	ds_read2_b32 v[16:17], v11 offset1:1
	ds_read2_b32 v[14:15], v11 offset0:2 offset1:3
	ds_read2_b32 v[2:3], v11 offset0:4 offset1:5
	;; [unrolled: 1-line block ×3, first 2 shown]
	s_waitcnt lgkmcnt(3)
	v_add_u32_e32 v30, v17, v16
	s_waitcnt lgkmcnt(2)
	v_add3_u32 v30, v30, v14, v15
	s_waitcnt lgkmcnt(1)
	v_add3_u32 v30, v30, v2, v3
	;; [unrolled: 2-line block ×3, first 2 shown]
	s_nop 1
	v_mov_b32_dpp v30, v5 row_shr:1 row_mask:0xf bank_mask:0xf
	v_cndmask_b32_e64 v30, v30, 0, s[6:7]
	v_add_u32_e32 v5, v30, v5
	s_nop 1
	v_mov_b32_dpp v30, v5 row_shr:2 row_mask:0xf bank_mask:0xf
	v_cndmask_b32_e64 v30, 0, v30, s[8:9]
	v_add_u32_e32 v5, v5, v30
	;; [unrolled: 4-line block ×4, first 2 shown]
	s_and_saveexec_b64 s[22:23], s[14:15]
	s_cbranch_execz .LBB134_42
; %bb.41:                               ;   in Loop: Header=BB134_33 Depth=1
	ds_write_b32 v19, v5 offset:512
.LBB134_42:                             ;   in Loop: Header=BB134_33 Depth=1
	s_or_b64 exec, exec, s[22:23]
	ds_bpermute_b32 v5, v27, v5
	s_waitcnt lgkmcnt(0)
	; wave barrier
	s_waitcnt lgkmcnt(0)
	ds_read_b32 v30, v19 offset:512
	s_cmp_gt_u32 s35, 27
	v_cndmask_b32_e64 v5, v5, 0, s[16:17]
	s_waitcnt lgkmcnt(0)
	v_lshl_add_u32 v5, v30, 16, v5
	v_add_u32_e32 v16, v5, v16
	v_add_u32_e32 v17, v16, v17
	ds_write2_b32 v11, v5, v16 offset1:1
	v_add_u32_e32 v5, v17, v14
	v_add_u32_e32 v14, v5, v15
	;; [unrolled: 1-line block ×5, first 2 shown]
	ds_write2_b32 v11, v17, v5 offset0:2 offset1:3
	ds_write2_b32 v11, v14, v2 offset0:4 offset1:5
	;; [unrolled: 1-line block ×3, first 2 shown]
	s_waitcnt lgkmcnt(0)
	; wave barrier
	s_waitcnt lgkmcnt(0)
	ds_read_u16 v2, v23
	ds_read_u16 v3, v29
	s_waitcnt lgkmcnt(1)
	v_add_u32_sdwa v16, v2, v22 dst_sel:DWORD dst_unused:UNUSED_PAD src0_sel:DWORD src1_sel:WORD_0
	s_waitcnt lgkmcnt(0)
	v_add_u32_sdwa v17, v3, v28 dst_sel:DWORD dst_unused:UNUSED_PAD src0_sel:DWORD src1_sel:WORD_0
	s_cbranch_scc0 .LBB134_32
; %bb.43:
                                        ; implicit-def: $vgpr15
                                        ; implicit-def: $vgpr4_vgpr5
                                        ; implicit-def: $sgpr35
.LBB134_44:
	v_lshlrev_b32_e32 v0, 2, v16
	s_waitcnt lgkmcnt(0)
	; wave barrier
	ds_write_b32 v0, v21
	v_lshlrev_b32_e32 v0, 2, v17
	ds_write_b32 v0, v20
	s_waitcnt lgkmcnt(0)
	; wave barrier
	s_waitcnt lgkmcnt(0)
	v_lshlrev_b32_e32 v2, 3, v16
	ds_read2_b32 v[0:1], v26 offset1:1
	v_lshlrev_b32_e32 v3, 3, v17
	s_waitcnt lgkmcnt(0)
	; wave barrier
	s_waitcnt lgkmcnt(0)
	ds_write_b64 v2, v[8:9]
	ds_write_b64 v3, v[6:7]
	s_waitcnt lgkmcnt(0)
	; wave barrier
	s_waitcnt lgkmcnt(0)
	ds_read2_b64 v[6:9], v13 offset1:1
	v_xor_b32_e32 v17, 0x7fffffff, v1
	v_xor_b32_e32 v16, 0x7fffffff, v0
.LBB134_45:
	s_waitcnt lgkmcnt(0)
	; wave barrier
	s_waitcnt lgkmcnt(0)
	ds_write2_b32 v24, v16, v17 offset1:1
	s_waitcnt lgkmcnt(0)
	; wave barrier
	s_waitcnt lgkmcnt(0)
	ds_read_b32 v2, v25 offset:64
	v_mov_b32_e32 v11, 0
	v_lshlrev_b64 v[0:1], 2, v[10:11]
	v_mov_b32_e32 v3, s21
	v_add_co_u32_e32 v0, vcc, s19, v0
	v_addc_co_u32_e32 v1, vcc, v3, v1, vcc
	s_and_saveexec_b64 s[4:5], s[0:1]
	s_cbranch_execz .LBB134_47
; %bb.46:
	ds_read_b32 v3, v25
	s_waitcnt lgkmcnt(0)
	global_store_dword v[0:1], v3, off
.LBB134_47:
	s_or_b64 exec, exec, s[4:5]
	s_and_saveexec_b64 s[4:5], s[2:3]
	s_cbranch_execz .LBB134_49
; %bb.48:
	s_lshl_b32 s6, s18, 4
	s_mov_b32 s7, 0
	s_lshl_b64 s[6:7], s[6:7], 2
	v_mov_b32_e32 v3, s7
	v_add_co_u32_e32 v0, vcc, s6, v0
	v_addc_co_u32_e32 v1, vcc, v1, v3, vcc
	s_waitcnt lgkmcnt(0)
	global_store_dword v[0:1], v2, off
.LBB134_49:
	s_or_b64 exec, exec, s[4:5]
	s_waitcnt lgkmcnt(0)
	; wave barrier
	s_waitcnt lgkmcnt(0)
	ds_write2_b64 v13, v[6:7], v[8:9] offset1:1
	s_waitcnt lgkmcnt(0)
	; wave barrier
	s_waitcnt lgkmcnt(0)
	ds_read_b64 v[0:1], v24 offset:128
	v_mov_b32_e32 v13, 0
	v_lshlrev_b64 v[2:3], 3, v[12:13]
	v_mov_b32_e32 v4, s31
	v_add_co_u32_e32 v2, vcc, s30, v2
	v_addc_co_u32_e32 v3, vcc, v4, v3, vcc
	s_and_saveexec_b64 s[4:5], s[0:1]
	s_cbranch_execz .LBB134_51
; %bb.50:
	ds_read_b64 v[4:5], v24
	s_waitcnt lgkmcnt(0)
	global_store_dwordx2 v[2:3], v[4:5], off
.LBB134_51:
	s_or_b64 exec, exec, s[4:5]
	s_and_saveexec_b64 s[0:1], s[2:3]
	s_cbranch_execz .LBB134_53
; %bb.52:
	s_lshl_b32 s0, s20, 4
	s_mov_b32 s1, 0
	s_lshl_b64 s[0:1], s[0:1], 3
	v_mov_b32_e32 v4, s1
	v_add_co_u32_e32 v2, vcc, s0, v2
	v_addc_co_u32_e32 v3, vcc, v3, v4, vcc
	s_waitcnt lgkmcnt(0)
	global_store_dwordx2 v[2:3], v[0:1], off
.LBB134_53:
	s_endpgm
	.section	.rodata,"a",@progbits
	.p2align	6, 0x0
	.amdhsa_kernel _ZN2at6native18radixSortKVInPlaceILin1ELin1ELi16ELi2EiljEEvNS_4cuda6detail10TensorInfoIT3_T5_EES6_S6_S6_NS4_IT4_S6_EES6_b
		.amdhsa_group_segment_fixed_size 528
		.amdhsa_private_segment_fixed_size 0
		.amdhsa_kernarg_size 712
		.amdhsa_user_sgpr_count 6
		.amdhsa_user_sgpr_private_segment_buffer 1
		.amdhsa_user_sgpr_dispatch_ptr 0
		.amdhsa_user_sgpr_queue_ptr 0
		.amdhsa_user_sgpr_kernarg_segment_ptr 1
		.amdhsa_user_sgpr_dispatch_id 0
		.amdhsa_user_sgpr_flat_scratch_init 0
		.amdhsa_user_sgpr_kernarg_preload_length 0
		.amdhsa_user_sgpr_kernarg_preload_offset 0
		.amdhsa_user_sgpr_private_segment_size 0
		.amdhsa_uses_dynamic_stack 0
		.amdhsa_system_sgpr_private_segment_wavefront_offset 0
		.amdhsa_system_sgpr_workgroup_id_x 1
		.amdhsa_system_sgpr_workgroup_id_y 1
		.amdhsa_system_sgpr_workgroup_id_z 1
		.amdhsa_system_sgpr_workgroup_info 0
		.amdhsa_system_vgpr_workitem_id 0
		.amdhsa_next_free_vgpr 38
		.amdhsa_next_free_sgpr 40
		.amdhsa_accum_offset 40
		.amdhsa_reserve_vcc 1
		.amdhsa_reserve_flat_scratch 0
		.amdhsa_float_round_mode_32 0
		.amdhsa_float_round_mode_16_64 0
		.amdhsa_float_denorm_mode_32 3
		.amdhsa_float_denorm_mode_16_64 3
		.amdhsa_dx10_clamp 1
		.amdhsa_ieee_mode 1
		.amdhsa_fp16_overflow 0
		.amdhsa_tg_split 0
		.amdhsa_exception_fp_ieee_invalid_op 0
		.amdhsa_exception_fp_denorm_src 0
		.amdhsa_exception_fp_ieee_div_zero 0
		.amdhsa_exception_fp_ieee_overflow 0
		.amdhsa_exception_fp_ieee_underflow 0
		.amdhsa_exception_fp_ieee_inexact 0
		.amdhsa_exception_int_div_zero 0
	.end_amdhsa_kernel
	.section	.text._ZN2at6native18radixSortKVInPlaceILin1ELin1ELi16ELi2EiljEEvNS_4cuda6detail10TensorInfoIT3_T5_EES6_S6_S6_NS4_IT4_S6_EES6_b,"axG",@progbits,_ZN2at6native18radixSortKVInPlaceILin1ELin1ELi16ELi2EiljEEvNS_4cuda6detail10TensorInfoIT3_T5_EES6_S6_S6_NS4_IT4_S6_EES6_b,comdat
.Lfunc_end134:
	.size	_ZN2at6native18radixSortKVInPlaceILin1ELin1ELi16ELi2EiljEEvNS_4cuda6detail10TensorInfoIT3_T5_EES6_S6_S6_NS4_IT4_S6_EES6_b, .Lfunc_end134-_ZN2at6native18radixSortKVInPlaceILin1ELin1ELi16ELi2EiljEEvNS_4cuda6detail10TensorInfoIT3_T5_EES6_S6_S6_NS4_IT4_S6_EES6_b
                                        ; -- End function
	.section	.AMDGPU.csdata,"",@progbits
; Kernel info:
; codeLenInByte = 3212
; NumSgprs: 44
; NumVgprs: 38
; NumAgprs: 0
; TotalNumVgprs: 38
; ScratchSize: 0
; MemoryBound: 0
; FloatMode: 240
; IeeeMode: 1
; LDSByteSize: 528 bytes/workgroup (compile time only)
; SGPRBlocks: 5
; VGPRBlocks: 4
; NumSGPRsForWavesPerEU: 44
; NumVGPRsForWavesPerEU: 38
; AccumOffset: 40
; Occupancy: 8
; WaveLimiterHint : 1
; COMPUTE_PGM_RSRC2:SCRATCH_EN: 0
; COMPUTE_PGM_RSRC2:USER_SGPR: 6
; COMPUTE_PGM_RSRC2:TRAP_HANDLER: 0
; COMPUTE_PGM_RSRC2:TGID_X_EN: 1
; COMPUTE_PGM_RSRC2:TGID_Y_EN: 1
; COMPUTE_PGM_RSRC2:TGID_Z_EN: 1
; COMPUTE_PGM_RSRC2:TIDIG_COMP_CNT: 0
; COMPUTE_PGM_RSRC3_GFX90A:ACCUM_OFFSET: 9
; COMPUTE_PGM_RSRC3_GFX90A:TG_SPLIT: 0
	.section	.text._ZN2at6native18radixSortKVInPlaceILin1ELin1ELi512ELi8EilmEEvNS_4cuda6detail10TensorInfoIT3_T5_EES6_S6_S6_NS4_IT4_S6_EES6_b,"axG",@progbits,_ZN2at6native18radixSortKVInPlaceILin1ELin1ELi512ELi8EilmEEvNS_4cuda6detail10TensorInfoIT3_T5_EES6_S6_S6_NS4_IT4_S6_EES6_b,comdat
	.protected	_ZN2at6native18radixSortKVInPlaceILin1ELin1ELi512ELi8EilmEEvNS_4cuda6detail10TensorInfoIT3_T5_EES6_S6_S6_NS4_IT4_S6_EES6_b ; -- Begin function _ZN2at6native18radixSortKVInPlaceILin1ELin1ELi512ELi8EilmEEvNS_4cuda6detail10TensorInfoIT3_T5_EES6_S6_S6_NS4_IT4_S6_EES6_b
	.globl	_ZN2at6native18radixSortKVInPlaceILin1ELin1ELi512ELi8EilmEEvNS_4cuda6detail10TensorInfoIT3_T5_EES6_S6_S6_NS4_IT4_S6_EES6_b
	.p2align	8
	.type	_ZN2at6native18radixSortKVInPlaceILin1ELin1ELi512ELi8EilmEEvNS_4cuda6detail10TensorInfoIT3_T5_EES6_S6_S6_NS4_IT4_S6_EES6_b,@function
_ZN2at6native18radixSortKVInPlaceILin1ELin1ELi512ELi8EilmEEvNS_4cuda6detail10TensorInfoIT3_T5_EES6_S6_S6_NS4_IT4_S6_EES6_b: ; @_ZN2at6native18radixSortKVInPlaceILin1ELin1ELi512ELi8EilmEEvNS_4cuda6detail10TensorInfoIT3_T5_EES6_S6_S6_NS4_IT4_S6_EES6_b
; %bb.0:
	s_load_dwordx4 s[16:19], s[4:5], 0x1a0
	s_load_dwordx2 s[0:1], s[4:5], 0x368
	s_add_u32 s52, s4, 0x368
	s_addc_u32 s53, s5, 0
	s_waitcnt lgkmcnt(0)
	v_mov_b32_e32 v2, s16
	s_mul_i32 s1, s1, s8
	s_add_i32 s1, s1, s7
	s_mul_i32 s0, s1, s0
	v_mov_b32_e32 v3, s17
	s_add_i32 s6, s0, s6
	s_mov_b32 s7, 0
	v_cmp_ge_u64_e32 vcc, s[6:7], v[2:3]
	s_cbranch_vccnz .LBB135_124
; %bb.1:
	s_load_dword s0, s[4:5], 0x198
	s_load_dwordx2 s[48:49], s[4:5], 0x1b0
	s_mov_b64 s[2:3], 0
	s_mov_b64 s[8:9], s[6:7]
	s_waitcnt lgkmcnt(0)
	s_cmp_lt_i32 s0, 2
	s_cbranch_scc1 .LBB135_9
; %bb.2:
	s_mov_b32 s10, 0
	s_add_i32 s19, s0, 1
	s_add_i32 s0, s0, -1
	s_mov_b32 s1, s10
	s_lshl_b64 s[0:1], s[0:1], 3
	s_add_u32 s0, s0, s4
	s_addc_u32 s1, s1, s5
	s_add_u32 s12, s0, 8
	s_addc_u32 s13, s1, 0
	s_mov_b64 s[14:15], s[6:7]
.LBB135_3:                              ; =>This Inner Loop Header: Depth=1
	s_load_dwordx2 s[16:17], s[12:13], 0x0
	s_waitcnt lgkmcnt(0)
	s_or_b64 s[0:1], s[14:15], s[16:17]
	s_mov_b32 s11, s1
	s_cmp_lg_u64 s[10:11], 0
	s_cbranch_scc0 .LBB135_8
; %bb.4:                                ;   in Loop: Header=BB135_3 Depth=1
	v_cvt_f32_u32_e32 v1, s16
	v_cvt_f32_u32_e32 v2, s17
	s_sub_u32 s0, 0, s16
	s_subb_u32 s1, 0, s17
	v_mac_f32_e32 v1, 0x4f800000, v2
	v_rcp_f32_e32 v1, v1
	v_mul_f32_e32 v1, 0x5f7ffffc, v1
	v_mul_f32_e32 v2, 0x2f800000, v1
	v_trunc_f32_e32 v2, v2
	v_mac_f32_e32 v1, 0xcf800000, v2
	v_cvt_u32_f32_e32 v2, v2
	v_cvt_u32_f32_e32 v1, v1
	v_readfirstlane_b32 s8, v2
	v_readfirstlane_b32 s9, v1
	s_mul_i32 s11, s0, s8
	s_mul_hi_u32 s21, s0, s9
	s_mul_i32 s20, s1, s9
	s_add_i32 s11, s21, s11
	s_mul_i32 s22, s0, s9
	s_add_i32 s11, s11, s20
	s_mul_hi_u32 s20, s9, s11
	s_mul_i32 s21, s9, s11
	s_mul_hi_u32 s9, s9, s22
	s_add_u32 s9, s9, s21
	s_addc_u32 s20, 0, s20
	s_mul_hi_u32 s23, s8, s22
	s_mul_i32 s22, s8, s22
	s_add_u32 s9, s9, s22
	s_mul_hi_u32 s21, s8, s11
	s_addc_u32 s9, s20, s23
	s_addc_u32 s20, s21, 0
	s_mul_i32 s11, s8, s11
	s_add_u32 s9, s9, s11
	s_addc_u32 s11, 0, s20
	v_add_co_u32_e32 v1, vcc, s9, v1
	s_cmp_lg_u64 vcc, 0
	s_addc_u32 s8, s8, s11
	v_readfirstlane_b32 s11, v1
	s_mul_i32 s9, s0, s8
	s_mul_hi_u32 s20, s0, s11
	s_add_i32 s9, s20, s9
	s_mul_i32 s1, s1, s11
	s_add_i32 s9, s9, s1
	s_mul_i32 s0, s0, s11
	s_mul_hi_u32 s20, s8, s0
	s_mul_i32 s21, s8, s0
	s_mul_i32 s23, s11, s9
	s_mul_hi_u32 s0, s11, s0
	s_mul_hi_u32 s22, s11, s9
	s_add_u32 s0, s0, s23
	s_addc_u32 s11, 0, s22
	s_add_u32 s0, s0, s21
	s_mul_hi_u32 s1, s8, s9
	s_addc_u32 s0, s11, s20
	s_addc_u32 s1, s1, 0
	s_mul_i32 s9, s8, s9
	s_add_u32 s0, s0, s9
	s_addc_u32 s1, 0, s1
	v_add_co_u32_e32 v1, vcc, s0, v1
	s_cmp_lg_u64 vcc, 0
	s_addc_u32 s0, s8, s1
	v_readfirstlane_b32 s9, v1
	s_mul_i32 s8, s14, s0
	s_mul_hi_u32 s11, s14, s9
	s_mul_hi_u32 s1, s14, s0
	s_add_u32 s8, s11, s8
	s_addc_u32 s1, 0, s1
	s_mul_hi_u32 s20, s15, s9
	s_mul_i32 s9, s15, s9
	s_add_u32 s8, s8, s9
	s_mul_hi_u32 s11, s15, s0
	s_addc_u32 s1, s1, s20
	s_addc_u32 s8, s11, 0
	s_mul_i32 s0, s15, s0
	s_add_u32 s11, s1, s0
	s_addc_u32 s8, 0, s8
	s_mul_i32 s0, s16, s8
	s_mul_hi_u32 s1, s16, s11
	s_add_i32 s0, s1, s0
	s_mul_i32 s1, s17, s11
	s_add_i32 s9, s0, s1
	s_mul_i32 s1, s16, s11
	v_mov_b32_e32 v1, s1
	s_sub_i32 s0, s15, s9
	v_sub_co_u32_e32 v1, vcc, s14, v1
	s_cmp_lg_u64 vcc, 0
	s_subb_u32 s20, s0, s17
	v_subrev_co_u32_e64 v2, s[0:1], s16, v1
	s_cmp_lg_u64 s[0:1], 0
	s_subb_u32 s0, s20, 0
	s_cmp_ge_u32 s0, s17
	v_readfirstlane_b32 s20, v2
	s_cselect_b32 s1, -1, 0
	s_cmp_ge_u32 s20, s16
	s_cselect_b32 s20, -1, 0
	s_cmp_eq_u32 s0, s17
	s_cselect_b32 s0, s20, s1
	s_add_u32 s1, s11, 1
	s_addc_u32 s20, s8, 0
	s_add_u32 s21, s11, 2
	s_addc_u32 s22, s8, 0
	s_cmp_lg_u32 s0, 0
	s_cselect_b32 s0, s21, s1
	s_cselect_b32 s1, s22, s20
	s_cmp_lg_u64 vcc, 0
	s_subb_u32 s9, s15, s9
	s_cmp_ge_u32 s9, s17
	v_readfirstlane_b32 s21, v1
	s_cselect_b32 s20, -1, 0
	s_cmp_ge_u32 s21, s16
	s_cselect_b32 s21, -1, 0
	s_cmp_eq_u32 s9, s17
	s_cselect_b32 s9, s21, s20
	s_cmp_lg_u32 s9, 0
	s_cselect_b32 s9, s1, s8
	s_cselect_b32 s8, s0, s11
	s_cbranch_execnz .LBB135_6
.LBB135_5:                              ;   in Loop: Header=BB135_3 Depth=1
	v_cvt_f32_u32_e32 v1, s16
	s_sub_i32 s0, 0, s16
	v_rcp_iflag_f32_e32 v1, v1
	v_mul_f32_e32 v1, 0x4f7ffffe, v1
	v_cvt_u32_f32_e32 v1, v1
	v_readfirstlane_b32 s1, v1
	s_mul_i32 s0, s0, s1
	s_mul_hi_u32 s0, s1, s0
	s_add_i32 s1, s1, s0
	s_mul_hi_u32 s0, s14, s1
	s_mul_i32 s8, s0, s16
	s_sub_i32 s8, s14, s8
	s_add_i32 s1, s0, 1
	s_sub_i32 s9, s8, s16
	s_cmp_ge_u32 s8, s16
	s_cselect_b32 s0, s1, s0
	s_cselect_b32 s8, s9, s8
	s_add_i32 s1, s0, 1
	s_cmp_ge_u32 s8, s16
	s_cselect_b32 s8, s1, s0
	s_mov_b32 s9, s10
.LBB135_6:                              ;   in Loop: Header=BB135_3 Depth=1
	s_mul_i32 s0, s8, s17
	s_mul_hi_u32 s1, s8, s16
	s_add_i32 s11, s1, s0
	s_load_dwordx2 s[0:1], s[12:13], 0xc8
	s_mul_i32 s17, s9, s16
	s_add_i32 s11, s11, s17
	s_mul_i32 s16, s8, s16
	s_sub_u32 s14, s14, s16
	s_subb_u32 s11, s15, s11
	s_waitcnt lgkmcnt(0)
	s_mul_i32 s11, s0, s11
	s_mul_hi_u32 s15, s0, s14
	s_add_i32 s11, s15, s11
	s_mul_i32 s1, s1, s14
	s_add_i32 s11, s11, s1
	s_mul_i32 s0, s0, s14
	s_add_u32 s2, s0, s2
	s_addc_u32 s3, s11, s3
	s_add_i32 s19, s19, -1
	s_add_u32 s12, s12, -8
	s_addc_u32 s13, s13, -1
	s_cmp_gt_u32 s19, 2
	s_cbranch_scc0 .LBB135_9
; %bb.7:                                ;   in Loop: Header=BB135_3 Depth=1
	s_mov_b64 s[14:15], s[8:9]
	s_branch .LBB135_3
.LBB135_8:                              ;   in Loop: Header=BB135_3 Depth=1
                                        ; implicit-def: $sgpr8_sgpr9
	s_branch .LBB135_5
.LBB135_9:
	s_load_dword s0, s[4:5], 0x350
	s_load_dwordx2 s[10:11], s[4:5], 0xd0
	s_mov_b64 s[16:17], 0
	s_waitcnt lgkmcnt(0)
	s_cmp_lt_i32 s0, 2
	s_cbranch_scc1 .LBB135_17
; %bb.10:
	s_mov_b32 s12, 0
	s_add_i32 s19, s0, 1
	s_add_i32 s0, s0, -1
	s_mov_b32 s1, s12
	s_lshl_b64 s[0:1], s[0:1], 3
	s_add_u32 s0, s0, s4
	s_addc_u32 s1, s1, s5
	s_add_u32 s14, s0, 0x1c0
	s_addc_u32 s15, s1, 0
.LBB135_11:                             ; =>This Inner Loop Header: Depth=1
	s_load_dwordx2 s[22:23], s[14:15], 0x0
	s_waitcnt lgkmcnt(0)
	s_or_b64 s[0:1], s[6:7], s[22:23]
	s_mov_b32 s13, s1
	s_cmp_lg_u64 s[12:13], 0
	s_cbranch_scc0 .LBB135_16
; %bb.12:                               ;   in Loop: Header=BB135_11 Depth=1
	v_cvt_f32_u32_e32 v1, s22
	v_cvt_f32_u32_e32 v2, s23
	s_sub_u32 s0, 0, s22
	s_subb_u32 s1, 0, s23
	v_mac_f32_e32 v1, 0x4f800000, v2
	v_rcp_f32_e32 v1, v1
	v_mul_f32_e32 v1, 0x5f7ffffc, v1
	v_mul_f32_e32 v2, 0x2f800000, v1
	v_trunc_f32_e32 v2, v2
	v_mac_f32_e32 v1, 0xcf800000, v2
	v_cvt_u32_f32_e32 v2, v2
	v_cvt_u32_f32_e32 v1, v1
	v_readfirstlane_b32 s13, v2
	v_readfirstlane_b32 s20, v1
	s_mul_i32 s21, s0, s13
	s_mul_hi_u32 s25, s0, s20
	s_mul_i32 s24, s1, s20
	s_add_i32 s21, s25, s21
	s_mul_i32 s26, s0, s20
	s_add_i32 s21, s21, s24
	s_mul_hi_u32 s24, s20, s21
	s_mul_i32 s25, s20, s21
	s_mul_hi_u32 s20, s20, s26
	s_add_u32 s20, s20, s25
	s_addc_u32 s24, 0, s24
	s_mul_hi_u32 s27, s13, s26
	s_mul_i32 s26, s13, s26
	s_add_u32 s20, s20, s26
	s_mul_hi_u32 s25, s13, s21
	s_addc_u32 s20, s24, s27
	s_addc_u32 s24, s25, 0
	s_mul_i32 s21, s13, s21
	s_add_u32 s20, s20, s21
	s_addc_u32 s21, 0, s24
	v_add_co_u32_e32 v1, vcc, s20, v1
	s_cmp_lg_u64 vcc, 0
	s_addc_u32 s13, s13, s21
	v_readfirstlane_b32 s21, v1
	s_mul_i32 s20, s0, s13
	s_mul_hi_u32 s24, s0, s21
	s_add_i32 s20, s24, s20
	s_mul_i32 s1, s1, s21
	s_add_i32 s20, s20, s1
	s_mul_i32 s0, s0, s21
	s_mul_hi_u32 s24, s13, s0
	s_mul_i32 s25, s13, s0
	s_mul_i32 s27, s21, s20
	s_mul_hi_u32 s0, s21, s0
	s_mul_hi_u32 s26, s21, s20
	s_add_u32 s0, s0, s27
	s_addc_u32 s21, 0, s26
	s_add_u32 s0, s0, s25
	s_mul_hi_u32 s1, s13, s20
	s_addc_u32 s0, s21, s24
	s_addc_u32 s1, s1, 0
	s_mul_i32 s20, s13, s20
	s_add_u32 s0, s0, s20
	s_addc_u32 s1, 0, s1
	v_add_co_u32_e32 v1, vcc, s0, v1
	s_cmp_lg_u64 vcc, 0
	s_addc_u32 s0, s13, s1
	v_readfirstlane_b32 s20, v1
	s_mul_i32 s13, s6, s0
	s_mul_hi_u32 s21, s6, s20
	s_mul_hi_u32 s1, s6, s0
	s_add_u32 s13, s21, s13
	s_addc_u32 s1, 0, s1
	s_mul_hi_u32 s24, s7, s20
	s_mul_i32 s20, s7, s20
	s_add_u32 s13, s13, s20
	s_mul_hi_u32 s21, s7, s0
	s_addc_u32 s1, s1, s24
	s_addc_u32 s13, s21, 0
	s_mul_i32 s0, s7, s0
	s_add_u32 s20, s1, s0
	s_addc_u32 s13, 0, s13
	s_mul_i32 s0, s22, s13
	s_mul_hi_u32 s1, s22, s20
	s_add_i32 s0, s1, s0
	s_mul_i32 s1, s23, s20
	s_add_i32 s21, s0, s1
	s_mul_i32 s1, s22, s20
	v_mov_b32_e32 v1, s1
	s_sub_i32 s0, s7, s21
	v_sub_co_u32_e32 v1, vcc, s6, v1
	s_cmp_lg_u64 vcc, 0
	s_subb_u32 s24, s0, s23
	v_subrev_co_u32_e64 v2, s[0:1], s22, v1
	s_cmp_lg_u64 s[0:1], 0
	s_subb_u32 s0, s24, 0
	s_cmp_ge_u32 s0, s23
	v_readfirstlane_b32 s24, v2
	s_cselect_b32 s1, -1, 0
	s_cmp_ge_u32 s24, s22
	s_cselect_b32 s24, -1, 0
	s_cmp_eq_u32 s0, s23
	s_cselect_b32 s0, s24, s1
	s_add_u32 s1, s20, 1
	s_addc_u32 s24, s13, 0
	s_add_u32 s25, s20, 2
	s_addc_u32 s26, s13, 0
	s_cmp_lg_u32 s0, 0
	s_cselect_b32 s0, s25, s1
	s_cselect_b32 s1, s26, s24
	s_cmp_lg_u64 vcc, 0
	s_subb_u32 s21, s7, s21
	s_cmp_ge_u32 s21, s23
	v_readfirstlane_b32 s25, v1
	s_cselect_b32 s24, -1, 0
	s_cmp_ge_u32 s25, s22
	s_cselect_b32 s25, -1, 0
	s_cmp_eq_u32 s21, s23
	s_cselect_b32 s21, s25, s24
	s_cmp_lg_u32 s21, 0
	s_cselect_b32 s21, s1, s13
	s_cselect_b32 s20, s0, s20
	s_cbranch_execnz .LBB135_14
.LBB135_13:                             ;   in Loop: Header=BB135_11 Depth=1
	v_cvt_f32_u32_e32 v1, s22
	s_sub_i32 s0, 0, s22
	s_mov_b32 s21, s12
	v_rcp_iflag_f32_e32 v1, v1
	v_mul_f32_e32 v1, 0x4f7ffffe, v1
	v_cvt_u32_f32_e32 v1, v1
	v_readfirstlane_b32 s1, v1
	s_mul_i32 s0, s0, s1
	s_mul_hi_u32 s0, s1, s0
	s_add_i32 s1, s1, s0
	s_mul_hi_u32 s0, s6, s1
	s_mul_i32 s13, s0, s22
	s_sub_i32 s13, s6, s13
	s_add_i32 s1, s0, 1
	s_sub_i32 s20, s13, s22
	s_cmp_ge_u32 s13, s22
	s_cselect_b32 s0, s1, s0
	s_cselect_b32 s13, s20, s13
	s_add_i32 s1, s0, 1
	s_cmp_ge_u32 s13, s22
	s_cselect_b32 s20, s1, s0
.LBB135_14:                             ;   in Loop: Header=BB135_11 Depth=1
	s_mul_i32 s0, s20, s23
	s_mul_hi_u32 s1, s20, s22
	s_add_i32 s13, s1, s0
	s_load_dwordx2 s[0:1], s[14:15], 0xc8
	s_mul_i32 s23, s21, s22
	s_add_i32 s13, s13, s23
	s_mul_i32 s22, s20, s22
	s_sub_u32 s6, s6, s22
	s_subb_u32 s7, s7, s13
	s_waitcnt lgkmcnt(0)
	s_mul_i32 s7, s0, s7
	s_mul_hi_u32 s13, s0, s6
	s_add_i32 s7, s13, s7
	s_mul_i32 s1, s1, s6
	s_add_i32 s7, s7, s1
	s_mul_i32 s0, s0, s6
	s_add_u32 s16, s0, s16
	s_addc_u32 s17, s7, s17
	s_add_i32 s19, s19, -1
	s_add_u32 s14, s14, -8
	s_addc_u32 s15, s15, -1
	s_cmp_gt_u32 s19, 2
	s_cbranch_scc0 .LBB135_18
; %bb.15:                               ;   in Loop: Header=BB135_11 Depth=1
	s_mov_b64 s[6:7], s[20:21]
	s_branch .LBB135_11
.LBB135_16:                             ;   in Loop: Header=BB135_11 Depth=1
                                        ; implicit-def: $sgpr20_sgpr21
	s_branch .LBB135_13
.LBB135_17:
	s_mov_b64 s[20:21], s[6:7]
.LBB135_18:
	s_mul_i32 s0, s10, s9
	s_load_dword s9, s[4:5], 0x360
	s_load_dwordx2 s[6:7], s[4:5], 0x0
	s_mul_hi_u32 s1, s10, s8
	s_add_i32 s0, s1, s0
	s_mul_i32 s1, s11, s8
	s_add_i32 s1, s0, s1
	s_waitcnt lgkmcnt(0)
	s_bitcmp1_b32 s9, 0
	s_cselect_b64 s[34:35], -1, 0
	s_mul_i32 s0, s10, s8
	s_brev_b32 s10, 1
	s_and_b64 s[8:9], s[34:35], exec
	s_cselect_b32 s8, s10, 0x7fffffff
	s_lshl_b64 s[0:1], s[0:1], 2
	s_add_u32 s6, s6, s0
	s_addc_u32 s7, s7, s1
	s_lshl_b64 s[0:1], s[2:3], 2
	s_mov_b32 s9, s8
	s_add_u32 s33, s6, s0
	v_and_b32_e32 v34, 0x3ff, v0
	s_mov_b32 s10, s8
	s_mov_b32 s11, s8
	;; [unrolled: 1-line block ×6, first 2 shown]
	v_pk_mov_b32 v[2:3], s[8:9], s[8:9] op_sel:[0,1]
	s_addc_u32 s54, s7, s1
	v_cmp_gt_u32_e64 s[0:1], s18, v34
	v_pk_mov_b32 v[4:5], s[10:11], s[10:11] op_sel:[0,1]
	v_pk_mov_b32 v[6:7], s[12:13], s[12:13] op_sel:[0,1]
	;; [unrolled: 1-line block ×3, first 2 shown]
	v_mov_b32_e32 v10, s8
	s_and_saveexec_b64 s[2:3], s[0:1]
	s_cbranch_execz .LBB135_20
; %bb.19:
	v_mad_u64_u32 v[2:3], s[6:7], v34, s48, 0
	v_mov_b32_e32 v4, v3
	v_mad_u64_u32 v[4:5], s[6:7], v34, s49, v[4:5]
	v_mov_b32_e32 v3, v4
	v_lshlrev_b64 v[2:3], 2, v[2:3]
	v_mov_b32_e32 v1, s54
	v_add_co_u32_e32 v2, vcc, s33, v2
	v_addc_co_u32_e32 v3, vcc, v1, v3, vcc
	global_load_dword v10, v[2:3], off
	v_pk_mov_b32 v[2:3], s[8:9], s[8:9] op_sel:[0,1]
	v_pk_mov_b32 v[4:5], s[10:11], s[10:11] op_sel:[0,1]
	;; [unrolled: 1-line block ×4, first 2 shown]
                                        ; kill: def $vgpr2 killed $vgpr10 killed $exec
.LBB135_20:
	s_or_b64 exec, exec, s[2:3]
	v_add_u32_e32 v24, 0x200, v34
	v_cmp_gt_u32_e64 s[2:3], s18, v24
	s_and_saveexec_b64 s[6:7], s[2:3]
	s_cbranch_execz .LBB135_22
; %bb.21:
	v_mad_u64_u32 v[2:3], s[8:9], v24, s48, 0
	v_mov_b32_e32 v12, v3
	v_mad_u64_u32 v[12:13], s[8:9], v24, s49, v[12:13]
	v_mov_b32_e32 v3, v12
	v_lshlrev_b64 v[2:3], 2, v[2:3]
	v_mov_b32_e32 v1, s54
	v_add_co_u32_e32 v2, vcc, s33, v2
	v_addc_co_u32_e32 v3, vcc, v1, v3, vcc
	global_load_dword v3, v[2:3], off
.LBB135_22:
	s_or_b64 exec, exec, s[6:7]
	v_or_b32_e32 v22, 0x400, v34
	v_cmp_gt_u32_e64 s[46:47], s18, v22
	s_and_saveexec_b64 s[6:7], s[46:47]
	s_cbranch_execz .LBB135_24
; %bb.23:
	v_mad_u64_u32 v[12:13], s[8:9], v22, s48, 0
	v_mov_b32_e32 v2, v13
	s_waitcnt vmcnt(0)
	v_mad_u64_u32 v[14:15], s[8:9], v22, s49, v[2:3]
	v_mov_b32_e32 v13, v14
	v_lshlrev_b64 v[12:13], 2, v[12:13]
	v_mov_b32_e32 v1, s54
	v_add_co_u32_e32 v12, vcc, s33, v12
	v_addc_co_u32_e32 v13, vcc, v1, v13, vcc
	global_load_dword v4, v[12:13], off
.LBB135_24:
	s_or_b64 exec, exec, s[6:7]
	v_add_u32_e32 v21, 0x600, v34
	v_cmp_gt_u32_e64 s[6:7], s18, v21
	s_and_saveexec_b64 s[8:9], s[6:7]
	s_cbranch_execz .LBB135_26
; %bb.25:
	v_mad_u64_u32 v[12:13], s[10:11], v21, s48, 0
	v_mov_b32_e32 v2, v13
	s_waitcnt vmcnt(0)
	v_mad_u64_u32 v[14:15], s[10:11], v21, s49, v[2:3]
	v_mov_b32_e32 v13, v14
	v_lshlrev_b64 v[12:13], 2, v[12:13]
	v_mov_b32_e32 v1, s54
	v_add_co_u32_e32 v12, vcc, s33, v12
	v_addc_co_u32_e32 v13, vcc, v1, v13, vcc
	global_load_dword v5, v[12:13], off
.LBB135_26:
	s_or_b64 exec, exec, s[8:9]
	v_or_b32_e32 v20, 0x800, v34
	v_cmp_gt_u32_e64 s[8:9], s18, v20
	s_and_saveexec_b64 s[10:11], s[8:9]
	s_cbranch_execz .LBB135_28
; %bb.27:
	v_mad_u64_u32 v[12:13], s[12:13], v20, s48, 0
	v_mov_b32_e32 v2, v13
	s_waitcnt vmcnt(0)
	v_mad_u64_u32 v[14:15], s[12:13], v20, s49, v[2:3]
	v_mov_b32_e32 v13, v14
	v_lshlrev_b64 v[12:13], 2, v[12:13]
	v_mov_b32_e32 v1, s54
	v_add_co_u32_e32 v12, vcc, s33, v12
	v_addc_co_u32_e32 v13, vcc, v1, v13, vcc
	global_load_dword v6, v[12:13], off
.LBB135_28:
	s_or_b64 exec, exec, s[10:11]
	v_add_u32_e32 v18, 0xa00, v34
	v_cmp_gt_u32_e64 s[10:11], s18, v18
	s_and_saveexec_b64 s[12:13], s[10:11]
	s_cbranch_execz .LBB135_30
; %bb.29:
	v_mad_u64_u32 v[12:13], s[14:15], v18, s48, 0
	v_mov_b32_e32 v2, v13
	s_waitcnt vmcnt(0)
	v_mad_u64_u32 v[14:15], s[14:15], v18, s49, v[2:3]
	v_mov_b32_e32 v13, v14
	v_lshlrev_b64 v[12:13], 2, v[12:13]
	v_mov_b32_e32 v1, s54
	v_add_co_u32_e32 v12, vcc, s33, v12
	v_addc_co_u32_e32 v13, vcc, v1, v13, vcc
	global_load_dword v7, v[12:13], off
.LBB135_30:
	s_or_b64 exec, exec, s[12:13]
	s_load_dwordx2 s[24:25], s[4:5], 0x288
	s_load_dwordx2 s[22:23], s[4:5], 0x1b8
	v_or_b32_e32 v19, 0xc00, v34
	v_cmp_gt_u32_e64 s[12:13], s18, v19
	s_and_saveexec_b64 s[14:15], s[12:13]
	s_cbranch_execz .LBB135_32
; %bb.31:
	v_mad_u64_u32 v[12:13], s[26:27], v19, s48, 0
	v_mov_b32_e32 v2, v13
	s_waitcnt vmcnt(0)
	v_mad_u64_u32 v[14:15], s[26:27], v19, s49, v[2:3]
	v_mov_b32_e32 v13, v14
	v_lshlrev_b64 v[12:13], 2, v[12:13]
	v_mov_b32_e32 v1, s54
	v_add_co_u32_e32 v12, vcc, s33, v12
	v_addc_co_u32_e32 v13, vcc, v1, v13, vcc
	global_load_dword v8, v[12:13], off
.LBB135_32:
	s_or_b64 exec, exec, s[14:15]
	v_add_u32_e32 v1, 0xe00, v34
	v_cmp_gt_u32_e64 s[14:15], s18, v1
	s_and_saveexec_b64 s[18:19], s[14:15]
	s_cbranch_execz .LBB135_34
; %bb.33:
	v_mad_u64_u32 v[12:13], s[26:27], v1, s48, 0
	v_mov_b32_e32 v2, v13
	s_waitcnt vmcnt(0)
	v_mad_u64_u32 v[14:15], s[26:27], v1, s49, v[2:3]
	v_mov_b32_e32 v13, v14
	v_lshlrev_b64 v[12:13], 2, v[12:13]
	v_mov_b32_e32 v2, s54
	v_add_co_u32_e32 v12, vcc, s33, v12
	v_addc_co_u32_e32 v13, vcc, v2, v13, vcc
	global_load_dword v9, v[12:13], off
.LBB135_34:
	s_or_b64 exec, exec, s[18:19]
	v_lshrrev_b32_e32 v2, 5, v34
	v_add_u32_e32 v32, v2, v34
	v_lshrrev_b32_e32 v2, 5, v24
	v_add_u32_e32 v31, v2, v34
	;; [unrolled: 2-line block ×7, first 2 shown]
	v_lshrrev_b32_e32 v2, 5, v1
	s_waitcnt lgkmcnt(0)
	s_mul_i32 s18, s24, s21
	s_mul_hi_u32 s19, s24, s20
	v_add_u32_e32 v23, v2, v34
	v_lshlrev_b32_e32 v80, 3, v34
	v_lshrrev_b32_e32 v2, 2, v34
	s_add_i32 s18, s19, s18
	s_mul_i32 s19, s25, s20
	v_add_u32_e32 v26, v2, v80
	s_add_i32 s19, s18, s19
	s_mul_i32 s18, s24, s20
	v_lshlrev_b32_e32 v35, 2, v32
	v_lshlrev_b32_e32 v68, 2, v31
	;; [unrolled: 1-line block ×9, first 2 shown]
	s_lshl_b64 s[18:19], s[18:19], 3
	s_waitcnt vmcnt(0)
	ds_write_b32 v35, v10
	ds_write_b32 v68, v3 offset:2048
	ds_write_b32 v69, v4 offset:4096
	;; [unrolled: 1-line block ×7, first 2 shown]
	s_waitcnt lgkmcnt(0)
	s_barrier
	ds_read2_b32 v[42:43], v75 offset1:1
	ds_read2_b32 v[40:41], v75 offset0:2 offset1:3
	ds_read2_b32 v[38:39], v75 offset0:4 offset1:5
	;; [unrolled: 1-line block ×3, first 2 shown]
	s_add_u32 s18, s22, s18
	s_addc_u32 s19, s23, s19
	s_lshl_b64 s[16:17], s[16:17], 3
	s_load_dwordx2 s[50:51], s[4:5], 0x358
	s_add_u32 s55, s18, s16
	s_mov_b32 s16, 0
	s_addc_u32 s56, s19, s17
	s_mov_b32 s17, s16
	s_mov_b32 s18, s16
	;; [unrolled: 1-line block ×15, first 2 shown]
	v_pk_mov_b32 v[2:3], s[16:17], s[16:17] op_sel:[0,1]
	v_pk_mov_b32 v[4:5], s[18:19], s[18:19] op_sel:[0,1]
	;; [unrolled: 1-line block ×8, first 2 shown]
	v_pk_mov_b32 v[2:3], 0, 0
	s_waitcnt lgkmcnt(0)
	s_barrier
	s_and_saveexec_b64 s[4:5], s[0:1]
	s_cbranch_execnz .LBB135_71
; %bb.35:
	s_or_b64 exec, exec, s[4:5]
	s_and_saveexec_b64 s[4:5], s[2:3]
	s_cbranch_execnz .LBB135_72
.LBB135_36:
	s_or_b64 exec, exec, s[4:5]
	s_and_saveexec_b64 s[4:5], s[46:47]
	s_cbranch_execnz .LBB135_73
.LBB135_37:
	s_or_b64 exec, exec, s[4:5]
	s_and_saveexec_b64 s[4:5], s[6:7]
	s_cbranch_execnz .LBB135_74
.LBB135_38:
	s_or_b64 exec, exec, s[4:5]
	s_and_saveexec_b64 s[4:5], s[8:9]
	s_cbranch_execnz .LBB135_75
.LBB135_39:
	s_or_b64 exec, exec, s[4:5]
	s_and_saveexec_b64 s[4:5], s[10:11]
	s_cbranch_execnz .LBB135_76
.LBB135_40:
	s_or_b64 exec, exec, s[4:5]
	s_and_saveexec_b64 s[4:5], s[12:13]
	s_cbranch_execnz .LBB135_77
.LBB135_41:
	s_or_b64 exec, exec, s[4:5]
	s_xor_b64 s[4:5], s[34:35], -1
	s_and_saveexec_b64 s[16:17], s[14:15]
	s_cbranch_execz .LBB135_43
.LBB135_42:
	v_mad_u64_u32 v[16:17], s[18:19], v1, s50, 0
	v_mov_b32_e32 v18, v17
	v_mad_u64_u32 v[18:19], s[18:19], v1, s51, v[18:19]
	v_mov_b32_e32 v17, v18
	v_lshlrev_b64 v[16:17], 3, v[16:17]
	v_mov_b32_e32 v1, s56
	v_add_co_u32_e32 v16, vcc, s55, v16
	v_addc_co_u32_e32 v17, vcc, v1, v17, vcc
	global_load_dwordx2 v[16:17], v[16:17], off
.LBB135_43:
	s_or_b64 exec, exec, s[16:17]
	v_lshlrev_b32_e32 v76, 3, v32
	v_lshlrev_b32_e32 v77, 3, v31
	;; [unrolled: 1-line block ×9, first 2 shown]
	s_waitcnt vmcnt(0)
	ds_write_b64 v76, v[2:3]
	ds_write_b64 v77, v[4:5] offset:4096
	ds_write_b64 v78, v[6:7] offset:8192
	;; [unrolled: 1-line block ×7, first 2 shown]
	s_waitcnt lgkmcnt(0)
	s_barrier
	ds_read2_b64 v[14:17], v85 offset1:1
	ds_read2_b64 v[10:13], v85 offset0:2 offset1:3
	ds_read2_b64 v[6:9], v85 offset0:4 offset1:5
	;; [unrolled: 1-line block ×3, first 2 shown]
	v_mbcnt_lo_u32_b32 v1, -1, 0
	v_mbcnt_hi_u32_b32 v88, -1, v1
	v_and_b32_e32 v89, 0x3c0, v34
	v_add_u32_e32 v1, v88, v89
	v_lshlrev_b32_e32 v18, 3, v1
	v_lshlrev_b32_e32 v102, 5, v1
	v_and_b32_e32 v1, 0x1e00, v80
	v_or_b32_e32 v19, v88, v1
	s_mov_b32 s57, 0
	v_lshlrev_b32_e32 v101, 2, v19
	s_and_b64 vcc, exec, s[4:5]
	v_bfe_u32 v97, v0, 10, 10
	v_bfe_u32 v98, v0, 20, 10
	v_lshlrev_b32_e32 v100, 3, v18
	v_lshlrev_b32_e32 v99, 3, v19
	;; [unrolled: 1-line block ×4, first 2 shown]
	v_and_b32_e32 v95, 15, v88
	v_and_b32_e32 v96, 16, v88
	v_cmp_lt_u32_e64 s[16:17], 31, v88
	v_cmp_gt_u32_e64 s[18:19], 8, v34
	v_cmp_lt_u32_e64 s[20:21], 63, v34
	v_add_u32_e32 v92, -1, v88
	v_and_b32_e32 v94, 64, v88
	v_cmp_eq_u32_e64 s[22:23], 0, v88
	v_cmp_eq_u32_e64 s[24:25], 0, v34
	v_lshrrev_b32_e32 v93, 4, v34
	v_and_b32_e32 v91, 7, v88
	v_and_or_b32 v90, v88, 63, v1
	s_waitcnt lgkmcnt(0)
	s_barrier
	s_cbranch_vccz .LBB135_78
; %bb.44:
	v_xor_b32_e32 v0, 0x80000000, v43
	v_xor_b32_e32 v1, 0x80000000, v42
	;; [unrolled: 1-line block ×8, first 2 shown]
	ds_write2_b32 v102, v1, v0 offset1:1
	ds_write2_b32 v102, v19, v18 offset0:2 offset1:3
	ds_write2_b32 v102, v21, v20 offset0:4 offset1:5
	;; [unrolled: 1-line block ×3, first 2 shown]
	; wave barrier
	ds_read2st64_b32 v[60:61], v101 offset1:1
	ds_read2st64_b32 v[62:63], v101 offset0:2 offset1:3
	ds_read2st64_b32 v[64:65], v101 offset0:4 offset1:5
	;; [unrolled: 1-line block ×3, first 2 shown]
	s_waitcnt lgkmcnt(0)
	s_barrier
	ds_write2_b64 v100, v[14:15], v[16:17] offset1:1
	ds_write2_b64 v100, v[10:11], v[12:13] offset0:2 offset1:3
	ds_write2_b64 v100, v[6:7], v[8:9] offset0:4 offset1:5
	ds_write2_b64 v100, v[2:3], v[4:5] offset0:6 offset1:7
	; wave barrier
	ds_read2st64_b64 v[18:21], v99 offset1:1
	ds_read2st64_b64 v[22:25], v99 offset0:2 offset1:3
	ds_read2st64_b64 v[26:29], v99 offset0:4 offset1:5
	;; [unrolled: 1-line block ×3, first 2 shown]
	s_waitcnt lgkmcnt(0)
	s_barrier
	s_load_dword s26, s[52:53], 0xc
	s_getpc_b64 s[4:5]
	s_add_u32 s4, s4, _ZN7rocprim17ROCPRIM_400000_NS16block_radix_sortIiLj512ELj8ElLj1ELj1ELj0ELNS0_26block_radix_rank_algorithmE1ELNS0_18block_padding_hintE2ELNS0_4arch9wavefront6targetE1EE19radix_bits_per_passE@rel32@lo+4
	s_addc_u32 s5, s5, _ZN7rocprim17ROCPRIM_400000_NS16block_radix_sortIiLj512ELj8ElLj1ELj1ELj0ELNS0_26block_radix_rank_algorithmE1ELNS0_18block_padding_hintE2ELNS0_4arch9wavefront6targetE1EE19radix_bits_per_passE@rel32@hi+12
	s_load_dword s58, s[4:5], 0x0
	v_cmp_lt_i32_e32 vcc, v92, v94
	v_and_b32_e32 v106, 60, v93
	s_waitcnt lgkmcnt(0)
	s_lshr_b32 s4, s26, 16
	s_and_b32 s5, s26, 0xffff
	v_mad_u32_u24 v0, v98, s4, v97
	v_mad_u64_u32 v[0:1], s[4:5], v0, s5, v[34:35]
	v_lshrrev_b32_e32 v104, 6, v0
	v_min_u32_e32 v0, 0x1c0, v89
	v_or_b32_e32 v0, 63, v0
	v_cmp_eq_u32_e64 s[38:39], v0, v34
	v_cndmask_b32_e32 v0, v92, v88, vcc
	s_mov_b32 s59, 32
	v_add_u32_e32 v103, 32, v87
	v_cmp_eq_u32_e64 s[26:27], 0, v95
	v_cmp_lt_u32_e64 s[28:29], 1, v95
	v_cmp_lt_u32_e64 s[30:31], 3, v95
	;; [unrolled: 1-line block ×3, first 2 shown]
	v_cmp_eq_u32_e64 s[36:37], 0, v96
	v_lshlrev_b32_e32 v105, 2, v0
	v_cmp_eq_u32_e64 s[40:41], 0, v91
	v_cmp_lt_u32_e64 s[42:43], 1, v91
	v_cmp_lt_u32_e64 s[44:45], 3, v91
	v_add_u32_e32 v107, -4, v106
	v_lshlrev_b32_e32 v108, 2, v90
	v_lshlrev_b32_e32 v109, 3, v90
	v_mov_b32_e32 v58, 0
	s_branch .LBB135_46
.LBB135_45:                             ;   in Loop: Header=BB135_46 Depth=1
	v_lshlrev_b32_e32 v18, 2, v59
	s_barrier
	ds_write_b32 v18, v117
	v_lshlrev_b32_e32 v18, 2, v119
	ds_write_b32 v18, v116
	v_lshlrev_b32_e32 v18, 2, v120
	;; [unrolled: 2-line block ×8, first 2 shown]
	s_waitcnt lgkmcnt(0)
	s_barrier
	ds_read2st64_b32 v[60:61], v108 offset1:1
	ds_read2st64_b32 v[62:63], v108 offset0:2 offset1:3
	ds_read2st64_b32 v[64:65], v108 offset0:4 offset1:5
	;; [unrolled: 1-line block ×3, first 2 shown]
	s_waitcnt lgkmcnt(0)
	s_barrier
	ds_write_b64 v18, v[56:57]
	v_lshlrev_b32_e32 v18, 3, v119
	ds_write_b64 v18, v[54:55]
	v_lshlrev_b32_e32 v18, 3, v120
	;; [unrolled: 2-line block ×7, first 2 shown]
	ds_write_b64 v18, v[0:1]
	s_waitcnt lgkmcnt(0)
	s_barrier
	ds_read2st64_b64 v[18:21], v109 offset1:1
	ds_read2st64_b64 v[22:25], v109 offset0:2 offset1:3
	ds_read2st64_b64 v[26:29], v109 offset0:4 offset1:5
	;; [unrolled: 1-line block ×3, first 2 shown]
	s_add_i32 s57, s57, 8
	s_add_i32 s59, s59, -8
	s_waitcnt lgkmcnt(0)
	s_barrier
	s_cbranch_execz .LBB135_70
.LBB135_46:                             ; =>This Inner Loop Header: Depth=1
	s_min_u32 s4, s58, s59
	v_mov_b32_e32 v117, v60
	s_lshl_b32 s4, -1, s4
	v_pk_mov_b32 v[56:57], v[18:19], v[18:19] op_sel:[0,1]
	s_not_b32 s60, s4
	v_lshrrev_b32_e32 v18, s57, v117
	v_and_b32_e32 v18, s60, v18
	v_lshl_add_u32 v19, v18, 3, v104
	v_pk_mov_b32 v[52:53], v[22:23], v[22:23] op_sel:[0,1]
	v_lshl_add_u32 v22, v19, 2, 32
	v_and_b32_e32 v19, 1, v18
	v_pk_mov_b32 v[54:55], v[20:21], v[20:21] op_sel:[0,1]
	v_add_co_u32_e32 v20, vcc, -1, v19
	v_addc_co_u32_e64 v21, s[4:5], 0, -1, vcc
	v_cmp_ne_u32_e32 vcc, 0, v19
	v_lshlrev_b32_e32 v59, 30, v18
	v_xor_b32_e32 v19, vcc_hi, v21
	v_not_b32_e32 v21, v59
	v_xor_b32_e32 v20, vcc_lo, v20
	v_cmp_gt_i64_e32 vcc, 0, v[58:59]
	v_ashrrev_i32_e32 v21, 31, v21
	v_and_b32_e32 v20, exec_lo, v20
	v_xor_b32_e32 v23, vcc_hi, v21
	v_xor_b32_e32 v21, vcc_lo, v21
	v_lshlrev_b32_e32 v59, 29, v18
	v_and_b32_e32 v20, v20, v21
	v_not_b32_e32 v21, v59
	v_and_b32_e32 v19, exec_hi, v19
	v_cmp_gt_i64_e32 vcc, 0, v[58:59]
	v_ashrrev_i32_e32 v21, 31, v21
	v_and_b32_e32 v19, v19, v23
	v_xor_b32_e32 v23, vcc_hi, v21
	v_xor_b32_e32 v21, vcc_lo, v21
	v_lshlrev_b32_e32 v59, 28, v18
	v_and_b32_e32 v20, v20, v21
	v_not_b32_e32 v21, v59
	v_cmp_gt_i64_e32 vcc, 0, v[58:59]
	v_ashrrev_i32_e32 v21, 31, v21
	v_and_b32_e32 v19, v19, v23
	v_xor_b32_e32 v23, vcc_hi, v21
	v_xor_b32_e32 v21, vcc_lo, v21
	v_lshlrev_b32_e32 v59, 27, v18
	v_and_b32_e32 v20, v20, v21
	v_not_b32_e32 v21, v59
	;; [unrolled: 8-line block ×3, first 2 shown]
	v_cmp_gt_i64_e32 vcc, 0, v[58:59]
	v_ashrrev_i32_e32 v21, 31, v21
	v_and_b32_e32 v19, v19, v23
	v_xor_b32_e32 v23, vcc_hi, v21
	v_xor_b32_e32 v21, vcc_lo, v21
	v_lshlrev_b32_e32 v59, 25, v18
	v_and_b32_e32 v20, v20, v21
	v_cmp_gt_i64_e32 vcc, 0, v[58:59]
	v_not_b32_e32 v21, v59
	v_lshlrev_b32_e32 v59, 24, v18
	v_ashrrev_i32_e32 v21, 31, v21
	v_not_b32_e32 v18, v59
	v_and_b32_e32 v19, v19, v23
	v_xor_b32_e32 v23, vcc_hi, v21
	v_xor_b32_e32 v21, vcc_lo, v21
	v_cmp_gt_i64_e32 vcc, 0, v[58:59]
	v_ashrrev_i32_e32 v18, 31, v18
	v_and_b32_e32 v20, v20, v21
	v_xor_b32_e32 v21, vcc_hi, v18
	v_xor_b32_e32 v18, vcc_lo, v18
	v_and_b32_e32 v19, v19, v23
	v_and_b32_e32 v18, v20, v18
	;; [unrolled: 1-line block ×3, first 2 shown]
	v_mbcnt_lo_u32_b32 v20, v18, 0
	v_mbcnt_hi_u32_b32 v23, v19, v20
	v_cmp_eq_u32_e32 vcc, 0, v23
	v_cmp_ne_u64_e64 s[4:5], 0, v[18:19]
	v_mov_b32_e32 v110, v67
	v_mov_b32_e32 v111, v66
	;; [unrolled: 1-line block ×7, first 2 shown]
	v_pk_mov_b32 v[0:1], v[32:33], v[32:33] op_sel:[0,1]
	v_pk_mov_b32 v[44:45], v[30:31], v[30:31] op_sel:[0,1]
	;; [unrolled: 1-line block ×5, first 2 shown]
	s_and_b64 s[62:63], s[4:5], vcc
	ds_write2_b32 v87, v58, v58 offset0:8 offset1:9
	ds_write2_b32 v103, v58, v58 offset0:2 offset1:3
	s_waitcnt lgkmcnt(0)
	s_barrier
	s_waitcnt lgkmcnt(0)
	; wave barrier
	s_and_saveexec_b64 s[4:5], s[62:63]
	s_cbranch_execz .LBB135_48
; %bb.47:                               ;   in Loop: Header=BB135_46 Depth=1
	v_bcnt_u32_b32 v18, v18, 0
	v_bcnt_u32_b32 v18, v19, v18
	ds_write_b32 v22, v18
.LBB135_48:                             ;   in Loop: Header=BB135_46 Depth=1
	s_or_b64 exec, exec, s[4:5]
	v_lshrrev_b32_e32 v18, s57, v116
	v_and_b32_e32 v18, s60, v18
	v_lshlrev_b32_e32 v19, 3, v18
	v_add_lshl_u32 v19, v19, v104, 2
	; wave barrier
	v_add_u32_e32 v25, 32, v19
	ds_read_b32 v24, v19 offset:32
	v_and_b32_e32 v19, 1, v18
	v_add_co_u32_e32 v20, vcc, -1, v19
	v_addc_co_u32_e64 v21, s[4:5], 0, -1, vcc
	v_cmp_ne_u32_e32 vcc, 0, v19
	v_lshlrev_b32_e32 v59, 30, v18
	v_xor_b32_e32 v19, vcc_hi, v21
	v_not_b32_e32 v21, v59
	v_xor_b32_e32 v20, vcc_lo, v20
	v_cmp_gt_i64_e32 vcc, 0, v[58:59]
	v_ashrrev_i32_e32 v21, 31, v21
	v_and_b32_e32 v20, exec_lo, v20
	v_xor_b32_e32 v26, vcc_hi, v21
	v_xor_b32_e32 v21, vcc_lo, v21
	v_lshlrev_b32_e32 v59, 29, v18
	v_and_b32_e32 v20, v20, v21
	v_not_b32_e32 v21, v59
	v_and_b32_e32 v19, exec_hi, v19
	v_cmp_gt_i64_e32 vcc, 0, v[58:59]
	v_ashrrev_i32_e32 v21, 31, v21
	v_and_b32_e32 v19, v19, v26
	v_xor_b32_e32 v26, vcc_hi, v21
	v_xor_b32_e32 v21, vcc_lo, v21
	v_lshlrev_b32_e32 v59, 28, v18
	v_and_b32_e32 v20, v20, v21
	v_not_b32_e32 v21, v59
	v_cmp_gt_i64_e32 vcc, 0, v[58:59]
	v_ashrrev_i32_e32 v21, 31, v21
	v_and_b32_e32 v19, v19, v26
	v_xor_b32_e32 v26, vcc_hi, v21
	v_xor_b32_e32 v21, vcc_lo, v21
	v_lshlrev_b32_e32 v59, 27, v18
	v_and_b32_e32 v20, v20, v21
	v_not_b32_e32 v21, v59
	;; [unrolled: 8-line block ×3, first 2 shown]
	v_cmp_gt_i64_e32 vcc, 0, v[58:59]
	v_ashrrev_i32_e32 v21, 31, v21
	v_and_b32_e32 v19, v19, v26
	v_xor_b32_e32 v26, vcc_hi, v21
	v_xor_b32_e32 v21, vcc_lo, v21
	v_lshlrev_b32_e32 v59, 25, v18
	v_and_b32_e32 v20, v20, v21
	v_cmp_gt_i64_e32 vcc, 0, v[58:59]
	v_not_b32_e32 v21, v59
	v_lshlrev_b32_e32 v59, 24, v18
	v_ashrrev_i32_e32 v21, 31, v21
	v_not_b32_e32 v18, v59
	v_and_b32_e32 v19, v19, v26
	v_xor_b32_e32 v26, vcc_hi, v21
	v_xor_b32_e32 v21, vcc_lo, v21
	v_cmp_gt_i64_e32 vcc, 0, v[58:59]
	v_ashrrev_i32_e32 v18, 31, v18
	v_and_b32_e32 v20, v20, v21
	v_xor_b32_e32 v21, vcc_hi, v18
	v_xor_b32_e32 v18, vcc_lo, v18
	v_and_b32_e32 v19, v19, v26
	v_and_b32_e32 v18, v20, v18
	;; [unrolled: 1-line block ×3, first 2 shown]
	v_mbcnt_lo_u32_b32 v20, v18, 0
	v_mbcnt_hi_u32_b32 v26, v19, v20
	v_cmp_eq_u32_e32 vcc, 0, v26
	v_cmp_ne_u64_e64 s[4:5], 0, v[18:19]
	s_and_b64 s[62:63], s[4:5], vcc
	; wave barrier
	s_and_saveexec_b64 s[4:5], s[62:63]
	s_cbranch_execz .LBB135_50
; %bb.49:                               ;   in Loop: Header=BB135_46 Depth=1
	v_bcnt_u32_b32 v18, v18, 0
	v_bcnt_u32_b32 v18, v19, v18
	s_waitcnt lgkmcnt(0)
	v_add_u32_e32 v18, v24, v18
	ds_write_b32 v25, v18
.LBB135_50:                             ;   in Loop: Header=BB135_46 Depth=1
	s_or_b64 exec, exec, s[4:5]
	v_lshrrev_b32_e32 v18, s57, v115
	v_and_b32_e32 v18, s60, v18
	v_lshlrev_b32_e32 v19, 3, v18
	v_add_lshl_u32 v19, v19, v104, 2
	; wave barrier
	v_add_u32_e32 v28, 32, v19
	ds_read_b32 v27, v19 offset:32
	v_and_b32_e32 v19, 1, v18
	v_add_co_u32_e32 v20, vcc, -1, v19
	v_addc_co_u32_e64 v21, s[4:5], 0, -1, vcc
	v_cmp_ne_u32_e32 vcc, 0, v19
	v_lshlrev_b32_e32 v59, 30, v18
	v_xor_b32_e32 v19, vcc_hi, v21
	v_not_b32_e32 v21, v59
	v_xor_b32_e32 v20, vcc_lo, v20
	v_cmp_gt_i64_e32 vcc, 0, v[58:59]
	v_ashrrev_i32_e32 v21, 31, v21
	v_and_b32_e32 v20, exec_lo, v20
	v_xor_b32_e32 v29, vcc_hi, v21
	v_xor_b32_e32 v21, vcc_lo, v21
	v_lshlrev_b32_e32 v59, 29, v18
	v_and_b32_e32 v20, v20, v21
	v_not_b32_e32 v21, v59
	v_and_b32_e32 v19, exec_hi, v19
	v_cmp_gt_i64_e32 vcc, 0, v[58:59]
	v_ashrrev_i32_e32 v21, 31, v21
	v_and_b32_e32 v19, v19, v29
	v_xor_b32_e32 v29, vcc_hi, v21
	v_xor_b32_e32 v21, vcc_lo, v21
	v_lshlrev_b32_e32 v59, 28, v18
	v_and_b32_e32 v20, v20, v21
	v_not_b32_e32 v21, v59
	v_cmp_gt_i64_e32 vcc, 0, v[58:59]
	v_ashrrev_i32_e32 v21, 31, v21
	v_and_b32_e32 v19, v19, v29
	v_xor_b32_e32 v29, vcc_hi, v21
	v_xor_b32_e32 v21, vcc_lo, v21
	v_lshlrev_b32_e32 v59, 27, v18
	v_and_b32_e32 v20, v20, v21
	v_not_b32_e32 v21, v59
	;; [unrolled: 8-line block ×3, first 2 shown]
	v_cmp_gt_i64_e32 vcc, 0, v[58:59]
	v_ashrrev_i32_e32 v21, 31, v21
	v_and_b32_e32 v19, v19, v29
	v_xor_b32_e32 v29, vcc_hi, v21
	v_xor_b32_e32 v21, vcc_lo, v21
	v_lshlrev_b32_e32 v59, 25, v18
	v_and_b32_e32 v20, v20, v21
	v_cmp_gt_i64_e32 vcc, 0, v[58:59]
	v_not_b32_e32 v21, v59
	v_lshlrev_b32_e32 v59, 24, v18
	v_ashrrev_i32_e32 v21, 31, v21
	v_not_b32_e32 v18, v59
	v_and_b32_e32 v19, v19, v29
	v_xor_b32_e32 v29, vcc_hi, v21
	v_xor_b32_e32 v21, vcc_lo, v21
	v_cmp_gt_i64_e32 vcc, 0, v[58:59]
	v_ashrrev_i32_e32 v18, 31, v18
	v_and_b32_e32 v20, v20, v21
	v_xor_b32_e32 v21, vcc_hi, v18
	v_xor_b32_e32 v18, vcc_lo, v18
	v_and_b32_e32 v19, v19, v29
	v_and_b32_e32 v18, v20, v18
	;; [unrolled: 1-line block ×3, first 2 shown]
	v_mbcnt_lo_u32_b32 v20, v18, 0
	v_mbcnt_hi_u32_b32 v29, v19, v20
	v_cmp_eq_u32_e32 vcc, 0, v29
	v_cmp_ne_u64_e64 s[4:5], 0, v[18:19]
	s_and_b64 s[62:63], s[4:5], vcc
	; wave barrier
	s_and_saveexec_b64 s[4:5], s[62:63]
	s_cbranch_execz .LBB135_52
; %bb.51:                               ;   in Loop: Header=BB135_46 Depth=1
	v_bcnt_u32_b32 v18, v18, 0
	v_bcnt_u32_b32 v18, v19, v18
	s_waitcnt lgkmcnt(0)
	v_add_u32_e32 v18, v27, v18
	ds_write_b32 v28, v18
.LBB135_52:                             ;   in Loop: Header=BB135_46 Depth=1
	s_or_b64 exec, exec, s[4:5]
	v_lshrrev_b32_e32 v18, s57, v114
	v_and_b32_e32 v18, s60, v18
	v_lshlrev_b32_e32 v19, 3, v18
	v_add_lshl_u32 v19, v19, v104, 2
	; wave barrier
	v_add_u32_e32 v31, 32, v19
	ds_read_b32 v30, v19 offset:32
	v_and_b32_e32 v19, 1, v18
	v_add_co_u32_e32 v20, vcc, -1, v19
	v_addc_co_u32_e64 v21, s[4:5], 0, -1, vcc
	v_cmp_ne_u32_e32 vcc, 0, v19
	v_lshlrev_b32_e32 v59, 30, v18
	v_xor_b32_e32 v19, vcc_hi, v21
	v_not_b32_e32 v21, v59
	v_xor_b32_e32 v20, vcc_lo, v20
	v_cmp_gt_i64_e32 vcc, 0, v[58:59]
	v_ashrrev_i32_e32 v21, 31, v21
	v_and_b32_e32 v20, exec_lo, v20
	v_xor_b32_e32 v32, vcc_hi, v21
	v_xor_b32_e32 v21, vcc_lo, v21
	v_lshlrev_b32_e32 v59, 29, v18
	v_and_b32_e32 v20, v20, v21
	v_not_b32_e32 v21, v59
	v_and_b32_e32 v19, exec_hi, v19
	v_cmp_gt_i64_e32 vcc, 0, v[58:59]
	v_ashrrev_i32_e32 v21, 31, v21
	v_and_b32_e32 v19, v19, v32
	v_xor_b32_e32 v32, vcc_hi, v21
	v_xor_b32_e32 v21, vcc_lo, v21
	v_lshlrev_b32_e32 v59, 28, v18
	v_and_b32_e32 v20, v20, v21
	v_not_b32_e32 v21, v59
	v_cmp_gt_i64_e32 vcc, 0, v[58:59]
	v_ashrrev_i32_e32 v21, 31, v21
	v_and_b32_e32 v19, v19, v32
	v_xor_b32_e32 v32, vcc_hi, v21
	v_xor_b32_e32 v21, vcc_lo, v21
	v_lshlrev_b32_e32 v59, 27, v18
	v_and_b32_e32 v20, v20, v21
	v_not_b32_e32 v21, v59
	;; [unrolled: 8-line block ×3, first 2 shown]
	v_cmp_gt_i64_e32 vcc, 0, v[58:59]
	v_ashrrev_i32_e32 v21, 31, v21
	v_and_b32_e32 v19, v19, v32
	v_xor_b32_e32 v32, vcc_hi, v21
	v_xor_b32_e32 v21, vcc_lo, v21
	v_lshlrev_b32_e32 v59, 25, v18
	v_and_b32_e32 v20, v20, v21
	v_cmp_gt_i64_e32 vcc, 0, v[58:59]
	v_not_b32_e32 v21, v59
	v_lshlrev_b32_e32 v59, 24, v18
	v_ashrrev_i32_e32 v21, 31, v21
	v_not_b32_e32 v18, v59
	v_and_b32_e32 v19, v19, v32
	v_xor_b32_e32 v32, vcc_hi, v21
	v_xor_b32_e32 v21, vcc_lo, v21
	v_cmp_gt_i64_e32 vcc, 0, v[58:59]
	v_ashrrev_i32_e32 v18, 31, v18
	v_and_b32_e32 v20, v20, v21
	v_xor_b32_e32 v21, vcc_hi, v18
	v_xor_b32_e32 v18, vcc_lo, v18
	v_and_b32_e32 v19, v19, v32
	v_and_b32_e32 v18, v20, v18
	;; [unrolled: 1-line block ×3, first 2 shown]
	v_mbcnt_lo_u32_b32 v20, v18, 0
	v_mbcnt_hi_u32_b32 v32, v19, v20
	v_cmp_eq_u32_e32 vcc, 0, v32
	v_cmp_ne_u64_e64 s[4:5], 0, v[18:19]
	s_and_b64 s[62:63], s[4:5], vcc
	; wave barrier
	s_and_saveexec_b64 s[4:5], s[62:63]
	s_cbranch_execz .LBB135_54
; %bb.53:                               ;   in Loop: Header=BB135_46 Depth=1
	v_bcnt_u32_b32 v18, v18, 0
	v_bcnt_u32_b32 v18, v19, v18
	s_waitcnt lgkmcnt(0)
	v_add_u32_e32 v18, v30, v18
	ds_write_b32 v31, v18
.LBB135_54:                             ;   in Loop: Header=BB135_46 Depth=1
	s_or_b64 exec, exec, s[4:5]
	v_lshrrev_b32_e32 v18, s57, v113
	v_and_b32_e32 v18, s60, v18
	v_lshlrev_b32_e32 v19, 3, v18
	v_add_lshl_u32 v19, v19, v104, 2
	; wave barrier
	v_add_u32_e32 v60, 32, v19
	ds_read_b32 v33, v19 offset:32
	v_and_b32_e32 v19, 1, v18
	v_add_co_u32_e32 v20, vcc, -1, v19
	v_addc_co_u32_e64 v21, s[4:5], 0, -1, vcc
	v_cmp_ne_u32_e32 vcc, 0, v19
	v_lshlrev_b32_e32 v59, 30, v18
	v_xor_b32_e32 v19, vcc_hi, v21
	v_not_b32_e32 v21, v59
	v_xor_b32_e32 v20, vcc_lo, v20
	v_cmp_gt_i64_e32 vcc, 0, v[58:59]
	v_ashrrev_i32_e32 v21, 31, v21
	v_and_b32_e32 v19, exec_hi, v19
	v_xor_b32_e32 v59, vcc_hi, v21
	v_and_b32_e32 v20, exec_lo, v20
	v_xor_b32_e32 v21, vcc_lo, v21
	v_and_b32_e32 v19, v19, v59
	v_lshlrev_b32_e32 v59, 29, v18
	v_and_b32_e32 v20, v20, v21
	v_not_b32_e32 v21, v59
	v_cmp_gt_i64_e32 vcc, 0, v[58:59]
	v_ashrrev_i32_e32 v21, 31, v21
	v_xor_b32_e32 v59, vcc_hi, v21
	v_xor_b32_e32 v21, vcc_lo, v21
	v_and_b32_e32 v19, v19, v59
	v_lshlrev_b32_e32 v59, 28, v18
	v_and_b32_e32 v20, v20, v21
	v_not_b32_e32 v21, v59
	v_cmp_gt_i64_e32 vcc, 0, v[58:59]
	v_ashrrev_i32_e32 v21, 31, v21
	v_xor_b32_e32 v59, vcc_hi, v21
	v_xor_b32_e32 v21, vcc_lo, v21
	v_and_b32_e32 v19, v19, v59
	v_lshlrev_b32_e32 v59, 27, v18
	v_and_b32_e32 v20, v20, v21
	v_not_b32_e32 v21, v59
	v_cmp_gt_i64_e32 vcc, 0, v[58:59]
	v_ashrrev_i32_e32 v21, 31, v21
	v_xor_b32_e32 v59, vcc_hi, v21
	v_xor_b32_e32 v21, vcc_lo, v21
	v_and_b32_e32 v19, v19, v59
	v_lshlrev_b32_e32 v59, 26, v18
	v_and_b32_e32 v20, v20, v21
	v_not_b32_e32 v21, v59
	v_cmp_gt_i64_e32 vcc, 0, v[58:59]
	v_ashrrev_i32_e32 v21, 31, v21
	v_xor_b32_e32 v59, vcc_hi, v21
	v_xor_b32_e32 v21, vcc_lo, v21
	v_and_b32_e32 v19, v19, v59
	v_lshlrev_b32_e32 v59, 25, v18
	v_and_b32_e32 v20, v20, v21
	v_not_b32_e32 v21, v59
	v_cmp_gt_i64_e32 vcc, 0, v[58:59]
	v_ashrrev_i32_e32 v21, 31, v21
	v_xor_b32_e32 v59, vcc_hi, v21
	v_and_b32_e32 v19, v19, v59
	v_lshlrev_b32_e32 v59, 24, v18
	v_not_b32_e32 v18, v59
	v_xor_b32_e32 v21, vcc_lo, v21
	v_cmp_gt_i64_e32 vcc, 0, v[58:59]
	v_ashrrev_i32_e32 v18, 31, v18
	v_and_b32_e32 v20, v20, v21
	v_xor_b32_e32 v21, vcc_hi, v18
	v_xor_b32_e32 v18, vcc_lo, v18
	v_and_b32_e32 v18, v20, v18
	v_and_b32_e32 v19, v19, v21
	v_mbcnt_lo_u32_b32 v20, v18, 0
	v_mbcnt_hi_u32_b32 v61, v19, v20
	v_cmp_eq_u32_e32 vcc, 0, v61
	v_cmp_ne_u64_e64 s[4:5], 0, v[18:19]
	s_and_b64 s[62:63], s[4:5], vcc
	; wave barrier
	s_and_saveexec_b64 s[4:5], s[62:63]
	s_cbranch_execz .LBB135_56
; %bb.55:                               ;   in Loop: Header=BB135_46 Depth=1
	v_bcnt_u32_b32 v18, v18, 0
	v_bcnt_u32_b32 v18, v19, v18
	s_waitcnt lgkmcnt(0)
	v_add_u32_e32 v18, v33, v18
	ds_write_b32 v60, v18
.LBB135_56:                             ;   in Loop: Header=BB135_46 Depth=1
	s_or_b64 exec, exec, s[4:5]
	v_lshrrev_b32_e32 v18, s57, v112
	v_and_b32_e32 v18, s60, v18
	v_lshlrev_b32_e32 v19, 3, v18
	v_add_lshl_u32 v19, v19, v104, 2
	; wave barrier
	v_add_u32_e32 v63, 32, v19
	ds_read_b32 v62, v19 offset:32
	v_and_b32_e32 v19, 1, v18
	v_add_co_u32_e32 v20, vcc, -1, v19
	v_addc_co_u32_e64 v21, s[4:5], 0, -1, vcc
	v_cmp_ne_u32_e32 vcc, 0, v19
	v_lshlrev_b32_e32 v59, 30, v18
	v_xor_b32_e32 v19, vcc_hi, v21
	v_not_b32_e32 v21, v59
	v_xor_b32_e32 v20, vcc_lo, v20
	v_cmp_gt_i64_e32 vcc, 0, v[58:59]
	v_ashrrev_i32_e32 v21, 31, v21
	v_and_b32_e32 v19, exec_hi, v19
	v_xor_b32_e32 v59, vcc_hi, v21
	v_and_b32_e32 v20, exec_lo, v20
	v_xor_b32_e32 v21, vcc_lo, v21
	v_and_b32_e32 v19, v19, v59
	v_lshlrev_b32_e32 v59, 29, v18
	v_and_b32_e32 v20, v20, v21
	v_not_b32_e32 v21, v59
	v_cmp_gt_i64_e32 vcc, 0, v[58:59]
	v_ashrrev_i32_e32 v21, 31, v21
	v_xor_b32_e32 v59, vcc_hi, v21
	v_xor_b32_e32 v21, vcc_lo, v21
	v_and_b32_e32 v19, v19, v59
	v_lshlrev_b32_e32 v59, 28, v18
	v_and_b32_e32 v20, v20, v21
	v_not_b32_e32 v21, v59
	v_cmp_gt_i64_e32 vcc, 0, v[58:59]
	v_ashrrev_i32_e32 v21, 31, v21
	v_xor_b32_e32 v59, vcc_hi, v21
	;; [unrolled: 8-line block ×5, first 2 shown]
	v_and_b32_e32 v19, v19, v59
	v_lshlrev_b32_e32 v59, 24, v18
	v_not_b32_e32 v18, v59
	v_xor_b32_e32 v21, vcc_lo, v21
	v_cmp_gt_i64_e32 vcc, 0, v[58:59]
	v_ashrrev_i32_e32 v18, 31, v18
	v_and_b32_e32 v20, v20, v21
	v_xor_b32_e32 v21, vcc_hi, v18
	v_xor_b32_e32 v18, vcc_lo, v18
	v_and_b32_e32 v18, v20, v18
	v_and_b32_e32 v19, v19, v21
	v_mbcnt_lo_u32_b32 v20, v18, 0
	v_mbcnt_hi_u32_b32 v64, v19, v20
	v_cmp_eq_u32_e32 vcc, 0, v64
	v_cmp_ne_u64_e64 s[4:5], 0, v[18:19]
	s_and_b64 s[62:63], s[4:5], vcc
	; wave barrier
	s_and_saveexec_b64 s[4:5], s[62:63]
	s_cbranch_execz .LBB135_58
; %bb.57:                               ;   in Loop: Header=BB135_46 Depth=1
	v_bcnt_u32_b32 v18, v18, 0
	v_bcnt_u32_b32 v18, v19, v18
	s_waitcnt lgkmcnt(0)
	v_add_u32_e32 v18, v62, v18
	ds_write_b32 v63, v18
.LBB135_58:                             ;   in Loop: Header=BB135_46 Depth=1
	s_or_b64 exec, exec, s[4:5]
	v_lshrrev_b32_e32 v18, s57, v111
	v_and_b32_e32 v18, s60, v18
	v_lshlrev_b32_e32 v19, 3, v18
	v_add_lshl_u32 v19, v19, v104, 2
	; wave barrier
	v_add_u32_e32 v66, 32, v19
	ds_read_b32 v65, v19 offset:32
	v_and_b32_e32 v19, 1, v18
	v_add_co_u32_e32 v20, vcc, -1, v19
	v_addc_co_u32_e64 v21, s[4:5], 0, -1, vcc
	v_cmp_ne_u32_e32 vcc, 0, v19
	v_lshlrev_b32_e32 v59, 30, v18
	v_xor_b32_e32 v19, vcc_hi, v21
	v_not_b32_e32 v21, v59
	v_xor_b32_e32 v20, vcc_lo, v20
	v_cmp_gt_i64_e32 vcc, 0, v[58:59]
	v_ashrrev_i32_e32 v21, 31, v21
	v_and_b32_e32 v19, exec_hi, v19
	v_xor_b32_e32 v59, vcc_hi, v21
	v_and_b32_e32 v20, exec_lo, v20
	v_xor_b32_e32 v21, vcc_lo, v21
	v_and_b32_e32 v19, v19, v59
	v_lshlrev_b32_e32 v59, 29, v18
	v_and_b32_e32 v20, v20, v21
	v_not_b32_e32 v21, v59
	v_cmp_gt_i64_e32 vcc, 0, v[58:59]
	v_ashrrev_i32_e32 v21, 31, v21
	v_xor_b32_e32 v59, vcc_hi, v21
	v_xor_b32_e32 v21, vcc_lo, v21
	v_and_b32_e32 v19, v19, v59
	v_lshlrev_b32_e32 v59, 28, v18
	v_and_b32_e32 v20, v20, v21
	v_not_b32_e32 v21, v59
	v_cmp_gt_i64_e32 vcc, 0, v[58:59]
	v_ashrrev_i32_e32 v21, 31, v21
	v_xor_b32_e32 v59, vcc_hi, v21
	;; [unrolled: 8-line block ×5, first 2 shown]
	v_and_b32_e32 v19, v19, v59
	v_lshlrev_b32_e32 v59, 24, v18
	v_not_b32_e32 v18, v59
	v_xor_b32_e32 v21, vcc_lo, v21
	v_cmp_gt_i64_e32 vcc, 0, v[58:59]
	v_ashrrev_i32_e32 v18, 31, v18
	v_and_b32_e32 v20, v20, v21
	v_xor_b32_e32 v21, vcc_hi, v18
	v_xor_b32_e32 v18, vcc_lo, v18
	v_and_b32_e32 v18, v20, v18
	v_and_b32_e32 v19, v19, v21
	v_mbcnt_lo_u32_b32 v20, v18, 0
	v_mbcnt_hi_u32_b32 v67, v19, v20
	v_cmp_eq_u32_e32 vcc, 0, v67
	v_cmp_ne_u64_e64 s[4:5], 0, v[18:19]
	s_and_b64 s[62:63], s[4:5], vcc
	; wave barrier
	s_and_saveexec_b64 s[4:5], s[62:63]
	s_cbranch_execz .LBB135_60
; %bb.59:                               ;   in Loop: Header=BB135_46 Depth=1
	v_bcnt_u32_b32 v18, v18, 0
	v_bcnt_u32_b32 v18, v19, v18
	s_waitcnt lgkmcnt(0)
	v_add_u32_e32 v18, v65, v18
	ds_write_b32 v66, v18
.LBB135_60:                             ;   in Loop: Header=BB135_46 Depth=1
	s_or_b64 exec, exec, s[4:5]
	v_lshrrev_b32_e32 v18, s57, v110
	v_and_b32_e32 v18, s60, v18
	v_lshlrev_b32_e32 v19, 3, v18
	v_add_lshl_u32 v19, v19, v104, 2
	; wave barrier
	v_add_u32_e32 v119, 32, v19
	ds_read_b32 v118, v19 offset:32
	v_and_b32_e32 v19, 1, v18
	v_add_co_u32_e32 v20, vcc, -1, v19
	v_addc_co_u32_e64 v21, s[4:5], 0, -1, vcc
	v_cmp_ne_u32_e32 vcc, 0, v19
	v_lshlrev_b32_e32 v59, 30, v18
	v_xor_b32_e32 v19, vcc_hi, v21
	v_not_b32_e32 v21, v59
	v_xor_b32_e32 v20, vcc_lo, v20
	v_cmp_gt_i64_e32 vcc, 0, v[58:59]
	v_ashrrev_i32_e32 v21, 31, v21
	v_and_b32_e32 v19, exec_hi, v19
	v_xor_b32_e32 v59, vcc_hi, v21
	v_and_b32_e32 v20, exec_lo, v20
	v_xor_b32_e32 v21, vcc_lo, v21
	v_and_b32_e32 v19, v19, v59
	v_lshlrev_b32_e32 v59, 29, v18
	v_and_b32_e32 v20, v20, v21
	v_not_b32_e32 v21, v59
	v_cmp_gt_i64_e32 vcc, 0, v[58:59]
	v_ashrrev_i32_e32 v21, 31, v21
	v_xor_b32_e32 v59, vcc_hi, v21
	v_xor_b32_e32 v21, vcc_lo, v21
	v_and_b32_e32 v19, v19, v59
	v_lshlrev_b32_e32 v59, 28, v18
	v_and_b32_e32 v20, v20, v21
	v_not_b32_e32 v21, v59
	v_cmp_gt_i64_e32 vcc, 0, v[58:59]
	v_ashrrev_i32_e32 v21, 31, v21
	v_xor_b32_e32 v59, vcc_hi, v21
	;; [unrolled: 8-line block ×5, first 2 shown]
	v_and_b32_e32 v19, v19, v59
	v_lshlrev_b32_e32 v59, 24, v18
	v_not_b32_e32 v18, v59
	v_xor_b32_e32 v21, vcc_lo, v21
	v_cmp_gt_i64_e32 vcc, 0, v[58:59]
	v_ashrrev_i32_e32 v18, 31, v18
	v_and_b32_e32 v20, v20, v21
	v_xor_b32_e32 v21, vcc_hi, v18
	v_xor_b32_e32 v18, vcc_lo, v18
	v_and_b32_e32 v18, v20, v18
	v_and_b32_e32 v19, v19, v21
	v_mbcnt_lo_u32_b32 v20, v18, 0
	v_mbcnt_hi_u32_b32 v125, v19, v20
	v_cmp_eq_u32_e32 vcc, 0, v125
	v_cmp_ne_u64_e64 s[4:5], 0, v[18:19]
	s_and_b64 s[60:61], s[4:5], vcc
	; wave barrier
	s_and_saveexec_b64 s[4:5], s[60:61]
	s_cbranch_execz .LBB135_62
; %bb.61:                               ;   in Loop: Header=BB135_46 Depth=1
	v_bcnt_u32_b32 v18, v18, 0
	v_bcnt_u32_b32 v18, v19, v18
	s_waitcnt lgkmcnt(0)
	v_add_u32_e32 v18, v118, v18
	ds_write_b32 v119, v18
.LBB135_62:                             ;   in Loop: Header=BB135_46 Depth=1
	s_or_b64 exec, exec, s[4:5]
	; wave barrier
	s_waitcnt lgkmcnt(0)
	s_barrier
	ds_read2_b32 v[20:21], v87 offset0:8 offset1:9
	ds_read2_b32 v[18:19], v103 offset0:2 offset1:3
	s_waitcnt lgkmcnt(1)
	v_add_u32_e32 v59, v21, v20
	s_waitcnt lgkmcnt(0)
	v_add3_u32 v19, v59, v18, v19
	s_nop 1
	v_mov_b32_dpp v59, v19 row_shr:1 row_mask:0xf bank_mask:0xf
	v_cndmask_b32_e64 v59, v59, 0, s[26:27]
	v_add_u32_e32 v19, v59, v19
	s_nop 1
	v_mov_b32_dpp v59, v19 row_shr:2 row_mask:0xf bank_mask:0xf
	v_cndmask_b32_e64 v59, 0, v59, s[28:29]
	v_add_u32_e32 v19, v19, v59
	;; [unrolled: 4-line block ×4, first 2 shown]
	s_nop 1
	v_mov_b32_dpp v59, v19 row_bcast:15 row_mask:0xf bank_mask:0xf
	v_cndmask_b32_e64 v59, v59, 0, s[36:37]
	v_add_u32_e32 v19, v19, v59
	s_nop 1
	v_mov_b32_dpp v59, v19 row_bcast:31 row_mask:0xf bank_mask:0xf
	v_cndmask_b32_e64 v59, 0, v59, s[16:17]
	v_add_u32_e32 v19, v19, v59
	s_and_saveexec_b64 s[4:5], s[38:39]
	s_cbranch_execz .LBB135_64
; %bb.63:                               ;   in Loop: Header=BB135_46 Depth=1
	ds_write_b32 v106, v19
.LBB135_64:                             ;   in Loop: Header=BB135_46 Depth=1
	s_or_b64 exec, exec, s[4:5]
	s_waitcnt lgkmcnt(0)
	s_barrier
	s_and_saveexec_b64 s[4:5], s[18:19]
	s_cbranch_execz .LBB135_66
; %bb.65:                               ;   in Loop: Header=BB135_46 Depth=1
	ds_read_b32 v59, v86
	s_waitcnt lgkmcnt(0)
	s_nop 0
	v_mov_b32_dpp v120, v59 row_shr:1 row_mask:0xf bank_mask:0xf
	v_cndmask_b32_e64 v120, v120, 0, s[40:41]
	v_add_u32_e32 v59, v120, v59
	s_nop 1
	v_mov_b32_dpp v120, v59 row_shr:2 row_mask:0xf bank_mask:0xf
	v_cndmask_b32_e64 v120, 0, v120, s[42:43]
	v_add_u32_e32 v59, v59, v120
	;; [unrolled: 4-line block ×3, first 2 shown]
	ds_write_b32 v86, v59
.LBB135_66:                             ;   in Loop: Header=BB135_46 Depth=1
	s_or_b64 exec, exec, s[4:5]
	v_mov_b32_e32 v59, 0
	s_waitcnt lgkmcnt(0)
	s_barrier
	s_and_saveexec_b64 s[4:5], s[20:21]
	s_cbranch_execz .LBB135_68
; %bb.67:                               ;   in Loop: Header=BB135_46 Depth=1
	ds_read_b32 v59, v107
.LBB135_68:                             ;   in Loop: Header=BB135_46 Depth=1
	s_or_b64 exec, exec, s[4:5]
	s_waitcnt lgkmcnt(0)
	v_add_u32_e32 v19, v59, v19
	ds_bpermute_b32 v19, v105, v19
	s_cmp_gt_u32 s57, 23
	s_waitcnt lgkmcnt(0)
	v_cndmask_b32_e64 v19, v19, v59, s[22:23]
	v_cndmask_b32_e64 v19, v19, 0, s[24:25]
	v_add_u32_e32 v20, v19, v20
	v_add_u32_e32 v21, v20, v21
	;; [unrolled: 1-line block ×3, first 2 shown]
	ds_write2_b32 v87, v19, v20 offset0:8 offset1:9
	ds_write2_b32 v103, v21, v18 offset0:2 offset1:3
	s_waitcnt lgkmcnt(0)
	s_barrier
	ds_read_b32 v18, v22
	ds_read_b32 v19, v25
	;; [unrolled: 1-line block ×8, first 2 shown]
	s_waitcnt lgkmcnt(7)
	v_add_u32_e32 v59, v18, v23
	s_waitcnt lgkmcnt(6)
	v_add3_u32 v119, v26, v24, v19
	s_waitcnt lgkmcnt(5)
	v_add3_u32 v120, v29, v27, v20
	;; [unrolled: 2-line block ×7, first 2 shown]
	s_cbranch_scc0 .LBB135_45
; %bb.69:
                                        ; implicit-def: $vgpr67
                                        ; implicit-def: $vgpr65
                                        ; implicit-def: $vgpr63
                                        ; implicit-def: $vgpr61
                                        ; implicit-def: $vgpr32_vgpr33
                                        ; implicit-def: $vgpr28_vgpr29
                                        ; implicit-def: $vgpr24_vgpr25
                                        ; implicit-def: $vgpr20_vgpr21
                                        ; implicit-def: $sgpr57
                                        ; implicit-def: $sgpr59
.LBB135_70:
	v_lshlrev_b32_e32 v18, 2, v59
	s_barrier
	ds_write_b32 v18, v117
	v_lshlrev_b32_e32 v18, 2, v119
	ds_write_b32 v18, v116
	v_lshlrev_b32_e32 v18, 2, v120
	;; [unrolled: 2-line block ×7, first 2 shown]
	v_lshlrev_b32_e32 v22, 2, v80
	ds_write_b32 v18, v110
	s_waitcnt lgkmcnt(0)
	s_barrier
	ds_read2_b32 v[18:19], v22 offset1:1
	ds_read2_b32 v[20:21], v22 offset0:2 offset1:3
	ds_read2_b32 v[62:63], v22 offset0:4 offset1:5
	;; [unrolled: 1-line block ×3, first 2 shown]
	v_lshlrev_b32_e32 v23, 3, v59
	v_lshlrev_b32_e32 v24, 3, v119
	;; [unrolled: 1-line block ×9, first 2 shown]
	s_waitcnt lgkmcnt(3)
	v_xor_b32_e32 v58, 0x80000000, v18
	v_xor_b32_e32 v60, 0x80000000, v19
	s_waitcnt lgkmcnt(2)
	v_xor_b32_e32 v59, 0x80000000, v20
	v_xor_b32_e32 v61, 0x80000000, v21
	s_waitcnt lgkmcnt(0)
	s_barrier
	ds_write_b64 v23, v[56:57]
	ds_write_b64 v24, v[54:55]
	;; [unrolled: 1-line block ×8, first 2 shown]
	s_waitcnt lgkmcnt(0)
	s_barrier
	ds_read2_b64 v[18:21], v31 offset1:1
	ds_read2_b64 v[22:25], v31 offset0:2 offset1:3
	ds_read2_b64 v[26:29], v31 offset0:4 offset1:5
	;; [unrolled: 1-line block ×3, first 2 shown]
	v_xor_b32_e32 v62, 0x80000000, v62
	v_xor_b32_e32 v0, 0x80000000, v63
	;; [unrolled: 1-line block ×4, first 2 shown]
	s_branch .LBB135_106
.LBB135_71:
	v_mad_u64_u32 v[2:3], s[16:17], v34, s50, 0
	v_mov_b32_e32 v4, v3
	v_mad_u64_u32 v[4:5], s[16:17], v34, s51, v[4:5]
	v_mov_b32_e32 v3, v4
	v_lshlrev_b64 v[2:3], 3, v[2:3]
	v_mov_b32_e32 v4, s56
	v_add_co_u32_e32 v2, vcc, s55, v2
	v_addc_co_u32_e32 v3, vcc, v4, v3, vcc
	global_load_dwordx2 v[2:3], v[2:3], off
	v_mov_b32_e32 v4, 0
	v_mov_b32_e32 v5, v4
	;; [unrolled: 1-line block ×14, first 2 shown]
	s_or_b64 exec, exec, s[4:5]
	s_and_saveexec_b64 s[4:5], s[2:3]
	s_cbranch_execz .LBB135_36
.LBB135_72:
	v_mad_u64_u32 v[4:5], s[16:17], v24, s50, 0
	v_mov_b32_e32 v44, v5
	v_mad_u64_u32 v[44:45], s[16:17], v24, s51, v[44:45]
	v_mov_b32_e32 v5, v44
	v_lshlrev_b64 v[4:5], 3, v[4:5]
	v_mov_b32_e32 v24, s56
	v_add_co_u32_e32 v4, vcc, s55, v4
	v_addc_co_u32_e32 v5, vcc, v24, v5, vcc
	global_load_dwordx2 v[4:5], v[4:5], off
	s_or_b64 exec, exec, s[4:5]
	s_and_saveexec_b64 s[4:5], s[46:47]
	s_cbranch_execz .LBB135_37
.LBB135_73:
	v_mad_u64_u32 v[6:7], s[16:17], v22, s50, 0
	v_mov_b32_e32 v24, v7
	v_mad_u64_u32 v[44:45], s[16:17], v22, s51, v[24:25]
	v_mov_b32_e32 v7, v44
	v_lshlrev_b64 v[6:7], 3, v[6:7]
	v_mov_b32_e32 v22, s56
	v_add_co_u32_e32 v6, vcc, s55, v6
	v_addc_co_u32_e32 v7, vcc, v22, v7, vcc
	global_load_dwordx2 v[6:7], v[6:7], off
	s_or_b64 exec, exec, s[4:5]
	s_and_saveexec_b64 s[4:5], s[6:7]
	s_cbranch_execz .LBB135_38
.LBB135_74:
	v_mad_u64_u32 v[8:9], s[16:17], v21, s50, 0
	v_mov_b32_e32 v22, v9
	v_mad_u64_u32 v[44:45], s[16:17], v21, s51, v[22:23]
	v_mov_b32_e32 v9, v44
	v_lshlrev_b64 v[8:9], 3, v[8:9]
	v_mov_b32_e32 v21, s56
	v_add_co_u32_e32 v8, vcc, s55, v8
	v_addc_co_u32_e32 v9, vcc, v21, v9, vcc
	global_load_dwordx2 v[8:9], v[8:9], off
	s_or_b64 exec, exec, s[4:5]
	s_and_saveexec_b64 s[4:5], s[8:9]
	s_cbranch_execz .LBB135_39
.LBB135_75:
	v_mad_u64_u32 v[10:11], s[16:17], v20, s50, 0
	v_mov_b32_e32 v22, v11
	v_mad_u64_u32 v[20:21], s[16:17], v20, s51, v[22:23]
	v_mov_b32_e32 v11, v20
	v_lshlrev_b64 v[10:11], 3, v[10:11]
	v_mov_b32_e32 v20, s56
	v_add_co_u32_e32 v10, vcc, s55, v10
	v_addc_co_u32_e32 v11, vcc, v20, v11, vcc
	global_load_dwordx2 v[10:11], v[10:11], off
	s_or_b64 exec, exec, s[4:5]
	s_and_saveexec_b64 s[4:5], s[10:11]
	s_cbranch_execz .LBB135_40
.LBB135_76:
	v_mad_u64_u32 v[12:13], s[16:17], v18, s50, 0
	v_mov_b32_e32 v20, v13
	v_mad_u64_u32 v[20:21], s[16:17], v18, s51, v[20:21]
	v_mov_b32_e32 v13, v20
	v_lshlrev_b64 v[12:13], 3, v[12:13]
	v_mov_b32_e32 v18, s56
	v_add_co_u32_e32 v12, vcc, s55, v12
	v_addc_co_u32_e32 v13, vcc, v18, v13, vcc
	global_load_dwordx2 v[12:13], v[12:13], off
	s_or_b64 exec, exec, s[4:5]
	s_and_saveexec_b64 s[4:5], s[12:13]
	s_cbranch_execz .LBB135_41
.LBB135_77:
	v_mad_u64_u32 v[14:15], s[16:17], v19, s50, 0
	v_mov_b32_e32 v18, v15
	v_mad_u64_u32 v[18:19], s[16:17], v19, s51, v[18:19]
	v_mov_b32_e32 v15, v18
	v_lshlrev_b64 v[14:15], 3, v[14:15]
	v_mov_b32_e32 v18, s56
	v_add_co_u32_e32 v14, vcc, s55, v14
	v_addc_co_u32_e32 v15, vcc, v18, v15, vcc
	global_load_dwordx2 v[14:15], v[14:15], off
	s_or_b64 exec, exec, s[4:5]
	s_xor_b64 s[4:5], s[34:35], -1
	s_and_saveexec_b64 s[16:17], s[14:15]
	s_cbranch_execnz .LBB135_42
	s_branch .LBB135_43
.LBB135_78:
                                        ; implicit-def: $vgpr44
                                        ; implicit-def: $vgpr1
                                        ; implicit-def: $vgpr0
                                        ; implicit-def: $vgpr62
                                        ; implicit-def: $vgpr61
                                        ; implicit-def: $vgpr59
                                        ; implicit-def: $vgpr60
                                        ; implicit-def: $vgpr58
                                        ; implicit-def: $vgpr32_vgpr33
                                        ; implicit-def: $vgpr28_vgpr29
                                        ; implicit-def: $vgpr24_vgpr25
                                        ; implicit-def: $vgpr20_vgpr21
	s_cbranch_execz .LBB135_106
; %bb.79:
	v_xor_b32_e32 v0, 0x7fffffff, v43
	v_xor_b32_e32 v1, 0x7fffffff, v42
	s_waitcnt lgkmcnt(3)
	v_xor_b32_e32 v18, 0x7fffffff, v41
	v_xor_b32_e32 v19, 0x7fffffff, v40
	v_xor_b32_e32 v20, 0x7fffffff, v39
	v_xor_b32_e32 v21, 0x7fffffff, v38
	s_waitcnt lgkmcnt(2)
	v_xor_b32_e32 v22, 0x7fffffff, v37
	v_xor_b32_e32 v23, 0x7fffffff, v36
	ds_write2_b32 v102, v1, v0 offset1:1
	ds_write2_b32 v102, v19, v18 offset0:2 offset1:3
	ds_write2_b32 v102, v21, v20 offset0:4 offset1:5
	;; [unrolled: 1-line block ×3, first 2 shown]
	; wave barrier
	ds_read2st64_b32 v[36:37], v101 offset1:1
	ds_read2st64_b32 v[38:39], v101 offset0:2 offset1:3
	ds_read2st64_b32 v[40:41], v101 offset0:4 offset1:5
	;; [unrolled: 1-line block ×3, first 2 shown]
	s_waitcnt lgkmcnt(0)
	s_barrier
	ds_write2_b64 v100, v[14:15], v[16:17] offset1:1
	ds_write2_b64 v100, v[10:11], v[12:13] offset0:2 offset1:3
	ds_write2_b64 v100, v[6:7], v[8:9] offset0:4 offset1:5
	;; [unrolled: 1-line block ×3, first 2 shown]
	; wave barrier
	ds_read2st64_b64 v[0:3], v99 offset1:1
	ds_read2st64_b64 v[4:7], v99 offset0:2 offset1:3
	ds_read2st64_b64 v[8:11], v99 offset0:4 offset1:5
	;; [unrolled: 1-line block ×3, first 2 shown]
	s_waitcnt lgkmcnt(0)
	s_barrier
	s_load_dword s16, s[52:53], 0xc
	s_getpc_b64 s[4:5]
	s_add_u32 s4, s4, _ZN7rocprim17ROCPRIM_400000_NS16block_radix_sortIiLj512ELj8ElLj1ELj1ELj0ELNS0_26block_radix_rank_algorithmE1ELNS0_18block_padding_hintE2ELNS0_4arch9wavefront6targetE1EE19radix_bits_per_passE@rel32@lo+4
	s_addc_u32 s5, s5, _ZN7rocprim17ROCPRIM_400000_NS16block_radix_sortIiLj512ELj8ElLj1ELj1ELj0ELNS0_26block_radix_rank_algorithmE1ELNS0_18block_padding_hintE2ELNS0_4arch9wavefront6targetE1EE19radix_bits_per_passE@rel32@hi+12
	s_load_dword s52, s[4:5], 0x0
	v_cmp_lt_i32_e32 vcc, v92, v94
	v_and_b32_e32 v47, 60, v93
	s_waitcnt lgkmcnt(0)
	s_lshr_b32 s4, s16, 16
	s_and_b32 s5, s16, 0xffff
	v_mad_u32_u24 v16, v98, s4, v97
	v_mad_u64_u32 v[16:17], s[4:5], v16, s5, v[34:35]
	v_lshrrev_b32_e32 v45, 6, v16
	v_min_u32_e32 v16, 0x1c0, v89
	v_or_b32_e32 v16, 63, v16
	v_cmp_eq_u32_e64 s[28:29], v16, v34
	v_cndmask_b32_e32 v16, v92, v88, vcc
	s_mov_b32 s53, 32
	v_add_u32_e32 v44, 32, v87
	s_mov_b32 s57, 0
	v_cmp_eq_u32_e64 s[16:17], 0, v95
	v_cmp_lt_u32_e64 s[18:19], 1, v95
	v_cmp_lt_u32_e64 s[20:21], 3, v95
	;; [unrolled: 1-line block ×3, first 2 shown]
	v_cmp_eq_u32_e64 s[24:25], 0, v96
	v_cmp_lt_u32_e64 s[26:27], 31, v88
	v_cmp_gt_u32_e64 s[30:31], 8, v34
	v_cmp_lt_u32_e64 s[34:35], 63, v34
	v_lshlrev_b32_e32 v46, 2, v16
	v_cmp_eq_u32_e64 s[36:37], 0, v88
	v_cmp_eq_u32_e64 s[38:39], 0, v34
	;; [unrolled: 1-line block ×3, first 2 shown]
	v_cmp_lt_u32_e64 s[42:43], 1, v91
	v_cmp_lt_u32_e64 s[44:45], 3, v91
	v_add_u32_e32 v48, -4, v47
	v_lshlrev_b32_e32 v49, 2, v90
	v_lshlrev_b32_e32 v50, 3, v90
	v_mov_b32_e32 v32, 0
	s_branch .LBB135_81
.LBB135_80:                             ;   in Loop: Header=BB135_81 Depth=1
	v_lshlrev_b32_e32 v0, 2, v33
	s_barrier
	ds_write_b32 v0, v58
	v_lshlrev_b32_e32 v0, 2, v60
	ds_write_b32 v0, v57
	v_lshlrev_b32_e32 v0, 2, v61
	ds_write_b32 v0, v56
	v_lshlrev_b32_e32 v0, 2, v62
	ds_write_b32 v0, v55
	v_lshlrev_b32_e32 v0, 2, v63
	ds_write_b32 v0, v54
	v_lshlrev_b32_e32 v0, 2, v64
	ds_write_b32 v0, v53
	v_lshlrev_b32_e32 v0, 2, v65
	ds_write_b32 v0, v52
	v_lshlrev_b32_e32 v0, 2, v59
	ds_write_b32 v0, v51
	v_lshlrev_b32_e32 v0, 3, v33
	s_waitcnt lgkmcnt(0)
	s_barrier
	ds_read2st64_b32 v[36:37], v49 offset1:1
	ds_read2st64_b32 v[38:39], v49 offset0:2 offset1:3
	ds_read2st64_b32 v[40:41], v49 offset0:4 offset1:5
	;; [unrolled: 1-line block ×3, first 2 shown]
	s_waitcnt lgkmcnt(0)
	s_barrier
	ds_write_b64 v0, v[30:31]
	v_lshlrev_b32_e32 v0, 3, v60
	ds_write_b64 v0, v[28:29]
	v_lshlrev_b32_e32 v0, 3, v61
	;; [unrolled: 2-line block ×7, first 2 shown]
	ds_write_b64 v0, v[16:17]
	s_waitcnt lgkmcnt(0)
	s_barrier
	ds_read2st64_b64 v[0:3], v50 offset1:1
	ds_read2st64_b64 v[4:7], v50 offset0:2 offset1:3
	ds_read2st64_b64 v[8:11], v50 offset0:4 offset1:5
	;; [unrolled: 1-line block ×3, first 2 shown]
	s_add_i32 s57, s57, 8
	s_add_i32 s53, s53, -8
	s_waitcnt lgkmcnt(0)
	s_barrier
	s_cbranch_execz .LBB135_105
.LBB135_81:                             ; =>This Inner Loop Header: Depth=1
	s_min_u32 s4, s52, s53
	v_mov_b32_e32 v58, v36
	s_lshl_b32 s4, -1, s4
	v_pk_mov_b32 v[30:31], v[0:1], v[0:1] op_sel:[0,1]
	s_not_b32 s58, s4
	v_lshrrev_b32_e32 v0, s57, v58
	v_and_b32_e32 v0, s58, v0
	v_lshl_add_u32 v1, v0, 3, v45
	v_pk_mov_b32 v[26:27], v[4:5], v[4:5] op_sel:[0,1]
	v_lshl_add_u32 v4, v1, 2, 32
	v_and_b32_e32 v1, 1, v0
	v_pk_mov_b32 v[28:29], v[2:3], v[2:3] op_sel:[0,1]
	v_add_co_u32_e32 v2, vcc, -1, v1
	v_addc_co_u32_e64 v3, s[4:5], 0, -1, vcc
	v_cmp_ne_u32_e32 vcc, 0, v1
	v_lshlrev_b32_e32 v33, 30, v0
	v_xor_b32_e32 v1, vcc_hi, v3
	v_not_b32_e32 v3, v33
	v_xor_b32_e32 v2, vcc_lo, v2
	v_cmp_gt_i64_e32 vcc, 0, v[32:33]
	v_ashrrev_i32_e32 v3, 31, v3
	v_and_b32_e32 v2, exec_lo, v2
	v_xor_b32_e32 v5, vcc_hi, v3
	v_xor_b32_e32 v3, vcc_lo, v3
	v_lshlrev_b32_e32 v33, 29, v0
	v_and_b32_e32 v2, v2, v3
	v_not_b32_e32 v3, v33
	v_and_b32_e32 v1, exec_hi, v1
	v_cmp_gt_i64_e32 vcc, 0, v[32:33]
	v_ashrrev_i32_e32 v3, 31, v3
	v_and_b32_e32 v1, v1, v5
	v_xor_b32_e32 v5, vcc_hi, v3
	v_xor_b32_e32 v3, vcc_lo, v3
	v_lshlrev_b32_e32 v33, 28, v0
	v_and_b32_e32 v2, v2, v3
	v_not_b32_e32 v3, v33
	v_cmp_gt_i64_e32 vcc, 0, v[32:33]
	v_ashrrev_i32_e32 v3, 31, v3
	v_and_b32_e32 v1, v1, v5
	v_xor_b32_e32 v5, vcc_hi, v3
	v_xor_b32_e32 v3, vcc_lo, v3
	v_lshlrev_b32_e32 v33, 27, v0
	v_and_b32_e32 v2, v2, v3
	v_not_b32_e32 v3, v33
	;; [unrolled: 8-line block ×3, first 2 shown]
	v_cmp_gt_i64_e32 vcc, 0, v[32:33]
	v_ashrrev_i32_e32 v3, 31, v3
	v_and_b32_e32 v1, v1, v5
	v_xor_b32_e32 v5, vcc_hi, v3
	v_xor_b32_e32 v3, vcc_lo, v3
	v_lshlrev_b32_e32 v33, 25, v0
	v_and_b32_e32 v2, v2, v3
	v_cmp_gt_i64_e32 vcc, 0, v[32:33]
	v_not_b32_e32 v3, v33
	v_lshlrev_b32_e32 v33, 24, v0
	v_ashrrev_i32_e32 v3, 31, v3
	v_not_b32_e32 v0, v33
	v_and_b32_e32 v1, v1, v5
	v_xor_b32_e32 v5, vcc_hi, v3
	v_xor_b32_e32 v3, vcc_lo, v3
	v_cmp_gt_i64_e32 vcc, 0, v[32:33]
	v_ashrrev_i32_e32 v0, 31, v0
	v_and_b32_e32 v2, v2, v3
	v_xor_b32_e32 v3, vcc_hi, v0
	v_xor_b32_e32 v0, vcc_lo, v0
	v_and_b32_e32 v1, v1, v5
	v_and_b32_e32 v0, v2, v0
	;; [unrolled: 1-line block ×3, first 2 shown]
	v_mbcnt_lo_u32_b32 v2, v0, 0
	v_mbcnt_hi_u32_b32 v5, v1, v2
	v_cmp_eq_u32_e32 vcc, 0, v5
	v_cmp_ne_u64_e64 s[4:5], 0, v[0:1]
	v_mov_b32_e32 v51, v43
	v_mov_b32_e32 v52, v42
	v_mov_b32_e32 v53, v41
	v_mov_b32_e32 v54, v40
	v_mov_b32_e32 v55, v39
	v_mov_b32_e32 v56, v38
	v_mov_b32_e32 v57, v37
	v_pk_mov_b32 v[16:17], v[14:15], v[14:15] op_sel:[0,1]
	v_pk_mov_b32 v[18:19], v[12:13], v[12:13] op_sel:[0,1]
	;; [unrolled: 1-line block ×5, first 2 shown]
	s_and_b64 s[60:61], s[4:5], vcc
	ds_write2_b32 v87, v32, v32 offset0:8 offset1:9
	ds_write2_b32 v44, v32, v32 offset0:2 offset1:3
	s_waitcnt lgkmcnt(0)
	s_barrier
	s_waitcnt lgkmcnt(0)
	; wave barrier
	s_and_saveexec_b64 s[4:5], s[60:61]
	s_cbranch_execz .LBB135_83
; %bb.82:                               ;   in Loop: Header=BB135_81 Depth=1
	v_bcnt_u32_b32 v0, v0, 0
	v_bcnt_u32_b32 v0, v1, v0
	ds_write_b32 v4, v0
.LBB135_83:                             ;   in Loop: Header=BB135_81 Depth=1
	s_or_b64 exec, exec, s[4:5]
	v_lshrrev_b32_e32 v0, s57, v57
	v_and_b32_e32 v0, s58, v0
	v_lshlrev_b32_e32 v1, 3, v0
	v_add_lshl_u32 v1, v1, v45, 2
	; wave barrier
	v_add_u32_e32 v7, 32, v1
	ds_read_b32 v6, v1 offset:32
	v_and_b32_e32 v1, 1, v0
	v_add_co_u32_e32 v2, vcc, -1, v1
	v_addc_co_u32_e64 v3, s[4:5], 0, -1, vcc
	v_cmp_ne_u32_e32 vcc, 0, v1
	v_lshlrev_b32_e32 v33, 30, v0
	v_xor_b32_e32 v1, vcc_hi, v3
	v_not_b32_e32 v3, v33
	v_xor_b32_e32 v2, vcc_lo, v2
	v_cmp_gt_i64_e32 vcc, 0, v[32:33]
	v_ashrrev_i32_e32 v3, 31, v3
	v_and_b32_e32 v2, exec_lo, v2
	v_xor_b32_e32 v8, vcc_hi, v3
	v_xor_b32_e32 v3, vcc_lo, v3
	v_lshlrev_b32_e32 v33, 29, v0
	v_and_b32_e32 v2, v2, v3
	v_not_b32_e32 v3, v33
	v_and_b32_e32 v1, exec_hi, v1
	v_cmp_gt_i64_e32 vcc, 0, v[32:33]
	v_ashrrev_i32_e32 v3, 31, v3
	v_and_b32_e32 v1, v1, v8
	v_xor_b32_e32 v8, vcc_hi, v3
	v_xor_b32_e32 v3, vcc_lo, v3
	v_lshlrev_b32_e32 v33, 28, v0
	v_and_b32_e32 v2, v2, v3
	v_not_b32_e32 v3, v33
	v_cmp_gt_i64_e32 vcc, 0, v[32:33]
	v_ashrrev_i32_e32 v3, 31, v3
	v_and_b32_e32 v1, v1, v8
	v_xor_b32_e32 v8, vcc_hi, v3
	v_xor_b32_e32 v3, vcc_lo, v3
	v_lshlrev_b32_e32 v33, 27, v0
	v_and_b32_e32 v2, v2, v3
	v_not_b32_e32 v3, v33
	;; [unrolled: 8-line block ×3, first 2 shown]
	v_cmp_gt_i64_e32 vcc, 0, v[32:33]
	v_ashrrev_i32_e32 v3, 31, v3
	v_and_b32_e32 v1, v1, v8
	v_xor_b32_e32 v8, vcc_hi, v3
	v_xor_b32_e32 v3, vcc_lo, v3
	v_lshlrev_b32_e32 v33, 25, v0
	v_and_b32_e32 v2, v2, v3
	v_cmp_gt_i64_e32 vcc, 0, v[32:33]
	v_not_b32_e32 v3, v33
	v_lshlrev_b32_e32 v33, 24, v0
	v_ashrrev_i32_e32 v3, 31, v3
	v_not_b32_e32 v0, v33
	v_and_b32_e32 v1, v1, v8
	v_xor_b32_e32 v8, vcc_hi, v3
	v_xor_b32_e32 v3, vcc_lo, v3
	v_cmp_gt_i64_e32 vcc, 0, v[32:33]
	v_ashrrev_i32_e32 v0, 31, v0
	v_and_b32_e32 v2, v2, v3
	v_xor_b32_e32 v3, vcc_hi, v0
	v_xor_b32_e32 v0, vcc_lo, v0
	v_and_b32_e32 v1, v1, v8
	v_and_b32_e32 v0, v2, v0
	;; [unrolled: 1-line block ×3, first 2 shown]
	v_mbcnt_lo_u32_b32 v2, v0, 0
	v_mbcnt_hi_u32_b32 v8, v1, v2
	v_cmp_eq_u32_e32 vcc, 0, v8
	v_cmp_ne_u64_e64 s[4:5], 0, v[0:1]
	s_and_b64 s[60:61], s[4:5], vcc
	; wave barrier
	s_and_saveexec_b64 s[4:5], s[60:61]
	s_cbranch_execz .LBB135_85
; %bb.84:                               ;   in Loop: Header=BB135_81 Depth=1
	v_bcnt_u32_b32 v0, v0, 0
	v_bcnt_u32_b32 v0, v1, v0
	s_waitcnt lgkmcnt(0)
	v_add_u32_e32 v0, v6, v0
	ds_write_b32 v7, v0
.LBB135_85:                             ;   in Loop: Header=BB135_81 Depth=1
	s_or_b64 exec, exec, s[4:5]
	v_lshrrev_b32_e32 v0, s57, v56
	v_and_b32_e32 v0, s58, v0
	v_lshlrev_b32_e32 v1, 3, v0
	v_add_lshl_u32 v1, v1, v45, 2
	; wave barrier
	v_add_u32_e32 v10, 32, v1
	ds_read_b32 v9, v1 offset:32
	v_and_b32_e32 v1, 1, v0
	v_add_co_u32_e32 v2, vcc, -1, v1
	v_addc_co_u32_e64 v3, s[4:5], 0, -1, vcc
	v_cmp_ne_u32_e32 vcc, 0, v1
	v_lshlrev_b32_e32 v33, 30, v0
	v_xor_b32_e32 v1, vcc_hi, v3
	v_not_b32_e32 v3, v33
	v_xor_b32_e32 v2, vcc_lo, v2
	v_cmp_gt_i64_e32 vcc, 0, v[32:33]
	v_ashrrev_i32_e32 v3, 31, v3
	v_and_b32_e32 v2, exec_lo, v2
	v_xor_b32_e32 v11, vcc_hi, v3
	v_xor_b32_e32 v3, vcc_lo, v3
	v_lshlrev_b32_e32 v33, 29, v0
	v_and_b32_e32 v2, v2, v3
	v_not_b32_e32 v3, v33
	v_and_b32_e32 v1, exec_hi, v1
	v_cmp_gt_i64_e32 vcc, 0, v[32:33]
	v_ashrrev_i32_e32 v3, 31, v3
	v_and_b32_e32 v1, v1, v11
	v_xor_b32_e32 v11, vcc_hi, v3
	v_xor_b32_e32 v3, vcc_lo, v3
	v_lshlrev_b32_e32 v33, 28, v0
	v_and_b32_e32 v2, v2, v3
	v_not_b32_e32 v3, v33
	v_cmp_gt_i64_e32 vcc, 0, v[32:33]
	v_ashrrev_i32_e32 v3, 31, v3
	v_and_b32_e32 v1, v1, v11
	v_xor_b32_e32 v11, vcc_hi, v3
	v_xor_b32_e32 v3, vcc_lo, v3
	v_lshlrev_b32_e32 v33, 27, v0
	v_and_b32_e32 v2, v2, v3
	v_not_b32_e32 v3, v33
	;; [unrolled: 8-line block ×3, first 2 shown]
	v_cmp_gt_i64_e32 vcc, 0, v[32:33]
	v_ashrrev_i32_e32 v3, 31, v3
	v_and_b32_e32 v1, v1, v11
	v_xor_b32_e32 v11, vcc_hi, v3
	v_xor_b32_e32 v3, vcc_lo, v3
	v_lshlrev_b32_e32 v33, 25, v0
	v_and_b32_e32 v2, v2, v3
	v_cmp_gt_i64_e32 vcc, 0, v[32:33]
	v_not_b32_e32 v3, v33
	v_lshlrev_b32_e32 v33, 24, v0
	v_ashrrev_i32_e32 v3, 31, v3
	v_not_b32_e32 v0, v33
	v_and_b32_e32 v1, v1, v11
	v_xor_b32_e32 v11, vcc_hi, v3
	v_xor_b32_e32 v3, vcc_lo, v3
	v_cmp_gt_i64_e32 vcc, 0, v[32:33]
	v_ashrrev_i32_e32 v0, 31, v0
	v_and_b32_e32 v2, v2, v3
	v_xor_b32_e32 v3, vcc_hi, v0
	v_xor_b32_e32 v0, vcc_lo, v0
	v_and_b32_e32 v1, v1, v11
	v_and_b32_e32 v0, v2, v0
	;; [unrolled: 1-line block ×3, first 2 shown]
	v_mbcnt_lo_u32_b32 v2, v0, 0
	v_mbcnt_hi_u32_b32 v11, v1, v2
	v_cmp_eq_u32_e32 vcc, 0, v11
	v_cmp_ne_u64_e64 s[4:5], 0, v[0:1]
	s_and_b64 s[60:61], s[4:5], vcc
	; wave barrier
	s_and_saveexec_b64 s[4:5], s[60:61]
	s_cbranch_execz .LBB135_87
; %bb.86:                               ;   in Loop: Header=BB135_81 Depth=1
	v_bcnt_u32_b32 v0, v0, 0
	v_bcnt_u32_b32 v0, v1, v0
	s_waitcnt lgkmcnt(0)
	v_add_u32_e32 v0, v9, v0
	ds_write_b32 v10, v0
.LBB135_87:                             ;   in Loop: Header=BB135_81 Depth=1
	s_or_b64 exec, exec, s[4:5]
	v_lshrrev_b32_e32 v0, s57, v55
	v_and_b32_e32 v0, s58, v0
	v_lshlrev_b32_e32 v1, 3, v0
	v_add_lshl_u32 v1, v1, v45, 2
	; wave barrier
	v_add_u32_e32 v13, 32, v1
	ds_read_b32 v12, v1 offset:32
	v_and_b32_e32 v1, 1, v0
	v_add_co_u32_e32 v2, vcc, -1, v1
	v_addc_co_u32_e64 v3, s[4:5], 0, -1, vcc
	v_cmp_ne_u32_e32 vcc, 0, v1
	v_lshlrev_b32_e32 v33, 30, v0
	v_xor_b32_e32 v1, vcc_hi, v3
	v_not_b32_e32 v3, v33
	v_xor_b32_e32 v2, vcc_lo, v2
	v_cmp_gt_i64_e32 vcc, 0, v[32:33]
	v_ashrrev_i32_e32 v3, 31, v3
	v_and_b32_e32 v2, exec_lo, v2
	v_xor_b32_e32 v14, vcc_hi, v3
	v_xor_b32_e32 v3, vcc_lo, v3
	v_lshlrev_b32_e32 v33, 29, v0
	v_and_b32_e32 v2, v2, v3
	v_not_b32_e32 v3, v33
	v_and_b32_e32 v1, exec_hi, v1
	v_cmp_gt_i64_e32 vcc, 0, v[32:33]
	v_ashrrev_i32_e32 v3, 31, v3
	v_and_b32_e32 v1, v1, v14
	v_xor_b32_e32 v14, vcc_hi, v3
	v_xor_b32_e32 v3, vcc_lo, v3
	v_lshlrev_b32_e32 v33, 28, v0
	v_and_b32_e32 v2, v2, v3
	v_not_b32_e32 v3, v33
	v_cmp_gt_i64_e32 vcc, 0, v[32:33]
	v_ashrrev_i32_e32 v3, 31, v3
	v_and_b32_e32 v1, v1, v14
	v_xor_b32_e32 v14, vcc_hi, v3
	v_xor_b32_e32 v3, vcc_lo, v3
	v_lshlrev_b32_e32 v33, 27, v0
	v_and_b32_e32 v2, v2, v3
	v_not_b32_e32 v3, v33
	;; [unrolled: 8-line block ×3, first 2 shown]
	v_cmp_gt_i64_e32 vcc, 0, v[32:33]
	v_ashrrev_i32_e32 v3, 31, v3
	v_and_b32_e32 v1, v1, v14
	v_xor_b32_e32 v14, vcc_hi, v3
	v_xor_b32_e32 v3, vcc_lo, v3
	v_lshlrev_b32_e32 v33, 25, v0
	v_and_b32_e32 v2, v2, v3
	v_cmp_gt_i64_e32 vcc, 0, v[32:33]
	v_not_b32_e32 v3, v33
	v_lshlrev_b32_e32 v33, 24, v0
	v_ashrrev_i32_e32 v3, 31, v3
	v_not_b32_e32 v0, v33
	v_and_b32_e32 v1, v1, v14
	v_xor_b32_e32 v14, vcc_hi, v3
	v_xor_b32_e32 v3, vcc_lo, v3
	v_cmp_gt_i64_e32 vcc, 0, v[32:33]
	v_ashrrev_i32_e32 v0, 31, v0
	v_and_b32_e32 v2, v2, v3
	v_xor_b32_e32 v3, vcc_hi, v0
	v_xor_b32_e32 v0, vcc_lo, v0
	v_and_b32_e32 v1, v1, v14
	v_and_b32_e32 v0, v2, v0
	;; [unrolled: 1-line block ×3, first 2 shown]
	v_mbcnt_lo_u32_b32 v2, v0, 0
	v_mbcnt_hi_u32_b32 v14, v1, v2
	v_cmp_eq_u32_e32 vcc, 0, v14
	v_cmp_ne_u64_e64 s[4:5], 0, v[0:1]
	s_and_b64 s[60:61], s[4:5], vcc
	; wave barrier
	s_and_saveexec_b64 s[4:5], s[60:61]
	s_cbranch_execz .LBB135_89
; %bb.88:                               ;   in Loop: Header=BB135_81 Depth=1
	v_bcnt_u32_b32 v0, v0, 0
	v_bcnt_u32_b32 v0, v1, v0
	s_waitcnt lgkmcnt(0)
	v_add_u32_e32 v0, v12, v0
	ds_write_b32 v13, v0
.LBB135_89:                             ;   in Loop: Header=BB135_81 Depth=1
	s_or_b64 exec, exec, s[4:5]
	v_lshrrev_b32_e32 v0, s57, v54
	v_and_b32_e32 v0, s58, v0
	v_lshlrev_b32_e32 v1, 3, v0
	v_add_lshl_u32 v1, v1, v45, 2
	; wave barrier
	v_add_u32_e32 v36, 32, v1
	ds_read_b32 v15, v1 offset:32
	v_and_b32_e32 v1, 1, v0
	v_add_co_u32_e32 v2, vcc, -1, v1
	v_addc_co_u32_e64 v3, s[4:5], 0, -1, vcc
	v_cmp_ne_u32_e32 vcc, 0, v1
	v_lshlrev_b32_e32 v33, 30, v0
	v_xor_b32_e32 v1, vcc_hi, v3
	v_not_b32_e32 v3, v33
	v_xor_b32_e32 v2, vcc_lo, v2
	v_cmp_gt_i64_e32 vcc, 0, v[32:33]
	v_ashrrev_i32_e32 v3, 31, v3
	v_and_b32_e32 v1, exec_hi, v1
	v_xor_b32_e32 v33, vcc_hi, v3
	v_and_b32_e32 v2, exec_lo, v2
	v_xor_b32_e32 v3, vcc_lo, v3
	v_and_b32_e32 v1, v1, v33
	v_lshlrev_b32_e32 v33, 29, v0
	v_and_b32_e32 v2, v2, v3
	v_not_b32_e32 v3, v33
	v_cmp_gt_i64_e32 vcc, 0, v[32:33]
	v_ashrrev_i32_e32 v3, 31, v3
	v_xor_b32_e32 v33, vcc_hi, v3
	v_xor_b32_e32 v3, vcc_lo, v3
	v_and_b32_e32 v1, v1, v33
	v_lshlrev_b32_e32 v33, 28, v0
	v_and_b32_e32 v2, v2, v3
	v_not_b32_e32 v3, v33
	v_cmp_gt_i64_e32 vcc, 0, v[32:33]
	v_ashrrev_i32_e32 v3, 31, v3
	v_xor_b32_e32 v33, vcc_hi, v3
	;; [unrolled: 8-line block ×5, first 2 shown]
	v_and_b32_e32 v1, v1, v33
	v_lshlrev_b32_e32 v33, 24, v0
	v_not_b32_e32 v0, v33
	v_xor_b32_e32 v3, vcc_lo, v3
	v_cmp_gt_i64_e32 vcc, 0, v[32:33]
	v_ashrrev_i32_e32 v0, 31, v0
	v_and_b32_e32 v2, v2, v3
	v_xor_b32_e32 v3, vcc_hi, v0
	v_xor_b32_e32 v0, vcc_lo, v0
	v_and_b32_e32 v0, v2, v0
	v_and_b32_e32 v1, v1, v3
	v_mbcnt_lo_u32_b32 v2, v0, 0
	v_mbcnt_hi_u32_b32 v37, v1, v2
	v_cmp_eq_u32_e32 vcc, 0, v37
	v_cmp_ne_u64_e64 s[4:5], 0, v[0:1]
	s_and_b64 s[60:61], s[4:5], vcc
	; wave barrier
	s_and_saveexec_b64 s[4:5], s[60:61]
	s_cbranch_execz .LBB135_91
; %bb.90:                               ;   in Loop: Header=BB135_81 Depth=1
	v_bcnt_u32_b32 v0, v0, 0
	v_bcnt_u32_b32 v0, v1, v0
	s_waitcnt lgkmcnt(0)
	v_add_u32_e32 v0, v15, v0
	ds_write_b32 v36, v0
.LBB135_91:                             ;   in Loop: Header=BB135_81 Depth=1
	s_or_b64 exec, exec, s[4:5]
	v_lshrrev_b32_e32 v0, s57, v53
	v_and_b32_e32 v0, s58, v0
	v_lshlrev_b32_e32 v1, 3, v0
	v_add_lshl_u32 v1, v1, v45, 2
	; wave barrier
	v_add_u32_e32 v39, 32, v1
	ds_read_b32 v38, v1 offset:32
	v_and_b32_e32 v1, 1, v0
	v_add_co_u32_e32 v2, vcc, -1, v1
	v_addc_co_u32_e64 v3, s[4:5], 0, -1, vcc
	v_cmp_ne_u32_e32 vcc, 0, v1
	v_lshlrev_b32_e32 v33, 30, v0
	v_xor_b32_e32 v1, vcc_hi, v3
	v_not_b32_e32 v3, v33
	v_xor_b32_e32 v2, vcc_lo, v2
	v_cmp_gt_i64_e32 vcc, 0, v[32:33]
	v_ashrrev_i32_e32 v3, 31, v3
	v_and_b32_e32 v1, exec_hi, v1
	v_xor_b32_e32 v33, vcc_hi, v3
	v_and_b32_e32 v2, exec_lo, v2
	v_xor_b32_e32 v3, vcc_lo, v3
	v_and_b32_e32 v1, v1, v33
	v_lshlrev_b32_e32 v33, 29, v0
	v_and_b32_e32 v2, v2, v3
	v_not_b32_e32 v3, v33
	v_cmp_gt_i64_e32 vcc, 0, v[32:33]
	v_ashrrev_i32_e32 v3, 31, v3
	v_xor_b32_e32 v33, vcc_hi, v3
	v_xor_b32_e32 v3, vcc_lo, v3
	v_and_b32_e32 v1, v1, v33
	v_lshlrev_b32_e32 v33, 28, v0
	v_and_b32_e32 v2, v2, v3
	v_not_b32_e32 v3, v33
	v_cmp_gt_i64_e32 vcc, 0, v[32:33]
	v_ashrrev_i32_e32 v3, 31, v3
	v_xor_b32_e32 v33, vcc_hi, v3
	;; [unrolled: 8-line block ×5, first 2 shown]
	v_and_b32_e32 v1, v1, v33
	v_lshlrev_b32_e32 v33, 24, v0
	v_not_b32_e32 v0, v33
	v_xor_b32_e32 v3, vcc_lo, v3
	v_cmp_gt_i64_e32 vcc, 0, v[32:33]
	v_ashrrev_i32_e32 v0, 31, v0
	v_and_b32_e32 v2, v2, v3
	v_xor_b32_e32 v3, vcc_hi, v0
	v_xor_b32_e32 v0, vcc_lo, v0
	v_and_b32_e32 v0, v2, v0
	v_and_b32_e32 v1, v1, v3
	v_mbcnt_lo_u32_b32 v2, v0, 0
	v_mbcnt_hi_u32_b32 v40, v1, v2
	v_cmp_eq_u32_e32 vcc, 0, v40
	v_cmp_ne_u64_e64 s[4:5], 0, v[0:1]
	s_and_b64 s[60:61], s[4:5], vcc
	; wave barrier
	s_and_saveexec_b64 s[4:5], s[60:61]
	s_cbranch_execz .LBB135_93
; %bb.92:                               ;   in Loop: Header=BB135_81 Depth=1
	v_bcnt_u32_b32 v0, v0, 0
	v_bcnt_u32_b32 v0, v1, v0
	s_waitcnt lgkmcnt(0)
	v_add_u32_e32 v0, v38, v0
	ds_write_b32 v39, v0
.LBB135_93:                             ;   in Loop: Header=BB135_81 Depth=1
	s_or_b64 exec, exec, s[4:5]
	v_lshrrev_b32_e32 v0, s57, v52
	v_and_b32_e32 v0, s58, v0
	v_lshlrev_b32_e32 v1, 3, v0
	v_add_lshl_u32 v1, v1, v45, 2
	; wave barrier
	v_add_u32_e32 v42, 32, v1
	ds_read_b32 v41, v1 offset:32
	v_and_b32_e32 v1, 1, v0
	v_add_co_u32_e32 v2, vcc, -1, v1
	v_addc_co_u32_e64 v3, s[4:5], 0, -1, vcc
	v_cmp_ne_u32_e32 vcc, 0, v1
	v_lshlrev_b32_e32 v33, 30, v0
	v_xor_b32_e32 v1, vcc_hi, v3
	v_not_b32_e32 v3, v33
	v_xor_b32_e32 v2, vcc_lo, v2
	v_cmp_gt_i64_e32 vcc, 0, v[32:33]
	v_ashrrev_i32_e32 v3, 31, v3
	v_and_b32_e32 v1, exec_hi, v1
	v_xor_b32_e32 v33, vcc_hi, v3
	v_and_b32_e32 v2, exec_lo, v2
	v_xor_b32_e32 v3, vcc_lo, v3
	v_and_b32_e32 v1, v1, v33
	v_lshlrev_b32_e32 v33, 29, v0
	v_and_b32_e32 v2, v2, v3
	v_not_b32_e32 v3, v33
	v_cmp_gt_i64_e32 vcc, 0, v[32:33]
	v_ashrrev_i32_e32 v3, 31, v3
	v_xor_b32_e32 v33, vcc_hi, v3
	v_xor_b32_e32 v3, vcc_lo, v3
	v_and_b32_e32 v1, v1, v33
	v_lshlrev_b32_e32 v33, 28, v0
	v_and_b32_e32 v2, v2, v3
	v_not_b32_e32 v3, v33
	v_cmp_gt_i64_e32 vcc, 0, v[32:33]
	v_ashrrev_i32_e32 v3, 31, v3
	v_xor_b32_e32 v33, vcc_hi, v3
	;; [unrolled: 8-line block ×5, first 2 shown]
	v_and_b32_e32 v1, v1, v33
	v_lshlrev_b32_e32 v33, 24, v0
	v_not_b32_e32 v0, v33
	v_xor_b32_e32 v3, vcc_lo, v3
	v_cmp_gt_i64_e32 vcc, 0, v[32:33]
	v_ashrrev_i32_e32 v0, 31, v0
	v_and_b32_e32 v2, v2, v3
	v_xor_b32_e32 v3, vcc_hi, v0
	v_xor_b32_e32 v0, vcc_lo, v0
	v_and_b32_e32 v0, v2, v0
	v_and_b32_e32 v1, v1, v3
	v_mbcnt_lo_u32_b32 v2, v0, 0
	v_mbcnt_hi_u32_b32 v43, v1, v2
	v_cmp_eq_u32_e32 vcc, 0, v43
	v_cmp_ne_u64_e64 s[4:5], 0, v[0:1]
	s_and_b64 s[60:61], s[4:5], vcc
	; wave barrier
	s_and_saveexec_b64 s[4:5], s[60:61]
	s_cbranch_execz .LBB135_95
; %bb.94:                               ;   in Loop: Header=BB135_81 Depth=1
	v_bcnt_u32_b32 v0, v0, 0
	v_bcnt_u32_b32 v0, v1, v0
	s_waitcnt lgkmcnt(0)
	v_add_u32_e32 v0, v41, v0
	ds_write_b32 v42, v0
.LBB135_95:                             ;   in Loop: Header=BB135_81 Depth=1
	s_or_b64 exec, exec, s[4:5]
	v_lshrrev_b32_e32 v0, s57, v51
	v_and_b32_e32 v0, s58, v0
	v_lshlrev_b32_e32 v1, 3, v0
	v_add_lshl_u32 v1, v1, v45, 2
	; wave barrier
	v_add_u32_e32 v60, 32, v1
	ds_read_b32 v59, v1 offset:32
	v_and_b32_e32 v1, 1, v0
	v_add_co_u32_e32 v2, vcc, -1, v1
	v_addc_co_u32_e64 v3, s[4:5], 0, -1, vcc
	v_cmp_ne_u32_e32 vcc, 0, v1
	v_lshlrev_b32_e32 v33, 30, v0
	v_xor_b32_e32 v1, vcc_hi, v3
	v_not_b32_e32 v3, v33
	v_xor_b32_e32 v2, vcc_lo, v2
	v_cmp_gt_i64_e32 vcc, 0, v[32:33]
	v_ashrrev_i32_e32 v3, 31, v3
	v_and_b32_e32 v1, exec_hi, v1
	v_xor_b32_e32 v33, vcc_hi, v3
	v_and_b32_e32 v2, exec_lo, v2
	v_xor_b32_e32 v3, vcc_lo, v3
	v_and_b32_e32 v1, v1, v33
	v_lshlrev_b32_e32 v33, 29, v0
	v_and_b32_e32 v2, v2, v3
	v_not_b32_e32 v3, v33
	v_cmp_gt_i64_e32 vcc, 0, v[32:33]
	v_ashrrev_i32_e32 v3, 31, v3
	v_xor_b32_e32 v33, vcc_hi, v3
	v_xor_b32_e32 v3, vcc_lo, v3
	v_and_b32_e32 v1, v1, v33
	v_lshlrev_b32_e32 v33, 28, v0
	v_and_b32_e32 v2, v2, v3
	v_not_b32_e32 v3, v33
	v_cmp_gt_i64_e32 vcc, 0, v[32:33]
	v_ashrrev_i32_e32 v3, 31, v3
	v_xor_b32_e32 v33, vcc_hi, v3
	v_xor_b32_e32 v3, vcc_lo, v3
	v_and_b32_e32 v1, v1, v33
	v_lshlrev_b32_e32 v33, 27, v0
	v_and_b32_e32 v2, v2, v3
	v_not_b32_e32 v3, v33
	v_cmp_gt_i64_e32 vcc, 0, v[32:33]
	v_ashrrev_i32_e32 v3, 31, v3
	v_xor_b32_e32 v33, vcc_hi, v3
	v_xor_b32_e32 v3, vcc_lo, v3
	v_and_b32_e32 v1, v1, v33
	v_lshlrev_b32_e32 v33, 26, v0
	v_and_b32_e32 v2, v2, v3
	v_not_b32_e32 v3, v33
	v_cmp_gt_i64_e32 vcc, 0, v[32:33]
	v_ashrrev_i32_e32 v3, 31, v3
	v_xor_b32_e32 v33, vcc_hi, v3
	v_xor_b32_e32 v3, vcc_lo, v3
	v_and_b32_e32 v1, v1, v33
	v_lshlrev_b32_e32 v33, 25, v0
	v_and_b32_e32 v2, v2, v3
	v_not_b32_e32 v3, v33
	v_cmp_gt_i64_e32 vcc, 0, v[32:33]
	v_ashrrev_i32_e32 v3, 31, v3
	v_xor_b32_e32 v33, vcc_hi, v3
	v_and_b32_e32 v1, v1, v33
	v_lshlrev_b32_e32 v33, 24, v0
	v_not_b32_e32 v0, v33
	v_xor_b32_e32 v3, vcc_lo, v3
	v_cmp_gt_i64_e32 vcc, 0, v[32:33]
	v_ashrrev_i32_e32 v0, 31, v0
	v_and_b32_e32 v2, v2, v3
	v_xor_b32_e32 v3, vcc_hi, v0
	v_xor_b32_e32 v0, vcc_lo, v0
	v_and_b32_e32 v0, v2, v0
	v_and_b32_e32 v1, v1, v3
	v_mbcnt_lo_u32_b32 v2, v0, 0
	v_mbcnt_hi_u32_b32 v66, v1, v2
	v_cmp_eq_u32_e32 vcc, 0, v66
	v_cmp_ne_u64_e64 s[4:5], 0, v[0:1]
	s_and_b64 s[58:59], s[4:5], vcc
	; wave barrier
	s_and_saveexec_b64 s[4:5], s[58:59]
	s_cbranch_execz .LBB135_97
; %bb.96:                               ;   in Loop: Header=BB135_81 Depth=1
	v_bcnt_u32_b32 v0, v0, 0
	v_bcnt_u32_b32 v0, v1, v0
	s_waitcnt lgkmcnt(0)
	v_add_u32_e32 v0, v59, v0
	ds_write_b32 v60, v0
.LBB135_97:                             ;   in Loop: Header=BB135_81 Depth=1
	s_or_b64 exec, exec, s[4:5]
	; wave barrier
	s_waitcnt lgkmcnt(0)
	s_barrier
	ds_read2_b32 v[2:3], v87 offset0:8 offset1:9
	ds_read2_b32 v[0:1], v44 offset0:2 offset1:3
	s_waitcnt lgkmcnt(1)
	v_add_u32_e32 v33, v3, v2
	s_waitcnt lgkmcnt(0)
	v_add3_u32 v1, v33, v0, v1
	s_nop 1
	v_mov_b32_dpp v33, v1 row_shr:1 row_mask:0xf bank_mask:0xf
	v_cndmask_b32_e64 v33, v33, 0, s[16:17]
	v_add_u32_e32 v1, v33, v1
	s_nop 1
	v_mov_b32_dpp v33, v1 row_shr:2 row_mask:0xf bank_mask:0xf
	v_cndmask_b32_e64 v33, 0, v33, s[18:19]
	v_add_u32_e32 v1, v1, v33
	;; [unrolled: 4-line block ×4, first 2 shown]
	s_nop 1
	v_mov_b32_dpp v33, v1 row_bcast:15 row_mask:0xf bank_mask:0xf
	v_cndmask_b32_e64 v33, v33, 0, s[24:25]
	v_add_u32_e32 v1, v1, v33
	s_nop 1
	v_mov_b32_dpp v33, v1 row_bcast:31 row_mask:0xf bank_mask:0xf
	v_cndmask_b32_e64 v33, 0, v33, s[26:27]
	v_add_u32_e32 v1, v1, v33
	s_and_saveexec_b64 s[4:5], s[28:29]
	s_cbranch_execz .LBB135_99
; %bb.98:                               ;   in Loop: Header=BB135_81 Depth=1
	ds_write_b32 v47, v1
.LBB135_99:                             ;   in Loop: Header=BB135_81 Depth=1
	s_or_b64 exec, exec, s[4:5]
	s_waitcnt lgkmcnt(0)
	s_barrier
	s_and_saveexec_b64 s[4:5], s[30:31]
	s_cbranch_execz .LBB135_101
; %bb.100:                              ;   in Loop: Header=BB135_81 Depth=1
	ds_read_b32 v33, v86
	s_waitcnt lgkmcnt(0)
	s_nop 0
	v_mov_b32_dpp v61, v33 row_shr:1 row_mask:0xf bank_mask:0xf
	v_cndmask_b32_e64 v61, v61, 0, s[40:41]
	v_add_u32_e32 v33, v61, v33
	s_nop 1
	v_mov_b32_dpp v61, v33 row_shr:2 row_mask:0xf bank_mask:0xf
	v_cndmask_b32_e64 v61, 0, v61, s[42:43]
	v_add_u32_e32 v33, v33, v61
	;; [unrolled: 4-line block ×3, first 2 shown]
	ds_write_b32 v86, v33
.LBB135_101:                            ;   in Loop: Header=BB135_81 Depth=1
	s_or_b64 exec, exec, s[4:5]
	v_mov_b32_e32 v33, 0
	s_waitcnt lgkmcnt(0)
	s_barrier
	s_and_saveexec_b64 s[4:5], s[34:35]
	s_cbranch_execz .LBB135_103
; %bb.102:                              ;   in Loop: Header=BB135_81 Depth=1
	ds_read_b32 v33, v48
.LBB135_103:                            ;   in Loop: Header=BB135_81 Depth=1
	s_or_b64 exec, exec, s[4:5]
	s_waitcnt lgkmcnt(0)
	v_add_u32_e32 v1, v33, v1
	ds_bpermute_b32 v1, v46, v1
	s_cmp_gt_u32 s57, 23
	s_waitcnt lgkmcnt(0)
	v_cndmask_b32_e64 v1, v1, v33, s[36:37]
	v_cndmask_b32_e64 v1, v1, 0, s[38:39]
	v_add_u32_e32 v2, v1, v2
	v_add_u32_e32 v3, v2, v3
	;; [unrolled: 1-line block ×3, first 2 shown]
	ds_write2_b32 v87, v1, v2 offset0:8 offset1:9
	ds_write2_b32 v44, v3, v0 offset0:2 offset1:3
	s_waitcnt lgkmcnt(0)
	s_barrier
	ds_read_b32 v0, v4
	ds_read_b32 v1, v7
	ds_read_b32 v2, v10
	ds_read_b32 v3, v13
	ds_read_b32 v4, v36
	ds_read_b32 v7, v39
	ds_read_b32 v10, v42
	ds_read_b32 v13, v60
	s_waitcnt lgkmcnt(7)
	v_add_u32_e32 v33, v0, v5
	s_waitcnt lgkmcnt(6)
	v_add3_u32 v60, v8, v6, v1
	s_waitcnt lgkmcnt(5)
	v_add3_u32 v61, v11, v9, v2
	;; [unrolled: 2-line block ×7, first 2 shown]
	s_cbranch_scc0 .LBB135_80
; %bb.104:
                                        ; implicit-def: $vgpr43
                                        ; implicit-def: $vgpr41
                                        ; implicit-def: $vgpr39
                                        ; implicit-def: $vgpr37
                                        ; implicit-def: $vgpr14_vgpr15
                                        ; implicit-def: $vgpr10_vgpr11
                                        ; implicit-def: $vgpr6_vgpr7
                                        ; implicit-def: $vgpr2_vgpr3
                                        ; implicit-def: $sgpr57
                                        ; implicit-def: $sgpr53
.LBB135_105:
	v_lshlrev_b32_e32 v0, 2, v33
	s_barrier
	ds_write_b32 v0, v58
	v_lshlrev_b32_e32 v0, 2, v60
	ds_write_b32 v0, v57
	v_lshlrev_b32_e32 v0, 2, v61
	;; [unrolled: 2-line block ×7, first 2 shown]
	v_lshlrev_b32_e32 v6, 2, v80
	v_lshlrev_b32_e32 v8, 3, v33
	;; [unrolled: 1-line block ×3, first 2 shown]
	ds_write_b32 v0, v51
	s_waitcnt lgkmcnt(0)
	s_barrier
	v_lshlrev_b32_e32 v9, 3, v60
	v_lshlrev_b32_e32 v10, 3, v61
	;; [unrolled: 1-line block ×7, first 2 shown]
	ds_read2_b32 v[0:1], v6 offset1:1
	ds_read2_b32 v[2:3], v6 offset0:2 offset1:3
	ds_read2_b32 v[4:5], v6 offset0:4 offset1:5
	;; [unrolled: 1-line block ×3, first 2 shown]
	s_waitcnt lgkmcnt(0)
	s_barrier
	ds_write_b64 v8, v[30:31]
	ds_write_b64 v9, v[28:29]
	;; [unrolled: 1-line block ×8, first 2 shown]
	s_waitcnt lgkmcnt(0)
	s_barrier
	ds_read2_b64 v[18:21], v32 offset1:1
	ds_read2_b64 v[22:25], v32 offset0:2 offset1:3
	ds_read2_b64 v[26:29], v32 offset0:4 offset1:5
	;; [unrolled: 1-line block ×3, first 2 shown]
	v_xor_b32_e32 v58, 0x7fffffff, v0
	v_xor_b32_e32 v60, 0x7fffffff, v1
	;; [unrolled: 1-line block ×8, first 2 shown]
.LBB135_106:
	s_waitcnt lgkmcnt(0)
	s_barrier
	ds_write2_b32 v75, v58, v60 offset1:1
	ds_write2_b32 v75, v59, v61 offset0:2 offset1:3
	ds_write2_b32 v75, v62, v0 offset0:4 offset1:5
	ds_write2_b32 v75, v1, v44 offset0:6 offset1:7
	s_waitcnt lgkmcnt(0)
	s_barrier
	ds_read_b32 v8, v68 offset:2048
	ds_read_b32 v7, v69 offset:4096
	;; [unrolled: 1-line block ×7, first 2 shown]
	v_mad_u64_u32 v[0:1], s[4:5], v34, s48, 0
	v_mov_b32_e32 v10, v1
	v_mad_u64_u32 v[10:11], s[4:5], v34, s49, v[10:11]
	v_mov_b32_e32 v1, v10
	v_lshlrev_b64 v[0:1], 2, v[0:1]
	v_mov_b32_e32 v9, s54
	v_add_co_u32_e32 v0, vcc, s33, v0
	v_addc_co_u32_e32 v1, vcc, v9, v1, vcc
	s_and_saveexec_b64 s[4:5], s[0:1]
	s_cbranch_execnz .LBB135_125
; %bb.107:
	s_or_b64 exec, exec, s[4:5]
	s_and_saveexec_b64 s[4:5], s[2:3]
	s_cbranch_execnz .LBB135_126
.LBB135_108:
	s_or_b64 exec, exec, s[4:5]
	s_and_saveexec_b64 s[4:5], s[46:47]
	s_cbranch_execnz .LBB135_127
.LBB135_109:
	s_or_b64 exec, exec, s[4:5]
	s_and_saveexec_b64 s[4:5], s[6:7]
	s_cbranch_execnz .LBB135_128
.LBB135_110:
	s_or_b64 exec, exec, s[4:5]
	s_and_saveexec_b64 s[4:5], s[8:9]
	s_cbranch_execnz .LBB135_129
.LBB135_111:
	s_or_b64 exec, exec, s[4:5]
	s_and_saveexec_b64 s[4:5], s[10:11]
	s_cbranch_execnz .LBB135_130
.LBB135_112:
	s_or_b64 exec, exec, s[4:5]
	s_and_saveexec_b64 s[4:5], s[12:13]
	s_cbranch_execnz .LBB135_131
.LBB135_113:
	s_or_b64 exec, exec, s[4:5]
	s_and_saveexec_b64 s[4:5], s[14:15]
	s_cbranch_execz .LBB135_115
.LBB135_114:
	s_waitcnt lgkmcnt(1)
	v_mov_b32_e32 v3, 0x3800
	v_mad_u64_u32 v[0:1], s[16:17], s48, v3, v[0:1]
	s_mul_i32 s16, s49, 0x3800
	v_add_u32_e32 v1, s16, v1
	s_waitcnt lgkmcnt(0)
	global_store_dword v[0:1], v2, off
.LBB135_115:
	s_or_b64 exec, exec, s[4:5]
	s_waitcnt lgkmcnt(0)
	s_barrier
	ds_write2_b64 v85, v[18:19], v[20:21] offset1:1
	ds_write2_b64 v85, v[22:23], v[24:25] offset0:2 offset1:3
	ds_write2_b64 v85, v[26:27], v[28:29] offset0:4 offset1:5
	;; [unrolled: 1-line block ×3, first 2 shown]
	s_waitcnt lgkmcnt(0)
	s_barrier
	ds_read_b64 v[14:15], v77 offset:4096
	ds_read_b64 v[12:13], v78 offset:8192
	;; [unrolled: 1-line block ×7, first 2 shown]
	v_mad_u64_u32 v[4:5], s[4:5], v34, s50, 0
	v_mov_b32_e32 v16, v5
	v_mad_u64_u32 v[16:17], s[4:5], v34, s51, v[16:17]
	v_mov_b32_e32 v5, v16
	v_lshlrev_b64 v[4:5], 3, v[4:5]
	v_mov_b32_e32 v16, s56
	v_add_co_u32_e32 v4, vcc, s55, v4
	v_addc_co_u32_e32 v5, vcc, v16, v5, vcc
	s_and_saveexec_b64 s[4:5], s[0:1]
	s_cbranch_execnz .LBB135_132
; %bb.116:
	s_or_b64 exec, exec, s[4:5]
	s_and_saveexec_b64 s[0:1], s[2:3]
	s_cbranch_execnz .LBB135_133
.LBB135_117:
	s_or_b64 exec, exec, s[0:1]
	s_and_saveexec_b64 s[0:1], s[46:47]
	s_cbranch_execnz .LBB135_134
.LBB135_118:
	s_or_b64 exec, exec, s[0:1]
	s_and_saveexec_b64 s[0:1], s[6:7]
	s_cbranch_execnz .LBB135_135
.LBB135_119:
	s_or_b64 exec, exec, s[0:1]
	s_and_saveexec_b64 s[0:1], s[8:9]
	s_cbranch_execnz .LBB135_136
.LBB135_120:
	s_or_b64 exec, exec, s[0:1]
	s_and_saveexec_b64 s[0:1], s[10:11]
	s_cbranch_execnz .LBB135_137
.LBB135_121:
	s_or_b64 exec, exec, s[0:1]
	s_and_saveexec_b64 s[0:1], s[12:13]
	s_cbranch_execnz .LBB135_138
.LBB135_122:
	s_or_b64 exec, exec, s[0:1]
	s_and_saveexec_b64 s[0:1], s[14:15]
	s_cbranch_execz .LBB135_124
.LBB135_123:
	s_waitcnt lgkmcnt(1)
	v_mov_b32_e32 v2, 0x7000
	v_mad_u64_u32 v[2:3], s[0:1], s50, v2, v[4:5]
	s_mul_i32 s0, s51, 0x7000
	v_add_u32_e32 v3, s0, v3
	s_waitcnt lgkmcnt(0)
	global_store_dwordx2 v[2:3], v[0:1], off
.LBB135_124:
	s_endpgm
.LBB135_125:
	ds_read_b32 v9, v35
	s_waitcnt lgkmcnt(0)
	global_store_dword v[0:1], v9, off
	s_or_b64 exec, exec, s[4:5]
	s_and_saveexec_b64 s[4:5], s[2:3]
	s_cbranch_execz .LBB135_108
.LBB135_126:
	s_lshl_b64 s[16:17], s[48:49], 11
	v_mov_b32_e32 v9, s17
	v_add_co_u32_e32 v10, vcc, s16, v0
	v_addc_co_u32_e32 v11, vcc, v1, v9, vcc
	s_waitcnt lgkmcnt(6)
	global_store_dword v[10:11], v8, off
	s_or_b64 exec, exec, s[4:5]
	s_and_saveexec_b64 s[4:5], s[46:47]
	s_cbranch_execz .LBB135_109
.LBB135_127:
	s_lshl_b64 s[16:17], s[48:49], 12
	v_mov_b32_e32 v9, s17
	s_waitcnt lgkmcnt(6)
	v_add_co_u32_e32 v8, vcc, s16, v0
	v_addc_co_u32_e32 v9, vcc, v1, v9, vcc
	s_waitcnt lgkmcnt(5)
	global_store_dword v[8:9], v7, off
	s_or_b64 exec, exec, s[4:5]
	s_and_saveexec_b64 s[4:5], s[6:7]
	s_cbranch_execz .LBB135_110
.LBB135_128:
	s_waitcnt lgkmcnt(5)
	v_mov_b32_e32 v7, 0x1800
	v_mad_u64_u32 v[8:9], s[16:17], s48, v7, v[0:1]
	s_mul_i32 s16, s49, 0x1800
	v_add_u32_e32 v9, s16, v9
	s_waitcnt lgkmcnt(4)
	global_store_dword v[8:9], v6, off
	s_or_b64 exec, exec, s[4:5]
	s_and_saveexec_b64 s[4:5], s[8:9]
	s_cbranch_execz .LBB135_111
.LBB135_129:
	s_lshl_b64 s[16:17], s[48:49], 13
	s_waitcnt lgkmcnt(5)
	v_mov_b32_e32 v7, s17
	s_waitcnt lgkmcnt(4)
	v_add_co_u32_e32 v6, vcc, s16, v0
	v_addc_co_u32_e32 v7, vcc, v1, v7, vcc
	s_waitcnt lgkmcnt(3)
	global_store_dword v[6:7], v5, off
	s_or_b64 exec, exec, s[4:5]
	s_and_saveexec_b64 s[4:5], s[10:11]
	s_cbranch_execz .LBB135_112
.LBB135_130:
	s_waitcnt lgkmcnt(3)
	v_mov_b32_e32 v5, 0x2800
	v_mad_u64_u32 v[6:7], s[16:17], s48, v5, v[0:1]
	s_mul_i32 s16, s49, 0x2800
	v_add_u32_e32 v7, s16, v7
	s_waitcnt lgkmcnt(2)
	global_store_dword v[6:7], v4, off
	s_or_b64 exec, exec, s[4:5]
	s_and_saveexec_b64 s[4:5], s[12:13]
	s_cbranch_execz .LBB135_113
.LBB135_131:
	s_waitcnt lgkmcnt(2)
	v_mov_b32_e32 v4, 0x3000
	v_mad_u64_u32 v[4:5], s[16:17], s48, v4, v[0:1]
	s_mul_i32 s16, s49, 0x3000
	v_add_u32_e32 v5, s16, v5
	s_waitcnt lgkmcnt(1)
	global_store_dword v[4:5], v3, off
	s_or_b64 exec, exec, s[4:5]
	s_and_saveexec_b64 s[4:5], s[14:15]
	s_cbranch_execnz .LBB135_114
	s_branch .LBB135_115
.LBB135_132:
	ds_read_b64 v[16:17], v76
	s_waitcnt lgkmcnt(0)
	global_store_dwordx2 v[4:5], v[16:17], off
	s_or_b64 exec, exec, s[4:5]
	s_and_saveexec_b64 s[0:1], s[2:3]
	s_cbranch_execz .LBB135_117
.LBB135_133:
	s_lshl_b64 s[2:3], s[50:51], 12
	v_mov_b32_e32 v17, s3
	v_add_co_u32_e32 v16, vcc, s2, v4
	v_addc_co_u32_e32 v17, vcc, v5, v17, vcc
	s_waitcnt lgkmcnt(6)
	global_store_dwordx2 v[16:17], v[14:15], off
	s_or_b64 exec, exec, s[0:1]
	s_and_saveexec_b64 s[0:1], s[46:47]
	s_cbranch_execz .LBB135_118
.LBB135_134:
	s_lshl_b64 s[2:3], s[50:51], 13
	s_waitcnt lgkmcnt(6)
	v_mov_b32_e32 v15, s3
	v_add_co_u32_e32 v14, vcc, s2, v4
	v_addc_co_u32_e32 v15, vcc, v5, v15, vcc
	s_waitcnt lgkmcnt(5)
	global_store_dwordx2 v[14:15], v[12:13], off
	s_or_b64 exec, exec, s[0:1]
	s_and_saveexec_b64 s[0:1], s[6:7]
	s_cbranch_execz .LBB135_119
.LBB135_135:
	s_waitcnt lgkmcnt(5)
	v_mov_b32_e32 v12, 0x3000
	v_mad_u64_u32 v[12:13], s[2:3], s50, v12, v[4:5]
	s_mul_i32 s2, s51, 0x3000
	v_add_u32_e32 v13, s2, v13
	s_waitcnt lgkmcnt(4)
	global_store_dwordx2 v[12:13], v[10:11], off
	s_or_b64 exec, exec, s[0:1]
	s_and_saveexec_b64 s[0:1], s[8:9]
	s_cbranch_execz .LBB135_120
.LBB135_136:
	s_lshl_b64 s[2:3], s[50:51], 14
	s_waitcnt lgkmcnt(4)
	v_mov_b32_e32 v11, s3
	v_add_co_u32_e32 v10, vcc, s2, v4
	v_addc_co_u32_e32 v11, vcc, v5, v11, vcc
	s_waitcnt lgkmcnt(3)
	global_store_dwordx2 v[10:11], v[8:9], off
	s_or_b64 exec, exec, s[0:1]
	s_and_saveexec_b64 s[0:1], s[10:11]
	s_cbranch_execz .LBB135_121
.LBB135_137:
	s_waitcnt lgkmcnt(3)
	v_mov_b32_e32 v8, 0x5000
	v_mad_u64_u32 v[8:9], s[2:3], s50, v8, v[4:5]
	s_mul_i32 s2, s51, 0x5000
	v_add_u32_e32 v9, s2, v9
	s_waitcnt lgkmcnt(2)
	global_store_dwordx2 v[8:9], v[6:7], off
	s_or_b64 exec, exec, s[0:1]
	s_and_saveexec_b64 s[0:1], s[12:13]
	s_cbranch_execz .LBB135_122
.LBB135_138:
	s_waitcnt lgkmcnt(2)
	v_mov_b32_e32 v6, 0x6000
	v_mad_u64_u32 v[6:7], s[2:3], s50, v6, v[4:5]
	s_mul_i32 s2, s51, 0x6000
	v_add_u32_e32 v7, s2, v7
	s_waitcnt lgkmcnt(1)
	global_store_dwordx2 v[6:7], v[2:3], off
	s_or_b64 exec, exec, s[0:1]
	s_and_saveexec_b64 s[0:1], s[14:15]
	s_cbranch_execnz .LBB135_123
	s_branch .LBB135_124
	.section	.rodata,"a",@progbits
	.p2align	6, 0x0
	.amdhsa_kernel _ZN2at6native18radixSortKVInPlaceILin1ELin1ELi512ELi8EilmEEvNS_4cuda6detail10TensorInfoIT3_T5_EES6_S6_S6_NS4_IT4_S6_EES6_b
		.amdhsa_group_segment_fixed_size 33792
		.amdhsa_private_segment_fixed_size 0
		.amdhsa_kernarg_size 1128
		.amdhsa_user_sgpr_count 6
		.amdhsa_user_sgpr_private_segment_buffer 1
		.amdhsa_user_sgpr_dispatch_ptr 0
		.amdhsa_user_sgpr_queue_ptr 0
		.amdhsa_user_sgpr_kernarg_segment_ptr 1
		.amdhsa_user_sgpr_dispatch_id 0
		.amdhsa_user_sgpr_flat_scratch_init 0
		.amdhsa_user_sgpr_kernarg_preload_length 0
		.amdhsa_user_sgpr_kernarg_preload_offset 0
		.amdhsa_user_sgpr_private_segment_size 0
		.amdhsa_uses_dynamic_stack 0
		.amdhsa_system_sgpr_private_segment_wavefront_offset 0
		.amdhsa_system_sgpr_workgroup_id_x 1
		.amdhsa_system_sgpr_workgroup_id_y 1
		.amdhsa_system_sgpr_workgroup_id_z 1
		.amdhsa_system_sgpr_workgroup_info 0
		.amdhsa_system_vgpr_workitem_id 2
		.amdhsa_next_free_vgpr 126
		.amdhsa_next_free_sgpr 64
		.amdhsa_accum_offset 128
		.amdhsa_reserve_vcc 1
		.amdhsa_reserve_flat_scratch 0
		.amdhsa_float_round_mode_32 0
		.amdhsa_float_round_mode_16_64 0
		.amdhsa_float_denorm_mode_32 3
		.amdhsa_float_denorm_mode_16_64 3
		.amdhsa_dx10_clamp 1
		.amdhsa_ieee_mode 1
		.amdhsa_fp16_overflow 0
		.amdhsa_tg_split 0
		.amdhsa_exception_fp_ieee_invalid_op 0
		.amdhsa_exception_fp_denorm_src 0
		.amdhsa_exception_fp_ieee_div_zero 0
		.amdhsa_exception_fp_ieee_overflow 0
		.amdhsa_exception_fp_ieee_underflow 0
		.amdhsa_exception_fp_ieee_inexact 0
		.amdhsa_exception_int_div_zero 0
	.end_amdhsa_kernel
	.section	.text._ZN2at6native18radixSortKVInPlaceILin1ELin1ELi512ELi8EilmEEvNS_4cuda6detail10TensorInfoIT3_T5_EES6_S6_S6_NS4_IT4_S6_EES6_b,"axG",@progbits,_ZN2at6native18radixSortKVInPlaceILin1ELin1ELi512ELi8EilmEEvNS_4cuda6detail10TensorInfoIT3_T5_EES6_S6_S6_NS4_IT4_S6_EES6_b,comdat
.Lfunc_end135:
	.size	_ZN2at6native18radixSortKVInPlaceILin1ELin1ELi512ELi8EilmEEvNS_4cuda6detail10TensorInfoIT3_T5_EES6_S6_S6_NS4_IT4_S6_EES6_b, .Lfunc_end135-_ZN2at6native18radixSortKVInPlaceILin1ELin1ELi512ELi8EilmEEvNS_4cuda6detail10TensorInfoIT3_T5_EES6_S6_S6_NS4_IT4_S6_EES6_b
                                        ; -- End function
	.section	.AMDGPU.csdata,"",@progbits
; Kernel info:
; codeLenInByte = 14672
; NumSgprs: 68
; NumVgprs: 126
; NumAgprs: 0
; TotalNumVgprs: 126
; ScratchSize: 0
; MemoryBound: 0
; FloatMode: 240
; IeeeMode: 1
; LDSByteSize: 33792 bytes/workgroup (compile time only)
; SGPRBlocks: 8
; VGPRBlocks: 15
; NumSGPRsForWavesPerEU: 68
; NumVGPRsForWavesPerEU: 126
; AccumOffset: 128
; Occupancy: 2
; WaveLimiterHint : 1
; COMPUTE_PGM_RSRC2:SCRATCH_EN: 0
; COMPUTE_PGM_RSRC2:USER_SGPR: 6
; COMPUTE_PGM_RSRC2:TRAP_HANDLER: 0
; COMPUTE_PGM_RSRC2:TGID_X_EN: 1
; COMPUTE_PGM_RSRC2:TGID_Y_EN: 1
; COMPUTE_PGM_RSRC2:TGID_Z_EN: 1
; COMPUTE_PGM_RSRC2:TIDIG_COMP_CNT: 2
; COMPUTE_PGM_RSRC3_GFX90A:ACCUM_OFFSET: 31
; COMPUTE_PGM_RSRC3_GFX90A:TG_SPLIT: 0
	.section	.text._ZN2at6native18radixSortKVInPlaceILin1ELin1ELi256ELi8EilmEEvNS_4cuda6detail10TensorInfoIT3_T5_EES6_S6_S6_NS4_IT4_S6_EES6_b,"axG",@progbits,_ZN2at6native18radixSortKVInPlaceILin1ELin1ELi256ELi8EilmEEvNS_4cuda6detail10TensorInfoIT3_T5_EES6_S6_S6_NS4_IT4_S6_EES6_b,comdat
	.protected	_ZN2at6native18radixSortKVInPlaceILin1ELin1ELi256ELi8EilmEEvNS_4cuda6detail10TensorInfoIT3_T5_EES6_S6_S6_NS4_IT4_S6_EES6_b ; -- Begin function _ZN2at6native18radixSortKVInPlaceILin1ELin1ELi256ELi8EilmEEvNS_4cuda6detail10TensorInfoIT3_T5_EES6_S6_S6_NS4_IT4_S6_EES6_b
	.globl	_ZN2at6native18radixSortKVInPlaceILin1ELin1ELi256ELi8EilmEEvNS_4cuda6detail10TensorInfoIT3_T5_EES6_S6_S6_NS4_IT4_S6_EES6_b
	.p2align	8
	.type	_ZN2at6native18radixSortKVInPlaceILin1ELin1ELi256ELi8EilmEEvNS_4cuda6detail10TensorInfoIT3_T5_EES6_S6_S6_NS4_IT4_S6_EES6_b,@function
_ZN2at6native18radixSortKVInPlaceILin1ELin1ELi256ELi8EilmEEvNS_4cuda6detail10TensorInfoIT3_T5_EES6_S6_S6_NS4_IT4_S6_EES6_b: ; @_ZN2at6native18radixSortKVInPlaceILin1ELin1ELi256ELi8EilmEEvNS_4cuda6detail10TensorInfoIT3_T5_EES6_S6_S6_NS4_IT4_S6_EES6_b
; %bb.0:
	s_load_dwordx4 s[16:19], s[4:5], 0x1a0
	s_load_dwordx2 s[0:1], s[4:5], 0x368
	s_add_u32 s50, s4, 0x368
	s_addc_u32 s51, s5, 0
	s_waitcnt lgkmcnt(0)
	v_mov_b32_e32 v2, s16
	s_mul_i32 s1, s1, s8
	s_add_i32 s1, s1, s7
	s_mul_i32 s0, s1, s0
	v_mov_b32_e32 v3, s17
	s_add_i32 s6, s0, s6
	s_mov_b32 s7, 0
	v_cmp_ge_u64_e32 vcc, s[6:7], v[2:3]
	s_cbranch_vccnz .LBB136_124
; %bb.1:
	s_load_dword s0, s[4:5], 0x198
	s_load_dwordx2 s[46:47], s[4:5], 0x1b0
	s_mov_b64 s[2:3], 0
	s_mov_b64 s[8:9], s[6:7]
	s_waitcnt lgkmcnt(0)
	s_cmp_lt_i32 s0, 2
	s_cbranch_scc1 .LBB136_9
; %bb.2:
	s_mov_b32 s10, 0
	s_add_i32 s19, s0, 1
	s_add_i32 s0, s0, -1
	s_mov_b32 s1, s10
	s_lshl_b64 s[0:1], s[0:1], 3
	s_add_u32 s0, s0, s4
	s_addc_u32 s1, s1, s5
	s_add_u32 s12, s0, 8
	s_addc_u32 s13, s1, 0
	s_mov_b64 s[14:15], s[6:7]
.LBB136_3:                              ; =>This Inner Loop Header: Depth=1
	s_load_dwordx2 s[16:17], s[12:13], 0x0
	s_waitcnt lgkmcnt(0)
	s_or_b64 s[0:1], s[14:15], s[16:17]
	s_mov_b32 s11, s1
	s_cmp_lg_u64 s[10:11], 0
	s_cbranch_scc0 .LBB136_8
; %bb.4:                                ;   in Loop: Header=BB136_3 Depth=1
	v_cvt_f32_u32_e32 v1, s16
	v_cvt_f32_u32_e32 v2, s17
	s_sub_u32 s0, 0, s16
	s_subb_u32 s1, 0, s17
	v_mac_f32_e32 v1, 0x4f800000, v2
	v_rcp_f32_e32 v1, v1
	v_mul_f32_e32 v1, 0x5f7ffffc, v1
	v_mul_f32_e32 v2, 0x2f800000, v1
	v_trunc_f32_e32 v2, v2
	v_mac_f32_e32 v1, 0xcf800000, v2
	v_cvt_u32_f32_e32 v2, v2
	v_cvt_u32_f32_e32 v1, v1
	v_readfirstlane_b32 s8, v2
	v_readfirstlane_b32 s9, v1
	s_mul_i32 s11, s0, s8
	s_mul_hi_u32 s21, s0, s9
	s_mul_i32 s20, s1, s9
	s_add_i32 s11, s21, s11
	s_mul_i32 s22, s0, s9
	s_add_i32 s11, s11, s20
	s_mul_hi_u32 s20, s9, s11
	s_mul_i32 s21, s9, s11
	s_mul_hi_u32 s9, s9, s22
	s_add_u32 s9, s9, s21
	s_addc_u32 s20, 0, s20
	s_mul_hi_u32 s23, s8, s22
	s_mul_i32 s22, s8, s22
	s_add_u32 s9, s9, s22
	s_mul_hi_u32 s21, s8, s11
	s_addc_u32 s9, s20, s23
	s_addc_u32 s20, s21, 0
	s_mul_i32 s11, s8, s11
	s_add_u32 s9, s9, s11
	s_addc_u32 s11, 0, s20
	v_add_co_u32_e32 v1, vcc, s9, v1
	s_cmp_lg_u64 vcc, 0
	s_addc_u32 s8, s8, s11
	v_readfirstlane_b32 s11, v1
	s_mul_i32 s9, s0, s8
	s_mul_hi_u32 s20, s0, s11
	s_add_i32 s9, s20, s9
	s_mul_i32 s1, s1, s11
	s_add_i32 s9, s9, s1
	s_mul_i32 s0, s0, s11
	s_mul_hi_u32 s20, s8, s0
	s_mul_i32 s21, s8, s0
	s_mul_i32 s23, s11, s9
	s_mul_hi_u32 s0, s11, s0
	s_mul_hi_u32 s22, s11, s9
	s_add_u32 s0, s0, s23
	s_addc_u32 s11, 0, s22
	s_add_u32 s0, s0, s21
	s_mul_hi_u32 s1, s8, s9
	s_addc_u32 s0, s11, s20
	s_addc_u32 s1, s1, 0
	s_mul_i32 s9, s8, s9
	s_add_u32 s0, s0, s9
	s_addc_u32 s1, 0, s1
	v_add_co_u32_e32 v1, vcc, s0, v1
	s_cmp_lg_u64 vcc, 0
	s_addc_u32 s0, s8, s1
	v_readfirstlane_b32 s9, v1
	s_mul_i32 s8, s14, s0
	s_mul_hi_u32 s11, s14, s9
	s_mul_hi_u32 s1, s14, s0
	s_add_u32 s8, s11, s8
	s_addc_u32 s1, 0, s1
	s_mul_hi_u32 s20, s15, s9
	s_mul_i32 s9, s15, s9
	s_add_u32 s8, s8, s9
	s_mul_hi_u32 s11, s15, s0
	s_addc_u32 s1, s1, s20
	s_addc_u32 s8, s11, 0
	s_mul_i32 s0, s15, s0
	s_add_u32 s11, s1, s0
	s_addc_u32 s8, 0, s8
	s_mul_i32 s0, s16, s8
	s_mul_hi_u32 s1, s16, s11
	s_add_i32 s0, s1, s0
	s_mul_i32 s1, s17, s11
	s_add_i32 s9, s0, s1
	s_mul_i32 s1, s16, s11
	v_mov_b32_e32 v1, s1
	s_sub_i32 s0, s15, s9
	v_sub_co_u32_e32 v1, vcc, s14, v1
	s_cmp_lg_u64 vcc, 0
	s_subb_u32 s20, s0, s17
	v_subrev_co_u32_e64 v2, s[0:1], s16, v1
	s_cmp_lg_u64 s[0:1], 0
	s_subb_u32 s0, s20, 0
	s_cmp_ge_u32 s0, s17
	v_readfirstlane_b32 s20, v2
	s_cselect_b32 s1, -1, 0
	s_cmp_ge_u32 s20, s16
	s_cselect_b32 s20, -1, 0
	s_cmp_eq_u32 s0, s17
	s_cselect_b32 s0, s20, s1
	s_add_u32 s1, s11, 1
	s_addc_u32 s20, s8, 0
	s_add_u32 s21, s11, 2
	s_addc_u32 s22, s8, 0
	s_cmp_lg_u32 s0, 0
	s_cselect_b32 s0, s21, s1
	s_cselect_b32 s1, s22, s20
	s_cmp_lg_u64 vcc, 0
	s_subb_u32 s9, s15, s9
	s_cmp_ge_u32 s9, s17
	v_readfirstlane_b32 s21, v1
	s_cselect_b32 s20, -1, 0
	s_cmp_ge_u32 s21, s16
	s_cselect_b32 s21, -1, 0
	s_cmp_eq_u32 s9, s17
	s_cselect_b32 s9, s21, s20
	s_cmp_lg_u32 s9, 0
	s_cselect_b32 s9, s1, s8
	s_cselect_b32 s8, s0, s11
	s_cbranch_execnz .LBB136_6
.LBB136_5:                              ;   in Loop: Header=BB136_3 Depth=1
	v_cvt_f32_u32_e32 v1, s16
	s_sub_i32 s0, 0, s16
	v_rcp_iflag_f32_e32 v1, v1
	v_mul_f32_e32 v1, 0x4f7ffffe, v1
	v_cvt_u32_f32_e32 v1, v1
	v_readfirstlane_b32 s1, v1
	s_mul_i32 s0, s0, s1
	s_mul_hi_u32 s0, s1, s0
	s_add_i32 s1, s1, s0
	s_mul_hi_u32 s0, s14, s1
	s_mul_i32 s8, s0, s16
	s_sub_i32 s8, s14, s8
	s_add_i32 s1, s0, 1
	s_sub_i32 s9, s8, s16
	s_cmp_ge_u32 s8, s16
	s_cselect_b32 s0, s1, s0
	s_cselect_b32 s8, s9, s8
	s_add_i32 s1, s0, 1
	s_cmp_ge_u32 s8, s16
	s_cselect_b32 s8, s1, s0
	s_mov_b32 s9, s10
.LBB136_6:                              ;   in Loop: Header=BB136_3 Depth=1
	s_mul_i32 s0, s8, s17
	s_mul_hi_u32 s1, s8, s16
	s_add_i32 s11, s1, s0
	s_load_dwordx2 s[0:1], s[12:13], 0xc8
	s_mul_i32 s17, s9, s16
	s_add_i32 s11, s11, s17
	s_mul_i32 s16, s8, s16
	s_sub_u32 s14, s14, s16
	s_subb_u32 s11, s15, s11
	s_waitcnt lgkmcnt(0)
	s_mul_i32 s11, s0, s11
	s_mul_hi_u32 s15, s0, s14
	s_add_i32 s11, s15, s11
	s_mul_i32 s1, s1, s14
	s_add_i32 s11, s11, s1
	s_mul_i32 s0, s0, s14
	s_add_u32 s2, s0, s2
	s_addc_u32 s3, s11, s3
	s_add_i32 s19, s19, -1
	s_add_u32 s12, s12, -8
	s_addc_u32 s13, s13, -1
	s_cmp_gt_u32 s19, 2
	s_cbranch_scc0 .LBB136_9
; %bb.7:                                ;   in Loop: Header=BB136_3 Depth=1
	s_mov_b64 s[14:15], s[8:9]
	s_branch .LBB136_3
.LBB136_8:                              ;   in Loop: Header=BB136_3 Depth=1
                                        ; implicit-def: $sgpr8_sgpr9
	s_branch .LBB136_5
.LBB136_9:
	s_load_dword s0, s[4:5], 0x350
	s_load_dwordx2 s[10:11], s[4:5], 0xd0
	s_mov_b64 s[16:17], 0
	s_waitcnt lgkmcnt(0)
	s_cmp_lt_i32 s0, 2
	s_cbranch_scc1 .LBB136_17
; %bb.10:
	s_mov_b32 s12, 0
	s_add_i32 s19, s0, 1
	s_add_i32 s0, s0, -1
	s_mov_b32 s1, s12
	s_lshl_b64 s[0:1], s[0:1], 3
	s_add_u32 s0, s0, s4
	s_addc_u32 s1, s1, s5
	s_add_u32 s14, s0, 0x1c0
	s_addc_u32 s15, s1, 0
.LBB136_11:                             ; =>This Inner Loop Header: Depth=1
	s_load_dwordx2 s[22:23], s[14:15], 0x0
	s_waitcnt lgkmcnt(0)
	s_or_b64 s[0:1], s[6:7], s[22:23]
	s_mov_b32 s13, s1
	s_cmp_lg_u64 s[12:13], 0
	s_cbranch_scc0 .LBB136_16
; %bb.12:                               ;   in Loop: Header=BB136_11 Depth=1
	v_cvt_f32_u32_e32 v1, s22
	v_cvt_f32_u32_e32 v2, s23
	s_sub_u32 s0, 0, s22
	s_subb_u32 s1, 0, s23
	v_mac_f32_e32 v1, 0x4f800000, v2
	v_rcp_f32_e32 v1, v1
	v_mul_f32_e32 v1, 0x5f7ffffc, v1
	v_mul_f32_e32 v2, 0x2f800000, v1
	v_trunc_f32_e32 v2, v2
	v_mac_f32_e32 v1, 0xcf800000, v2
	v_cvt_u32_f32_e32 v2, v2
	v_cvt_u32_f32_e32 v1, v1
	v_readfirstlane_b32 s13, v2
	v_readfirstlane_b32 s20, v1
	s_mul_i32 s21, s0, s13
	s_mul_hi_u32 s25, s0, s20
	s_mul_i32 s24, s1, s20
	s_add_i32 s21, s25, s21
	s_mul_i32 s26, s0, s20
	s_add_i32 s21, s21, s24
	s_mul_hi_u32 s24, s20, s21
	s_mul_i32 s25, s20, s21
	s_mul_hi_u32 s20, s20, s26
	s_add_u32 s20, s20, s25
	s_addc_u32 s24, 0, s24
	s_mul_hi_u32 s27, s13, s26
	s_mul_i32 s26, s13, s26
	s_add_u32 s20, s20, s26
	s_mul_hi_u32 s25, s13, s21
	s_addc_u32 s20, s24, s27
	s_addc_u32 s24, s25, 0
	s_mul_i32 s21, s13, s21
	s_add_u32 s20, s20, s21
	s_addc_u32 s21, 0, s24
	v_add_co_u32_e32 v1, vcc, s20, v1
	s_cmp_lg_u64 vcc, 0
	s_addc_u32 s13, s13, s21
	v_readfirstlane_b32 s21, v1
	s_mul_i32 s20, s0, s13
	s_mul_hi_u32 s24, s0, s21
	s_add_i32 s20, s24, s20
	s_mul_i32 s1, s1, s21
	s_add_i32 s20, s20, s1
	s_mul_i32 s0, s0, s21
	s_mul_hi_u32 s24, s13, s0
	s_mul_i32 s25, s13, s0
	s_mul_i32 s27, s21, s20
	s_mul_hi_u32 s0, s21, s0
	s_mul_hi_u32 s26, s21, s20
	s_add_u32 s0, s0, s27
	s_addc_u32 s21, 0, s26
	s_add_u32 s0, s0, s25
	s_mul_hi_u32 s1, s13, s20
	s_addc_u32 s0, s21, s24
	s_addc_u32 s1, s1, 0
	s_mul_i32 s20, s13, s20
	s_add_u32 s0, s0, s20
	s_addc_u32 s1, 0, s1
	v_add_co_u32_e32 v1, vcc, s0, v1
	s_cmp_lg_u64 vcc, 0
	s_addc_u32 s0, s13, s1
	v_readfirstlane_b32 s20, v1
	s_mul_i32 s13, s6, s0
	s_mul_hi_u32 s21, s6, s20
	s_mul_hi_u32 s1, s6, s0
	s_add_u32 s13, s21, s13
	s_addc_u32 s1, 0, s1
	s_mul_hi_u32 s24, s7, s20
	s_mul_i32 s20, s7, s20
	s_add_u32 s13, s13, s20
	s_mul_hi_u32 s21, s7, s0
	s_addc_u32 s1, s1, s24
	s_addc_u32 s13, s21, 0
	s_mul_i32 s0, s7, s0
	s_add_u32 s20, s1, s0
	s_addc_u32 s13, 0, s13
	s_mul_i32 s0, s22, s13
	s_mul_hi_u32 s1, s22, s20
	s_add_i32 s0, s1, s0
	s_mul_i32 s1, s23, s20
	s_add_i32 s21, s0, s1
	s_mul_i32 s1, s22, s20
	v_mov_b32_e32 v1, s1
	s_sub_i32 s0, s7, s21
	v_sub_co_u32_e32 v1, vcc, s6, v1
	s_cmp_lg_u64 vcc, 0
	s_subb_u32 s24, s0, s23
	v_subrev_co_u32_e64 v2, s[0:1], s22, v1
	s_cmp_lg_u64 s[0:1], 0
	s_subb_u32 s0, s24, 0
	s_cmp_ge_u32 s0, s23
	v_readfirstlane_b32 s24, v2
	s_cselect_b32 s1, -1, 0
	s_cmp_ge_u32 s24, s22
	s_cselect_b32 s24, -1, 0
	s_cmp_eq_u32 s0, s23
	s_cselect_b32 s0, s24, s1
	s_add_u32 s1, s20, 1
	s_addc_u32 s24, s13, 0
	s_add_u32 s25, s20, 2
	s_addc_u32 s26, s13, 0
	s_cmp_lg_u32 s0, 0
	s_cselect_b32 s0, s25, s1
	s_cselect_b32 s1, s26, s24
	s_cmp_lg_u64 vcc, 0
	s_subb_u32 s21, s7, s21
	s_cmp_ge_u32 s21, s23
	v_readfirstlane_b32 s25, v1
	s_cselect_b32 s24, -1, 0
	s_cmp_ge_u32 s25, s22
	s_cselect_b32 s25, -1, 0
	s_cmp_eq_u32 s21, s23
	s_cselect_b32 s21, s25, s24
	s_cmp_lg_u32 s21, 0
	s_cselect_b32 s21, s1, s13
	s_cselect_b32 s20, s0, s20
	s_cbranch_execnz .LBB136_14
.LBB136_13:                             ;   in Loop: Header=BB136_11 Depth=1
	v_cvt_f32_u32_e32 v1, s22
	s_sub_i32 s0, 0, s22
	s_mov_b32 s21, s12
	v_rcp_iflag_f32_e32 v1, v1
	v_mul_f32_e32 v1, 0x4f7ffffe, v1
	v_cvt_u32_f32_e32 v1, v1
	v_readfirstlane_b32 s1, v1
	s_mul_i32 s0, s0, s1
	s_mul_hi_u32 s0, s1, s0
	s_add_i32 s1, s1, s0
	s_mul_hi_u32 s0, s6, s1
	s_mul_i32 s13, s0, s22
	s_sub_i32 s13, s6, s13
	s_add_i32 s1, s0, 1
	s_sub_i32 s20, s13, s22
	s_cmp_ge_u32 s13, s22
	s_cselect_b32 s0, s1, s0
	s_cselect_b32 s13, s20, s13
	s_add_i32 s1, s0, 1
	s_cmp_ge_u32 s13, s22
	s_cselect_b32 s20, s1, s0
.LBB136_14:                             ;   in Loop: Header=BB136_11 Depth=1
	s_mul_i32 s0, s20, s23
	s_mul_hi_u32 s1, s20, s22
	s_add_i32 s13, s1, s0
	s_load_dwordx2 s[0:1], s[14:15], 0xc8
	s_mul_i32 s23, s21, s22
	s_add_i32 s13, s13, s23
	s_mul_i32 s22, s20, s22
	s_sub_u32 s6, s6, s22
	s_subb_u32 s7, s7, s13
	s_waitcnt lgkmcnt(0)
	s_mul_i32 s7, s0, s7
	s_mul_hi_u32 s13, s0, s6
	s_add_i32 s7, s13, s7
	s_mul_i32 s1, s1, s6
	s_add_i32 s7, s7, s1
	s_mul_i32 s0, s0, s6
	s_add_u32 s16, s0, s16
	s_addc_u32 s17, s7, s17
	s_add_i32 s19, s19, -1
	s_add_u32 s14, s14, -8
	s_addc_u32 s15, s15, -1
	s_cmp_gt_u32 s19, 2
	s_cbranch_scc0 .LBB136_18
; %bb.15:                               ;   in Loop: Header=BB136_11 Depth=1
	s_mov_b64 s[6:7], s[20:21]
	s_branch .LBB136_11
.LBB136_16:                             ;   in Loop: Header=BB136_11 Depth=1
                                        ; implicit-def: $sgpr20_sgpr21
	s_branch .LBB136_13
.LBB136_17:
	s_mov_b64 s[20:21], s[6:7]
.LBB136_18:
	s_mul_i32 s0, s10, s9
	s_load_dword s9, s[4:5], 0x360
	s_load_dwordx2 s[6:7], s[4:5], 0x0
	s_mul_hi_u32 s1, s10, s8
	s_add_i32 s0, s1, s0
	s_mul_i32 s1, s11, s8
	s_add_i32 s1, s0, s1
	s_waitcnt lgkmcnt(0)
	s_bitcmp1_b32 s9, 0
	s_cselect_b64 s[34:35], -1, 0
	s_mul_i32 s0, s10, s8
	s_brev_b32 s10, 1
	s_and_b64 s[8:9], s[34:35], exec
	s_cselect_b32 s8, s10, 0x7fffffff
	s_lshl_b64 s[0:1], s[0:1], 2
	s_add_u32 s6, s6, s0
	s_addc_u32 s7, s7, s1
	s_lshl_b64 s[0:1], s[2:3], 2
	s_mov_b32 s9, s8
	s_add_u32 s33, s6, s0
	v_and_b32_e32 v34, 0x3ff, v0
	s_mov_b32 s10, s8
	s_mov_b32 s11, s8
	;; [unrolled: 1-line block ×6, first 2 shown]
	v_pk_mov_b32 v[2:3], s[8:9], s[8:9] op_sel:[0,1]
	s_addc_u32 s52, s7, s1
	v_cmp_gt_u32_e64 s[0:1], s18, v34
	v_pk_mov_b32 v[4:5], s[10:11], s[10:11] op_sel:[0,1]
	v_pk_mov_b32 v[6:7], s[12:13], s[12:13] op_sel:[0,1]
	;; [unrolled: 1-line block ×3, first 2 shown]
	v_mov_b32_e32 v10, s8
	s_and_saveexec_b64 s[2:3], s[0:1]
	s_cbranch_execz .LBB136_20
; %bb.19:
	v_mad_u64_u32 v[2:3], s[6:7], v34, s46, 0
	v_mov_b32_e32 v4, v3
	v_mad_u64_u32 v[4:5], s[6:7], v34, s47, v[4:5]
	v_mov_b32_e32 v3, v4
	v_lshlrev_b64 v[2:3], 2, v[2:3]
	v_mov_b32_e32 v1, s52
	v_add_co_u32_e32 v2, vcc, s33, v2
	v_addc_co_u32_e32 v3, vcc, v1, v3, vcc
	global_load_dword v10, v[2:3], off
	v_pk_mov_b32 v[2:3], s[8:9], s[8:9] op_sel:[0,1]
	v_pk_mov_b32 v[4:5], s[10:11], s[10:11] op_sel:[0,1]
	;; [unrolled: 1-line block ×4, first 2 shown]
                                        ; kill: def $vgpr2 killed $vgpr10 killed $exec
.LBB136_20:
	s_or_b64 exec, exec, s[2:3]
	v_add_u32_e32 v24, 0x100, v34
	v_cmp_gt_u32_e64 s[2:3], s18, v24
	s_and_saveexec_b64 s[6:7], s[2:3]
	s_cbranch_execz .LBB136_22
; %bb.21:
	v_mad_u64_u32 v[2:3], s[8:9], v24, s46, 0
	v_mov_b32_e32 v12, v3
	v_mad_u64_u32 v[12:13], s[8:9], v24, s47, v[12:13]
	v_mov_b32_e32 v3, v12
	v_lshlrev_b64 v[2:3], 2, v[2:3]
	v_mov_b32_e32 v1, s52
	v_add_co_u32_e32 v2, vcc, s33, v2
	v_addc_co_u32_e32 v3, vcc, v1, v3, vcc
	global_load_dword v3, v[2:3], off
.LBB136_22:
	s_or_b64 exec, exec, s[6:7]
	v_add_u32_e32 v22, 0x200, v34
	v_cmp_gt_u32_e64 s[44:45], s18, v22
	s_and_saveexec_b64 s[6:7], s[44:45]
	s_cbranch_execz .LBB136_24
; %bb.23:
	v_mad_u64_u32 v[12:13], s[8:9], v22, s46, 0
	v_mov_b32_e32 v2, v13
	s_waitcnt vmcnt(0)
	v_mad_u64_u32 v[14:15], s[8:9], v22, s47, v[2:3]
	v_mov_b32_e32 v13, v14
	v_lshlrev_b64 v[12:13], 2, v[12:13]
	v_mov_b32_e32 v1, s52
	v_add_co_u32_e32 v12, vcc, s33, v12
	v_addc_co_u32_e32 v13, vcc, v1, v13, vcc
	global_load_dword v4, v[12:13], off
.LBB136_24:
	s_or_b64 exec, exec, s[6:7]
	v_add_u32_e32 v21, 0x300, v34
	v_cmp_gt_u32_e64 s[6:7], s18, v21
	s_and_saveexec_b64 s[8:9], s[6:7]
	s_cbranch_execz .LBB136_26
; %bb.25:
	v_mad_u64_u32 v[12:13], s[10:11], v21, s46, 0
	v_mov_b32_e32 v2, v13
	s_waitcnt vmcnt(0)
	v_mad_u64_u32 v[14:15], s[10:11], v21, s47, v[2:3]
	v_mov_b32_e32 v13, v14
	v_lshlrev_b64 v[12:13], 2, v[12:13]
	v_mov_b32_e32 v1, s52
	v_add_co_u32_e32 v12, vcc, s33, v12
	v_addc_co_u32_e32 v13, vcc, v1, v13, vcc
	global_load_dword v5, v[12:13], off
.LBB136_26:
	s_or_b64 exec, exec, s[8:9]
	v_or_b32_e32 v20, 0x400, v34
	v_cmp_gt_u32_e64 s[8:9], s18, v20
	s_and_saveexec_b64 s[10:11], s[8:9]
	s_cbranch_execz .LBB136_28
; %bb.27:
	v_mad_u64_u32 v[12:13], s[12:13], v20, s46, 0
	v_mov_b32_e32 v2, v13
	s_waitcnt vmcnt(0)
	v_mad_u64_u32 v[14:15], s[12:13], v20, s47, v[2:3]
	v_mov_b32_e32 v13, v14
	v_lshlrev_b64 v[12:13], 2, v[12:13]
	v_mov_b32_e32 v1, s52
	v_add_co_u32_e32 v12, vcc, s33, v12
	v_addc_co_u32_e32 v13, vcc, v1, v13, vcc
	global_load_dword v6, v[12:13], off
.LBB136_28:
	s_or_b64 exec, exec, s[10:11]
	v_add_u32_e32 v18, 0x500, v34
	v_cmp_gt_u32_e64 s[10:11], s18, v18
	s_and_saveexec_b64 s[12:13], s[10:11]
	s_cbranch_execz .LBB136_30
; %bb.29:
	v_mad_u64_u32 v[12:13], s[14:15], v18, s46, 0
	v_mov_b32_e32 v2, v13
	s_waitcnt vmcnt(0)
	v_mad_u64_u32 v[14:15], s[14:15], v18, s47, v[2:3]
	v_mov_b32_e32 v13, v14
	v_lshlrev_b64 v[12:13], 2, v[12:13]
	v_mov_b32_e32 v1, s52
	v_add_co_u32_e32 v12, vcc, s33, v12
	v_addc_co_u32_e32 v13, vcc, v1, v13, vcc
	global_load_dword v7, v[12:13], off
.LBB136_30:
	s_or_b64 exec, exec, s[12:13]
	s_load_dwordx2 s[24:25], s[4:5], 0x288
	s_load_dwordx2 s[22:23], s[4:5], 0x1b8
	v_add_u32_e32 v19, 0x600, v34
	v_cmp_gt_u32_e64 s[12:13], s18, v19
	s_and_saveexec_b64 s[14:15], s[12:13]
	s_cbranch_execz .LBB136_32
; %bb.31:
	v_mad_u64_u32 v[12:13], s[26:27], v19, s46, 0
	v_mov_b32_e32 v2, v13
	s_waitcnt vmcnt(0)
	v_mad_u64_u32 v[14:15], s[26:27], v19, s47, v[2:3]
	v_mov_b32_e32 v13, v14
	v_lshlrev_b64 v[12:13], 2, v[12:13]
	v_mov_b32_e32 v1, s52
	v_add_co_u32_e32 v12, vcc, s33, v12
	v_addc_co_u32_e32 v13, vcc, v1, v13, vcc
	global_load_dword v8, v[12:13], off
.LBB136_32:
	s_or_b64 exec, exec, s[14:15]
	v_add_u32_e32 v1, 0x700, v34
	v_cmp_gt_u32_e64 s[14:15], s18, v1
	s_and_saveexec_b64 s[18:19], s[14:15]
	s_cbranch_execz .LBB136_34
; %bb.33:
	v_mad_u64_u32 v[12:13], s[26:27], v1, s46, 0
	v_mov_b32_e32 v2, v13
	s_waitcnt vmcnt(0)
	v_mad_u64_u32 v[14:15], s[26:27], v1, s47, v[2:3]
	v_mov_b32_e32 v13, v14
	v_lshlrev_b64 v[12:13], 2, v[12:13]
	v_mov_b32_e32 v2, s52
	v_add_co_u32_e32 v12, vcc, s33, v12
	v_addc_co_u32_e32 v13, vcc, v2, v13, vcc
	global_load_dword v9, v[12:13], off
.LBB136_34:
	s_or_b64 exec, exec, s[18:19]
	v_lshrrev_b32_e32 v2, 5, v34
	v_add_u32_e32 v32, v2, v34
	v_lshrrev_b32_e32 v2, 5, v24
	v_add_u32_e32 v31, v2, v34
	;; [unrolled: 2-line block ×7, first 2 shown]
	v_lshrrev_b32_e32 v2, 5, v1
	s_waitcnt lgkmcnt(0)
	s_mul_i32 s18, s24, s21
	s_mul_hi_u32 s19, s24, s20
	v_add_u32_e32 v23, v2, v34
	v_lshlrev_b32_e32 v80, 3, v34
	v_lshrrev_b32_e32 v2, 2, v34
	s_add_i32 s18, s19, s18
	s_mul_i32 s19, s25, s20
	v_add_u32_e32 v26, v2, v80
	s_add_i32 s19, s18, s19
	s_mul_i32 s18, s24, s20
	v_lshlrev_b32_e32 v35, 2, v32
	v_lshlrev_b32_e32 v68, 2, v31
	v_lshlrev_b32_e32 v69, 2, v30
	v_lshlrev_b32_e32 v70, 2, v29
	v_lshlrev_b32_e32 v71, 2, v28
	v_lshlrev_b32_e32 v72, 2, v27
	v_lshlrev_b32_e32 v73, 2, v25
	v_lshlrev_b32_e32 v74, 2, v23
	v_lshlrev_b32_e32 v75, 2, v26
	s_lshl_b64 s[18:19], s[18:19], 3
	s_waitcnt vmcnt(0)
	ds_write_b32 v35, v10
	ds_write_b32 v68, v3 offset:1024
	ds_write_b32 v69, v4 offset:2048
	;; [unrolled: 1-line block ×7, first 2 shown]
	s_waitcnt lgkmcnt(0)
	s_barrier
	ds_read2_b32 v[42:43], v75 offset1:1
	ds_read2_b32 v[40:41], v75 offset0:2 offset1:3
	ds_read2_b32 v[38:39], v75 offset0:4 offset1:5
	;; [unrolled: 1-line block ×3, first 2 shown]
	s_add_u32 s18, s22, s18
	s_addc_u32 s19, s23, s19
	s_lshl_b64 s[16:17], s[16:17], 3
	s_load_dwordx2 s[48:49], s[4:5], 0x358
	s_add_u32 s53, s18, s16
	s_mov_b32 s16, 0
	s_addc_u32 s54, s19, s17
	s_mov_b32 s17, s16
	s_mov_b32 s18, s16
	;; [unrolled: 1-line block ×15, first 2 shown]
	v_pk_mov_b32 v[2:3], s[16:17], s[16:17] op_sel:[0,1]
	v_pk_mov_b32 v[4:5], s[18:19], s[18:19] op_sel:[0,1]
	;; [unrolled: 1-line block ×8, first 2 shown]
	v_pk_mov_b32 v[2:3], 0, 0
	s_waitcnt lgkmcnt(0)
	s_barrier
	s_and_saveexec_b64 s[4:5], s[0:1]
	s_cbranch_execnz .LBB136_71
; %bb.35:
	s_or_b64 exec, exec, s[4:5]
	s_and_saveexec_b64 s[4:5], s[2:3]
	s_cbranch_execnz .LBB136_72
.LBB136_36:
	s_or_b64 exec, exec, s[4:5]
	s_and_saveexec_b64 s[4:5], s[44:45]
	s_cbranch_execnz .LBB136_73
.LBB136_37:
	s_or_b64 exec, exec, s[4:5]
	s_and_saveexec_b64 s[4:5], s[6:7]
	s_cbranch_execnz .LBB136_74
.LBB136_38:
	s_or_b64 exec, exec, s[4:5]
	s_and_saveexec_b64 s[4:5], s[8:9]
	s_cbranch_execnz .LBB136_75
.LBB136_39:
	s_or_b64 exec, exec, s[4:5]
	s_and_saveexec_b64 s[4:5], s[10:11]
	s_cbranch_execnz .LBB136_76
.LBB136_40:
	s_or_b64 exec, exec, s[4:5]
	s_and_saveexec_b64 s[4:5], s[12:13]
	s_cbranch_execnz .LBB136_77
.LBB136_41:
	s_or_b64 exec, exec, s[4:5]
	s_xor_b64 s[4:5], s[34:35], -1
	s_and_saveexec_b64 s[16:17], s[14:15]
	s_cbranch_execz .LBB136_43
.LBB136_42:
	v_mad_u64_u32 v[16:17], s[18:19], v1, s48, 0
	v_mov_b32_e32 v18, v17
	v_mad_u64_u32 v[18:19], s[18:19], v1, s49, v[18:19]
	v_mov_b32_e32 v17, v18
	v_lshlrev_b64 v[16:17], 3, v[16:17]
	v_mov_b32_e32 v1, s54
	v_add_co_u32_e32 v16, vcc, s53, v16
	v_addc_co_u32_e32 v17, vcc, v1, v17, vcc
	global_load_dwordx2 v[16:17], v[16:17], off
.LBB136_43:
	s_or_b64 exec, exec, s[16:17]
	v_lshlrev_b32_e32 v76, 3, v32
	v_lshlrev_b32_e32 v77, 3, v31
	;; [unrolled: 1-line block ×9, first 2 shown]
	s_waitcnt vmcnt(0)
	ds_write_b64 v76, v[2:3]
	ds_write_b64 v77, v[4:5] offset:2048
	ds_write_b64 v78, v[6:7] offset:4096
	;; [unrolled: 1-line block ×7, first 2 shown]
	s_waitcnt lgkmcnt(0)
	s_barrier
	ds_read2_b64 v[14:17], v85 offset1:1
	ds_read2_b64 v[10:13], v85 offset0:2 offset1:3
	ds_read2_b64 v[6:9], v85 offset0:4 offset1:5
	;; [unrolled: 1-line block ×3, first 2 shown]
	v_mbcnt_lo_u32_b32 v1, -1, 0
	v_mbcnt_hi_u32_b32 v88, -1, v1
	v_and_b32_e32 v89, 0x3c0, v34
	v_add_u32_e32 v1, v88, v89
	v_lshlrev_b32_e32 v18, 3, v1
	v_lshlrev_b32_e32 v102, 5, v1
	v_and_b32_e32 v1, 0x1e00, v80
	v_or_b32_e32 v19, v88, v1
	s_mov_b32 s55, 0
	v_lshlrev_b32_e32 v101, 2, v19
	s_and_b64 vcc, exec, s[4:5]
	v_bfe_u32 v97, v0, 10, 10
	v_bfe_u32 v98, v0, 20, 10
	v_lshlrev_b32_e32 v100, 3, v18
	v_lshlrev_b32_e32 v99, 3, v19
	v_lshlrev_b32_e32 v86, 2, v34
	v_lshlrev_b32_e32 v87, 4, v34
	v_and_b32_e32 v95, 15, v88
	v_and_b32_e32 v96, 16, v88
	v_cmp_lt_u32_e64 s[16:17], 31, v88
	v_cmp_gt_u32_e64 s[18:19], 4, v34
	v_cmp_lt_u32_e64 s[20:21], 63, v34
	v_add_u32_e32 v92, -1, v88
	v_and_b32_e32 v94, 64, v88
	v_cmp_eq_u32_e64 s[22:23], 0, v88
	v_cmp_eq_u32_e64 s[24:25], 0, v34
	v_lshrrev_b32_e32 v93, 4, v34
	v_and_b32_e32 v91, 3, v88
	v_and_or_b32 v90, v88, 63, v1
	s_waitcnt lgkmcnt(0)
	s_barrier
	s_cbranch_vccz .LBB136_78
; %bb.44:
	v_xor_b32_e32 v0, 0x80000000, v43
	v_xor_b32_e32 v1, 0x80000000, v42
	v_xor_b32_e32 v18, 0x80000000, v41
	v_xor_b32_e32 v19, 0x80000000, v40
	v_xor_b32_e32 v20, 0x80000000, v39
	v_xor_b32_e32 v21, 0x80000000, v38
	v_xor_b32_e32 v22, 0x80000000, v37
	v_xor_b32_e32 v23, 0x80000000, v36
	ds_write2_b32 v102, v1, v0 offset1:1
	ds_write2_b32 v102, v19, v18 offset0:2 offset1:3
	ds_write2_b32 v102, v21, v20 offset0:4 offset1:5
	;; [unrolled: 1-line block ×3, first 2 shown]
	; wave barrier
	ds_read2st64_b32 v[60:61], v101 offset1:1
	ds_read2st64_b32 v[62:63], v101 offset0:2 offset1:3
	ds_read2st64_b32 v[64:65], v101 offset0:4 offset1:5
	;; [unrolled: 1-line block ×3, first 2 shown]
	s_waitcnt lgkmcnt(0)
	s_barrier
	ds_write2_b64 v100, v[14:15], v[16:17] offset1:1
	ds_write2_b64 v100, v[10:11], v[12:13] offset0:2 offset1:3
	ds_write2_b64 v100, v[6:7], v[8:9] offset0:4 offset1:5
	;; [unrolled: 1-line block ×3, first 2 shown]
	; wave barrier
	ds_read2st64_b64 v[18:21], v99 offset1:1
	ds_read2st64_b64 v[22:25], v99 offset0:2 offset1:3
	ds_read2st64_b64 v[26:29], v99 offset0:4 offset1:5
	ds_read2st64_b64 v[30:33], v99 offset0:6 offset1:7
	s_waitcnt lgkmcnt(0)
	s_barrier
	s_load_dword s26, s[50:51], 0xc
	s_getpc_b64 s[4:5]
	s_add_u32 s4, s4, _ZN7rocprim17ROCPRIM_400000_NS16block_radix_sortIiLj256ELj8ElLj1ELj1ELj0ELNS0_26block_radix_rank_algorithmE1ELNS0_18block_padding_hintE2ELNS0_4arch9wavefront6targetE1EE19radix_bits_per_passE@rel32@lo+4
	s_addc_u32 s5, s5, _ZN7rocprim17ROCPRIM_400000_NS16block_radix_sortIiLj256ELj8ElLj1ELj1ELj0ELNS0_26block_radix_rank_algorithmE1ELNS0_18block_padding_hintE2ELNS0_4arch9wavefront6targetE1EE19radix_bits_per_passE@rel32@hi+12
	s_load_dword s56, s[4:5], 0x0
	v_cmp_lt_i32_e32 vcc, v92, v94
	v_and_b32_e32 v106, 60, v93
	s_waitcnt lgkmcnt(0)
	s_lshr_b32 s4, s26, 16
	s_and_b32 s5, s26, 0xffff
	v_mad_u32_u24 v0, v98, s4, v97
	v_mad_u64_u32 v[0:1], s[4:5], v0, s5, v[34:35]
	v_lshrrev_b32_e32 v104, 6, v0
	v_min_u32_e32 v0, 0xc0, v89
	v_or_b32_e32 v0, 63, v0
	v_cmp_eq_u32_e64 s[38:39], v0, v34
	v_cndmask_b32_e32 v0, v92, v88, vcc
	v_add_u32_e32 v103, 16, v87
	v_cmp_eq_u32_e64 s[26:27], 0, v95
	v_cmp_lt_u32_e64 s[28:29], 1, v95
	v_cmp_lt_u32_e64 s[30:31], 3, v95
	;; [unrolled: 1-line block ×3, first 2 shown]
	v_cmp_eq_u32_e64 s[36:37], 0, v96
	v_lshlrev_b32_e32 v105, 2, v0
	v_cmp_eq_u32_e64 s[40:41], 0, v91
	v_cmp_lt_u32_e64 s[42:43], 1, v91
	v_add_u32_e32 v107, -4, v106
	v_lshlrev_b32_e32 v108, 2, v90
	v_lshlrev_b32_e32 v109, 3, v90
	s_mov_b32 s57, 32
	v_mov_b32_e32 v58, 0
	s_branch .LBB136_46
.LBB136_45:                             ;   in Loop: Header=BB136_46 Depth=1
	v_lshlrev_b32_e32 v18, 2, v59
	s_barrier
	ds_write_b32 v18, v117
	v_lshlrev_b32_e32 v18, 2, v119
	ds_write_b32 v18, v116
	v_lshlrev_b32_e32 v18, 2, v120
	;; [unrolled: 2-line block ×8, first 2 shown]
	s_waitcnt lgkmcnt(0)
	s_barrier
	ds_read2st64_b32 v[60:61], v108 offset1:1
	ds_read2st64_b32 v[62:63], v108 offset0:2 offset1:3
	ds_read2st64_b32 v[64:65], v108 offset0:4 offset1:5
	;; [unrolled: 1-line block ×3, first 2 shown]
	s_waitcnt lgkmcnt(0)
	s_barrier
	ds_write_b64 v18, v[56:57]
	v_lshlrev_b32_e32 v18, 3, v119
	ds_write_b64 v18, v[54:55]
	v_lshlrev_b32_e32 v18, 3, v120
	;; [unrolled: 2-line block ×7, first 2 shown]
	ds_write_b64 v18, v[0:1]
	s_waitcnt lgkmcnt(0)
	s_barrier
	ds_read2st64_b64 v[18:21], v109 offset1:1
	ds_read2st64_b64 v[22:25], v109 offset0:2 offset1:3
	ds_read2st64_b64 v[26:29], v109 offset0:4 offset1:5
	;; [unrolled: 1-line block ×3, first 2 shown]
	s_add_i32 s55, s55, 8
	s_add_i32 s57, s57, -8
	s_waitcnt lgkmcnt(0)
	s_barrier
	s_cbranch_execz .LBB136_70
.LBB136_46:                             ; =>This Inner Loop Header: Depth=1
	s_min_u32 s4, s56, s57
	v_mov_b32_e32 v117, v60
	s_lshl_b32 s4, -1, s4
	v_pk_mov_b32 v[56:57], v[18:19], v[18:19] op_sel:[0,1]
	s_not_b32 s58, s4
	v_lshrrev_b32_e32 v18, s55, v117
	v_and_b32_e32 v18, s58, v18
	v_lshl_add_u32 v19, v18, 2, v104
	v_pk_mov_b32 v[52:53], v[22:23], v[22:23] op_sel:[0,1]
	v_lshl_add_u32 v22, v19, 2, 16
	v_and_b32_e32 v19, 1, v18
	v_pk_mov_b32 v[54:55], v[20:21], v[20:21] op_sel:[0,1]
	v_add_co_u32_e32 v20, vcc, -1, v19
	v_addc_co_u32_e64 v21, s[4:5], 0, -1, vcc
	v_cmp_ne_u32_e32 vcc, 0, v19
	v_lshlrev_b32_e32 v59, 30, v18
	v_xor_b32_e32 v19, vcc_hi, v21
	v_not_b32_e32 v21, v59
	v_xor_b32_e32 v20, vcc_lo, v20
	v_cmp_gt_i64_e32 vcc, 0, v[58:59]
	v_ashrrev_i32_e32 v21, 31, v21
	v_and_b32_e32 v20, exec_lo, v20
	v_xor_b32_e32 v23, vcc_hi, v21
	v_xor_b32_e32 v21, vcc_lo, v21
	v_lshlrev_b32_e32 v59, 29, v18
	v_and_b32_e32 v20, v20, v21
	v_not_b32_e32 v21, v59
	v_and_b32_e32 v19, exec_hi, v19
	v_cmp_gt_i64_e32 vcc, 0, v[58:59]
	v_ashrrev_i32_e32 v21, 31, v21
	v_and_b32_e32 v19, v19, v23
	v_xor_b32_e32 v23, vcc_hi, v21
	v_xor_b32_e32 v21, vcc_lo, v21
	v_lshlrev_b32_e32 v59, 28, v18
	v_and_b32_e32 v20, v20, v21
	v_not_b32_e32 v21, v59
	v_cmp_gt_i64_e32 vcc, 0, v[58:59]
	v_ashrrev_i32_e32 v21, 31, v21
	v_and_b32_e32 v19, v19, v23
	v_xor_b32_e32 v23, vcc_hi, v21
	v_xor_b32_e32 v21, vcc_lo, v21
	v_lshlrev_b32_e32 v59, 27, v18
	v_and_b32_e32 v20, v20, v21
	v_not_b32_e32 v21, v59
	v_cmp_gt_i64_e32 vcc, 0, v[58:59]
	v_ashrrev_i32_e32 v21, 31, v21
	v_and_b32_e32 v19, v19, v23
	v_xor_b32_e32 v23, vcc_hi, v21
	v_xor_b32_e32 v21, vcc_lo, v21
	v_lshlrev_b32_e32 v59, 26, v18
	v_and_b32_e32 v20, v20, v21
	v_not_b32_e32 v21, v59
	v_cmp_gt_i64_e32 vcc, 0, v[58:59]
	v_ashrrev_i32_e32 v21, 31, v21
	v_and_b32_e32 v19, v19, v23
	v_xor_b32_e32 v23, vcc_hi, v21
	v_xor_b32_e32 v21, vcc_lo, v21
	v_lshlrev_b32_e32 v59, 25, v18
	v_and_b32_e32 v20, v20, v21
	v_cmp_gt_i64_e32 vcc, 0, v[58:59]
	v_not_b32_e32 v21, v59
	v_lshlrev_b32_e32 v59, 24, v18
	v_ashrrev_i32_e32 v21, 31, v21
	v_not_b32_e32 v18, v59
	v_and_b32_e32 v19, v19, v23
	v_xor_b32_e32 v23, vcc_hi, v21
	v_xor_b32_e32 v21, vcc_lo, v21
	v_cmp_gt_i64_e32 vcc, 0, v[58:59]
	v_ashrrev_i32_e32 v18, 31, v18
	v_and_b32_e32 v20, v20, v21
	v_xor_b32_e32 v21, vcc_hi, v18
	v_xor_b32_e32 v18, vcc_lo, v18
	v_and_b32_e32 v19, v19, v23
	v_and_b32_e32 v18, v20, v18
	v_and_b32_e32 v19, v19, v21
	v_mbcnt_lo_u32_b32 v20, v18, 0
	v_mbcnt_hi_u32_b32 v23, v19, v20
	v_cmp_eq_u32_e32 vcc, 0, v23
	v_cmp_ne_u64_e64 s[4:5], 0, v[18:19]
	v_mov_b32_e32 v110, v67
	v_mov_b32_e32 v111, v66
	;; [unrolled: 1-line block ×7, first 2 shown]
	v_pk_mov_b32 v[0:1], v[32:33], v[32:33] op_sel:[0,1]
	v_pk_mov_b32 v[44:45], v[30:31], v[30:31] op_sel:[0,1]
	;; [unrolled: 1-line block ×5, first 2 shown]
	s_and_b64 s[60:61], s[4:5], vcc
	ds_write2_b32 v87, v58, v58 offset0:4 offset1:5
	ds_write2_b32 v103, v58, v58 offset0:2 offset1:3
	s_waitcnt lgkmcnt(0)
	s_barrier
	s_waitcnt lgkmcnt(0)
	; wave barrier
	s_and_saveexec_b64 s[4:5], s[60:61]
	s_cbranch_execz .LBB136_48
; %bb.47:                               ;   in Loop: Header=BB136_46 Depth=1
	v_bcnt_u32_b32 v18, v18, 0
	v_bcnt_u32_b32 v18, v19, v18
	ds_write_b32 v22, v18
.LBB136_48:                             ;   in Loop: Header=BB136_46 Depth=1
	s_or_b64 exec, exec, s[4:5]
	v_lshrrev_b32_e32 v18, s55, v116
	v_and_b32_e32 v18, s58, v18
	v_lshlrev_b32_e32 v19, 2, v18
	v_add_lshl_u32 v19, v19, v104, 2
	; wave barrier
	v_add_u32_e32 v25, 16, v19
	ds_read_b32 v24, v19 offset:16
	v_and_b32_e32 v19, 1, v18
	v_add_co_u32_e32 v20, vcc, -1, v19
	v_addc_co_u32_e64 v21, s[4:5], 0, -1, vcc
	v_cmp_ne_u32_e32 vcc, 0, v19
	v_lshlrev_b32_e32 v59, 30, v18
	v_xor_b32_e32 v19, vcc_hi, v21
	v_not_b32_e32 v21, v59
	v_xor_b32_e32 v20, vcc_lo, v20
	v_cmp_gt_i64_e32 vcc, 0, v[58:59]
	v_ashrrev_i32_e32 v21, 31, v21
	v_and_b32_e32 v20, exec_lo, v20
	v_xor_b32_e32 v26, vcc_hi, v21
	v_xor_b32_e32 v21, vcc_lo, v21
	v_lshlrev_b32_e32 v59, 29, v18
	v_and_b32_e32 v20, v20, v21
	v_not_b32_e32 v21, v59
	v_and_b32_e32 v19, exec_hi, v19
	v_cmp_gt_i64_e32 vcc, 0, v[58:59]
	v_ashrrev_i32_e32 v21, 31, v21
	v_and_b32_e32 v19, v19, v26
	v_xor_b32_e32 v26, vcc_hi, v21
	v_xor_b32_e32 v21, vcc_lo, v21
	v_lshlrev_b32_e32 v59, 28, v18
	v_and_b32_e32 v20, v20, v21
	v_not_b32_e32 v21, v59
	v_cmp_gt_i64_e32 vcc, 0, v[58:59]
	v_ashrrev_i32_e32 v21, 31, v21
	v_and_b32_e32 v19, v19, v26
	v_xor_b32_e32 v26, vcc_hi, v21
	v_xor_b32_e32 v21, vcc_lo, v21
	v_lshlrev_b32_e32 v59, 27, v18
	v_and_b32_e32 v20, v20, v21
	v_not_b32_e32 v21, v59
	;; [unrolled: 8-line block ×3, first 2 shown]
	v_cmp_gt_i64_e32 vcc, 0, v[58:59]
	v_ashrrev_i32_e32 v21, 31, v21
	v_and_b32_e32 v19, v19, v26
	v_xor_b32_e32 v26, vcc_hi, v21
	v_xor_b32_e32 v21, vcc_lo, v21
	v_lshlrev_b32_e32 v59, 25, v18
	v_and_b32_e32 v20, v20, v21
	v_cmp_gt_i64_e32 vcc, 0, v[58:59]
	v_not_b32_e32 v21, v59
	v_lshlrev_b32_e32 v59, 24, v18
	v_ashrrev_i32_e32 v21, 31, v21
	v_not_b32_e32 v18, v59
	v_and_b32_e32 v19, v19, v26
	v_xor_b32_e32 v26, vcc_hi, v21
	v_xor_b32_e32 v21, vcc_lo, v21
	v_cmp_gt_i64_e32 vcc, 0, v[58:59]
	v_ashrrev_i32_e32 v18, 31, v18
	v_and_b32_e32 v20, v20, v21
	v_xor_b32_e32 v21, vcc_hi, v18
	v_xor_b32_e32 v18, vcc_lo, v18
	v_and_b32_e32 v19, v19, v26
	v_and_b32_e32 v18, v20, v18
	;; [unrolled: 1-line block ×3, first 2 shown]
	v_mbcnt_lo_u32_b32 v20, v18, 0
	v_mbcnt_hi_u32_b32 v26, v19, v20
	v_cmp_eq_u32_e32 vcc, 0, v26
	v_cmp_ne_u64_e64 s[4:5], 0, v[18:19]
	s_and_b64 s[60:61], s[4:5], vcc
	; wave barrier
	s_and_saveexec_b64 s[4:5], s[60:61]
	s_cbranch_execz .LBB136_50
; %bb.49:                               ;   in Loop: Header=BB136_46 Depth=1
	v_bcnt_u32_b32 v18, v18, 0
	v_bcnt_u32_b32 v18, v19, v18
	s_waitcnt lgkmcnt(0)
	v_add_u32_e32 v18, v24, v18
	ds_write_b32 v25, v18
.LBB136_50:                             ;   in Loop: Header=BB136_46 Depth=1
	s_or_b64 exec, exec, s[4:5]
	v_lshrrev_b32_e32 v18, s55, v115
	v_and_b32_e32 v18, s58, v18
	v_lshlrev_b32_e32 v19, 2, v18
	v_add_lshl_u32 v19, v19, v104, 2
	; wave barrier
	v_add_u32_e32 v28, 16, v19
	ds_read_b32 v27, v19 offset:16
	v_and_b32_e32 v19, 1, v18
	v_add_co_u32_e32 v20, vcc, -1, v19
	v_addc_co_u32_e64 v21, s[4:5], 0, -1, vcc
	v_cmp_ne_u32_e32 vcc, 0, v19
	v_lshlrev_b32_e32 v59, 30, v18
	v_xor_b32_e32 v19, vcc_hi, v21
	v_not_b32_e32 v21, v59
	v_xor_b32_e32 v20, vcc_lo, v20
	v_cmp_gt_i64_e32 vcc, 0, v[58:59]
	v_ashrrev_i32_e32 v21, 31, v21
	v_and_b32_e32 v20, exec_lo, v20
	v_xor_b32_e32 v29, vcc_hi, v21
	v_xor_b32_e32 v21, vcc_lo, v21
	v_lshlrev_b32_e32 v59, 29, v18
	v_and_b32_e32 v20, v20, v21
	v_not_b32_e32 v21, v59
	v_and_b32_e32 v19, exec_hi, v19
	v_cmp_gt_i64_e32 vcc, 0, v[58:59]
	v_ashrrev_i32_e32 v21, 31, v21
	v_and_b32_e32 v19, v19, v29
	v_xor_b32_e32 v29, vcc_hi, v21
	v_xor_b32_e32 v21, vcc_lo, v21
	v_lshlrev_b32_e32 v59, 28, v18
	v_and_b32_e32 v20, v20, v21
	v_not_b32_e32 v21, v59
	v_cmp_gt_i64_e32 vcc, 0, v[58:59]
	v_ashrrev_i32_e32 v21, 31, v21
	v_and_b32_e32 v19, v19, v29
	v_xor_b32_e32 v29, vcc_hi, v21
	v_xor_b32_e32 v21, vcc_lo, v21
	v_lshlrev_b32_e32 v59, 27, v18
	v_and_b32_e32 v20, v20, v21
	v_not_b32_e32 v21, v59
	;; [unrolled: 8-line block ×3, first 2 shown]
	v_cmp_gt_i64_e32 vcc, 0, v[58:59]
	v_ashrrev_i32_e32 v21, 31, v21
	v_and_b32_e32 v19, v19, v29
	v_xor_b32_e32 v29, vcc_hi, v21
	v_xor_b32_e32 v21, vcc_lo, v21
	v_lshlrev_b32_e32 v59, 25, v18
	v_and_b32_e32 v20, v20, v21
	v_cmp_gt_i64_e32 vcc, 0, v[58:59]
	v_not_b32_e32 v21, v59
	v_lshlrev_b32_e32 v59, 24, v18
	v_ashrrev_i32_e32 v21, 31, v21
	v_not_b32_e32 v18, v59
	v_and_b32_e32 v19, v19, v29
	v_xor_b32_e32 v29, vcc_hi, v21
	v_xor_b32_e32 v21, vcc_lo, v21
	v_cmp_gt_i64_e32 vcc, 0, v[58:59]
	v_ashrrev_i32_e32 v18, 31, v18
	v_and_b32_e32 v20, v20, v21
	v_xor_b32_e32 v21, vcc_hi, v18
	v_xor_b32_e32 v18, vcc_lo, v18
	v_and_b32_e32 v19, v19, v29
	v_and_b32_e32 v18, v20, v18
	;; [unrolled: 1-line block ×3, first 2 shown]
	v_mbcnt_lo_u32_b32 v20, v18, 0
	v_mbcnt_hi_u32_b32 v29, v19, v20
	v_cmp_eq_u32_e32 vcc, 0, v29
	v_cmp_ne_u64_e64 s[4:5], 0, v[18:19]
	s_and_b64 s[60:61], s[4:5], vcc
	; wave barrier
	s_and_saveexec_b64 s[4:5], s[60:61]
	s_cbranch_execz .LBB136_52
; %bb.51:                               ;   in Loop: Header=BB136_46 Depth=1
	v_bcnt_u32_b32 v18, v18, 0
	v_bcnt_u32_b32 v18, v19, v18
	s_waitcnt lgkmcnt(0)
	v_add_u32_e32 v18, v27, v18
	ds_write_b32 v28, v18
.LBB136_52:                             ;   in Loop: Header=BB136_46 Depth=1
	s_or_b64 exec, exec, s[4:5]
	v_lshrrev_b32_e32 v18, s55, v114
	v_and_b32_e32 v18, s58, v18
	v_lshlrev_b32_e32 v19, 2, v18
	v_add_lshl_u32 v19, v19, v104, 2
	; wave barrier
	v_add_u32_e32 v31, 16, v19
	ds_read_b32 v30, v19 offset:16
	v_and_b32_e32 v19, 1, v18
	v_add_co_u32_e32 v20, vcc, -1, v19
	v_addc_co_u32_e64 v21, s[4:5], 0, -1, vcc
	v_cmp_ne_u32_e32 vcc, 0, v19
	v_lshlrev_b32_e32 v59, 30, v18
	v_xor_b32_e32 v19, vcc_hi, v21
	v_not_b32_e32 v21, v59
	v_xor_b32_e32 v20, vcc_lo, v20
	v_cmp_gt_i64_e32 vcc, 0, v[58:59]
	v_ashrrev_i32_e32 v21, 31, v21
	v_and_b32_e32 v20, exec_lo, v20
	v_xor_b32_e32 v32, vcc_hi, v21
	v_xor_b32_e32 v21, vcc_lo, v21
	v_lshlrev_b32_e32 v59, 29, v18
	v_and_b32_e32 v20, v20, v21
	v_not_b32_e32 v21, v59
	v_and_b32_e32 v19, exec_hi, v19
	v_cmp_gt_i64_e32 vcc, 0, v[58:59]
	v_ashrrev_i32_e32 v21, 31, v21
	v_and_b32_e32 v19, v19, v32
	v_xor_b32_e32 v32, vcc_hi, v21
	v_xor_b32_e32 v21, vcc_lo, v21
	v_lshlrev_b32_e32 v59, 28, v18
	v_and_b32_e32 v20, v20, v21
	v_not_b32_e32 v21, v59
	v_cmp_gt_i64_e32 vcc, 0, v[58:59]
	v_ashrrev_i32_e32 v21, 31, v21
	v_and_b32_e32 v19, v19, v32
	v_xor_b32_e32 v32, vcc_hi, v21
	v_xor_b32_e32 v21, vcc_lo, v21
	v_lshlrev_b32_e32 v59, 27, v18
	v_and_b32_e32 v20, v20, v21
	v_not_b32_e32 v21, v59
	;; [unrolled: 8-line block ×3, first 2 shown]
	v_cmp_gt_i64_e32 vcc, 0, v[58:59]
	v_ashrrev_i32_e32 v21, 31, v21
	v_and_b32_e32 v19, v19, v32
	v_xor_b32_e32 v32, vcc_hi, v21
	v_xor_b32_e32 v21, vcc_lo, v21
	v_lshlrev_b32_e32 v59, 25, v18
	v_and_b32_e32 v20, v20, v21
	v_cmp_gt_i64_e32 vcc, 0, v[58:59]
	v_not_b32_e32 v21, v59
	v_lshlrev_b32_e32 v59, 24, v18
	v_ashrrev_i32_e32 v21, 31, v21
	v_not_b32_e32 v18, v59
	v_and_b32_e32 v19, v19, v32
	v_xor_b32_e32 v32, vcc_hi, v21
	v_xor_b32_e32 v21, vcc_lo, v21
	v_cmp_gt_i64_e32 vcc, 0, v[58:59]
	v_ashrrev_i32_e32 v18, 31, v18
	v_and_b32_e32 v20, v20, v21
	v_xor_b32_e32 v21, vcc_hi, v18
	v_xor_b32_e32 v18, vcc_lo, v18
	v_and_b32_e32 v19, v19, v32
	v_and_b32_e32 v18, v20, v18
	;; [unrolled: 1-line block ×3, first 2 shown]
	v_mbcnt_lo_u32_b32 v20, v18, 0
	v_mbcnt_hi_u32_b32 v32, v19, v20
	v_cmp_eq_u32_e32 vcc, 0, v32
	v_cmp_ne_u64_e64 s[4:5], 0, v[18:19]
	s_and_b64 s[60:61], s[4:5], vcc
	; wave barrier
	s_and_saveexec_b64 s[4:5], s[60:61]
	s_cbranch_execz .LBB136_54
; %bb.53:                               ;   in Loop: Header=BB136_46 Depth=1
	v_bcnt_u32_b32 v18, v18, 0
	v_bcnt_u32_b32 v18, v19, v18
	s_waitcnt lgkmcnt(0)
	v_add_u32_e32 v18, v30, v18
	ds_write_b32 v31, v18
.LBB136_54:                             ;   in Loop: Header=BB136_46 Depth=1
	s_or_b64 exec, exec, s[4:5]
	v_lshrrev_b32_e32 v18, s55, v113
	v_and_b32_e32 v18, s58, v18
	v_lshlrev_b32_e32 v19, 2, v18
	v_add_lshl_u32 v19, v19, v104, 2
	; wave barrier
	v_add_u32_e32 v60, 16, v19
	ds_read_b32 v33, v19 offset:16
	v_and_b32_e32 v19, 1, v18
	v_add_co_u32_e32 v20, vcc, -1, v19
	v_addc_co_u32_e64 v21, s[4:5], 0, -1, vcc
	v_cmp_ne_u32_e32 vcc, 0, v19
	v_lshlrev_b32_e32 v59, 30, v18
	v_xor_b32_e32 v19, vcc_hi, v21
	v_not_b32_e32 v21, v59
	v_xor_b32_e32 v20, vcc_lo, v20
	v_cmp_gt_i64_e32 vcc, 0, v[58:59]
	v_ashrrev_i32_e32 v21, 31, v21
	v_and_b32_e32 v19, exec_hi, v19
	v_xor_b32_e32 v59, vcc_hi, v21
	v_and_b32_e32 v20, exec_lo, v20
	v_xor_b32_e32 v21, vcc_lo, v21
	v_and_b32_e32 v19, v19, v59
	v_lshlrev_b32_e32 v59, 29, v18
	v_and_b32_e32 v20, v20, v21
	v_not_b32_e32 v21, v59
	v_cmp_gt_i64_e32 vcc, 0, v[58:59]
	v_ashrrev_i32_e32 v21, 31, v21
	v_xor_b32_e32 v59, vcc_hi, v21
	v_xor_b32_e32 v21, vcc_lo, v21
	v_and_b32_e32 v19, v19, v59
	v_lshlrev_b32_e32 v59, 28, v18
	v_and_b32_e32 v20, v20, v21
	v_not_b32_e32 v21, v59
	v_cmp_gt_i64_e32 vcc, 0, v[58:59]
	v_ashrrev_i32_e32 v21, 31, v21
	v_xor_b32_e32 v59, vcc_hi, v21
	;; [unrolled: 8-line block ×5, first 2 shown]
	v_and_b32_e32 v19, v19, v59
	v_lshlrev_b32_e32 v59, 24, v18
	v_not_b32_e32 v18, v59
	v_xor_b32_e32 v21, vcc_lo, v21
	v_cmp_gt_i64_e32 vcc, 0, v[58:59]
	v_ashrrev_i32_e32 v18, 31, v18
	v_and_b32_e32 v20, v20, v21
	v_xor_b32_e32 v21, vcc_hi, v18
	v_xor_b32_e32 v18, vcc_lo, v18
	v_and_b32_e32 v18, v20, v18
	v_and_b32_e32 v19, v19, v21
	v_mbcnt_lo_u32_b32 v20, v18, 0
	v_mbcnt_hi_u32_b32 v61, v19, v20
	v_cmp_eq_u32_e32 vcc, 0, v61
	v_cmp_ne_u64_e64 s[4:5], 0, v[18:19]
	s_and_b64 s[60:61], s[4:5], vcc
	; wave barrier
	s_and_saveexec_b64 s[4:5], s[60:61]
	s_cbranch_execz .LBB136_56
; %bb.55:                               ;   in Loop: Header=BB136_46 Depth=1
	v_bcnt_u32_b32 v18, v18, 0
	v_bcnt_u32_b32 v18, v19, v18
	s_waitcnt lgkmcnt(0)
	v_add_u32_e32 v18, v33, v18
	ds_write_b32 v60, v18
.LBB136_56:                             ;   in Loop: Header=BB136_46 Depth=1
	s_or_b64 exec, exec, s[4:5]
	v_lshrrev_b32_e32 v18, s55, v112
	v_and_b32_e32 v18, s58, v18
	v_lshlrev_b32_e32 v19, 2, v18
	v_add_lshl_u32 v19, v19, v104, 2
	; wave barrier
	v_add_u32_e32 v63, 16, v19
	ds_read_b32 v62, v19 offset:16
	v_and_b32_e32 v19, 1, v18
	v_add_co_u32_e32 v20, vcc, -1, v19
	v_addc_co_u32_e64 v21, s[4:5], 0, -1, vcc
	v_cmp_ne_u32_e32 vcc, 0, v19
	v_lshlrev_b32_e32 v59, 30, v18
	v_xor_b32_e32 v19, vcc_hi, v21
	v_not_b32_e32 v21, v59
	v_xor_b32_e32 v20, vcc_lo, v20
	v_cmp_gt_i64_e32 vcc, 0, v[58:59]
	v_ashrrev_i32_e32 v21, 31, v21
	v_and_b32_e32 v19, exec_hi, v19
	v_xor_b32_e32 v59, vcc_hi, v21
	v_and_b32_e32 v20, exec_lo, v20
	v_xor_b32_e32 v21, vcc_lo, v21
	v_and_b32_e32 v19, v19, v59
	v_lshlrev_b32_e32 v59, 29, v18
	v_and_b32_e32 v20, v20, v21
	v_not_b32_e32 v21, v59
	v_cmp_gt_i64_e32 vcc, 0, v[58:59]
	v_ashrrev_i32_e32 v21, 31, v21
	v_xor_b32_e32 v59, vcc_hi, v21
	v_xor_b32_e32 v21, vcc_lo, v21
	v_and_b32_e32 v19, v19, v59
	v_lshlrev_b32_e32 v59, 28, v18
	v_and_b32_e32 v20, v20, v21
	v_not_b32_e32 v21, v59
	v_cmp_gt_i64_e32 vcc, 0, v[58:59]
	v_ashrrev_i32_e32 v21, 31, v21
	v_xor_b32_e32 v59, vcc_hi, v21
	;; [unrolled: 8-line block ×5, first 2 shown]
	v_and_b32_e32 v19, v19, v59
	v_lshlrev_b32_e32 v59, 24, v18
	v_not_b32_e32 v18, v59
	v_xor_b32_e32 v21, vcc_lo, v21
	v_cmp_gt_i64_e32 vcc, 0, v[58:59]
	v_ashrrev_i32_e32 v18, 31, v18
	v_and_b32_e32 v20, v20, v21
	v_xor_b32_e32 v21, vcc_hi, v18
	v_xor_b32_e32 v18, vcc_lo, v18
	v_and_b32_e32 v18, v20, v18
	v_and_b32_e32 v19, v19, v21
	v_mbcnt_lo_u32_b32 v20, v18, 0
	v_mbcnt_hi_u32_b32 v64, v19, v20
	v_cmp_eq_u32_e32 vcc, 0, v64
	v_cmp_ne_u64_e64 s[4:5], 0, v[18:19]
	s_and_b64 s[60:61], s[4:5], vcc
	; wave barrier
	s_and_saveexec_b64 s[4:5], s[60:61]
	s_cbranch_execz .LBB136_58
; %bb.57:                               ;   in Loop: Header=BB136_46 Depth=1
	v_bcnt_u32_b32 v18, v18, 0
	v_bcnt_u32_b32 v18, v19, v18
	s_waitcnt lgkmcnt(0)
	v_add_u32_e32 v18, v62, v18
	ds_write_b32 v63, v18
.LBB136_58:                             ;   in Loop: Header=BB136_46 Depth=1
	s_or_b64 exec, exec, s[4:5]
	v_lshrrev_b32_e32 v18, s55, v111
	v_and_b32_e32 v18, s58, v18
	v_lshlrev_b32_e32 v19, 2, v18
	v_add_lshl_u32 v19, v19, v104, 2
	; wave barrier
	v_add_u32_e32 v66, 16, v19
	ds_read_b32 v65, v19 offset:16
	v_and_b32_e32 v19, 1, v18
	v_add_co_u32_e32 v20, vcc, -1, v19
	v_addc_co_u32_e64 v21, s[4:5], 0, -1, vcc
	v_cmp_ne_u32_e32 vcc, 0, v19
	v_lshlrev_b32_e32 v59, 30, v18
	v_xor_b32_e32 v19, vcc_hi, v21
	v_not_b32_e32 v21, v59
	v_xor_b32_e32 v20, vcc_lo, v20
	v_cmp_gt_i64_e32 vcc, 0, v[58:59]
	v_ashrrev_i32_e32 v21, 31, v21
	v_and_b32_e32 v19, exec_hi, v19
	v_xor_b32_e32 v59, vcc_hi, v21
	v_and_b32_e32 v20, exec_lo, v20
	v_xor_b32_e32 v21, vcc_lo, v21
	v_and_b32_e32 v19, v19, v59
	v_lshlrev_b32_e32 v59, 29, v18
	v_and_b32_e32 v20, v20, v21
	v_not_b32_e32 v21, v59
	v_cmp_gt_i64_e32 vcc, 0, v[58:59]
	v_ashrrev_i32_e32 v21, 31, v21
	v_xor_b32_e32 v59, vcc_hi, v21
	v_xor_b32_e32 v21, vcc_lo, v21
	v_and_b32_e32 v19, v19, v59
	v_lshlrev_b32_e32 v59, 28, v18
	v_and_b32_e32 v20, v20, v21
	v_not_b32_e32 v21, v59
	v_cmp_gt_i64_e32 vcc, 0, v[58:59]
	v_ashrrev_i32_e32 v21, 31, v21
	v_xor_b32_e32 v59, vcc_hi, v21
	;; [unrolled: 8-line block ×5, first 2 shown]
	v_and_b32_e32 v19, v19, v59
	v_lshlrev_b32_e32 v59, 24, v18
	v_not_b32_e32 v18, v59
	v_xor_b32_e32 v21, vcc_lo, v21
	v_cmp_gt_i64_e32 vcc, 0, v[58:59]
	v_ashrrev_i32_e32 v18, 31, v18
	v_and_b32_e32 v20, v20, v21
	v_xor_b32_e32 v21, vcc_hi, v18
	v_xor_b32_e32 v18, vcc_lo, v18
	v_and_b32_e32 v18, v20, v18
	v_and_b32_e32 v19, v19, v21
	v_mbcnt_lo_u32_b32 v20, v18, 0
	v_mbcnt_hi_u32_b32 v67, v19, v20
	v_cmp_eq_u32_e32 vcc, 0, v67
	v_cmp_ne_u64_e64 s[4:5], 0, v[18:19]
	s_and_b64 s[60:61], s[4:5], vcc
	; wave barrier
	s_and_saveexec_b64 s[4:5], s[60:61]
	s_cbranch_execz .LBB136_60
; %bb.59:                               ;   in Loop: Header=BB136_46 Depth=1
	v_bcnt_u32_b32 v18, v18, 0
	v_bcnt_u32_b32 v18, v19, v18
	s_waitcnt lgkmcnt(0)
	v_add_u32_e32 v18, v65, v18
	ds_write_b32 v66, v18
.LBB136_60:                             ;   in Loop: Header=BB136_46 Depth=1
	s_or_b64 exec, exec, s[4:5]
	v_lshrrev_b32_e32 v18, s55, v110
	v_and_b32_e32 v18, s58, v18
	v_lshlrev_b32_e32 v19, 2, v18
	v_add_lshl_u32 v19, v19, v104, 2
	; wave barrier
	v_add_u32_e32 v119, 16, v19
	ds_read_b32 v118, v19 offset:16
	v_and_b32_e32 v19, 1, v18
	v_add_co_u32_e32 v20, vcc, -1, v19
	v_addc_co_u32_e64 v21, s[4:5], 0, -1, vcc
	v_cmp_ne_u32_e32 vcc, 0, v19
	v_lshlrev_b32_e32 v59, 30, v18
	v_xor_b32_e32 v19, vcc_hi, v21
	v_not_b32_e32 v21, v59
	v_xor_b32_e32 v20, vcc_lo, v20
	v_cmp_gt_i64_e32 vcc, 0, v[58:59]
	v_ashrrev_i32_e32 v21, 31, v21
	v_and_b32_e32 v19, exec_hi, v19
	v_xor_b32_e32 v59, vcc_hi, v21
	v_and_b32_e32 v20, exec_lo, v20
	v_xor_b32_e32 v21, vcc_lo, v21
	v_and_b32_e32 v19, v19, v59
	v_lshlrev_b32_e32 v59, 29, v18
	v_and_b32_e32 v20, v20, v21
	v_not_b32_e32 v21, v59
	v_cmp_gt_i64_e32 vcc, 0, v[58:59]
	v_ashrrev_i32_e32 v21, 31, v21
	v_xor_b32_e32 v59, vcc_hi, v21
	v_xor_b32_e32 v21, vcc_lo, v21
	v_and_b32_e32 v19, v19, v59
	v_lshlrev_b32_e32 v59, 28, v18
	v_and_b32_e32 v20, v20, v21
	v_not_b32_e32 v21, v59
	v_cmp_gt_i64_e32 vcc, 0, v[58:59]
	v_ashrrev_i32_e32 v21, 31, v21
	v_xor_b32_e32 v59, vcc_hi, v21
	;; [unrolled: 8-line block ×5, first 2 shown]
	v_and_b32_e32 v19, v19, v59
	v_lshlrev_b32_e32 v59, 24, v18
	v_not_b32_e32 v18, v59
	v_xor_b32_e32 v21, vcc_lo, v21
	v_cmp_gt_i64_e32 vcc, 0, v[58:59]
	v_ashrrev_i32_e32 v18, 31, v18
	v_and_b32_e32 v20, v20, v21
	v_xor_b32_e32 v21, vcc_hi, v18
	v_xor_b32_e32 v18, vcc_lo, v18
	v_and_b32_e32 v18, v20, v18
	v_and_b32_e32 v19, v19, v21
	v_mbcnt_lo_u32_b32 v20, v18, 0
	v_mbcnt_hi_u32_b32 v125, v19, v20
	v_cmp_eq_u32_e32 vcc, 0, v125
	v_cmp_ne_u64_e64 s[4:5], 0, v[18:19]
	s_and_b64 s[58:59], s[4:5], vcc
	; wave barrier
	s_and_saveexec_b64 s[4:5], s[58:59]
	s_cbranch_execz .LBB136_62
; %bb.61:                               ;   in Loop: Header=BB136_46 Depth=1
	v_bcnt_u32_b32 v18, v18, 0
	v_bcnt_u32_b32 v18, v19, v18
	s_waitcnt lgkmcnt(0)
	v_add_u32_e32 v18, v118, v18
	ds_write_b32 v119, v18
.LBB136_62:                             ;   in Loop: Header=BB136_46 Depth=1
	s_or_b64 exec, exec, s[4:5]
	; wave barrier
	s_waitcnt lgkmcnt(0)
	s_barrier
	ds_read2_b32 v[20:21], v87 offset0:4 offset1:5
	ds_read2_b32 v[18:19], v103 offset0:2 offset1:3
	s_waitcnt lgkmcnt(1)
	v_add_u32_e32 v59, v21, v20
	s_waitcnt lgkmcnt(0)
	v_add3_u32 v19, v59, v18, v19
	s_nop 1
	v_mov_b32_dpp v59, v19 row_shr:1 row_mask:0xf bank_mask:0xf
	v_cndmask_b32_e64 v59, v59, 0, s[26:27]
	v_add_u32_e32 v19, v59, v19
	s_nop 1
	v_mov_b32_dpp v59, v19 row_shr:2 row_mask:0xf bank_mask:0xf
	v_cndmask_b32_e64 v59, 0, v59, s[28:29]
	v_add_u32_e32 v19, v19, v59
	s_nop 1
	v_mov_b32_dpp v59, v19 row_shr:4 row_mask:0xf bank_mask:0xf
	v_cndmask_b32_e64 v59, 0, v59, s[30:31]
	v_add_u32_e32 v19, v19, v59
	s_nop 1
	v_mov_b32_dpp v59, v19 row_shr:8 row_mask:0xf bank_mask:0xf
	v_cndmask_b32_e64 v59, 0, v59, s[34:35]
	v_add_u32_e32 v19, v19, v59
	s_nop 1
	v_mov_b32_dpp v59, v19 row_bcast:15 row_mask:0xf bank_mask:0xf
	v_cndmask_b32_e64 v59, v59, 0, s[36:37]
	v_add_u32_e32 v19, v19, v59
	s_nop 1
	v_mov_b32_dpp v59, v19 row_bcast:31 row_mask:0xf bank_mask:0xf
	v_cndmask_b32_e64 v59, 0, v59, s[16:17]
	v_add_u32_e32 v19, v19, v59
	s_and_saveexec_b64 s[4:5], s[38:39]
	s_cbranch_execz .LBB136_64
; %bb.63:                               ;   in Loop: Header=BB136_46 Depth=1
	ds_write_b32 v106, v19
.LBB136_64:                             ;   in Loop: Header=BB136_46 Depth=1
	s_or_b64 exec, exec, s[4:5]
	s_waitcnt lgkmcnt(0)
	s_barrier
	s_and_saveexec_b64 s[4:5], s[18:19]
	s_cbranch_execz .LBB136_66
; %bb.65:                               ;   in Loop: Header=BB136_46 Depth=1
	ds_read_b32 v59, v86
	s_waitcnt lgkmcnt(0)
	s_nop 0
	v_mov_b32_dpp v120, v59 row_shr:1 row_mask:0xf bank_mask:0xf
	v_cndmask_b32_e64 v120, v120, 0, s[40:41]
	v_add_u32_e32 v59, v120, v59
	s_nop 1
	v_mov_b32_dpp v120, v59 row_shr:2 row_mask:0xf bank_mask:0xf
	v_cndmask_b32_e64 v120, 0, v120, s[42:43]
	v_add_u32_e32 v59, v59, v120
	ds_write_b32 v86, v59
.LBB136_66:                             ;   in Loop: Header=BB136_46 Depth=1
	s_or_b64 exec, exec, s[4:5]
	v_mov_b32_e32 v59, 0
	s_waitcnt lgkmcnt(0)
	s_barrier
	s_and_saveexec_b64 s[4:5], s[20:21]
	s_cbranch_execz .LBB136_68
; %bb.67:                               ;   in Loop: Header=BB136_46 Depth=1
	ds_read_b32 v59, v107
.LBB136_68:                             ;   in Loop: Header=BB136_46 Depth=1
	s_or_b64 exec, exec, s[4:5]
	s_waitcnt lgkmcnt(0)
	v_add_u32_e32 v19, v59, v19
	ds_bpermute_b32 v19, v105, v19
	s_cmp_gt_u32 s55, 23
	s_waitcnt lgkmcnt(0)
	v_cndmask_b32_e64 v19, v19, v59, s[22:23]
	v_cndmask_b32_e64 v19, v19, 0, s[24:25]
	v_add_u32_e32 v20, v19, v20
	v_add_u32_e32 v21, v20, v21
	;; [unrolled: 1-line block ×3, first 2 shown]
	ds_write2_b32 v87, v19, v20 offset0:4 offset1:5
	ds_write2_b32 v103, v21, v18 offset0:2 offset1:3
	s_waitcnt lgkmcnt(0)
	s_barrier
	ds_read_b32 v18, v22
	ds_read_b32 v19, v25
	;; [unrolled: 1-line block ×8, first 2 shown]
	s_waitcnt lgkmcnt(7)
	v_add_u32_e32 v59, v18, v23
	s_waitcnt lgkmcnt(6)
	v_add3_u32 v119, v26, v24, v19
	s_waitcnt lgkmcnt(5)
	v_add3_u32 v120, v29, v27, v20
	;; [unrolled: 2-line block ×7, first 2 shown]
	s_cbranch_scc0 .LBB136_45
; %bb.69:
                                        ; implicit-def: $vgpr67
                                        ; implicit-def: $vgpr65
                                        ; implicit-def: $vgpr63
                                        ; implicit-def: $vgpr61
                                        ; implicit-def: $vgpr32_vgpr33
                                        ; implicit-def: $vgpr28_vgpr29
                                        ; implicit-def: $vgpr24_vgpr25
                                        ; implicit-def: $vgpr20_vgpr21
                                        ; implicit-def: $sgpr55
                                        ; implicit-def: $sgpr57
.LBB136_70:
	v_lshlrev_b32_e32 v18, 2, v59
	s_barrier
	ds_write_b32 v18, v117
	v_lshlrev_b32_e32 v18, 2, v119
	ds_write_b32 v18, v116
	v_lshlrev_b32_e32 v18, 2, v120
	;; [unrolled: 2-line block ×7, first 2 shown]
	v_lshlrev_b32_e32 v22, 2, v80
	ds_write_b32 v18, v110
	s_waitcnt lgkmcnt(0)
	s_barrier
	ds_read2_b32 v[18:19], v22 offset1:1
	ds_read2_b32 v[20:21], v22 offset0:2 offset1:3
	ds_read2_b32 v[62:63], v22 offset0:4 offset1:5
	;; [unrolled: 1-line block ×3, first 2 shown]
	v_lshlrev_b32_e32 v23, 3, v59
	v_lshlrev_b32_e32 v24, 3, v119
	;; [unrolled: 1-line block ×9, first 2 shown]
	s_waitcnt lgkmcnt(3)
	v_xor_b32_e32 v58, 0x80000000, v18
	v_xor_b32_e32 v60, 0x80000000, v19
	s_waitcnt lgkmcnt(2)
	v_xor_b32_e32 v59, 0x80000000, v20
	v_xor_b32_e32 v61, 0x80000000, v21
	s_waitcnt lgkmcnt(0)
	s_barrier
	ds_write_b64 v23, v[56:57]
	ds_write_b64 v24, v[54:55]
	;; [unrolled: 1-line block ×8, first 2 shown]
	s_waitcnt lgkmcnt(0)
	s_barrier
	ds_read2_b64 v[18:21], v31 offset1:1
	ds_read2_b64 v[22:25], v31 offset0:2 offset1:3
	ds_read2_b64 v[26:29], v31 offset0:4 offset1:5
	ds_read2_b64 v[30:33], v31 offset0:6 offset1:7
	v_xor_b32_e32 v62, 0x80000000, v62
	v_xor_b32_e32 v0, 0x80000000, v63
	;; [unrolled: 1-line block ×4, first 2 shown]
	s_branch .LBB136_106
.LBB136_71:
	v_mad_u64_u32 v[2:3], s[16:17], v34, s48, 0
	v_mov_b32_e32 v4, v3
	v_mad_u64_u32 v[4:5], s[16:17], v34, s49, v[4:5]
	v_mov_b32_e32 v3, v4
	v_lshlrev_b64 v[2:3], 3, v[2:3]
	v_mov_b32_e32 v4, s54
	v_add_co_u32_e32 v2, vcc, s53, v2
	v_addc_co_u32_e32 v3, vcc, v4, v3, vcc
	global_load_dwordx2 v[2:3], v[2:3], off
	v_mov_b32_e32 v4, 0
	v_mov_b32_e32 v5, v4
	;; [unrolled: 1-line block ×14, first 2 shown]
	s_or_b64 exec, exec, s[4:5]
	s_and_saveexec_b64 s[4:5], s[2:3]
	s_cbranch_execz .LBB136_36
.LBB136_72:
	v_mad_u64_u32 v[4:5], s[16:17], v24, s48, 0
	v_mov_b32_e32 v44, v5
	v_mad_u64_u32 v[44:45], s[16:17], v24, s49, v[44:45]
	v_mov_b32_e32 v5, v44
	v_lshlrev_b64 v[4:5], 3, v[4:5]
	v_mov_b32_e32 v24, s54
	v_add_co_u32_e32 v4, vcc, s53, v4
	v_addc_co_u32_e32 v5, vcc, v24, v5, vcc
	global_load_dwordx2 v[4:5], v[4:5], off
	s_or_b64 exec, exec, s[4:5]
	s_and_saveexec_b64 s[4:5], s[44:45]
	s_cbranch_execz .LBB136_37
.LBB136_73:
	v_mad_u64_u32 v[6:7], s[16:17], v22, s48, 0
	v_mov_b32_e32 v24, v7
	v_mad_u64_u32 v[44:45], s[16:17], v22, s49, v[24:25]
	v_mov_b32_e32 v7, v44
	v_lshlrev_b64 v[6:7], 3, v[6:7]
	v_mov_b32_e32 v22, s54
	v_add_co_u32_e32 v6, vcc, s53, v6
	v_addc_co_u32_e32 v7, vcc, v22, v7, vcc
	global_load_dwordx2 v[6:7], v[6:7], off
	s_or_b64 exec, exec, s[4:5]
	s_and_saveexec_b64 s[4:5], s[6:7]
	s_cbranch_execz .LBB136_38
.LBB136_74:
	v_mad_u64_u32 v[8:9], s[16:17], v21, s48, 0
	v_mov_b32_e32 v22, v9
	v_mad_u64_u32 v[44:45], s[16:17], v21, s49, v[22:23]
	v_mov_b32_e32 v9, v44
	v_lshlrev_b64 v[8:9], 3, v[8:9]
	v_mov_b32_e32 v21, s54
	v_add_co_u32_e32 v8, vcc, s53, v8
	v_addc_co_u32_e32 v9, vcc, v21, v9, vcc
	global_load_dwordx2 v[8:9], v[8:9], off
	s_or_b64 exec, exec, s[4:5]
	s_and_saveexec_b64 s[4:5], s[8:9]
	s_cbranch_execz .LBB136_39
.LBB136_75:
	v_mad_u64_u32 v[10:11], s[16:17], v20, s48, 0
	v_mov_b32_e32 v22, v11
	v_mad_u64_u32 v[20:21], s[16:17], v20, s49, v[22:23]
	v_mov_b32_e32 v11, v20
	v_lshlrev_b64 v[10:11], 3, v[10:11]
	v_mov_b32_e32 v20, s54
	v_add_co_u32_e32 v10, vcc, s53, v10
	v_addc_co_u32_e32 v11, vcc, v20, v11, vcc
	global_load_dwordx2 v[10:11], v[10:11], off
	s_or_b64 exec, exec, s[4:5]
	s_and_saveexec_b64 s[4:5], s[10:11]
	s_cbranch_execz .LBB136_40
.LBB136_76:
	v_mad_u64_u32 v[12:13], s[16:17], v18, s48, 0
	v_mov_b32_e32 v20, v13
	v_mad_u64_u32 v[20:21], s[16:17], v18, s49, v[20:21]
	v_mov_b32_e32 v13, v20
	v_lshlrev_b64 v[12:13], 3, v[12:13]
	v_mov_b32_e32 v18, s54
	v_add_co_u32_e32 v12, vcc, s53, v12
	v_addc_co_u32_e32 v13, vcc, v18, v13, vcc
	global_load_dwordx2 v[12:13], v[12:13], off
	s_or_b64 exec, exec, s[4:5]
	s_and_saveexec_b64 s[4:5], s[12:13]
	s_cbranch_execz .LBB136_41
.LBB136_77:
	v_mad_u64_u32 v[14:15], s[16:17], v19, s48, 0
	v_mov_b32_e32 v18, v15
	v_mad_u64_u32 v[18:19], s[16:17], v19, s49, v[18:19]
	v_mov_b32_e32 v15, v18
	v_lshlrev_b64 v[14:15], 3, v[14:15]
	v_mov_b32_e32 v18, s54
	v_add_co_u32_e32 v14, vcc, s53, v14
	v_addc_co_u32_e32 v15, vcc, v18, v15, vcc
	global_load_dwordx2 v[14:15], v[14:15], off
	s_or_b64 exec, exec, s[4:5]
	s_xor_b64 s[4:5], s[34:35], -1
	s_and_saveexec_b64 s[16:17], s[14:15]
	s_cbranch_execnz .LBB136_42
	s_branch .LBB136_43
.LBB136_78:
                                        ; implicit-def: $vgpr44
                                        ; implicit-def: $vgpr1
                                        ; implicit-def: $vgpr0
                                        ; implicit-def: $vgpr62
                                        ; implicit-def: $vgpr61
                                        ; implicit-def: $vgpr59
                                        ; implicit-def: $vgpr60
                                        ; implicit-def: $vgpr58
                                        ; implicit-def: $vgpr32_vgpr33
                                        ; implicit-def: $vgpr28_vgpr29
                                        ; implicit-def: $vgpr24_vgpr25
                                        ; implicit-def: $vgpr20_vgpr21
	s_cbranch_execz .LBB136_106
; %bb.79:
	v_xor_b32_e32 v0, 0x7fffffff, v43
	v_xor_b32_e32 v1, 0x7fffffff, v42
	s_waitcnt lgkmcnt(3)
	v_xor_b32_e32 v18, 0x7fffffff, v41
	v_xor_b32_e32 v19, 0x7fffffff, v40
	;; [unrolled: 1-line block ×4, first 2 shown]
	s_waitcnt lgkmcnt(2)
	v_xor_b32_e32 v22, 0x7fffffff, v37
	v_xor_b32_e32 v23, 0x7fffffff, v36
	ds_write2_b32 v102, v1, v0 offset1:1
	ds_write2_b32 v102, v19, v18 offset0:2 offset1:3
	ds_write2_b32 v102, v21, v20 offset0:4 offset1:5
	;; [unrolled: 1-line block ×3, first 2 shown]
	; wave barrier
	ds_read2st64_b32 v[36:37], v101 offset1:1
	ds_read2st64_b32 v[38:39], v101 offset0:2 offset1:3
	ds_read2st64_b32 v[40:41], v101 offset0:4 offset1:5
	;; [unrolled: 1-line block ×3, first 2 shown]
	s_waitcnt lgkmcnt(0)
	s_barrier
	ds_write2_b64 v100, v[14:15], v[16:17] offset1:1
	ds_write2_b64 v100, v[10:11], v[12:13] offset0:2 offset1:3
	ds_write2_b64 v100, v[6:7], v[8:9] offset0:4 offset1:5
	;; [unrolled: 1-line block ×3, first 2 shown]
	; wave barrier
	ds_read2st64_b64 v[0:3], v99 offset1:1
	ds_read2st64_b64 v[4:7], v99 offset0:2 offset1:3
	ds_read2st64_b64 v[8:11], v99 offset0:4 offset1:5
	;; [unrolled: 1-line block ×3, first 2 shown]
	s_waitcnt lgkmcnt(0)
	s_barrier
	s_load_dword s16, s[50:51], 0xc
	s_getpc_b64 s[4:5]
	s_add_u32 s4, s4, _ZN7rocprim17ROCPRIM_400000_NS16block_radix_sortIiLj256ELj8ElLj1ELj1ELj0ELNS0_26block_radix_rank_algorithmE1ELNS0_18block_padding_hintE2ELNS0_4arch9wavefront6targetE1EE19radix_bits_per_passE@rel32@lo+4
	s_addc_u32 s5, s5, _ZN7rocprim17ROCPRIM_400000_NS16block_radix_sortIiLj256ELj8ElLj1ELj1ELj0ELNS0_26block_radix_rank_algorithmE1ELNS0_18block_padding_hintE2ELNS0_4arch9wavefront6targetE1EE19radix_bits_per_passE@rel32@hi+12
	s_load_dword s50, s[4:5], 0x0
	v_cmp_lt_i32_e32 vcc, v92, v94
	v_and_b32_e32 v47, 60, v93
	s_waitcnt lgkmcnt(0)
	s_lshr_b32 s4, s16, 16
	s_and_b32 s5, s16, 0xffff
	v_mad_u32_u24 v16, v98, s4, v97
	v_mad_u64_u32 v[16:17], s[4:5], v16, s5, v[34:35]
	v_lshrrev_b32_e32 v45, 6, v16
	v_min_u32_e32 v16, 0xc0, v89
	v_or_b32_e32 v16, 63, v16
	v_cmp_eq_u32_e64 s[28:29], v16, v34
	v_cndmask_b32_e32 v16, v92, v88, vcc
	v_add_u32_e32 v44, 16, v87
	s_mov_b32 s51, 0
	v_cmp_eq_u32_e64 s[16:17], 0, v95
	v_cmp_lt_u32_e64 s[18:19], 1, v95
	v_cmp_lt_u32_e64 s[20:21], 3, v95
	;; [unrolled: 1-line block ×3, first 2 shown]
	v_cmp_eq_u32_e64 s[24:25], 0, v96
	v_cmp_lt_u32_e64 s[26:27], 31, v88
	v_cmp_gt_u32_e64 s[30:31], 4, v34
	v_cmp_lt_u32_e64 s[34:35], 63, v34
	v_lshlrev_b32_e32 v46, 2, v16
	v_cmp_eq_u32_e64 s[36:37], 0, v88
	v_cmp_eq_u32_e64 s[38:39], 0, v34
	;; [unrolled: 1-line block ×3, first 2 shown]
	v_cmp_lt_u32_e64 s[42:43], 1, v91
	v_add_u32_e32 v48, -4, v47
	v_lshlrev_b32_e32 v49, 2, v90
	v_lshlrev_b32_e32 v50, 3, v90
	s_mov_b32 s55, 32
	v_mov_b32_e32 v32, 0
	s_branch .LBB136_81
.LBB136_80:                             ;   in Loop: Header=BB136_81 Depth=1
	v_lshlrev_b32_e32 v0, 2, v33
	s_barrier
	ds_write_b32 v0, v58
	v_lshlrev_b32_e32 v0, 2, v60
	ds_write_b32 v0, v57
	v_lshlrev_b32_e32 v0, 2, v61
	;; [unrolled: 2-line block ×8, first 2 shown]
	s_waitcnt lgkmcnt(0)
	s_barrier
	ds_read2st64_b32 v[36:37], v49 offset1:1
	ds_read2st64_b32 v[38:39], v49 offset0:2 offset1:3
	ds_read2st64_b32 v[40:41], v49 offset0:4 offset1:5
	;; [unrolled: 1-line block ×3, first 2 shown]
	s_waitcnt lgkmcnt(0)
	s_barrier
	ds_write_b64 v0, v[30:31]
	v_lshlrev_b32_e32 v0, 3, v60
	ds_write_b64 v0, v[28:29]
	v_lshlrev_b32_e32 v0, 3, v61
	;; [unrolled: 2-line block ×7, first 2 shown]
	ds_write_b64 v0, v[16:17]
	s_waitcnt lgkmcnt(0)
	s_barrier
	ds_read2st64_b64 v[0:3], v50 offset1:1
	ds_read2st64_b64 v[4:7], v50 offset0:2 offset1:3
	ds_read2st64_b64 v[8:11], v50 offset0:4 offset1:5
	;; [unrolled: 1-line block ×3, first 2 shown]
	s_add_i32 s51, s51, 8
	s_add_i32 s55, s55, -8
	s_waitcnt lgkmcnt(0)
	s_barrier
	s_cbranch_execz .LBB136_105
.LBB136_81:                             ; =>This Inner Loop Header: Depth=1
	s_min_u32 s4, s50, s55
	v_mov_b32_e32 v58, v36
	s_lshl_b32 s4, -1, s4
	v_pk_mov_b32 v[30:31], v[0:1], v[0:1] op_sel:[0,1]
	s_not_b32 s56, s4
	v_lshrrev_b32_e32 v0, s51, v58
	v_and_b32_e32 v0, s56, v0
	v_lshl_add_u32 v1, v0, 2, v45
	v_pk_mov_b32 v[26:27], v[4:5], v[4:5] op_sel:[0,1]
	v_lshl_add_u32 v4, v1, 2, 16
	v_and_b32_e32 v1, 1, v0
	v_pk_mov_b32 v[28:29], v[2:3], v[2:3] op_sel:[0,1]
	v_add_co_u32_e32 v2, vcc, -1, v1
	v_addc_co_u32_e64 v3, s[4:5], 0, -1, vcc
	v_cmp_ne_u32_e32 vcc, 0, v1
	v_lshlrev_b32_e32 v33, 30, v0
	v_xor_b32_e32 v1, vcc_hi, v3
	v_not_b32_e32 v3, v33
	v_xor_b32_e32 v2, vcc_lo, v2
	v_cmp_gt_i64_e32 vcc, 0, v[32:33]
	v_ashrrev_i32_e32 v3, 31, v3
	v_and_b32_e32 v2, exec_lo, v2
	v_xor_b32_e32 v5, vcc_hi, v3
	v_xor_b32_e32 v3, vcc_lo, v3
	v_lshlrev_b32_e32 v33, 29, v0
	v_and_b32_e32 v2, v2, v3
	v_not_b32_e32 v3, v33
	v_and_b32_e32 v1, exec_hi, v1
	v_cmp_gt_i64_e32 vcc, 0, v[32:33]
	v_ashrrev_i32_e32 v3, 31, v3
	v_and_b32_e32 v1, v1, v5
	v_xor_b32_e32 v5, vcc_hi, v3
	v_xor_b32_e32 v3, vcc_lo, v3
	v_lshlrev_b32_e32 v33, 28, v0
	v_and_b32_e32 v2, v2, v3
	v_not_b32_e32 v3, v33
	v_cmp_gt_i64_e32 vcc, 0, v[32:33]
	v_ashrrev_i32_e32 v3, 31, v3
	v_and_b32_e32 v1, v1, v5
	v_xor_b32_e32 v5, vcc_hi, v3
	v_xor_b32_e32 v3, vcc_lo, v3
	v_lshlrev_b32_e32 v33, 27, v0
	v_and_b32_e32 v2, v2, v3
	v_not_b32_e32 v3, v33
	;; [unrolled: 8-line block ×3, first 2 shown]
	v_cmp_gt_i64_e32 vcc, 0, v[32:33]
	v_ashrrev_i32_e32 v3, 31, v3
	v_and_b32_e32 v1, v1, v5
	v_xor_b32_e32 v5, vcc_hi, v3
	v_xor_b32_e32 v3, vcc_lo, v3
	v_lshlrev_b32_e32 v33, 25, v0
	v_and_b32_e32 v2, v2, v3
	v_cmp_gt_i64_e32 vcc, 0, v[32:33]
	v_not_b32_e32 v3, v33
	v_lshlrev_b32_e32 v33, 24, v0
	v_ashrrev_i32_e32 v3, 31, v3
	v_not_b32_e32 v0, v33
	v_and_b32_e32 v1, v1, v5
	v_xor_b32_e32 v5, vcc_hi, v3
	v_xor_b32_e32 v3, vcc_lo, v3
	v_cmp_gt_i64_e32 vcc, 0, v[32:33]
	v_ashrrev_i32_e32 v0, 31, v0
	v_and_b32_e32 v2, v2, v3
	v_xor_b32_e32 v3, vcc_hi, v0
	v_xor_b32_e32 v0, vcc_lo, v0
	v_and_b32_e32 v1, v1, v5
	v_and_b32_e32 v0, v2, v0
	;; [unrolled: 1-line block ×3, first 2 shown]
	v_mbcnt_lo_u32_b32 v2, v0, 0
	v_mbcnt_hi_u32_b32 v5, v1, v2
	v_cmp_eq_u32_e32 vcc, 0, v5
	v_cmp_ne_u64_e64 s[4:5], 0, v[0:1]
	v_mov_b32_e32 v51, v43
	v_mov_b32_e32 v52, v42
	;; [unrolled: 1-line block ×7, first 2 shown]
	v_pk_mov_b32 v[16:17], v[14:15], v[14:15] op_sel:[0,1]
	v_pk_mov_b32 v[18:19], v[12:13], v[12:13] op_sel:[0,1]
	;; [unrolled: 1-line block ×5, first 2 shown]
	s_and_b64 s[58:59], s[4:5], vcc
	ds_write2_b32 v87, v32, v32 offset0:4 offset1:5
	ds_write2_b32 v44, v32, v32 offset0:2 offset1:3
	s_waitcnt lgkmcnt(0)
	s_barrier
	s_waitcnt lgkmcnt(0)
	; wave barrier
	s_and_saveexec_b64 s[4:5], s[58:59]
	s_cbranch_execz .LBB136_83
; %bb.82:                               ;   in Loop: Header=BB136_81 Depth=1
	v_bcnt_u32_b32 v0, v0, 0
	v_bcnt_u32_b32 v0, v1, v0
	ds_write_b32 v4, v0
.LBB136_83:                             ;   in Loop: Header=BB136_81 Depth=1
	s_or_b64 exec, exec, s[4:5]
	v_lshrrev_b32_e32 v0, s51, v57
	v_and_b32_e32 v0, s56, v0
	v_lshlrev_b32_e32 v1, 2, v0
	v_add_lshl_u32 v1, v1, v45, 2
	; wave barrier
	v_add_u32_e32 v7, 16, v1
	ds_read_b32 v6, v1 offset:16
	v_and_b32_e32 v1, 1, v0
	v_add_co_u32_e32 v2, vcc, -1, v1
	v_addc_co_u32_e64 v3, s[4:5], 0, -1, vcc
	v_cmp_ne_u32_e32 vcc, 0, v1
	v_lshlrev_b32_e32 v33, 30, v0
	v_xor_b32_e32 v1, vcc_hi, v3
	v_not_b32_e32 v3, v33
	v_xor_b32_e32 v2, vcc_lo, v2
	v_cmp_gt_i64_e32 vcc, 0, v[32:33]
	v_ashrrev_i32_e32 v3, 31, v3
	v_and_b32_e32 v2, exec_lo, v2
	v_xor_b32_e32 v8, vcc_hi, v3
	v_xor_b32_e32 v3, vcc_lo, v3
	v_lshlrev_b32_e32 v33, 29, v0
	v_and_b32_e32 v2, v2, v3
	v_not_b32_e32 v3, v33
	v_and_b32_e32 v1, exec_hi, v1
	v_cmp_gt_i64_e32 vcc, 0, v[32:33]
	v_ashrrev_i32_e32 v3, 31, v3
	v_and_b32_e32 v1, v1, v8
	v_xor_b32_e32 v8, vcc_hi, v3
	v_xor_b32_e32 v3, vcc_lo, v3
	v_lshlrev_b32_e32 v33, 28, v0
	v_and_b32_e32 v2, v2, v3
	v_not_b32_e32 v3, v33
	v_cmp_gt_i64_e32 vcc, 0, v[32:33]
	v_ashrrev_i32_e32 v3, 31, v3
	v_and_b32_e32 v1, v1, v8
	v_xor_b32_e32 v8, vcc_hi, v3
	v_xor_b32_e32 v3, vcc_lo, v3
	v_lshlrev_b32_e32 v33, 27, v0
	v_and_b32_e32 v2, v2, v3
	v_not_b32_e32 v3, v33
	;; [unrolled: 8-line block ×3, first 2 shown]
	v_cmp_gt_i64_e32 vcc, 0, v[32:33]
	v_ashrrev_i32_e32 v3, 31, v3
	v_and_b32_e32 v1, v1, v8
	v_xor_b32_e32 v8, vcc_hi, v3
	v_xor_b32_e32 v3, vcc_lo, v3
	v_lshlrev_b32_e32 v33, 25, v0
	v_and_b32_e32 v2, v2, v3
	v_cmp_gt_i64_e32 vcc, 0, v[32:33]
	v_not_b32_e32 v3, v33
	v_lshlrev_b32_e32 v33, 24, v0
	v_ashrrev_i32_e32 v3, 31, v3
	v_not_b32_e32 v0, v33
	v_and_b32_e32 v1, v1, v8
	v_xor_b32_e32 v8, vcc_hi, v3
	v_xor_b32_e32 v3, vcc_lo, v3
	v_cmp_gt_i64_e32 vcc, 0, v[32:33]
	v_ashrrev_i32_e32 v0, 31, v0
	v_and_b32_e32 v2, v2, v3
	v_xor_b32_e32 v3, vcc_hi, v0
	v_xor_b32_e32 v0, vcc_lo, v0
	v_and_b32_e32 v1, v1, v8
	v_and_b32_e32 v0, v2, v0
	;; [unrolled: 1-line block ×3, first 2 shown]
	v_mbcnt_lo_u32_b32 v2, v0, 0
	v_mbcnt_hi_u32_b32 v8, v1, v2
	v_cmp_eq_u32_e32 vcc, 0, v8
	v_cmp_ne_u64_e64 s[4:5], 0, v[0:1]
	s_and_b64 s[58:59], s[4:5], vcc
	; wave barrier
	s_and_saveexec_b64 s[4:5], s[58:59]
	s_cbranch_execz .LBB136_85
; %bb.84:                               ;   in Loop: Header=BB136_81 Depth=1
	v_bcnt_u32_b32 v0, v0, 0
	v_bcnt_u32_b32 v0, v1, v0
	s_waitcnt lgkmcnt(0)
	v_add_u32_e32 v0, v6, v0
	ds_write_b32 v7, v0
.LBB136_85:                             ;   in Loop: Header=BB136_81 Depth=1
	s_or_b64 exec, exec, s[4:5]
	v_lshrrev_b32_e32 v0, s51, v56
	v_and_b32_e32 v0, s56, v0
	v_lshlrev_b32_e32 v1, 2, v0
	v_add_lshl_u32 v1, v1, v45, 2
	; wave barrier
	v_add_u32_e32 v10, 16, v1
	ds_read_b32 v9, v1 offset:16
	v_and_b32_e32 v1, 1, v0
	v_add_co_u32_e32 v2, vcc, -1, v1
	v_addc_co_u32_e64 v3, s[4:5], 0, -1, vcc
	v_cmp_ne_u32_e32 vcc, 0, v1
	v_lshlrev_b32_e32 v33, 30, v0
	v_xor_b32_e32 v1, vcc_hi, v3
	v_not_b32_e32 v3, v33
	v_xor_b32_e32 v2, vcc_lo, v2
	v_cmp_gt_i64_e32 vcc, 0, v[32:33]
	v_ashrrev_i32_e32 v3, 31, v3
	v_and_b32_e32 v2, exec_lo, v2
	v_xor_b32_e32 v11, vcc_hi, v3
	v_xor_b32_e32 v3, vcc_lo, v3
	v_lshlrev_b32_e32 v33, 29, v0
	v_and_b32_e32 v2, v2, v3
	v_not_b32_e32 v3, v33
	v_and_b32_e32 v1, exec_hi, v1
	v_cmp_gt_i64_e32 vcc, 0, v[32:33]
	v_ashrrev_i32_e32 v3, 31, v3
	v_and_b32_e32 v1, v1, v11
	v_xor_b32_e32 v11, vcc_hi, v3
	v_xor_b32_e32 v3, vcc_lo, v3
	v_lshlrev_b32_e32 v33, 28, v0
	v_and_b32_e32 v2, v2, v3
	v_not_b32_e32 v3, v33
	v_cmp_gt_i64_e32 vcc, 0, v[32:33]
	v_ashrrev_i32_e32 v3, 31, v3
	v_and_b32_e32 v1, v1, v11
	v_xor_b32_e32 v11, vcc_hi, v3
	v_xor_b32_e32 v3, vcc_lo, v3
	v_lshlrev_b32_e32 v33, 27, v0
	v_and_b32_e32 v2, v2, v3
	v_not_b32_e32 v3, v33
	;; [unrolled: 8-line block ×3, first 2 shown]
	v_cmp_gt_i64_e32 vcc, 0, v[32:33]
	v_ashrrev_i32_e32 v3, 31, v3
	v_and_b32_e32 v1, v1, v11
	v_xor_b32_e32 v11, vcc_hi, v3
	v_xor_b32_e32 v3, vcc_lo, v3
	v_lshlrev_b32_e32 v33, 25, v0
	v_and_b32_e32 v2, v2, v3
	v_cmp_gt_i64_e32 vcc, 0, v[32:33]
	v_not_b32_e32 v3, v33
	v_lshlrev_b32_e32 v33, 24, v0
	v_ashrrev_i32_e32 v3, 31, v3
	v_not_b32_e32 v0, v33
	v_and_b32_e32 v1, v1, v11
	v_xor_b32_e32 v11, vcc_hi, v3
	v_xor_b32_e32 v3, vcc_lo, v3
	v_cmp_gt_i64_e32 vcc, 0, v[32:33]
	v_ashrrev_i32_e32 v0, 31, v0
	v_and_b32_e32 v2, v2, v3
	v_xor_b32_e32 v3, vcc_hi, v0
	v_xor_b32_e32 v0, vcc_lo, v0
	v_and_b32_e32 v1, v1, v11
	v_and_b32_e32 v0, v2, v0
	;; [unrolled: 1-line block ×3, first 2 shown]
	v_mbcnt_lo_u32_b32 v2, v0, 0
	v_mbcnt_hi_u32_b32 v11, v1, v2
	v_cmp_eq_u32_e32 vcc, 0, v11
	v_cmp_ne_u64_e64 s[4:5], 0, v[0:1]
	s_and_b64 s[58:59], s[4:5], vcc
	; wave barrier
	s_and_saveexec_b64 s[4:5], s[58:59]
	s_cbranch_execz .LBB136_87
; %bb.86:                               ;   in Loop: Header=BB136_81 Depth=1
	v_bcnt_u32_b32 v0, v0, 0
	v_bcnt_u32_b32 v0, v1, v0
	s_waitcnt lgkmcnt(0)
	v_add_u32_e32 v0, v9, v0
	ds_write_b32 v10, v0
.LBB136_87:                             ;   in Loop: Header=BB136_81 Depth=1
	s_or_b64 exec, exec, s[4:5]
	v_lshrrev_b32_e32 v0, s51, v55
	v_and_b32_e32 v0, s56, v0
	v_lshlrev_b32_e32 v1, 2, v0
	v_add_lshl_u32 v1, v1, v45, 2
	; wave barrier
	v_add_u32_e32 v13, 16, v1
	ds_read_b32 v12, v1 offset:16
	v_and_b32_e32 v1, 1, v0
	v_add_co_u32_e32 v2, vcc, -1, v1
	v_addc_co_u32_e64 v3, s[4:5], 0, -1, vcc
	v_cmp_ne_u32_e32 vcc, 0, v1
	v_lshlrev_b32_e32 v33, 30, v0
	v_xor_b32_e32 v1, vcc_hi, v3
	v_not_b32_e32 v3, v33
	v_xor_b32_e32 v2, vcc_lo, v2
	v_cmp_gt_i64_e32 vcc, 0, v[32:33]
	v_ashrrev_i32_e32 v3, 31, v3
	v_and_b32_e32 v2, exec_lo, v2
	v_xor_b32_e32 v14, vcc_hi, v3
	v_xor_b32_e32 v3, vcc_lo, v3
	v_lshlrev_b32_e32 v33, 29, v0
	v_and_b32_e32 v2, v2, v3
	v_not_b32_e32 v3, v33
	v_and_b32_e32 v1, exec_hi, v1
	v_cmp_gt_i64_e32 vcc, 0, v[32:33]
	v_ashrrev_i32_e32 v3, 31, v3
	v_and_b32_e32 v1, v1, v14
	v_xor_b32_e32 v14, vcc_hi, v3
	v_xor_b32_e32 v3, vcc_lo, v3
	v_lshlrev_b32_e32 v33, 28, v0
	v_and_b32_e32 v2, v2, v3
	v_not_b32_e32 v3, v33
	v_cmp_gt_i64_e32 vcc, 0, v[32:33]
	v_ashrrev_i32_e32 v3, 31, v3
	v_and_b32_e32 v1, v1, v14
	v_xor_b32_e32 v14, vcc_hi, v3
	v_xor_b32_e32 v3, vcc_lo, v3
	v_lshlrev_b32_e32 v33, 27, v0
	v_and_b32_e32 v2, v2, v3
	v_not_b32_e32 v3, v33
	;; [unrolled: 8-line block ×3, first 2 shown]
	v_cmp_gt_i64_e32 vcc, 0, v[32:33]
	v_ashrrev_i32_e32 v3, 31, v3
	v_and_b32_e32 v1, v1, v14
	v_xor_b32_e32 v14, vcc_hi, v3
	v_xor_b32_e32 v3, vcc_lo, v3
	v_lshlrev_b32_e32 v33, 25, v0
	v_and_b32_e32 v2, v2, v3
	v_cmp_gt_i64_e32 vcc, 0, v[32:33]
	v_not_b32_e32 v3, v33
	v_lshlrev_b32_e32 v33, 24, v0
	v_ashrrev_i32_e32 v3, 31, v3
	v_not_b32_e32 v0, v33
	v_and_b32_e32 v1, v1, v14
	v_xor_b32_e32 v14, vcc_hi, v3
	v_xor_b32_e32 v3, vcc_lo, v3
	v_cmp_gt_i64_e32 vcc, 0, v[32:33]
	v_ashrrev_i32_e32 v0, 31, v0
	v_and_b32_e32 v2, v2, v3
	v_xor_b32_e32 v3, vcc_hi, v0
	v_xor_b32_e32 v0, vcc_lo, v0
	v_and_b32_e32 v1, v1, v14
	v_and_b32_e32 v0, v2, v0
	;; [unrolled: 1-line block ×3, first 2 shown]
	v_mbcnt_lo_u32_b32 v2, v0, 0
	v_mbcnt_hi_u32_b32 v14, v1, v2
	v_cmp_eq_u32_e32 vcc, 0, v14
	v_cmp_ne_u64_e64 s[4:5], 0, v[0:1]
	s_and_b64 s[58:59], s[4:5], vcc
	; wave barrier
	s_and_saveexec_b64 s[4:5], s[58:59]
	s_cbranch_execz .LBB136_89
; %bb.88:                               ;   in Loop: Header=BB136_81 Depth=1
	v_bcnt_u32_b32 v0, v0, 0
	v_bcnt_u32_b32 v0, v1, v0
	s_waitcnt lgkmcnt(0)
	v_add_u32_e32 v0, v12, v0
	ds_write_b32 v13, v0
.LBB136_89:                             ;   in Loop: Header=BB136_81 Depth=1
	s_or_b64 exec, exec, s[4:5]
	v_lshrrev_b32_e32 v0, s51, v54
	v_and_b32_e32 v0, s56, v0
	v_lshlrev_b32_e32 v1, 2, v0
	v_add_lshl_u32 v1, v1, v45, 2
	; wave barrier
	v_add_u32_e32 v36, 16, v1
	ds_read_b32 v15, v1 offset:16
	v_and_b32_e32 v1, 1, v0
	v_add_co_u32_e32 v2, vcc, -1, v1
	v_addc_co_u32_e64 v3, s[4:5], 0, -1, vcc
	v_cmp_ne_u32_e32 vcc, 0, v1
	v_lshlrev_b32_e32 v33, 30, v0
	v_xor_b32_e32 v1, vcc_hi, v3
	v_not_b32_e32 v3, v33
	v_xor_b32_e32 v2, vcc_lo, v2
	v_cmp_gt_i64_e32 vcc, 0, v[32:33]
	v_ashrrev_i32_e32 v3, 31, v3
	v_and_b32_e32 v1, exec_hi, v1
	v_xor_b32_e32 v33, vcc_hi, v3
	v_and_b32_e32 v2, exec_lo, v2
	v_xor_b32_e32 v3, vcc_lo, v3
	v_and_b32_e32 v1, v1, v33
	v_lshlrev_b32_e32 v33, 29, v0
	v_and_b32_e32 v2, v2, v3
	v_not_b32_e32 v3, v33
	v_cmp_gt_i64_e32 vcc, 0, v[32:33]
	v_ashrrev_i32_e32 v3, 31, v3
	v_xor_b32_e32 v33, vcc_hi, v3
	v_xor_b32_e32 v3, vcc_lo, v3
	v_and_b32_e32 v1, v1, v33
	v_lshlrev_b32_e32 v33, 28, v0
	v_and_b32_e32 v2, v2, v3
	v_not_b32_e32 v3, v33
	v_cmp_gt_i64_e32 vcc, 0, v[32:33]
	v_ashrrev_i32_e32 v3, 31, v3
	v_xor_b32_e32 v33, vcc_hi, v3
	v_xor_b32_e32 v3, vcc_lo, v3
	v_and_b32_e32 v1, v1, v33
	v_lshlrev_b32_e32 v33, 27, v0
	v_and_b32_e32 v2, v2, v3
	v_not_b32_e32 v3, v33
	v_cmp_gt_i64_e32 vcc, 0, v[32:33]
	v_ashrrev_i32_e32 v3, 31, v3
	v_xor_b32_e32 v33, vcc_hi, v3
	v_xor_b32_e32 v3, vcc_lo, v3
	v_and_b32_e32 v1, v1, v33
	v_lshlrev_b32_e32 v33, 26, v0
	v_and_b32_e32 v2, v2, v3
	v_not_b32_e32 v3, v33
	v_cmp_gt_i64_e32 vcc, 0, v[32:33]
	v_ashrrev_i32_e32 v3, 31, v3
	v_xor_b32_e32 v33, vcc_hi, v3
	v_xor_b32_e32 v3, vcc_lo, v3
	v_and_b32_e32 v1, v1, v33
	v_lshlrev_b32_e32 v33, 25, v0
	v_and_b32_e32 v2, v2, v3
	v_not_b32_e32 v3, v33
	v_cmp_gt_i64_e32 vcc, 0, v[32:33]
	v_ashrrev_i32_e32 v3, 31, v3
	v_xor_b32_e32 v33, vcc_hi, v3
	v_and_b32_e32 v1, v1, v33
	v_lshlrev_b32_e32 v33, 24, v0
	v_not_b32_e32 v0, v33
	v_xor_b32_e32 v3, vcc_lo, v3
	v_cmp_gt_i64_e32 vcc, 0, v[32:33]
	v_ashrrev_i32_e32 v0, 31, v0
	v_and_b32_e32 v2, v2, v3
	v_xor_b32_e32 v3, vcc_hi, v0
	v_xor_b32_e32 v0, vcc_lo, v0
	v_and_b32_e32 v0, v2, v0
	v_and_b32_e32 v1, v1, v3
	v_mbcnt_lo_u32_b32 v2, v0, 0
	v_mbcnt_hi_u32_b32 v37, v1, v2
	v_cmp_eq_u32_e32 vcc, 0, v37
	v_cmp_ne_u64_e64 s[4:5], 0, v[0:1]
	s_and_b64 s[58:59], s[4:5], vcc
	; wave barrier
	s_and_saveexec_b64 s[4:5], s[58:59]
	s_cbranch_execz .LBB136_91
; %bb.90:                               ;   in Loop: Header=BB136_81 Depth=1
	v_bcnt_u32_b32 v0, v0, 0
	v_bcnt_u32_b32 v0, v1, v0
	s_waitcnt lgkmcnt(0)
	v_add_u32_e32 v0, v15, v0
	ds_write_b32 v36, v0
.LBB136_91:                             ;   in Loop: Header=BB136_81 Depth=1
	s_or_b64 exec, exec, s[4:5]
	v_lshrrev_b32_e32 v0, s51, v53
	v_and_b32_e32 v0, s56, v0
	v_lshlrev_b32_e32 v1, 2, v0
	v_add_lshl_u32 v1, v1, v45, 2
	; wave barrier
	v_add_u32_e32 v39, 16, v1
	ds_read_b32 v38, v1 offset:16
	v_and_b32_e32 v1, 1, v0
	v_add_co_u32_e32 v2, vcc, -1, v1
	v_addc_co_u32_e64 v3, s[4:5], 0, -1, vcc
	v_cmp_ne_u32_e32 vcc, 0, v1
	v_lshlrev_b32_e32 v33, 30, v0
	v_xor_b32_e32 v1, vcc_hi, v3
	v_not_b32_e32 v3, v33
	v_xor_b32_e32 v2, vcc_lo, v2
	v_cmp_gt_i64_e32 vcc, 0, v[32:33]
	v_ashrrev_i32_e32 v3, 31, v3
	v_and_b32_e32 v1, exec_hi, v1
	v_xor_b32_e32 v33, vcc_hi, v3
	v_and_b32_e32 v2, exec_lo, v2
	v_xor_b32_e32 v3, vcc_lo, v3
	v_and_b32_e32 v1, v1, v33
	v_lshlrev_b32_e32 v33, 29, v0
	v_and_b32_e32 v2, v2, v3
	v_not_b32_e32 v3, v33
	v_cmp_gt_i64_e32 vcc, 0, v[32:33]
	v_ashrrev_i32_e32 v3, 31, v3
	v_xor_b32_e32 v33, vcc_hi, v3
	v_xor_b32_e32 v3, vcc_lo, v3
	v_and_b32_e32 v1, v1, v33
	v_lshlrev_b32_e32 v33, 28, v0
	v_and_b32_e32 v2, v2, v3
	v_not_b32_e32 v3, v33
	v_cmp_gt_i64_e32 vcc, 0, v[32:33]
	v_ashrrev_i32_e32 v3, 31, v3
	v_xor_b32_e32 v33, vcc_hi, v3
	;; [unrolled: 8-line block ×5, first 2 shown]
	v_and_b32_e32 v1, v1, v33
	v_lshlrev_b32_e32 v33, 24, v0
	v_not_b32_e32 v0, v33
	v_xor_b32_e32 v3, vcc_lo, v3
	v_cmp_gt_i64_e32 vcc, 0, v[32:33]
	v_ashrrev_i32_e32 v0, 31, v0
	v_and_b32_e32 v2, v2, v3
	v_xor_b32_e32 v3, vcc_hi, v0
	v_xor_b32_e32 v0, vcc_lo, v0
	v_and_b32_e32 v0, v2, v0
	v_and_b32_e32 v1, v1, v3
	v_mbcnt_lo_u32_b32 v2, v0, 0
	v_mbcnt_hi_u32_b32 v40, v1, v2
	v_cmp_eq_u32_e32 vcc, 0, v40
	v_cmp_ne_u64_e64 s[4:5], 0, v[0:1]
	s_and_b64 s[58:59], s[4:5], vcc
	; wave barrier
	s_and_saveexec_b64 s[4:5], s[58:59]
	s_cbranch_execz .LBB136_93
; %bb.92:                               ;   in Loop: Header=BB136_81 Depth=1
	v_bcnt_u32_b32 v0, v0, 0
	v_bcnt_u32_b32 v0, v1, v0
	s_waitcnt lgkmcnt(0)
	v_add_u32_e32 v0, v38, v0
	ds_write_b32 v39, v0
.LBB136_93:                             ;   in Loop: Header=BB136_81 Depth=1
	s_or_b64 exec, exec, s[4:5]
	v_lshrrev_b32_e32 v0, s51, v52
	v_and_b32_e32 v0, s56, v0
	v_lshlrev_b32_e32 v1, 2, v0
	v_add_lshl_u32 v1, v1, v45, 2
	; wave barrier
	v_add_u32_e32 v42, 16, v1
	ds_read_b32 v41, v1 offset:16
	v_and_b32_e32 v1, 1, v0
	v_add_co_u32_e32 v2, vcc, -1, v1
	v_addc_co_u32_e64 v3, s[4:5], 0, -1, vcc
	v_cmp_ne_u32_e32 vcc, 0, v1
	v_lshlrev_b32_e32 v33, 30, v0
	v_xor_b32_e32 v1, vcc_hi, v3
	v_not_b32_e32 v3, v33
	v_xor_b32_e32 v2, vcc_lo, v2
	v_cmp_gt_i64_e32 vcc, 0, v[32:33]
	v_ashrrev_i32_e32 v3, 31, v3
	v_and_b32_e32 v1, exec_hi, v1
	v_xor_b32_e32 v33, vcc_hi, v3
	v_and_b32_e32 v2, exec_lo, v2
	v_xor_b32_e32 v3, vcc_lo, v3
	v_and_b32_e32 v1, v1, v33
	v_lshlrev_b32_e32 v33, 29, v0
	v_and_b32_e32 v2, v2, v3
	v_not_b32_e32 v3, v33
	v_cmp_gt_i64_e32 vcc, 0, v[32:33]
	v_ashrrev_i32_e32 v3, 31, v3
	v_xor_b32_e32 v33, vcc_hi, v3
	v_xor_b32_e32 v3, vcc_lo, v3
	v_and_b32_e32 v1, v1, v33
	v_lshlrev_b32_e32 v33, 28, v0
	v_and_b32_e32 v2, v2, v3
	v_not_b32_e32 v3, v33
	v_cmp_gt_i64_e32 vcc, 0, v[32:33]
	v_ashrrev_i32_e32 v3, 31, v3
	v_xor_b32_e32 v33, vcc_hi, v3
	v_xor_b32_e32 v3, vcc_lo, v3
	v_and_b32_e32 v1, v1, v33
	v_lshlrev_b32_e32 v33, 27, v0
	v_and_b32_e32 v2, v2, v3
	v_not_b32_e32 v3, v33
	v_cmp_gt_i64_e32 vcc, 0, v[32:33]
	v_ashrrev_i32_e32 v3, 31, v3
	v_xor_b32_e32 v33, vcc_hi, v3
	v_xor_b32_e32 v3, vcc_lo, v3
	v_and_b32_e32 v1, v1, v33
	v_lshlrev_b32_e32 v33, 26, v0
	v_and_b32_e32 v2, v2, v3
	v_not_b32_e32 v3, v33
	v_cmp_gt_i64_e32 vcc, 0, v[32:33]
	v_ashrrev_i32_e32 v3, 31, v3
	v_xor_b32_e32 v33, vcc_hi, v3
	v_xor_b32_e32 v3, vcc_lo, v3
	v_and_b32_e32 v1, v1, v33
	v_lshlrev_b32_e32 v33, 25, v0
	v_and_b32_e32 v2, v2, v3
	v_not_b32_e32 v3, v33
	v_cmp_gt_i64_e32 vcc, 0, v[32:33]
	v_ashrrev_i32_e32 v3, 31, v3
	v_xor_b32_e32 v33, vcc_hi, v3
	v_and_b32_e32 v1, v1, v33
	v_lshlrev_b32_e32 v33, 24, v0
	v_not_b32_e32 v0, v33
	v_xor_b32_e32 v3, vcc_lo, v3
	v_cmp_gt_i64_e32 vcc, 0, v[32:33]
	v_ashrrev_i32_e32 v0, 31, v0
	v_and_b32_e32 v2, v2, v3
	v_xor_b32_e32 v3, vcc_hi, v0
	v_xor_b32_e32 v0, vcc_lo, v0
	v_and_b32_e32 v0, v2, v0
	v_and_b32_e32 v1, v1, v3
	v_mbcnt_lo_u32_b32 v2, v0, 0
	v_mbcnt_hi_u32_b32 v43, v1, v2
	v_cmp_eq_u32_e32 vcc, 0, v43
	v_cmp_ne_u64_e64 s[4:5], 0, v[0:1]
	s_and_b64 s[58:59], s[4:5], vcc
	; wave barrier
	s_and_saveexec_b64 s[4:5], s[58:59]
	s_cbranch_execz .LBB136_95
; %bb.94:                               ;   in Loop: Header=BB136_81 Depth=1
	v_bcnt_u32_b32 v0, v0, 0
	v_bcnt_u32_b32 v0, v1, v0
	s_waitcnt lgkmcnt(0)
	v_add_u32_e32 v0, v41, v0
	ds_write_b32 v42, v0
.LBB136_95:                             ;   in Loop: Header=BB136_81 Depth=1
	s_or_b64 exec, exec, s[4:5]
	v_lshrrev_b32_e32 v0, s51, v51
	v_and_b32_e32 v0, s56, v0
	v_lshlrev_b32_e32 v1, 2, v0
	v_add_lshl_u32 v1, v1, v45, 2
	; wave barrier
	v_add_u32_e32 v60, 16, v1
	ds_read_b32 v59, v1 offset:16
	v_and_b32_e32 v1, 1, v0
	v_add_co_u32_e32 v2, vcc, -1, v1
	v_addc_co_u32_e64 v3, s[4:5], 0, -1, vcc
	v_cmp_ne_u32_e32 vcc, 0, v1
	v_lshlrev_b32_e32 v33, 30, v0
	v_xor_b32_e32 v1, vcc_hi, v3
	v_not_b32_e32 v3, v33
	v_xor_b32_e32 v2, vcc_lo, v2
	v_cmp_gt_i64_e32 vcc, 0, v[32:33]
	v_ashrrev_i32_e32 v3, 31, v3
	v_and_b32_e32 v1, exec_hi, v1
	v_xor_b32_e32 v33, vcc_hi, v3
	v_and_b32_e32 v2, exec_lo, v2
	v_xor_b32_e32 v3, vcc_lo, v3
	v_and_b32_e32 v1, v1, v33
	v_lshlrev_b32_e32 v33, 29, v0
	v_and_b32_e32 v2, v2, v3
	v_not_b32_e32 v3, v33
	v_cmp_gt_i64_e32 vcc, 0, v[32:33]
	v_ashrrev_i32_e32 v3, 31, v3
	v_xor_b32_e32 v33, vcc_hi, v3
	v_xor_b32_e32 v3, vcc_lo, v3
	v_and_b32_e32 v1, v1, v33
	v_lshlrev_b32_e32 v33, 28, v0
	v_and_b32_e32 v2, v2, v3
	v_not_b32_e32 v3, v33
	v_cmp_gt_i64_e32 vcc, 0, v[32:33]
	v_ashrrev_i32_e32 v3, 31, v3
	v_xor_b32_e32 v33, vcc_hi, v3
	;; [unrolled: 8-line block ×5, first 2 shown]
	v_and_b32_e32 v1, v1, v33
	v_lshlrev_b32_e32 v33, 24, v0
	v_not_b32_e32 v0, v33
	v_xor_b32_e32 v3, vcc_lo, v3
	v_cmp_gt_i64_e32 vcc, 0, v[32:33]
	v_ashrrev_i32_e32 v0, 31, v0
	v_and_b32_e32 v2, v2, v3
	v_xor_b32_e32 v3, vcc_hi, v0
	v_xor_b32_e32 v0, vcc_lo, v0
	v_and_b32_e32 v0, v2, v0
	v_and_b32_e32 v1, v1, v3
	v_mbcnt_lo_u32_b32 v2, v0, 0
	v_mbcnt_hi_u32_b32 v66, v1, v2
	v_cmp_eq_u32_e32 vcc, 0, v66
	v_cmp_ne_u64_e64 s[4:5], 0, v[0:1]
	s_and_b64 s[56:57], s[4:5], vcc
	; wave barrier
	s_and_saveexec_b64 s[4:5], s[56:57]
	s_cbranch_execz .LBB136_97
; %bb.96:                               ;   in Loop: Header=BB136_81 Depth=1
	v_bcnt_u32_b32 v0, v0, 0
	v_bcnt_u32_b32 v0, v1, v0
	s_waitcnt lgkmcnt(0)
	v_add_u32_e32 v0, v59, v0
	ds_write_b32 v60, v0
.LBB136_97:                             ;   in Loop: Header=BB136_81 Depth=1
	s_or_b64 exec, exec, s[4:5]
	; wave barrier
	s_waitcnt lgkmcnt(0)
	s_barrier
	ds_read2_b32 v[2:3], v87 offset0:4 offset1:5
	ds_read2_b32 v[0:1], v44 offset0:2 offset1:3
	s_waitcnt lgkmcnt(1)
	v_add_u32_e32 v33, v3, v2
	s_waitcnt lgkmcnt(0)
	v_add3_u32 v1, v33, v0, v1
	s_nop 1
	v_mov_b32_dpp v33, v1 row_shr:1 row_mask:0xf bank_mask:0xf
	v_cndmask_b32_e64 v33, v33, 0, s[16:17]
	v_add_u32_e32 v1, v33, v1
	s_nop 1
	v_mov_b32_dpp v33, v1 row_shr:2 row_mask:0xf bank_mask:0xf
	v_cndmask_b32_e64 v33, 0, v33, s[18:19]
	v_add_u32_e32 v1, v1, v33
	;; [unrolled: 4-line block ×4, first 2 shown]
	s_nop 1
	v_mov_b32_dpp v33, v1 row_bcast:15 row_mask:0xf bank_mask:0xf
	v_cndmask_b32_e64 v33, v33, 0, s[24:25]
	v_add_u32_e32 v1, v1, v33
	s_nop 1
	v_mov_b32_dpp v33, v1 row_bcast:31 row_mask:0xf bank_mask:0xf
	v_cndmask_b32_e64 v33, 0, v33, s[26:27]
	v_add_u32_e32 v1, v1, v33
	s_and_saveexec_b64 s[4:5], s[28:29]
	s_cbranch_execz .LBB136_99
; %bb.98:                               ;   in Loop: Header=BB136_81 Depth=1
	ds_write_b32 v47, v1
.LBB136_99:                             ;   in Loop: Header=BB136_81 Depth=1
	s_or_b64 exec, exec, s[4:5]
	s_waitcnt lgkmcnt(0)
	s_barrier
	s_and_saveexec_b64 s[4:5], s[30:31]
	s_cbranch_execz .LBB136_101
; %bb.100:                              ;   in Loop: Header=BB136_81 Depth=1
	ds_read_b32 v33, v86
	s_waitcnt lgkmcnt(0)
	s_nop 0
	v_mov_b32_dpp v61, v33 row_shr:1 row_mask:0xf bank_mask:0xf
	v_cndmask_b32_e64 v61, v61, 0, s[40:41]
	v_add_u32_e32 v33, v61, v33
	s_nop 1
	v_mov_b32_dpp v61, v33 row_shr:2 row_mask:0xf bank_mask:0xf
	v_cndmask_b32_e64 v61, 0, v61, s[42:43]
	v_add_u32_e32 v33, v33, v61
	ds_write_b32 v86, v33
.LBB136_101:                            ;   in Loop: Header=BB136_81 Depth=1
	s_or_b64 exec, exec, s[4:5]
	v_mov_b32_e32 v33, 0
	s_waitcnt lgkmcnt(0)
	s_barrier
	s_and_saveexec_b64 s[4:5], s[34:35]
	s_cbranch_execz .LBB136_103
; %bb.102:                              ;   in Loop: Header=BB136_81 Depth=1
	ds_read_b32 v33, v48
.LBB136_103:                            ;   in Loop: Header=BB136_81 Depth=1
	s_or_b64 exec, exec, s[4:5]
	s_waitcnt lgkmcnt(0)
	v_add_u32_e32 v1, v33, v1
	ds_bpermute_b32 v1, v46, v1
	s_cmp_gt_u32 s51, 23
	s_waitcnt lgkmcnt(0)
	v_cndmask_b32_e64 v1, v1, v33, s[36:37]
	v_cndmask_b32_e64 v1, v1, 0, s[38:39]
	v_add_u32_e32 v2, v1, v2
	v_add_u32_e32 v3, v2, v3
	;; [unrolled: 1-line block ×3, first 2 shown]
	ds_write2_b32 v87, v1, v2 offset0:4 offset1:5
	ds_write2_b32 v44, v3, v0 offset0:2 offset1:3
	s_waitcnt lgkmcnt(0)
	s_barrier
	ds_read_b32 v0, v4
	ds_read_b32 v1, v7
	;; [unrolled: 1-line block ×8, first 2 shown]
	s_waitcnt lgkmcnt(7)
	v_add_u32_e32 v33, v0, v5
	s_waitcnt lgkmcnt(6)
	v_add3_u32 v60, v8, v6, v1
	s_waitcnt lgkmcnt(5)
	v_add3_u32 v61, v11, v9, v2
	;; [unrolled: 2-line block ×7, first 2 shown]
	s_cbranch_scc0 .LBB136_80
; %bb.104:
                                        ; implicit-def: $vgpr43
                                        ; implicit-def: $vgpr41
                                        ; implicit-def: $vgpr39
                                        ; implicit-def: $vgpr37
                                        ; implicit-def: $vgpr14_vgpr15
                                        ; implicit-def: $vgpr10_vgpr11
                                        ; implicit-def: $vgpr6_vgpr7
                                        ; implicit-def: $vgpr2_vgpr3
                                        ; implicit-def: $sgpr51
                                        ; implicit-def: $sgpr55
.LBB136_105:
	v_lshlrev_b32_e32 v0, 2, v33
	s_barrier
	ds_write_b32 v0, v58
	v_lshlrev_b32_e32 v0, 2, v60
	ds_write_b32 v0, v57
	v_lshlrev_b32_e32 v0, 2, v61
	;; [unrolled: 2-line block ×7, first 2 shown]
	v_lshlrev_b32_e32 v6, 2, v80
	v_lshlrev_b32_e32 v8, 3, v33
	;; [unrolled: 1-line block ×3, first 2 shown]
	ds_write_b32 v0, v51
	s_waitcnt lgkmcnt(0)
	s_barrier
	v_lshlrev_b32_e32 v9, 3, v60
	v_lshlrev_b32_e32 v10, 3, v61
	;; [unrolled: 1-line block ×7, first 2 shown]
	ds_read2_b32 v[0:1], v6 offset1:1
	ds_read2_b32 v[2:3], v6 offset0:2 offset1:3
	ds_read2_b32 v[4:5], v6 offset0:4 offset1:5
	;; [unrolled: 1-line block ×3, first 2 shown]
	s_waitcnt lgkmcnt(0)
	s_barrier
	ds_write_b64 v8, v[30:31]
	ds_write_b64 v9, v[28:29]
	;; [unrolled: 1-line block ×8, first 2 shown]
	s_waitcnt lgkmcnt(0)
	s_barrier
	ds_read2_b64 v[18:21], v32 offset1:1
	ds_read2_b64 v[22:25], v32 offset0:2 offset1:3
	ds_read2_b64 v[26:29], v32 offset0:4 offset1:5
	;; [unrolled: 1-line block ×3, first 2 shown]
	v_xor_b32_e32 v58, 0x7fffffff, v0
	v_xor_b32_e32 v60, 0x7fffffff, v1
	;; [unrolled: 1-line block ×8, first 2 shown]
.LBB136_106:
	s_waitcnt lgkmcnt(0)
	s_barrier
	ds_write2_b32 v75, v58, v60 offset1:1
	ds_write2_b32 v75, v59, v61 offset0:2 offset1:3
	ds_write2_b32 v75, v62, v0 offset0:4 offset1:5
	;; [unrolled: 1-line block ×3, first 2 shown]
	s_waitcnt lgkmcnt(0)
	s_barrier
	ds_read_b32 v8, v68 offset:1024
	ds_read_b32 v7, v69 offset:2048
	;; [unrolled: 1-line block ×7, first 2 shown]
	v_mad_u64_u32 v[0:1], s[4:5], v34, s46, 0
	v_mov_b32_e32 v10, v1
	v_mad_u64_u32 v[10:11], s[4:5], v34, s47, v[10:11]
	v_mov_b32_e32 v1, v10
	v_lshlrev_b64 v[0:1], 2, v[0:1]
	v_mov_b32_e32 v9, s52
	v_add_co_u32_e32 v0, vcc, s33, v0
	v_addc_co_u32_e32 v1, vcc, v9, v1, vcc
	s_and_saveexec_b64 s[4:5], s[0:1]
	s_cbranch_execnz .LBB136_125
; %bb.107:
	s_or_b64 exec, exec, s[4:5]
	s_and_saveexec_b64 s[4:5], s[2:3]
	s_cbranch_execnz .LBB136_126
.LBB136_108:
	s_or_b64 exec, exec, s[4:5]
	s_and_saveexec_b64 s[4:5], s[44:45]
	s_cbranch_execnz .LBB136_127
.LBB136_109:
	s_or_b64 exec, exec, s[4:5]
	s_and_saveexec_b64 s[4:5], s[6:7]
	s_cbranch_execnz .LBB136_128
.LBB136_110:
	s_or_b64 exec, exec, s[4:5]
	s_and_saveexec_b64 s[4:5], s[8:9]
	s_cbranch_execnz .LBB136_129
.LBB136_111:
	s_or_b64 exec, exec, s[4:5]
	s_and_saveexec_b64 s[4:5], s[10:11]
	s_cbranch_execnz .LBB136_130
.LBB136_112:
	s_or_b64 exec, exec, s[4:5]
	s_and_saveexec_b64 s[4:5], s[12:13]
	s_cbranch_execnz .LBB136_131
.LBB136_113:
	s_or_b64 exec, exec, s[4:5]
	s_and_saveexec_b64 s[4:5], s[14:15]
	s_cbranch_execz .LBB136_115
.LBB136_114:
	s_waitcnt lgkmcnt(1)
	v_mov_b32_e32 v3, 0x1c00
	v_mad_u64_u32 v[0:1], s[16:17], s46, v3, v[0:1]
	s_mul_i32 s16, s47, 0x1c00
	v_add_u32_e32 v1, s16, v1
	s_waitcnt lgkmcnt(0)
	global_store_dword v[0:1], v2, off
.LBB136_115:
	s_or_b64 exec, exec, s[4:5]
	s_waitcnt lgkmcnt(0)
	s_barrier
	ds_write2_b64 v85, v[18:19], v[20:21] offset1:1
	ds_write2_b64 v85, v[22:23], v[24:25] offset0:2 offset1:3
	ds_write2_b64 v85, v[26:27], v[28:29] offset0:4 offset1:5
	;; [unrolled: 1-line block ×3, first 2 shown]
	s_waitcnt lgkmcnt(0)
	s_barrier
	ds_read_b64 v[14:15], v77 offset:2048
	ds_read_b64 v[12:13], v78 offset:4096
	;; [unrolled: 1-line block ×7, first 2 shown]
	v_mad_u64_u32 v[4:5], s[4:5], v34, s48, 0
	v_mov_b32_e32 v16, v5
	v_mad_u64_u32 v[16:17], s[4:5], v34, s49, v[16:17]
	v_mov_b32_e32 v5, v16
	v_lshlrev_b64 v[4:5], 3, v[4:5]
	v_mov_b32_e32 v16, s54
	v_add_co_u32_e32 v4, vcc, s53, v4
	v_addc_co_u32_e32 v5, vcc, v16, v5, vcc
	s_and_saveexec_b64 s[4:5], s[0:1]
	s_cbranch_execnz .LBB136_132
; %bb.116:
	s_or_b64 exec, exec, s[4:5]
	s_and_saveexec_b64 s[0:1], s[2:3]
	s_cbranch_execnz .LBB136_133
.LBB136_117:
	s_or_b64 exec, exec, s[0:1]
	s_and_saveexec_b64 s[0:1], s[44:45]
	s_cbranch_execnz .LBB136_134
.LBB136_118:
	s_or_b64 exec, exec, s[0:1]
	s_and_saveexec_b64 s[0:1], s[6:7]
	s_cbranch_execnz .LBB136_135
.LBB136_119:
	s_or_b64 exec, exec, s[0:1]
	s_and_saveexec_b64 s[0:1], s[8:9]
	s_cbranch_execnz .LBB136_136
.LBB136_120:
	s_or_b64 exec, exec, s[0:1]
	s_and_saveexec_b64 s[0:1], s[10:11]
	s_cbranch_execnz .LBB136_137
.LBB136_121:
	s_or_b64 exec, exec, s[0:1]
	s_and_saveexec_b64 s[0:1], s[12:13]
	s_cbranch_execnz .LBB136_138
.LBB136_122:
	s_or_b64 exec, exec, s[0:1]
	s_and_saveexec_b64 s[0:1], s[14:15]
	s_cbranch_execz .LBB136_124
.LBB136_123:
	s_waitcnt lgkmcnt(1)
	v_mov_b32_e32 v2, 0x3800
	v_mad_u64_u32 v[2:3], s[0:1], s48, v2, v[4:5]
	s_mul_i32 s0, s49, 0x3800
	v_add_u32_e32 v3, s0, v3
	s_waitcnt lgkmcnt(0)
	global_store_dwordx2 v[2:3], v[0:1], off
.LBB136_124:
	s_endpgm
.LBB136_125:
	ds_read_b32 v9, v35
	s_waitcnt lgkmcnt(0)
	global_store_dword v[0:1], v9, off
	s_or_b64 exec, exec, s[4:5]
	s_and_saveexec_b64 s[4:5], s[2:3]
	s_cbranch_execz .LBB136_108
.LBB136_126:
	s_lshl_b64 s[16:17], s[46:47], 10
	v_mov_b32_e32 v9, s17
	v_add_co_u32_e32 v10, vcc, s16, v0
	v_addc_co_u32_e32 v11, vcc, v1, v9, vcc
	s_waitcnt lgkmcnt(6)
	global_store_dword v[10:11], v8, off
	s_or_b64 exec, exec, s[4:5]
	s_and_saveexec_b64 s[4:5], s[44:45]
	s_cbranch_execz .LBB136_109
.LBB136_127:
	s_lshl_b64 s[16:17], s[46:47], 11
	v_mov_b32_e32 v9, s17
	s_waitcnt lgkmcnt(6)
	v_add_co_u32_e32 v8, vcc, s16, v0
	v_addc_co_u32_e32 v9, vcc, v1, v9, vcc
	s_waitcnt lgkmcnt(5)
	global_store_dword v[8:9], v7, off
	s_or_b64 exec, exec, s[4:5]
	s_and_saveexec_b64 s[4:5], s[6:7]
	s_cbranch_execz .LBB136_110
.LBB136_128:
	s_waitcnt lgkmcnt(5)
	v_mov_b32_e32 v7, 0xc00
	v_mad_u64_u32 v[8:9], s[16:17], s46, v7, v[0:1]
	s_mul_i32 s16, s47, 0xc00
	v_add_u32_e32 v9, s16, v9
	s_waitcnt lgkmcnt(4)
	global_store_dword v[8:9], v6, off
	s_or_b64 exec, exec, s[4:5]
	s_and_saveexec_b64 s[4:5], s[8:9]
	s_cbranch_execz .LBB136_111
.LBB136_129:
	s_lshl_b64 s[16:17], s[46:47], 12
	s_waitcnt lgkmcnt(5)
	v_mov_b32_e32 v7, s17
	s_waitcnt lgkmcnt(4)
	v_add_co_u32_e32 v6, vcc, s16, v0
	v_addc_co_u32_e32 v7, vcc, v1, v7, vcc
	s_waitcnt lgkmcnt(3)
	global_store_dword v[6:7], v5, off
	s_or_b64 exec, exec, s[4:5]
	s_and_saveexec_b64 s[4:5], s[10:11]
	s_cbranch_execz .LBB136_112
.LBB136_130:
	s_waitcnt lgkmcnt(3)
	v_mov_b32_e32 v5, 0x1400
	v_mad_u64_u32 v[6:7], s[16:17], s46, v5, v[0:1]
	s_mul_i32 s16, s47, 0x1400
	v_add_u32_e32 v7, s16, v7
	s_waitcnt lgkmcnt(2)
	global_store_dword v[6:7], v4, off
	s_or_b64 exec, exec, s[4:5]
	s_and_saveexec_b64 s[4:5], s[12:13]
	s_cbranch_execz .LBB136_113
.LBB136_131:
	s_waitcnt lgkmcnt(2)
	v_mov_b32_e32 v4, 0x1800
	v_mad_u64_u32 v[4:5], s[16:17], s46, v4, v[0:1]
	s_mul_i32 s16, s47, 0x1800
	v_add_u32_e32 v5, s16, v5
	s_waitcnt lgkmcnt(1)
	global_store_dword v[4:5], v3, off
	s_or_b64 exec, exec, s[4:5]
	s_and_saveexec_b64 s[4:5], s[14:15]
	s_cbranch_execnz .LBB136_114
	s_branch .LBB136_115
.LBB136_132:
	ds_read_b64 v[16:17], v76
	s_waitcnt lgkmcnt(0)
	global_store_dwordx2 v[4:5], v[16:17], off
	s_or_b64 exec, exec, s[4:5]
	s_and_saveexec_b64 s[0:1], s[2:3]
	s_cbranch_execz .LBB136_117
.LBB136_133:
	s_lshl_b64 s[2:3], s[48:49], 11
	v_mov_b32_e32 v17, s3
	v_add_co_u32_e32 v16, vcc, s2, v4
	v_addc_co_u32_e32 v17, vcc, v5, v17, vcc
	s_waitcnt lgkmcnt(6)
	global_store_dwordx2 v[16:17], v[14:15], off
	s_or_b64 exec, exec, s[0:1]
	s_and_saveexec_b64 s[0:1], s[44:45]
	s_cbranch_execz .LBB136_118
.LBB136_134:
	s_lshl_b64 s[2:3], s[48:49], 12
	s_waitcnt lgkmcnt(6)
	v_mov_b32_e32 v15, s3
	v_add_co_u32_e32 v14, vcc, s2, v4
	v_addc_co_u32_e32 v15, vcc, v5, v15, vcc
	s_waitcnt lgkmcnt(5)
	global_store_dwordx2 v[14:15], v[12:13], off
	s_or_b64 exec, exec, s[0:1]
	s_and_saveexec_b64 s[0:1], s[6:7]
	s_cbranch_execz .LBB136_119
.LBB136_135:
	s_waitcnt lgkmcnt(5)
	v_mov_b32_e32 v12, 0x1800
	v_mad_u64_u32 v[12:13], s[2:3], s48, v12, v[4:5]
	s_mul_i32 s2, s49, 0x1800
	v_add_u32_e32 v13, s2, v13
	s_waitcnt lgkmcnt(4)
	global_store_dwordx2 v[12:13], v[10:11], off
	s_or_b64 exec, exec, s[0:1]
	s_and_saveexec_b64 s[0:1], s[8:9]
	s_cbranch_execz .LBB136_120
.LBB136_136:
	s_lshl_b64 s[2:3], s[48:49], 13
	s_waitcnt lgkmcnt(4)
	v_mov_b32_e32 v11, s3
	v_add_co_u32_e32 v10, vcc, s2, v4
	v_addc_co_u32_e32 v11, vcc, v5, v11, vcc
	s_waitcnt lgkmcnt(3)
	global_store_dwordx2 v[10:11], v[8:9], off
	s_or_b64 exec, exec, s[0:1]
	s_and_saveexec_b64 s[0:1], s[10:11]
	s_cbranch_execz .LBB136_121
.LBB136_137:
	s_waitcnt lgkmcnt(3)
	v_mov_b32_e32 v8, 0x2800
	v_mad_u64_u32 v[8:9], s[2:3], s48, v8, v[4:5]
	s_mul_i32 s2, s49, 0x2800
	v_add_u32_e32 v9, s2, v9
	s_waitcnt lgkmcnt(2)
	global_store_dwordx2 v[8:9], v[6:7], off
	s_or_b64 exec, exec, s[0:1]
	s_and_saveexec_b64 s[0:1], s[12:13]
	s_cbranch_execz .LBB136_122
.LBB136_138:
	s_waitcnt lgkmcnt(2)
	v_mov_b32_e32 v6, 0x3000
	v_mad_u64_u32 v[6:7], s[2:3], s48, v6, v[4:5]
	s_mul_i32 s2, s49, 0x3000
	v_add_u32_e32 v7, s2, v7
	s_waitcnt lgkmcnt(1)
	global_store_dwordx2 v[6:7], v[2:3], off
	s_or_b64 exec, exec, s[0:1]
	s_and_saveexec_b64 s[0:1], s[14:15]
	s_cbranch_execnz .LBB136_123
	s_branch .LBB136_124
	.section	.rodata,"a",@progbits
	.p2align	6, 0x0
	.amdhsa_kernel _ZN2at6native18radixSortKVInPlaceILin1ELin1ELi256ELi8EilmEEvNS_4cuda6detail10TensorInfoIT3_T5_EES6_S6_S6_NS4_IT4_S6_EES6_b
		.amdhsa_group_segment_fixed_size 16896
		.amdhsa_private_segment_fixed_size 0
		.amdhsa_kernarg_size 1128
		.amdhsa_user_sgpr_count 6
		.amdhsa_user_sgpr_private_segment_buffer 1
		.amdhsa_user_sgpr_dispatch_ptr 0
		.amdhsa_user_sgpr_queue_ptr 0
		.amdhsa_user_sgpr_kernarg_segment_ptr 1
		.amdhsa_user_sgpr_dispatch_id 0
		.amdhsa_user_sgpr_flat_scratch_init 0
		.amdhsa_user_sgpr_kernarg_preload_length 0
		.amdhsa_user_sgpr_kernarg_preload_offset 0
		.amdhsa_user_sgpr_private_segment_size 0
		.amdhsa_uses_dynamic_stack 0
		.amdhsa_system_sgpr_private_segment_wavefront_offset 0
		.amdhsa_system_sgpr_workgroup_id_x 1
		.amdhsa_system_sgpr_workgroup_id_y 1
		.amdhsa_system_sgpr_workgroup_id_z 1
		.amdhsa_system_sgpr_workgroup_info 0
		.amdhsa_system_vgpr_workitem_id 2
		.amdhsa_next_free_vgpr 126
		.amdhsa_next_free_sgpr 62
		.amdhsa_accum_offset 128
		.amdhsa_reserve_vcc 1
		.amdhsa_reserve_flat_scratch 0
		.amdhsa_float_round_mode_32 0
		.amdhsa_float_round_mode_16_64 0
		.amdhsa_float_denorm_mode_32 3
		.amdhsa_float_denorm_mode_16_64 3
		.amdhsa_dx10_clamp 1
		.amdhsa_ieee_mode 1
		.amdhsa_fp16_overflow 0
		.amdhsa_tg_split 0
		.amdhsa_exception_fp_ieee_invalid_op 0
		.amdhsa_exception_fp_denorm_src 0
		.amdhsa_exception_fp_ieee_div_zero 0
		.amdhsa_exception_fp_ieee_overflow 0
		.amdhsa_exception_fp_ieee_underflow 0
		.amdhsa_exception_fp_ieee_inexact 0
		.amdhsa_exception_int_div_zero 0
	.end_amdhsa_kernel
	.section	.text._ZN2at6native18radixSortKVInPlaceILin1ELin1ELi256ELi8EilmEEvNS_4cuda6detail10TensorInfoIT3_T5_EES6_S6_S6_NS4_IT4_S6_EES6_b,"axG",@progbits,_ZN2at6native18radixSortKVInPlaceILin1ELin1ELi256ELi8EilmEEvNS_4cuda6detail10TensorInfoIT3_T5_EES6_S6_S6_NS4_IT4_S6_EES6_b,comdat
.Lfunc_end136:
	.size	_ZN2at6native18radixSortKVInPlaceILin1ELin1ELi256ELi8EilmEEvNS_4cuda6detail10TensorInfoIT3_T5_EES6_S6_S6_NS4_IT4_S6_EES6_b, .Lfunc_end136-_ZN2at6native18radixSortKVInPlaceILin1ELin1ELi256ELi8EilmEEvNS_4cuda6detail10TensorInfoIT3_T5_EES6_S6_S6_NS4_IT4_S6_EES6_b
                                        ; -- End function
	.section	.AMDGPU.csdata,"",@progbits
; Kernel info:
; codeLenInByte = 14608
; NumSgprs: 66
; NumVgprs: 126
; NumAgprs: 0
; TotalNumVgprs: 126
; ScratchSize: 0
; MemoryBound: 0
; FloatMode: 240
; IeeeMode: 1
; LDSByteSize: 16896 bytes/workgroup (compile time only)
; SGPRBlocks: 8
; VGPRBlocks: 15
; NumSGPRsForWavesPerEU: 66
; NumVGPRsForWavesPerEU: 126
; AccumOffset: 128
; Occupancy: 3
; WaveLimiterHint : 1
; COMPUTE_PGM_RSRC2:SCRATCH_EN: 0
; COMPUTE_PGM_RSRC2:USER_SGPR: 6
; COMPUTE_PGM_RSRC2:TRAP_HANDLER: 0
; COMPUTE_PGM_RSRC2:TGID_X_EN: 1
; COMPUTE_PGM_RSRC2:TGID_Y_EN: 1
; COMPUTE_PGM_RSRC2:TGID_Z_EN: 1
; COMPUTE_PGM_RSRC2:TIDIG_COMP_CNT: 2
; COMPUTE_PGM_RSRC3_GFX90A:ACCUM_OFFSET: 31
; COMPUTE_PGM_RSRC3_GFX90A:TG_SPLIT: 0
	.section	.text._ZN2at6native18radixSortKVInPlaceILin1ELin1ELi128ELi8EilmEEvNS_4cuda6detail10TensorInfoIT3_T5_EES6_S6_S6_NS4_IT4_S6_EES6_b,"axG",@progbits,_ZN2at6native18radixSortKVInPlaceILin1ELin1ELi128ELi8EilmEEvNS_4cuda6detail10TensorInfoIT3_T5_EES6_S6_S6_NS4_IT4_S6_EES6_b,comdat
	.protected	_ZN2at6native18radixSortKVInPlaceILin1ELin1ELi128ELi8EilmEEvNS_4cuda6detail10TensorInfoIT3_T5_EES6_S6_S6_NS4_IT4_S6_EES6_b ; -- Begin function _ZN2at6native18radixSortKVInPlaceILin1ELin1ELi128ELi8EilmEEvNS_4cuda6detail10TensorInfoIT3_T5_EES6_S6_S6_NS4_IT4_S6_EES6_b
	.globl	_ZN2at6native18radixSortKVInPlaceILin1ELin1ELi128ELi8EilmEEvNS_4cuda6detail10TensorInfoIT3_T5_EES6_S6_S6_NS4_IT4_S6_EES6_b
	.p2align	8
	.type	_ZN2at6native18radixSortKVInPlaceILin1ELin1ELi128ELi8EilmEEvNS_4cuda6detail10TensorInfoIT3_T5_EES6_S6_S6_NS4_IT4_S6_EES6_b,@function
_ZN2at6native18radixSortKVInPlaceILin1ELin1ELi128ELi8EilmEEvNS_4cuda6detail10TensorInfoIT3_T5_EES6_S6_S6_NS4_IT4_S6_EES6_b: ; @_ZN2at6native18radixSortKVInPlaceILin1ELin1ELi128ELi8EilmEEvNS_4cuda6detail10TensorInfoIT3_T5_EES6_S6_S6_NS4_IT4_S6_EES6_b
; %bb.0:
	s_load_dwordx4 s[16:19], s[4:5], 0x1a0
	s_load_dwordx2 s[0:1], s[4:5], 0x368
	s_add_u32 s48, s4, 0x368
	s_addc_u32 s49, s5, 0
	s_waitcnt lgkmcnt(0)
	v_mov_b32_e32 v2, s16
	s_mul_i32 s1, s1, s8
	s_add_i32 s1, s1, s7
	s_mul_i32 s0, s1, s0
	v_mov_b32_e32 v3, s17
	s_add_i32 s6, s0, s6
	s_mov_b32 s7, 0
	v_cmp_ge_u64_e32 vcc, s[6:7], v[2:3]
	s_cbranch_vccnz .LBB137_124
; %bb.1:
	s_load_dword s0, s[4:5], 0x198
	s_load_dwordx2 s[44:45], s[4:5], 0x1b0
	s_mov_b64 s[2:3], 0
	s_mov_b64 s[8:9], s[6:7]
	s_waitcnt lgkmcnt(0)
	s_cmp_lt_i32 s0, 2
	s_cbranch_scc1 .LBB137_9
; %bb.2:
	s_mov_b32 s10, 0
	s_add_i32 s19, s0, 1
	s_add_i32 s0, s0, -1
	s_mov_b32 s1, s10
	s_lshl_b64 s[0:1], s[0:1], 3
	s_add_u32 s0, s0, s4
	s_addc_u32 s1, s1, s5
	s_add_u32 s12, s0, 8
	s_addc_u32 s13, s1, 0
	s_mov_b64 s[14:15], s[6:7]
.LBB137_3:                              ; =>This Inner Loop Header: Depth=1
	s_load_dwordx2 s[16:17], s[12:13], 0x0
	s_waitcnt lgkmcnt(0)
	s_or_b64 s[0:1], s[14:15], s[16:17]
	s_mov_b32 s11, s1
	s_cmp_lg_u64 s[10:11], 0
	s_cbranch_scc0 .LBB137_8
; %bb.4:                                ;   in Loop: Header=BB137_3 Depth=1
	v_cvt_f32_u32_e32 v1, s16
	v_cvt_f32_u32_e32 v2, s17
	s_sub_u32 s0, 0, s16
	s_subb_u32 s1, 0, s17
	v_mac_f32_e32 v1, 0x4f800000, v2
	v_rcp_f32_e32 v1, v1
	v_mul_f32_e32 v1, 0x5f7ffffc, v1
	v_mul_f32_e32 v2, 0x2f800000, v1
	v_trunc_f32_e32 v2, v2
	v_mac_f32_e32 v1, 0xcf800000, v2
	v_cvt_u32_f32_e32 v2, v2
	v_cvt_u32_f32_e32 v1, v1
	v_readfirstlane_b32 s8, v2
	v_readfirstlane_b32 s9, v1
	s_mul_i32 s11, s0, s8
	s_mul_hi_u32 s21, s0, s9
	s_mul_i32 s20, s1, s9
	s_add_i32 s11, s21, s11
	s_mul_i32 s22, s0, s9
	s_add_i32 s11, s11, s20
	s_mul_hi_u32 s20, s9, s11
	s_mul_i32 s21, s9, s11
	s_mul_hi_u32 s9, s9, s22
	s_add_u32 s9, s9, s21
	s_addc_u32 s20, 0, s20
	s_mul_hi_u32 s23, s8, s22
	s_mul_i32 s22, s8, s22
	s_add_u32 s9, s9, s22
	s_mul_hi_u32 s21, s8, s11
	s_addc_u32 s9, s20, s23
	s_addc_u32 s20, s21, 0
	s_mul_i32 s11, s8, s11
	s_add_u32 s9, s9, s11
	s_addc_u32 s11, 0, s20
	v_add_co_u32_e32 v1, vcc, s9, v1
	s_cmp_lg_u64 vcc, 0
	s_addc_u32 s8, s8, s11
	v_readfirstlane_b32 s11, v1
	s_mul_i32 s9, s0, s8
	s_mul_hi_u32 s20, s0, s11
	s_add_i32 s9, s20, s9
	s_mul_i32 s1, s1, s11
	s_add_i32 s9, s9, s1
	s_mul_i32 s0, s0, s11
	s_mul_hi_u32 s20, s8, s0
	s_mul_i32 s21, s8, s0
	s_mul_i32 s23, s11, s9
	s_mul_hi_u32 s0, s11, s0
	s_mul_hi_u32 s22, s11, s9
	s_add_u32 s0, s0, s23
	s_addc_u32 s11, 0, s22
	s_add_u32 s0, s0, s21
	s_mul_hi_u32 s1, s8, s9
	s_addc_u32 s0, s11, s20
	s_addc_u32 s1, s1, 0
	s_mul_i32 s9, s8, s9
	s_add_u32 s0, s0, s9
	s_addc_u32 s1, 0, s1
	v_add_co_u32_e32 v1, vcc, s0, v1
	s_cmp_lg_u64 vcc, 0
	s_addc_u32 s0, s8, s1
	v_readfirstlane_b32 s9, v1
	s_mul_i32 s8, s14, s0
	s_mul_hi_u32 s11, s14, s9
	s_mul_hi_u32 s1, s14, s0
	s_add_u32 s8, s11, s8
	s_addc_u32 s1, 0, s1
	s_mul_hi_u32 s20, s15, s9
	s_mul_i32 s9, s15, s9
	s_add_u32 s8, s8, s9
	s_mul_hi_u32 s11, s15, s0
	s_addc_u32 s1, s1, s20
	s_addc_u32 s8, s11, 0
	s_mul_i32 s0, s15, s0
	s_add_u32 s11, s1, s0
	s_addc_u32 s8, 0, s8
	s_mul_i32 s0, s16, s8
	s_mul_hi_u32 s1, s16, s11
	s_add_i32 s0, s1, s0
	s_mul_i32 s1, s17, s11
	s_add_i32 s9, s0, s1
	s_mul_i32 s1, s16, s11
	v_mov_b32_e32 v1, s1
	s_sub_i32 s0, s15, s9
	v_sub_co_u32_e32 v1, vcc, s14, v1
	s_cmp_lg_u64 vcc, 0
	s_subb_u32 s20, s0, s17
	v_subrev_co_u32_e64 v2, s[0:1], s16, v1
	s_cmp_lg_u64 s[0:1], 0
	s_subb_u32 s0, s20, 0
	s_cmp_ge_u32 s0, s17
	v_readfirstlane_b32 s20, v2
	s_cselect_b32 s1, -1, 0
	s_cmp_ge_u32 s20, s16
	s_cselect_b32 s20, -1, 0
	s_cmp_eq_u32 s0, s17
	s_cselect_b32 s0, s20, s1
	s_add_u32 s1, s11, 1
	s_addc_u32 s20, s8, 0
	s_add_u32 s21, s11, 2
	s_addc_u32 s22, s8, 0
	s_cmp_lg_u32 s0, 0
	s_cselect_b32 s0, s21, s1
	s_cselect_b32 s1, s22, s20
	s_cmp_lg_u64 vcc, 0
	s_subb_u32 s9, s15, s9
	s_cmp_ge_u32 s9, s17
	v_readfirstlane_b32 s21, v1
	s_cselect_b32 s20, -1, 0
	s_cmp_ge_u32 s21, s16
	s_cselect_b32 s21, -1, 0
	s_cmp_eq_u32 s9, s17
	s_cselect_b32 s9, s21, s20
	s_cmp_lg_u32 s9, 0
	s_cselect_b32 s9, s1, s8
	s_cselect_b32 s8, s0, s11
	s_cbranch_execnz .LBB137_6
.LBB137_5:                              ;   in Loop: Header=BB137_3 Depth=1
	v_cvt_f32_u32_e32 v1, s16
	s_sub_i32 s0, 0, s16
	v_rcp_iflag_f32_e32 v1, v1
	v_mul_f32_e32 v1, 0x4f7ffffe, v1
	v_cvt_u32_f32_e32 v1, v1
	v_readfirstlane_b32 s1, v1
	s_mul_i32 s0, s0, s1
	s_mul_hi_u32 s0, s1, s0
	s_add_i32 s1, s1, s0
	s_mul_hi_u32 s0, s14, s1
	s_mul_i32 s8, s0, s16
	s_sub_i32 s8, s14, s8
	s_add_i32 s1, s0, 1
	s_sub_i32 s9, s8, s16
	s_cmp_ge_u32 s8, s16
	s_cselect_b32 s0, s1, s0
	s_cselect_b32 s8, s9, s8
	s_add_i32 s1, s0, 1
	s_cmp_ge_u32 s8, s16
	s_cselect_b32 s8, s1, s0
	s_mov_b32 s9, s10
.LBB137_6:                              ;   in Loop: Header=BB137_3 Depth=1
	s_mul_i32 s0, s8, s17
	s_mul_hi_u32 s1, s8, s16
	s_add_i32 s11, s1, s0
	s_load_dwordx2 s[0:1], s[12:13], 0xc8
	s_mul_i32 s17, s9, s16
	s_add_i32 s11, s11, s17
	s_mul_i32 s16, s8, s16
	s_sub_u32 s14, s14, s16
	s_subb_u32 s11, s15, s11
	s_waitcnt lgkmcnt(0)
	s_mul_i32 s11, s0, s11
	s_mul_hi_u32 s15, s0, s14
	s_add_i32 s11, s15, s11
	s_mul_i32 s1, s1, s14
	s_add_i32 s11, s11, s1
	s_mul_i32 s0, s0, s14
	s_add_u32 s2, s0, s2
	s_addc_u32 s3, s11, s3
	s_add_i32 s19, s19, -1
	s_add_u32 s12, s12, -8
	s_addc_u32 s13, s13, -1
	s_cmp_gt_u32 s19, 2
	s_cbranch_scc0 .LBB137_9
; %bb.7:                                ;   in Loop: Header=BB137_3 Depth=1
	s_mov_b64 s[14:15], s[8:9]
	s_branch .LBB137_3
.LBB137_8:                              ;   in Loop: Header=BB137_3 Depth=1
                                        ; implicit-def: $sgpr8_sgpr9
	s_branch .LBB137_5
.LBB137_9:
	s_load_dword s0, s[4:5], 0x350
	s_load_dwordx2 s[10:11], s[4:5], 0xd0
	s_mov_b64 s[16:17], 0
	s_waitcnt lgkmcnt(0)
	s_cmp_lt_i32 s0, 2
	s_cbranch_scc1 .LBB137_17
; %bb.10:
	s_mov_b32 s12, 0
	s_add_i32 s19, s0, 1
	s_add_i32 s0, s0, -1
	s_mov_b32 s1, s12
	s_lshl_b64 s[0:1], s[0:1], 3
	s_add_u32 s0, s0, s4
	s_addc_u32 s1, s1, s5
	s_add_u32 s14, s0, 0x1c0
	s_addc_u32 s15, s1, 0
.LBB137_11:                             ; =>This Inner Loop Header: Depth=1
	s_load_dwordx2 s[22:23], s[14:15], 0x0
	s_waitcnt lgkmcnt(0)
	s_or_b64 s[0:1], s[6:7], s[22:23]
	s_mov_b32 s13, s1
	s_cmp_lg_u64 s[12:13], 0
	s_cbranch_scc0 .LBB137_16
; %bb.12:                               ;   in Loop: Header=BB137_11 Depth=1
	v_cvt_f32_u32_e32 v1, s22
	v_cvt_f32_u32_e32 v2, s23
	s_sub_u32 s0, 0, s22
	s_subb_u32 s1, 0, s23
	v_mac_f32_e32 v1, 0x4f800000, v2
	v_rcp_f32_e32 v1, v1
	v_mul_f32_e32 v1, 0x5f7ffffc, v1
	v_mul_f32_e32 v2, 0x2f800000, v1
	v_trunc_f32_e32 v2, v2
	v_mac_f32_e32 v1, 0xcf800000, v2
	v_cvt_u32_f32_e32 v2, v2
	v_cvt_u32_f32_e32 v1, v1
	v_readfirstlane_b32 s13, v2
	v_readfirstlane_b32 s20, v1
	s_mul_i32 s21, s0, s13
	s_mul_hi_u32 s25, s0, s20
	s_mul_i32 s24, s1, s20
	s_add_i32 s21, s25, s21
	s_mul_i32 s26, s0, s20
	s_add_i32 s21, s21, s24
	s_mul_hi_u32 s24, s20, s21
	s_mul_i32 s25, s20, s21
	s_mul_hi_u32 s20, s20, s26
	s_add_u32 s20, s20, s25
	s_addc_u32 s24, 0, s24
	s_mul_hi_u32 s27, s13, s26
	s_mul_i32 s26, s13, s26
	s_add_u32 s20, s20, s26
	s_mul_hi_u32 s25, s13, s21
	s_addc_u32 s20, s24, s27
	s_addc_u32 s24, s25, 0
	s_mul_i32 s21, s13, s21
	s_add_u32 s20, s20, s21
	s_addc_u32 s21, 0, s24
	v_add_co_u32_e32 v1, vcc, s20, v1
	s_cmp_lg_u64 vcc, 0
	s_addc_u32 s13, s13, s21
	v_readfirstlane_b32 s21, v1
	s_mul_i32 s20, s0, s13
	s_mul_hi_u32 s24, s0, s21
	s_add_i32 s20, s24, s20
	s_mul_i32 s1, s1, s21
	s_add_i32 s20, s20, s1
	s_mul_i32 s0, s0, s21
	s_mul_hi_u32 s24, s13, s0
	s_mul_i32 s25, s13, s0
	s_mul_i32 s27, s21, s20
	s_mul_hi_u32 s0, s21, s0
	s_mul_hi_u32 s26, s21, s20
	s_add_u32 s0, s0, s27
	s_addc_u32 s21, 0, s26
	s_add_u32 s0, s0, s25
	s_mul_hi_u32 s1, s13, s20
	s_addc_u32 s0, s21, s24
	s_addc_u32 s1, s1, 0
	s_mul_i32 s20, s13, s20
	s_add_u32 s0, s0, s20
	s_addc_u32 s1, 0, s1
	v_add_co_u32_e32 v1, vcc, s0, v1
	s_cmp_lg_u64 vcc, 0
	s_addc_u32 s0, s13, s1
	v_readfirstlane_b32 s20, v1
	s_mul_i32 s13, s6, s0
	s_mul_hi_u32 s21, s6, s20
	s_mul_hi_u32 s1, s6, s0
	s_add_u32 s13, s21, s13
	s_addc_u32 s1, 0, s1
	s_mul_hi_u32 s24, s7, s20
	s_mul_i32 s20, s7, s20
	s_add_u32 s13, s13, s20
	s_mul_hi_u32 s21, s7, s0
	s_addc_u32 s1, s1, s24
	s_addc_u32 s13, s21, 0
	s_mul_i32 s0, s7, s0
	s_add_u32 s20, s1, s0
	s_addc_u32 s13, 0, s13
	s_mul_i32 s0, s22, s13
	s_mul_hi_u32 s1, s22, s20
	s_add_i32 s0, s1, s0
	s_mul_i32 s1, s23, s20
	s_add_i32 s21, s0, s1
	s_mul_i32 s1, s22, s20
	v_mov_b32_e32 v1, s1
	s_sub_i32 s0, s7, s21
	v_sub_co_u32_e32 v1, vcc, s6, v1
	s_cmp_lg_u64 vcc, 0
	s_subb_u32 s24, s0, s23
	v_subrev_co_u32_e64 v2, s[0:1], s22, v1
	s_cmp_lg_u64 s[0:1], 0
	s_subb_u32 s0, s24, 0
	s_cmp_ge_u32 s0, s23
	v_readfirstlane_b32 s24, v2
	s_cselect_b32 s1, -1, 0
	s_cmp_ge_u32 s24, s22
	s_cselect_b32 s24, -1, 0
	s_cmp_eq_u32 s0, s23
	s_cselect_b32 s0, s24, s1
	s_add_u32 s1, s20, 1
	s_addc_u32 s24, s13, 0
	s_add_u32 s25, s20, 2
	s_addc_u32 s26, s13, 0
	s_cmp_lg_u32 s0, 0
	s_cselect_b32 s0, s25, s1
	s_cselect_b32 s1, s26, s24
	s_cmp_lg_u64 vcc, 0
	s_subb_u32 s21, s7, s21
	s_cmp_ge_u32 s21, s23
	v_readfirstlane_b32 s25, v1
	s_cselect_b32 s24, -1, 0
	s_cmp_ge_u32 s25, s22
	s_cselect_b32 s25, -1, 0
	s_cmp_eq_u32 s21, s23
	s_cselect_b32 s21, s25, s24
	s_cmp_lg_u32 s21, 0
	s_cselect_b32 s21, s1, s13
	s_cselect_b32 s20, s0, s20
	s_cbranch_execnz .LBB137_14
.LBB137_13:                             ;   in Loop: Header=BB137_11 Depth=1
	v_cvt_f32_u32_e32 v1, s22
	s_sub_i32 s0, 0, s22
	s_mov_b32 s21, s12
	v_rcp_iflag_f32_e32 v1, v1
	v_mul_f32_e32 v1, 0x4f7ffffe, v1
	v_cvt_u32_f32_e32 v1, v1
	v_readfirstlane_b32 s1, v1
	s_mul_i32 s0, s0, s1
	s_mul_hi_u32 s0, s1, s0
	s_add_i32 s1, s1, s0
	s_mul_hi_u32 s0, s6, s1
	s_mul_i32 s13, s0, s22
	s_sub_i32 s13, s6, s13
	s_add_i32 s1, s0, 1
	s_sub_i32 s20, s13, s22
	s_cmp_ge_u32 s13, s22
	s_cselect_b32 s0, s1, s0
	s_cselect_b32 s13, s20, s13
	s_add_i32 s1, s0, 1
	s_cmp_ge_u32 s13, s22
	s_cselect_b32 s20, s1, s0
.LBB137_14:                             ;   in Loop: Header=BB137_11 Depth=1
	s_mul_i32 s0, s20, s23
	s_mul_hi_u32 s1, s20, s22
	s_add_i32 s13, s1, s0
	s_load_dwordx2 s[0:1], s[14:15], 0xc8
	s_mul_i32 s23, s21, s22
	s_add_i32 s13, s13, s23
	s_mul_i32 s22, s20, s22
	s_sub_u32 s6, s6, s22
	s_subb_u32 s7, s7, s13
	s_waitcnt lgkmcnt(0)
	s_mul_i32 s7, s0, s7
	s_mul_hi_u32 s13, s0, s6
	s_add_i32 s7, s13, s7
	s_mul_i32 s1, s1, s6
	s_add_i32 s7, s7, s1
	s_mul_i32 s0, s0, s6
	s_add_u32 s16, s0, s16
	s_addc_u32 s17, s7, s17
	s_add_i32 s19, s19, -1
	s_add_u32 s14, s14, -8
	s_addc_u32 s15, s15, -1
	s_cmp_gt_u32 s19, 2
	s_cbranch_scc0 .LBB137_18
; %bb.15:                               ;   in Loop: Header=BB137_11 Depth=1
	s_mov_b64 s[6:7], s[20:21]
	s_branch .LBB137_11
.LBB137_16:                             ;   in Loop: Header=BB137_11 Depth=1
                                        ; implicit-def: $sgpr20_sgpr21
	s_branch .LBB137_13
.LBB137_17:
	s_mov_b64 s[20:21], s[6:7]
.LBB137_18:
	s_mul_i32 s0, s10, s9
	s_load_dword s9, s[4:5], 0x360
	s_load_dwordx2 s[6:7], s[4:5], 0x0
	s_mul_hi_u32 s1, s10, s8
	s_add_i32 s0, s1, s0
	s_mul_i32 s1, s11, s8
	s_add_i32 s1, s0, s1
	s_waitcnt lgkmcnt(0)
	s_bitcmp1_b32 s9, 0
	s_cselect_b64 s[34:35], -1, 0
	s_mul_i32 s0, s10, s8
	s_brev_b32 s10, 1
	s_and_b64 s[8:9], s[34:35], exec
	s_cselect_b32 s8, s10, 0x7fffffff
	s_lshl_b64 s[0:1], s[0:1], 2
	s_add_u32 s6, s6, s0
	s_addc_u32 s7, s7, s1
	s_lshl_b64 s[0:1], s[2:3], 2
	s_mov_b32 s9, s8
	s_add_u32 s33, s6, s0
	v_and_b32_e32 v34, 0x3ff, v0
	s_mov_b32 s10, s8
	s_mov_b32 s11, s8
	;; [unrolled: 1-line block ×6, first 2 shown]
	v_pk_mov_b32 v[2:3], s[8:9], s[8:9] op_sel:[0,1]
	s_addc_u32 s50, s7, s1
	v_cmp_gt_u32_e64 s[0:1], s18, v34
	v_pk_mov_b32 v[4:5], s[10:11], s[10:11] op_sel:[0,1]
	v_pk_mov_b32 v[6:7], s[12:13], s[12:13] op_sel:[0,1]
	;; [unrolled: 1-line block ×3, first 2 shown]
	v_mov_b32_e32 v10, s8
	s_and_saveexec_b64 s[2:3], s[0:1]
	s_cbranch_execz .LBB137_20
; %bb.19:
	v_mad_u64_u32 v[2:3], s[6:7], v34, s44, 0
	v_mov_b32_e32 v4, v3
	v_mad_u64_u32 v[4:5], s[6:7], v34, s45, v[4:5]
	v_mov_b32_e32 v3, v4
	v_lshlrev_b64 v[2:3], 2, v[2:3]
	v_mov_b32_e32 v1, s50
	v_add_co_u32_e32 v2, vcc, s33, v2
	v_addc_co_u32_e32 v3, vcc, v1, v3, vcc
	global_load_dword v10, v[2:3], off
	v_pk_mov_b32 v[2:3], s[8:9], s[8:9] op_sel:[0,1]
	v_pk_mov_b32 v[4:5], s[10:11], s[10:11] op_sel:[0,1]
	;; [unrolled: 1-line block ×4, first 2 shown]
                                        ; kill: def $vgpr2 killed $vgpr10 killed $exec
.LBB137_20:
	s_or_b64 exec, exec, s[2:3]
	v_add_u32_e32 v24, 0x80, v34
	v_cmp_gt_u32_e64 s[2:3], s18, v24
	s_and_saveexec_b64 s[6:7], s[2:3]
	s_cbranch_execz .LBB137_22
; %bb.21:
	v_mad_u64_u32 v[2:3], s[8:9], v24, s44, 0
	v_mov_b32_e32 v12, v3
	v_mad_u64_u32 v[12:13], s[8:9], v24, s45, v[12:13]
	v_mov_b32_e32 v3, v12
	v_lshlrev_b64 v[2:3], 2, v[2:3]
	v_mov_b32_e32 v1, s50
	v_add_co_u32_e32 v2, vcc, s33, v2
	v_addc_co_u32_e32 v3, vcc, v1, v3, vcc
	global_load_dword v3, v[2:3], off
.LBB137_22:
	s_or_b64 exec, exec, s[6:7]
	v_add_u32_e32 v22, 0x100, v34
	v_cmp_gt_u32_e64 s[42:43], s18, v22
	s_and_saveexec_b64 s[6:7], s[42:43]
	s_cbranch_execz .LBB137_24
; %bb.23:
	v_mad_u64_u32 v[12:13], s[8:9], v22, s44, 0
	v_mov_b32_e32 v2, v13
	s_waitcnt vmcnt(0)
	v_mad_u64_u32 v[14:15], s[8:9], v22, s45, v[2:3]
	v_mov_b32_e32 v13, v14
	v_lshlrev_b64 v[12:13], 2, v[12:13]
	v_mov_b32_e32 v1, s50
	v_add_co_u32_e32 v12, vcc, s33, v12
	v_addc_co_u32_e32 v13, vcc, v1, v13, vcc
	global_load_dword v4, v[12:13], off
.LBB137_24:
	s_or_b64 exec, exec, s[6:7]
	v_add_u32_e32 v21, 0x180, v34
	v_cmp_gt_u32_e64 s[6:7], s18, v21
	s_and_saveexec_b64 s[8:9], s[6:7]
	s_cbranch_execz .LBB137_26
; %bb.25:
	v_mad_u64_u32 v[12:13], s[10:11], v21, s44, 0
	v_mov_b32_e32 v2, v13
	s_waitcnt vmcnt(0)
	v_mad_u64_u32 v[14:15], s[10:11], v21, s45, v[2:3]
	v_mov_b32_e32 v13, v14
	v_lshlrev_b64 v[12:13], 2, v[12:13]
	v_mov_b32_e32 v1, s50
	v_add_co_u32_e32 v12, vcc, s33, v12
	v_addc_co_u32_e32 v13, vcc, v1, v13, vcc
	global_load_dword v5, v[12:13], off
.LBB137_26:
	;; [unrolled: 17-line block ×4, first 2 shown]
	s_or_b64 exec, exec, s[12:13]
	s_load_dwordx2 s[24:25], s[4:5], 0x288
	s_load_dwordx2 s[22:23], s[4:5], 0x1b8
	v_add_u32_e32 v19, 0x300, v34
	v_cmp_gt_u32_e64 s[12:13], s18, v19
	s_and_saveexec_b64 s[14:15], s[12:13]
	s_cbranch_execz .LBB137_32
; %bb.31:
	v_mad_u64_u32 v[12:13], s[26:27], v19, s44, 0
	v_mov_b32_e32 v2, v13
	s_waitcnt vmcnt(0)
	v_mad_u64_u32 v[14:15], s[26:27], v19, s45, v[2:3]
	v_mov_b32_e32 v13, v14
	v_lshlrev_b64 v[12:13], 2, v[12:13]
	v_mov_b32_e32 v1, s50
	v_add_co_u32_e32 v12, vcc, s33, v12
	v_addc_co_u32_e32 v13, vcc, v1, v13, vcc
	global_load_dword v8, v[12:13], off
.LBB137_32:
	s_or_b64 exec, exec, s[14:15]
	v_add_u32_e32 v1, 0x380, v34
	v_cmp_gt_u32_e64 s[14:15], s18, v1
	s_and_saveexec_b64 s[18:19], s[14:15]
	s_cbranch_execz .LBB137_34
; %bb.33:
	v_mad_u64_u32 v[12:13], s[26:27], v1, s44, 0
	v_mov_b32_e32 v2, v13
	s_waitcnt vmcnt(0)
	v_mad_u64_u32 v[14:15], s[26:27], v1, s45, v[2:3]
	v_mov_b32_e32 v13, v14
	v_lshlrev_b64 v[12:13], 2, v[12:13]
	v_mov_b32_e32 v2, s50
	v_add_co_u32_e32 v12, vcc, s33, v12
	v_addc_co_u32_e32 v13, vcc, v2, v13, vcc
	global_load_dword v9, v[12:13], off
.LBB137_34:
	s_or_b64 exec, exec, s[18:19]
	v_lshrrev_b32_e32 v2, 5, v34
	v_add_u32_e32 v32, v2, v34
	v_lshrrev_b32_e32 v2, 5, v24
	v_add_u32_e32 v31, v2, v34
	;; [unrolled: 2-line block ×7, first 2 shown]
	v_lshrrev_b32_e32 v2, 5, v1
	s_waitcnt lgkmcnt(0)
	s_mul_i32 s18, s24, s21
	s_mul_hi_u32 s19, s24, s20
	v_add_u32_e32 v23, v2, v34
	v_lshlrev_b32_e32 v80, 3, v34
	v_lshrrev_b32_e32 v2, 2, v34
	s_add_i32 s18, s19, s18
	s_mul_i32 s19, s25, s20
	v_add_u32_e32 v26, v2, v80
	s_add_i32 s19, s18, s19
	s_mul_i32 s18, s24, s20
	v_lshlrev_b32_e32 v35, 2, v32
	v_lshlrev_b32_e32 v68, 2, v31
	;; [unrolled: 1-line block ×9, first 2 shown]
	s_lshl_b64 s[18:19], s[18:19], 3
	s_waitcnt vmcnt(0)
	ds_write_b32 v35, v10
	ds_write_b32 v68, v3 offset:512
	ds_write_b32 v69, v4 offset:1024
	;; [unrolled: 1-line block ×7, first 2 shown]
	s_waitcnt lgkmcnt(0)
	s_barrier
	ds_read2_b32 v[42:43], v75 offset1:1
	ds_read2_b32 v[40:41], v75 offset0:2 offset1:3
	ds_read2_b32 v[38:39], v75 offset0:4 offset1:5
	;; [unrolled: 1-line block ×3, first 2 shown]
	s_add_u32 s18, s22, s18
	s_addc_u32 s19, s23, s19
	s_lshl_b64 s[16:17], s[16:17], 3
	s_load_dwordx2 s[46:47], s[4:5], 0x358
	s_add_u32 s51, s18, s16
	s_mov_b32 s16, 0
	s_addc_u32 s52, s19, s17
	s_mov_b32 s17, s16
	s_mov_b32 s18, s16
	;; [unrolled: 1-line block ×15, first 2 shown]
	v_pk_mov_b32 v[2:3], s[16:17], s[16:17] op_sel:[0,1]
	v_pk_mov_b32 v[4:5], s[18:19], s[18:19] op_sel:[0,1]
	;; [unrolled: 1-line block ×8, first 2 shown]
	v_pk_mov_b32 v[2:3], 0, 0
	s_waitcnt lgkmcnt(0)
	s_barrier
	s_and_saveexec_b64 s[4:5], s[0:1]
	s_cbranch_execnz .LBB137_71
; %bb.35:
	s_or_b64 exec, exec, s[4:5]
	s_and_saveexec_b64 s[4:5], s[2:3]
	s_cbranch_execnz .LBB137_72
.LBB137_36:
	s_or_b64 exec, exec, s[4:5]
	s_and_saveexec_b64 s[4:5], s[42:43]
	s_cbranch_execnz .LBB137_73
.LBB137_37:
	s_or_b64 exec, exec, s[4:5]
	s_and_saveexec_b64 s[4:5], s[6:7]
	s_cbranch_execnz .LBB137_74
.LBB137_38:
	s_or_b64 exec, exec, s[4:5]
	s_and_saveexec_b64 s[4:5], s[8:9]
	s_cbranch_execnz .LBB137_75
.LBB137_39:
	s_or_b64 exec, exec, s[4:5]
	s_and_saveexec_b64 s[4:5], s[10:11]
	s_cbranch_execnz .LBB137_76
.LBB137_40:
	s_or_b64 exec, exec, s[4:5]
	s_and_saveexec_b64 s[4:5], s[12:13]
	s_cbranch_execnz .LBB137_77
.LBB137_41:
	s_or_b64 exec, exec, s[4:5]
	s_xor_b64 s[4:5], s[34:35], -1
	s_and_saveexec_b64 s[16:17], s[14:15]
	s_cbranch_execz .LBB137_43
.LBB137_42:
	v_mad_u64_u32 v[16:17], s[18:19], v1, s46, 0
	v_mov_b32_e32 v18, v17
	v_mad_u64_u32 v[18:19], s[18:19], v1, s47, v[18:19]
	v_mov_b32_e32 v17, v18
	v_lshlrev_b64 v[16:17], 3, v[16:17]
	v_mov_b32_e32 v1, s52
	v_add_co_u32_e32 v16, vcc, s51, v16
	v_addc_co_u32_e32 v17, vcc, v1, v17, vcc
	global_load_dwordx2 v[16:17], v[16:17], off
.LBB137_43:
	s_or_b64 exec, exec, s[16:17]
	v_lshlrev_b32_e32 v76, 3, v32
	v_lshlrev_b32_e32 v77, 3, v31
	;; [unrolled: 1-line block ×9, first 2 shown]
	s_waitcnt vmcnt(0)
	ds_write_b64 v76, v[2:3]
	ds_write_b64 v77, v[4:5] offset:1024
	ds_write_b64 v78, v[6:7] offset:2048
	;; [unrolled: 1-line block ×7, first 2 shown]
	s_waitcnt lgkmcnt(0)
	s_barrier
	ds_read2_b64 v[14:17], v85 offset1:1
	ds_read2_b64 v[10:13], v85 offset0:2 offset1:3
	ds_read2_b64 v[6:9], v85 offset0:4 offset1:5
	;; [unrolled: 1-line block ×3, first 2 shown]
	v_mbcnt_lo_u32_b32 v1, -1, 0
	v_mbcnt_hi_u32_b32 v88, -1, v1
	v_and_b32_e32 v1, 0x3c0, v34
	v_add_u32_e32 v18, v88, v1
	v_lshlrev_b32_e32 v19, 3, v18
	v_lshlrev_b32_e32 v102, 5, v18
	v_and_b32_e32 v18, 0x1e00, v80
	v_or_b32_e32 v20, v88, v18
	s_mov_b32 s53, 0
	v_lshlrev_b32_e32 v101, 2, v20
	s_and_b64 vcc, exec, s[4:5]
	v_bfe_u32 v97, v0, 10, 10
	v_bfe_u32 v98, v0, 20, 10
	v_lshlrev_b32_e32 v100, 3, v19
	v_lshlrev_b32_e32 v99, 3, v20
	;; [unrolled: 1-line block ×4, first 2 shown]
	v_and_b32_e32 v93, 15, v88
	v_and_b32_e32 v94, 16, v88
	v_cmp_lt_u32_e64 s[16:17], 31, v88
	v_min_u32_e32 v95, 64, v1
	v_cmp_gt_u32_e64 s[18:19], 2, v34
	v_cmp_lt_u32_e64 s[20:21], 63, v34
	v_add_u32_e32 v90, -1, v88
	v_and_b32_e32 v96, 64, v88
	v_cmp_eq_u32_e64 s[22:23], 0, v88
	v_cmp_eq_u32_e64 s[24:25], 0, v34
	v_lshrrev_b32_e32 v91, 4, v34
	v_and_b32_e32 v92, 1, v88
	v_and_or_b32 v89, v88, 63, v18
	s_waitcnt lgkmcnt(0)
	s_barrier
	s_cbranch_vccz .LBB137_78
; %bb.44:
	v_xor_b32_e32 v0, 0x80000000, v43
	v_xor_b32_e32 v1, 0x80000000, v42
	;; [unrolled: 1-line block ×8, first 2 shown]
	ds_write2_b32 v102, v1, v0 offset1:1
	ds_write2_b32 v102, v19, v18 offset0:2 offset1:3
	ds_write2_b32 v102, v21, v20 offset0:4 offset1:5
	;; [unrolled: 1-line block ×3, first 2 shown]
	; wave barrier
	ds_read2st64_b32 v[60:61], v101 offset1:1
	ds_read2st64_b32 v[62:63], v101 offset0:2 offset1:3
	ds_read2st64_b32 v[64:65], v101 offset0:4 offset1:5
	ds_read2st64_b32 v[66:67], v101 offset0:6 offset1:7
	s_waitcnt lgkmcnt(0)
	s_barrier
	ds_write2_b64 v100, v[14:15], v[16:17] offset1:1
	ds_write2_b64 v100, v[10:11], v[12:13] offset0:2 offset1:3
	ds_write2_b64 v100, v[6:7], v[8:9] offset0:4 offset1:5
	;; [unrolled: 1-line block ×3, first 2 shown]
	; wave barrier
	ds_read2st64_b64 v[18:21], v99 offset1:1
	ds_read2st64_b64 v[22:25], v99 offset0:2 offset1:3
	ds_read2st64_b64 v[26:29], v99 offset0:4 offset1:5
	;; [unrolled: 1-line block ×3, first 2 shown]
	s_waitcnt lgkmcnt(0)
	s_barrier
	s_load_dword s26, s[48:49], 0xc
	s_getpc_b64 s[4:5]
	s_add_u32 s4, s4, _ZN7rocprim17ROCPRIM_400000_NS16block_radix_sortIiLj128ELj8ElLj1ELj1ELj0ELNS0_26block_radix_rank_algorithmE1ELNS0_18block_padding_hintE2ELNS0_4arch9wavefront6targetE1EE19radix_bits_per_passE@rel32@lo+4
	s_addc_u32 s5, s5, _ZN7rocprim17ROCPRIM_400000_NS16block_radix_sortIiLj128ELj8ElLj1ELj1ELj0ELNS0_26block_radix_rank_algorithmE1ELNS0_18block_padding_hintE2ELNS0_4arch9wavefront6targetE1EE19radix_bits_per_passE@rel32@hi+12
	s_load_dword s54, s[4:5], 0x0
	v_cmp_lt_i32_e32 vcc, v90, v96
	v_and_b32_e32 v106, 60, v91
	s_waitcnt lgkmcnt(0)
	s_lshr_b32 s4, s26, 16
	s_and_b32 s5, s26, 0xffff
	v_mad_u32_u24 v0, v98, s4, v97
	v_mad_u64_u32 v[0:1], s[4:5], v0, s5, v[34:35]
	v_lshrrev_b32_e32 v104, 6, v0
	v_or_b32_e32 v0, 63, v95
	v_cmp_eq_u32_e64 s[38:39], v0, v34
	v_cndmask_b32_e32 v0, v90, v88, vcc
	v_or_b32_e32 v103, 8, v87
	v_cmp_eq_u32_e64 s[26:27], 0, v93
	v_cmp_lt_u32_e64 s[28:29], 1, v93
	v_cmp_lt_u32_e64 s[30:31], 3, v93
	;; [unrolled: 1-line block ×3, first 2 shown]
	v_cmp_eq_u32_e64 s[36:37], 0, v94
	v_lshlrev_b32_e32 v105, 2, v0
	v_cmp_eq_u32_e64 s[40:41], 0, v92
	v_add_u32_e32 v107, -4, v106
	v_lshlrev_b32_e32 v108, 2, v89
	v_lshlrev_b32_e32 v109, 3, v89
	s_mov_b32 s55, 32
	v_mov_b32_e32 v58, 0
	s_branch .LBB137_46
.LBB137_45:                             ;   in Loop: Header=BB137_46 Depth=1
	v_lshlrev_b32_e32 v18, 2, v59
	s_barrier
	ds_write_b32 v18, v117
	v_lshlrev_b32_e32 v18, 2, v119
	ds_write_b32 v18, v116
	v_lshlrev_b32_e32 v18, 2, v120
	;; [unrolled: 2-line block ×8, first 2 shown]
	s_waitcnt lgkmcnt(0)
	s_barrier
	ds_read2st64_b32 v[60:61], v108 offset1:1
	ds_read2st64_b32 v[62:63], v108 offset0:2 offset1:3
	ds_read2st64_b32 v[64:65], v108 offset0:4 offset1:5
	;; [unrolled: 1-line block ×3, first 2 shown]
	s_waitcnt lgkmcnt(0)
	s_barrier
	ds_write_b64 v18, v[56:57]
	v_lshlrev_b32_e32 v18, 3, v119
	ds_write_b64 v18, v[54:55]
	v_lshlrev_b32_e32 v18, 3, v120
	;; [unrolled: 2-line block ×7, first 2 shown]
	ds_write_b64 v18, v[0:1]
	s_waitcnt lgkmcnt(0)
	s_barrier
	ds_read2st64_b64 v[18:21], v109 offset1:1
	ds_read2st64_b64 v[22:25], v109 offset0:2 offset1:3
	ds_read2st64_b64 v[26:29], v109 offset0:4 offset1:5
	;; [unrolled: 1-line block ×3, first 2 shown]
	s_add_i32 s53, s53, 8
	s_add_i32 s55, s55, -8
	s_waitcnt lgkmcnt(0)
	s_barrier
	s_cbranch_execz .LBB137_70
.LBB137_46:                             ; =>This Inner Loop Header: Depth=1
	s_min_u32 s4, s54, s55
	v_mov_b32_e32 v117, v60
	s_lshl_b32 s4, -1, s4
	v_pk_mov_b32 v[56:57], v[18:19], v[18:19] op_sel:[0,1]
	s_not_b32 s56, s4
	v_lshrrev_b32_e32 v18, s53, v117
	v_and_b32_e32 v18, s56, v18
	v_lshl_add_u32 v19, v18, 1, v104
	v_pk_mov_b32 v[52:53], v[22:23], v[22:23] op_sel:[0,1]
	v_lshl_add_u32 v22, v19, 2, 8
	v_and_b32_e32 v19, 1, v18
	v_pk_mov_b32 v[54:55], v[20:21], v[20:21] op_sel:[0,1]
	v_add_co_u32_e32 v20, vcc, -1, v19
	v_addc_co_u32_e64 v21, s[4:5], 0, -1, vcc
	v_cmp_ne_u32_e32 vcc, 0, v19
	v_lshlrev_b32_e32 v59, 30, v18
	v_xor_b32_e32 v19, vcc_hi, v21
	v_not_b32_e32 v21, v59
	v_xor_b32_e32 v20, vcc_lo, v20
	v_cmp_gt_i64_e32 vcc, 0, v[58:59]
	v_ashrrev_i32_e32 v21, 31, v21
	v_and_b32_e32 v20, exec_lo, v20
	v_xor_b32_e32 v23, vcc_hi, v21
	v_xor_b32_e32 v21, vcc_lo, v21
	v_lshlrev_b32_e32 v59, 29, v18
	v_and_b32_e32 v20, v20, v21
	v_not_b32_e32 v21, v59
	v_and_b32_e32 v19, exec_hi, v19
	v_cmp_gt_i64_e32 vcc, 0, v[58:59]
	v_ashrrev_i32_e32 v21, 31, v21
	v_and_b32_e32 v19, v19, v23
	v_xor_b32_e32 v23, vcc_hi, v21
	v_xor_b32_e32 v21, vcc_lo, v21
	v_lshlrev_b32_e32 v59, 28, v18
	v_and_b32_e32 v20, v20, v21
	v_not_b32_e32 v21, v59
	v_cmp_gt_i64_e32 vcc, 0, v[58:59]
	v_ashrrev_i32_e32 v21, 31, v21
	v_and_b32_e32 v19, v19, v23
	v_xor_b32_e32 v23, vcc_hi, v21
	v_xor_b32_e32 v21, vcc_lo, v21
	v_lshlrev_b32_e32 v59, 27, v18
	v_and_b32_e32 v20, v20, v21
	v_not_b32_e32 v21, v59
	;; [unrolled: 8-line block ×3, first 2 shown]
	v_cmp_gt_i64_e32 vcc, 0, v[58:59]
	v_ashrrev_i32_e32 v21, 31, v21
	v_and_b32_e32 v19, v19, v23
	v_xor_b32_e32 v23, vcc_hi, v21
	v_xor_b32_e32 v21, vcc_lo, v21
	v_lshlrev_b32_e32 v59, 25, v18
	v_and_b32_e32 v20, v20, v21
	v_cmp_gt_i64_e32 vcc, 0, v[58:59]
	v_not_b32_e32 v21, v59
	v_lshlrev_b32_e32 v59, 24, v18
	v_ashrrev_i32_e32 v21, 31, v21
	v_not_b32_e32 v18, v59
	v_and_b32_e32 v19, v19, v23
	v_xor_b32_e32 v23, vcc_hi, v21
	v_xor_b32_e32 v21, vcc_lo, v21
	v_cmp_gt_i64_e32 vcc, 0, v[58:59]
	v_ashrrev_i32_e32 v18, 31, v18
	v_and_b32_e32 v20, v20, v21
	v_xor_b32_e32 v21, vcc_hi, v18
	v_xor_b32_e32 v18, vcc_lo, v18
	v_and_b32_e32 v19, v19, v23
	v_and_b32_e32 v18, v20, v18
	;; [unrolled: 1-line block ×3, first 2 shown]
	v_mbcnt_lo_u32_b32 v20, v18, 0
	v_mbcnt_hi_u32_b32 v23, v19, v20
	v_cmp_eq_u32_e32 vcc, 0, v23
	v_cmp_ne_u64_e64 s[4:5], 0, v[18:19]
	v_mov_b32_e32 v110, v67
	v_mov_b32_e32 v111, v66
	;; [unrolled: 1-line block ×7, first 2 shown]
	v_pk_mov_b32 v[0:1], v[32:33], v[32:33] op_sel:[0,1]
	v_pk_mov_b32 v[44:45], v[30:31], v[30:31] op_sel:[0,1]
	;; [unrolled: 1-line block ×5, first 2 shown]
	s_and_b64 s[58:59], s[4:5], vcc
	ds_write2_b32 v87, v58, v58 offset0:2 offset1:3
	ds_write2_b32 v103, v58, v58 offset0:2 offset1:3
	s_waitcnt lgkmcnt(0)
	s_barrier
	s_waitcnt lgkmcnt(0)
	; wave barrier
	s_and_saveexec_b64 s[4:5], s[58:59]
	s_cbranch_execz .LBB137_48
; %bb.47:                               ;   in Loop: Header=BB137_46 Depth=1
	v_bcnt_u32_b32 v18, v18, 0
	v_bcnt_u32_b32 v18, v19, v18
	ds_write_b32 v22, v18
.LBB137_48:                             ;   in Loop: Header=BB137_46 Depth=1
	s_or_b64 exec, exec, s[4:5]
	v_lshrrev_b32_e32 v18, s53, v116
	v_and_b32_e32 v18, s56, v18
	v_lshlrev_b32_e32 v19, 1, v18
	v_add_lshl_u32 v19, v19, v104, 2
	; wave barrier
	v_add_u32_e32 v25, 8, v19
	ds_read_b32 v24, v19 offset:8
	v_and_b32_e32 v19, 1, v18
	v_add_co_u32_e32 v20, vcc, -1, v19
	v_addc_co_u32_e64 v21, s[4:5], 0, -1, vcc
	v_cmp_ne_u32_e32 vcc, 0, v19
	v_lshlrev_b32_e32 v59, 30, v18
	v_xor_b32_e32 v19, vcc_hi, v21
	v_not_b32_e32 v21, v59
	v_xor_b32_e32 v20, vcc_lo, v20
	v_cmp_gt_i64_e32 vcc, 0, v[58:59]
	v_ashrrev_i32_e32 v21, 31, v21
	v_and_b32_e32 v20, exec_lo, v20
	v_xor_b32_e32 v26, vcc_hi, v21
	v_xor_b32_e32 v21, vcc_lo, v21
	v_lshlrev_b32_e32 v59, 29, v18
	v_and_b32_e32 v20, v20, v21
	v_not_b32_e32 v21, v59
	v_and_b32_e32 v19, exec_hi, v19
	v_cmp_gt_i64_e32 vcc, 0, v[58:59]
	v_ashrrev_i32_e32 v21, 31, v21
	v_and_b32_e32 v19, v19, v26
	v_xor_b32_e32 v26, vcc_hi, v21
	v_xor_b32_e32 v21, vcc_lo, v21
	v_lshlrev_b32_e32 v59, 28, v18
	v_and_b32_e32 v20, v20, v21
	v_not_b32_e32 v21, v59
	v_cmp_gt_i64_e32 vcc, 0, v[58:59]
	v_ashrrev_i32_e32 v21, 31, v21
	v_and_b32_e32 v19, v19, v26
	v_xor_b32_e32 v26, vcc_hi, v21
	v_xor_b32_e32 v21, vcc_lo, v21
	v_lshlrev_b32_e32 v59, 27, v18
	v_and_b32_e32 v20, v20, v21
	v_not_b32_e32 v21, v59
	;; [unrolled: 8-line block ×3, first 2 shown]
	v_cmp_gt_i64_e32 vcc, 0, v[58:59]
	v_ashrrev_i32_e32 v21, 31, v21
	v_and_b32_e32 v19, v19, v26
	v_xor_b32_e32 v26, vcc_hi, v21
	v_xor_b32_e32 v21, vcc_lo, v21
	v_lshlrev_b32_e32 v59, 25, v18
	v_and_b32_e32 v20, v20, v21
	v_cmp_gt_i64_e32 vcc, 0, v[58:59]
	v_not_b32_e32 v21, v59
	v_lshlrev_b32_e32 v59, 24, v18
	v_ashrrev_i32_e32 v21, 31, v21
	v_not_b32_e32 v18, v59
	v_and_b32_e32 v19, v19, v26
	v_xor_b32_e32 v26, vcc_hi, v21
	v_xor_b32_e32 v21, vcc_lo, v21
	v_cmp_gt_i64_e32 vcc, 0, v[58:59]
	v_ashrrev_i32_e32 v18, 31, v18
	v_and_b32_e32 v20, v20, v21
	v_xor_b32_e32 v21, vcc_hi, v18
	v_xor_b32_e32 v18, vcc_lo, v18
	v_and_b32_e32 v19, v19, v26
	v_and_b32_e32 v18, v20, v18
	;; [unrolled: 1-line block ×3, first 2 shown]
	v_mbcnt_lo_u32_b32 v20, v18, 0
	v_mbcnt_hi_u32_b32 v26, v19, v20
	v_cmp_eq_u32_e32 vcc, 0, v26
	v_cmp_ne_u64_e64 s[4:5], 0, v[18:19]
	s_and_b64 s[58:59], s[4:5], vcc
	; wave barrier
	s_and_saveexec_b64 s[4:5], s[58:59]
	s_cbranch_execz .LBB137_50
; %bb.49:                               ;   in Loop: Header=BB137_46 Depth=1
	v_bcnt_u32_b32 v18, v18, 0
	v_bcnt_u32_b32 v18, v19, v18
	s_waitcnt lgkmcnt(0)
	v_add_u32_e32 v18, v24, v18
	ds_write_b32 v25, v18
.LBB137_50:                             ;   in Loop: Header=BB137_46 Depth=1
	s_or_b64 exec, exec, s[4:5]
	v_lshrrev_b32_e32 v18, s53, v115
	v_and_b32_e32 v18, s56, v18
	v_lshlrev_b32_e32 v19, 1, v18
	v_add_lshl_u32 v19, v19, v104, 2
	; wave barrier
	v_add_u32_e32 v28, 8, v19
	ds_read_b32 v27, v19 offset:8
	v_and_b32_e32 v19, 1, v18
	v_add_co_u32_e32 v20, vcc, -1, v19
	v_addc_co_u32_e64 v21, s[4:5], 0, -1, vcc
	v_cmp_ne_u32_e32 vcc, 0, v19
	v_lshlrev_b32_e32 v59, 30, v18
	v_xor_b32_e32 v19, vcc_hi, v21
	v_not_b32_e32 v21, v59
	v_xor_b32_e32 v20, vcc_lo, v20
	v_cmp_gt_i64_e32 vcc, 0, v[58:59]
	v_ashrrev_i32_e32 v21, 31, v21
	v_and_b32_e32 v20, exec_lo, v20
	v_xor_b32_e32 v29, vcc_hi, v21
	v_xor_b32_e32 v21, vcc_lo, v21
	v_lshlrev_b32_e32 v59, 29, v18
	v_and_b32_e32 v20, v20, v21
	v_not_b32_e32 v21, v59
	v_and_b32_e32 v19, exec_hi, v19
	v_cmp_gt_i64_e32 vcc, 0, v[58:59]
	v_ashrrev_i32_e32 v21, 31, v21
	v_and_b32_e32 v19, v19, v29
	v_xor_b32_e32 v29, vcc_hi, v21
	v_xor_b32_e32 v21, vcc_lo, v21
	v_lshlrev_b32_e32 v59, 28, v18
	v_and_b32_e32 v20, v20, v21
	v_not_b32_e32 v21, v59
	v_cmp_gt_i64_e32 vcc, 0, v[58:59]
	v_ashrrev_i32_e32 v21, 31, v21
	v_and_b32_e32 v19, v19, v29
	v_xor_b32_e32 v29, vcc_hi, v21
	v_xor_b32_e32 v21, vcc_lo, v21
	v_lshlrev_b32_e32 v59, 27, v18
	v_and_b32_e32 v20, v20, v21
	v_not_b32_e32 v21, v59
	v_cmp_gt_i64_e32 vcc, 0, v[58:59]
	v_ashrrev_i32_e32 v21, 31, v21
	v_and_b32_e32 v19, v19, v29
	v_xor_b32_e32 v29, vcc_hi, v21
	v_xor_b32_e32 v21, vcc_lo, v21
	v_lshlrev_b32_e32 v59, 26, v18
	v_and_b32_e32 v20, v20, v21
	v_not_b32_e32 v21, v59
	v_cmp_gt_i64_e32 vcc, 0, v[58:59]
	v_ashrrev_i32_e32 v21, 31, v21
	v_and_b32_e32 v19, v19, v29
	v_xor_b32_e32 v29, vcc_hi, v21
	v_xor_b32_e32 v21, vcc_lo, v21
	v_lshlrev_b32_e32 v59, 25, v18
	v_and_b32_e32 v20, v20, v21
	v_cmp_gt_i64_e32 vcc, 0, v[58:59]
	v_not_b32_e32 v21, v59
	v_lshlrev_b32_e32 v59, 24, v18
	v_ashrrev_i32_e32 v21, 31, v21
	v_not_b32_e32 v18, v59
	v_and_b32_e32 v19, v19, v29
	v_xor_b32_e32 v29, vcc_hi, v21
	v_xor_b32_e32 v21, vcc_lo, v21
	v_cmp_gt_i64_e32 vcc, 0, v[58:59]
	v_ashrrev_i32_e32 v18, 31, v18
	v_and_b32_e32 v20, v20, v21
	v_xor_b32_e32 v21, vcc_hi, v18
	v_xor_b32_e32 v18, vcc_lo, v18
	v_and_b32_e32 v19, v19, v29
	v_and_b32_e32 v18, v20, v18
	v_and_b32_e32 v19, v19, v21
	v_mbcnt_lo_u32_b32 v20, v18, 0
	v_mbcnt_hi_u32_b32 v29, v19, v20
	v_cmp_eq_u32_e32 vcc, 0, v29
	v_cmp_ne_u64_e64 s[4:5], 0, v[18:19]
	s_and_b64 s[58:59], s[4:5], vcc
	; wave barrier
	s_and_saveexec_b64 s[4:5], s[58:59]
	s_cbranch_execz .LBB137_52
; %bb.51:                               ;   in Loop: Header=BB137_46 Depth=1
	v_bcnt_u32_b32 v18, v18, 0
	v_bcnt_u32_b32 v18, v19, v18
	s_waitcnt lgkmcnt(0)
	v_add_u32_e32 v18, v27, v18
	ds_write_b32 v28, v18
.LBB137_52:                             ;   in Loop: Header=BB137_46 Depth=1
	s_or_b64 exec, exec, s[4:5]
	v_lshrrev_b32_e32 v18, s53, v114
	v_and_b32_e32 v18, s56, v18
	v_lshlrev_b32_e32 v19, 1, v18
	v_add_lshl_u32 v19, v19, v104, 2
	; wave barrier
	v_add_u32_e32 v31, 8, v19
	ds_read_b32 v30, v19 offset:8
	v_and_b32_e32 v19, 1, v18
	v_add_co_u32_e32 v20, vcc, -1, v19
	v_addc_co_u32_e64 v21, s[4:5], 0, -1, vcc
	v_cmp_ne_u32_e32 vcc, 0, v19
	v_lshlrev_b32_e32 v59, 30, v18
	v_xor_b32_e32 v19, vcc_hi, v21
	v_not_b32_e32 v21, v59
	v_xor_b32_e32 v20, vcc_lo, v20
	v_cmp_gt_i64_e32 vcc, 0, v[58:59]
	v_ashrrev_i32_e32 v21, 31, v21
	v_and_b32_e32 v20, exec_lo, v20
	v_xor_b32_e32 v32, vcc_hi, v21
	v_xor_b32_e32 v21, vcc_lo, v21
	v_lshlrev_b32_e32 v59, 29, v18
	v_and_b32_e32 v20, v20, v21
	v_not_b32_e32 v21, v59
	v_and_b32_e32 v19, exec_hi, v19
	v_cmp_gt_i64_e32 vcc, 0, v[58:59]
	v_ashrrev_i32_e32 v21, 31, v21
	v_and_b32_e32 v19, v19, v32
	v_xor_b32_e32 v32, vcc_hi, v21
	v_xor_b32_e32 v21, vcc_lo, v21
	v_lshlrev_b32_e32 v59, 28, v18
	v_and_b32_e32 v20, v20, v21
	v_not_b32_e32 v21, v59
	v_cmp_gt_i64_e32 vcc, 0, v[58:59]
	v_ashrrev_i32_e32 v21, 31, v21
	v_and_b32_e32 v19, v19, v32
	v_xor_b32_e32 v32, vcc_hi, v21
	v_xor_b32_e32 v21, vcc_lo, v21
	v_lshlrev_b32_e32 v59, 27, v18
	v_and_b32_e32 v20, v20, v21
	v_not_b32_e32 v21, v59
	;; [unrolled: 8-line block ×3, first 2 shown]
	v_cmp_gt_i64_e32 vcc, 0, v[58:59]
	v_ashrrev_i32_e32 v21, 31, v21
	v_and_b32_e32 v19, v19, v32
	v_xor_b32_e32 v32, vcc_hi, v21
	v_xor_b32_e32 v21, vcc_lo, v21
	v_lshlrev_b32_e32 v59, 25, v18
	v_and_b32_e32 v20, v20, v21
	v_cmp_gt_i64_e32 vcc, 0, v[58:59]
	v_not_b32_e32 v21, v59
	v_lshlrev_b32_e32 v59, 24, v18
	v_ashrrev_i32_e32 v21, 31, v21
	v_not_b32_e32 v18, v59
	v_and_b32_e32 v19, v19, v32
	v_xor_b32_e32 v32, vcc_hi, v21
	v_xor_b32_e32 v21, vcc_lo, v21
	v_cmp_gt_i64_e32 vcc, 0, v[58:59]
	v_ashrrev_i32_e32 v18, 31, v18
	v_and_b32_e32 v20, v20, v21
	v_xor_b32_e32 v21, vcc_hi, v18
	v_xor_b32_e32 v18, vcc_lo, v18
	v_and_b32_e32 v19, v19, v32
	v_and_b32_e32 v18, v20, v18
	;; [unrolled: 1-line block ×3, first 2 shown]
	v_mbcnt_lo_u32_b32 v20, v18, 0
	v_mbcnt_hi_u32_b32 v32, v19, v20
	v_cmp_eq_u32_e32 vcc, 0, v32
	v_cmp_ne_u64_e64 s[4:5], 0, v[18:19]
	s_and_b64 s[58:59], s[4:5], vcc
	; wave barrier
	s_and_saveexec_b64 s[4:5], s[58:59]
	s_cbranch_execz .LBB137_54
; %bb.53:                               ;   in Loop: Header=BB137_46 Depth=1
	v_bcnt_u32_b32 v18, v18, 0
	v_bcnt_u32_b32 v18, v19, v18
	s_waitcnt lgkmcnt(0)
	v_add_u32_e32 v18, v30, v18
	ds_write_b32 v31, v18
.LBB137_54:                             ;   in Loop: Header=BB137_46 Depth=1
	s_or_b64 exec, exec, s[4:5]
	v_lshrrev_b32_e32 v18, s53, v113
	v_and_b32_e32 v18, s56, v18
	v_lshlrev_b32_e32 v19, 1, v18
	v_add_lshl_u32 v19, v19, v104, 2
	; wave barrier
	v_add_u32_e32 v60, 8, v19
	ds_read_b32 v33, v19 offset:8
	v_and_b32_e32 v19, 1, v18
	v_add_co_u32_e32 v20, vcc, -1, v19
	v_addc_co_u32_e64 v21, s[4:5], 0, -1, vcc
	v_cmp_ne_u32_e32 vcc, 0, v19
	v_lshlrev_b32_e32 v59, 30, v18
	v_xor_b32_e32 v19, vcc_hi, v21
	v_not_b32_e32 v21, v59
	v_xor_b32_e32 v20, vcc_lo, v20
	v_cmp_gt_i64_e32 vcc, 0, v[58:59]
	v_ashrrev_i32_e32 v21, 31, v21
	v_and_b32_e32 v19, exec_hi, v19
	v_xor_b32_e32 v59, vcc_hi, v21
	v_and_b32_e32 v20, exec_lo, v20
	v_xor_b32_e32 v21, vcc_lo, v21
	v_and_b32_e32 v19, v19, v59
	v_lshlrev_b32_e32 v59, 29, v18
	v_and_b32_e32 v20, v20, v21
	v_not_b32_e32 v21, v59
	v_cmp_gt_i64_e32 vcc, 0, v[58:59]
	v_ashrrev_i32_e32 v21, 31, v21
	v_xor_b32_e32 v59, vcc_hi, v21
	v_xor_b32_e32 v21, vcc_lo, v21
	v_and_b32_e32 v19, v19, v59
	v_lshlrev_b32_e32 v59, 28, v18
	v_and_b32_e32 v20, v20, v21
	v_not_b32_e32 v21, v59
	v_cmp_gt_i64_e32 vcc, 0, v[58:59]
	v_ashrrev_i32_e32 v21, 31, v21
	v_xor_b32_e32 v59, vcc_hi, v21
	;; [unrolled: 8-line block ×5, first 2 shown]
	v_and_b32_e32 v19, v19, v59
	v_lshlrev_b32_e32 v59, 24, v18
	v_not_b32_e32 v18, v59
	v_xor_b32_e32 v21, vcc_lo, v21
	v_cmp_gt_i64_e32 vcc, 0, v[58:59]
	v_ashrrev_i32_e32 v18, 31, v18
	v_and_b32_e32 v20, v20, v21
	v_xor_b32_e32 v21, vcc_hi, v18
	v_xor_b32_e32 v18, vcc_lo, v18
	v_and_b32_e32 v18, v20, v18
	v_and_b32_e32 v19, v19, v21
	v_mbcnt_lo_u32_b32 v20, v18, 0
	v_mbcnt_hi_u32_b32 v61, v19, v20
	v_cmp_eq_u32_e32 vcc, 0, v61
	v_cmp_ne_u64_e64 s[4:5], 0, v[18:19]
	s_and_b64 s[58:59], s[4:5], vcc
	; wave barrier
	s_and_saveexec_b64 s[4:5], s[58:59]
	s_cbranch_execz .LBB137_56
; %bb.55:                               ;   in Loop: Header=BB137_46 Depth=1
	v_bcnt_u32_b32 v18, v18, 0
	v_bcnt_u32_b32 v18, v19, v18
	s_waitcnt lgkmcnt(0)
	v_add_u32_e32 v18, v33, v18
	ds_write_b32 v60, v18
.LBB137_56:                             ;   in Loop: Header=BB137_46 Depth=1
	s_or_b64 exec, exec, s[4:5]
	v_lshrrev_b32_e32 v18, s53, v112
	v_and_b32_e32 v18, s56, v18
	v_lshlrev_b32_e32 v19, 1, v18
	v_add_lshl_u32 v19, v19, v104, 2
	; wave barrier
	v_add_u32_e32 v63, 8, v19
	ds_read_b32 v62, v19 offset:8
	v_and_b32_e32 v19, 1, v18
	v_add_co_u32_e32 v20, vcc, -1, v19
	v_addc_co_u32_e64 v21, s[4:5], 0, -1, vcc
	v_cmp_ne_u32_e32 vcc, 0, v19
	v_lshlrev_b32_e32 v59, 30, v18
	v_xor_b32_e32 v19, vcc_hi, v21
	v_not_b32_e32 v21, v59
	v_xor_b32_e32 v20, vcc_lo, v20
	v_cmp_gt_i64_e32 vcc, 0, v[58:59]
	v_ashrrev_i32_e32 v21, 31, v21
	v_and_b32_e32 v19, exec_hi, v19
	v_xor_b32_e32 v59, vcc_hi, v21
	v_and_b32_e32 v20, exec_lo, v20
	v_xor_b32_e32 v21, vcc_lo, v21
	v_and_b32_e32 v19, v19, v59
	v_lshlrev_b32_e32 v59, 29, v18
	v_and_b32_e32 v20, v20, v21
	v_not_b32_e32 v21, v59
	v_cmp_gt_i64_e32 vcc, 0, v[58:59]
	v_ashrrev_i32_e32 v21, 31, v21
	v_xor_b32_e32 v59, vcc_hi, v21
	v_xor_b32_e32 v21, vcc_lo, v21
	v_and_b32_e32 v19, v19, v59
	v_lshlrev_b32_e32 v59, 28, v18
	v_and_b32_e32 v20, v20, v21
	v_not_b32_e32 v21, v59
	v_cmp_gt_i64_e32 vcc, 0, v[58:59]
	v_ashrrev_i32_e32 v21, 31, v21
	v_xor_b32_e32 v59, vcc_hi, v21
	;; [unrolled: 8-line block ×5, first 2 shown]
	v_and_b32_e32 v19, v19, v59
	v_lshlrev_b32_e32 v59, 24, v18
	v_not_b32_e32 v18, v59
	v_xor_b32_e32 v21, vcc_lo, v21
	v_cmp_gt_i64_e32 vcc, 0, v[58:59]
	v_ashrrev_i32_e32 v18, 31, v18
	v_and_b32_e32 v20, v20, v21
	v_xor_b32_e32 v21, vcc_hi, v18
	v_xor_b32_e32 v18, vcc_lo, v18
	v_and_b32_e32 v18, v20, v18
	v_and_b32_e32 v19, v19, v21
	v_mbcnt_lo_u32_b32 v20, v18, 0
	v_mbcnt_hi_u32_b32 v64, v19, v20
	v_cmp_eq_u32_e32 vcc, 0, v64
	v_cmp_ne_u64_e64 s[4:5], 0, v[18:19]
	s_and_b64 s[58:59], s[4:5], vcc
	; wave barrier
	s_and_saveexec_b64 s[4:5], s[58:59]
	s_cbranch_execz .LBB137_58
; %bb.57:                               ;   in Loop: Header=BB137_46 Depth=1
	v_bcnt_u32_b32 v18, v18, 0
	v_bcnt_u32_b32 v18, v19, v18
	s_waitcnt lgkmcnt(0)
	v_add_u32_e32 v18, v62, v18
	ds_write_b32 v63, v18
.LBB137_58:                             ;   in Loop: Header=BB137_46 Depth=1
	s_or_b64 exec, exec, s[4:5]
	v_lshrrev_b32_e32 v18, s53, v111
	v_and_b32_e32 v18, s56, v18
	v_lshlrev_b32_e32 v19, 1, v18
	v_add_lshl_u32 v19, v19, v104, 2
	; wave barrier
	v_add_u32_e32 v66, 8, v19
	ds_read_b32 v65, v19 offset:8
	v_and_b32_e32 v19, 1, v18
	v_add_co_u32_e32 v20, vcc, -1, v19
	v_addc_co_u32_e64 v21, s[4:5], 0, -1, vcc
	v_cmp_ne_u32_e32 vcc, 0, v19
	v_lshlrev_b32_e32 v59, 30, v18
	v_xor_b32_e32 v19, vcc_hi, v21
	v_not_b32_e32 v21, v59
	v_xor_b32_e32 v20, vcc_lo, v20
	v_cmp_gt_i64_e32 vcc, 0, v[58:59]
	v_ashrrev_i32_e32 v21, 31, v21
	v_and_b32_e32 v19, exec_hi, v19
	v_xor_b32_e32 v59, vcc_hi, v21
	v_and_b32_e32 v20, exec_lo, v20
	v_xor_b32_e32 v21, vcc_lo, v21
	v_and_b32_e32 v19, v19, v59
	v_lshlrev_b32_e32 v59, 29, v18
	v_and_b32_e32 v20, v20, v21
	v_not_b32_e32 v21, v59
	v_cmp_gt_i64_e32 vcc, 0, v[58:59]
	v_ashrrev_i32_e32 v21, 31, v21
	v_xor_b32_e32 v59, vcc_hi, v21
	v_xor_b32_e32 v21, vcc_lo, v21
	v_and_b32_e32 v19, v19, v59
	v_lshlrev_b32_e32 v59, 28, v18
	v_and_b32_e32 v20, v20, v21
	v_not_b32_e32 v21, v59
	v_cmp_gt_i64_e32 vcc, 0, v[58:59]
	v_ashrrev_i32_e32 v21, 31, v21
	v_xor_b32_e32 v59, vcc_hi, v21
	;; [unrolled: 8-line block ×5, first 2 shown]
	v_and_b32_e32 v19, v19, v59
	v_lshlrev_b32_e32 v59, 24, v18
	v_not_b32_e32 v18, v59
	v_xor_b32_e32 v21, vcc_lo, v21
	v_cmp_gt_i64_e32 vcc, 0, v[58:59]
	v_ashrrev_i32_e32 v18, 31, v18
	v_and_b32_e32 v20, v20, v21
	v_xor_b32_e32 v21, vcc_hi, v18
	v_xor_b32_e32 v18, vcc_lo, v18
	v_and_b32_e32 v18, v20, v18
	v_and_b32_e32 v19, v19, v21
	v_mbcnt_lo_u32_b32 v20, v18, 0
	v_mbcnt_hi_u32_b32 v67, v19, v20
	v_cmp_eq_u32_e32 vcc, 0, v67
	v_cmp_ne_u64_e64 s[4:5], 0, v[18:19]
	s_and_b64 s[58:59], s[4:5], vcc
	; wave barrier
	s_and_saveexec_b64 s[4:5], s[58:59]
	s_cbranch_execz .LBB137_60
; %bb.59:                               ;   in Loop: Header=BB137_46 Depth=1
	v_bcnt_u32_b32 v18, v18, 0
	v_bcnt_u32_b32 v18, v19, v18
	s_waitcnt lgkmcnt(0)
	v_add_u32_e32 v18, v65, v18
	ds_write_b32 v66, v18
.LBB137_60:                             ;   in Loop: Header=BB137_46 Depth=1
	s_or_b64 exec, exec, s[4:5]
	v_lshrrev_b32_e32 v18, s53, v110
	v_and_b32_e32 v18, s56, v18
	v_lshlrev_b32_e32 v19, 1, v18
	v_add_lshl_u32 v19, v19, v104, 2
	; wave barrier
	v_add_u32_e32 v119, 8, v19
	ds_read_b32 v118, v19 offset:8
	v_and_b32_e32 v19, 1, v18
	v_add_co_u32_e32 v20, vcc, -1, v19
	v_addc_co_u32_e64 v21, s[4:5], 0, -1, vcc
	v_cmp_ne_u32_e32 vcc, 0, v19
	v_lshlrev_b32_e32 v59, 30, v18
	v_xor_b32_e32 v19, vcc_hi, v21
	v_not_b32_e32 v21, v59
	v_xor_b32_e32 v20, vcc_lo, v20
	v_cmp_gt_i64_e32 vcc, 0, v[58:59]
	v_ashrrev_i32_e32 v21, 31, v21
	v_and_b32_e32 v19, exec_hi, v19
	v_xor_b32_e32 v59, vcc_hi, v21
	v_and_b32_e32 v20, exec_lo, v20
	v_xor_b32_e32 v21, vcc_lo, v21
	v_and_b32_e32 v19, v19, v59
	v_lshlrev_b32_e32 v59, 29, v18
	v_and_b32_e32 v20, v20, v21
	v_not_b32_e32 v21, v59
	v_cmp_gt_i64_e32 vcc, 0, v[58:59]
	v_ashrrev_i32_e32 v21, 31, v21
	v_xor_b32_e32 v59, vcc_hi, v21
	v_xor_b32_e32 v21, vcc_lo, v21
	v_and_b32_e32 v19, v19, v59
	v_lshlrev_b32_e32 v59, 28, v18
	v_and_b32_e32 v20, v20, v21
	v_not_b32_e32 v21, v59
	v_cmp_gt_i64_e32 vcc, 0, v[58:59]
	v_ashrrev_i32_e32 v21, 31, v21
	v_xor_b32_e32 v59, vcc_hi, v21
	;; [unrolled: 8-line block ×5, first 2 shown]
	v_and_b32_e32 v19, v19, v59
	v_lshlrev_b32_e32 v59, 24, v18
	v_not_b32_e32 v18, v59
	v_xor_b32_e32 v21, vcc_lo, v21
	v_cmp_gt_i64_e32 vcc, 0, v[58:59]
	v_ashrrev_i32_e32 v18, 31, v18
	v_and_b32_e32 v20, v20, v21
	v_xor_b32_e32 v21, vcc_hi, v18
	v_xor_b32_e32 v18, vcc_lo, v18
	v_and_b32_e32 v18, v20, v18
	v_and_b32_e32 v19, v19, v21
	v_mbcnt_lo_u32_b32 v20, v18, 0
	v_mbcnt_hi_u32_b32 v125, v19, v20
	v_cmp_eq_u32_e32 vcc, 0, v125
	v_cmp_ne_u64_e64 s[4:5], 0, v[18:19]
	s_and_b64 s[56:57], s[4:5], vcc
	; wave barrier
	s_and_saveexec_b64 s[4:5], s[56:57]
	s_cbranch_execz .LBB137_62
; %bb.61:                               ;   in Loop: Header=BB137_46 Depth=1
	v_bcnt_u32_b32 v18, v18, 0
	v_bcnt_u32_b32 v18, v19, v18
	s_waitcnt lgkmcnt(0)
	v_add_u32_e32 v18, v118, v18
	ds_write_b32 v119, v18
.LBB137_62:                             ;   in Loop: Header=BB137_46 Depth=1
	s_or_b64 exec, exec, s[4:5]
	; wave barrier
	s_waitcnt lgkmcnt(0)
	s_barrier
	ds_read2_b32 v[20:21], v87 offset0:2 offset1:3
	ds_read2_b32 v[18:19], v103 offset0:2 offset1:3
	s_waitcnt lgkmcnt(1)
	v_add_u32_e32 v59, v21, v20
	s_waitcnt lgkmcnt(0)
	v_add3_u32 v19, v59, v18, v19
	s_nop 1
	v_mov_b32_dpp v59, v19 row_shr:1 row_mask:0xf bank_mask:0xf
	v_cndmask_b32_e64 v59, v59, 0, s[26:27]
	v_add_u32_e32 v19, v59, v19
	s_nop 1
	v_mov_b32_dpp v59, v19 row_shr:2 row_mask:0xf bank_mask:0xf
	v_cndmask_b32_e64 v59, 0, v59, s[28:29]
	v_add_u32_e32 v19, v19, v59
	;; [unrolled: 4-line block ×4, first 2 shown]
	s_nop 1
	v_mov_b32_dpp v59, v19 row_bcast:15 row_mask:0xf bank_mask:0xf
	v_cndmask_b32_e64 v59, v59, 0, s[36:37]
	v_add_u32_e32 v19, v19, v59
	s_nop 1
	v_mov_b32_dpp v59, v19 row_bcast:31 row_mask:0xf bank_mask:0xf
	v_cndmask_b32_e64 v59, 0, v59, s[16:17]
	v_add_u32_e32 v19, v19, v59
	s_and_saveexec_b64 s[4:5], s[38:39]
	s_cbranch_execz .LBB137_64
; %bb.63:                               ;   in Loop: Header=BB137_46 Depth=1
	ds_write_b32 v106, v19
.LBB137_64:                             ;   in Loop: Header=BB137_46 Depth=1
	s_or_b64 exec, exec, s[4:5]
	s_waitcnt lgkmcnt(0)
	s_barrier
	s_and_saveexec_b64 s[4:5], s[18:19]
	s_cbranch_execz .LBB137_66
; %bb.65:                               ;   in Loop: Header=BB137_46 Depth=1
	ds_read_b32 v59, v86
	s_waitcnt lgkmcnt(0)
	s_nop 0
	v_mov_b32_dpp v120, v59 row_shr:1 row_mask:0xf bank_mask:0xf
	v_cndmask_b32_e64 v120, v120, 0, s[40:41]
	v_add_u32_e32 v59, v120, v59
	ds_write_b32 v86, v59
.LBB137_66:                             ;   in Loop: Header=BB137_46 Depth=1
	s_or_b64 exec, exec, s[4:5]
	v_mov_b32_e32 v59, 0
	s_waitcnt lgkmcnt(0)
	s_barrier
	s_and_saveexec_b64 s[4:5], s[20:21]
	s_cbranch_execz .LBB137_68
; %bb.67:                               ;   in Loop: Header=BB137_46 Depth=1
	ds_read_b32 v59, v107
.LBB137_68:                             ;   in Loop: Header=BB137_46 Depth=1
	s_or_b64 exec, exec, s[4:5]
	s_waitcnt lgkmcnt(0)
	v_add_u32_e32 v19, v59, v19
	ds_bpermute_b32 v19, v105, v19
	s_cmp_gt_u32 s53, 23
	s_waitcnt lgkmcnt(0)
	v_cndmask_b32_e64 v19, v19, v59, s[22:23]
	v_cndmask_b32_e64 v19, v19, 0, s[24:25]
	v_add_u32_e32 v20, v19, v20
	v_add_u32_e32 v21, v20, v21
	;; [unrolled: 1-line block ×3, first 2 shown]
	ds_write2_b32 v87, v19, v20 offset0:2 offset1:3
	ds_write2_b32 v103, v21, v18 offset0:2 offset1:3
	s_waitcnt lgkmcnt(0)
	s_barrier
	ds_read_b32 v18, v22
	ds_read_b32 v19, v25
	;; [unrolled: 1-line block ×8, first 2 shown]
	s_waitcnt lgkmcnt(7)
	v_add_u32_e32 v59, v18, v23
	s_waitcnt lgkmcnt(6)
	v_add3_u32 v119, v26, v24, v19
	s_waitcnt lgkmcnt(5)
	v_add3_u32 v120, v29, v27, v20
	;; [unrolled: 2-line block ×7, first 2 shown]
	s_cbranch_scc0 .LBB137_45
; %bb.69:
                                        ; implicit-def: $vgpr67
                                        ; implicit-def: $vgpr65
                                        ; implicit-def: $vgpr63
                                        ; implicit-def: $vgpr61
                                        ; implicit-def: $vgpr32_vgpr33
                                        ; implicit-def: $vgpr28_vgpr29
                                        ; implicit-def: $vgpr24_vgpr25
                                        ; implicit-def: $vgpr20_vgpr21
                                        ; implicit-def: $sgpr53
                                        ; implicit-def: $sgpr55
.LBB137_70:
	v_lshlrev_b32_e32 v18, 2, v59
	s_barrier
	ds_write_b32 v18, v117
	v_lshlrev_b32_e32 v18, 2, v119
	ds_write_b32 v18, v116
	v_lshlrev_b32_e32 v18, 2, v120
	ds_write_b32 v18, v115
	v_lshlrev_b32_e32 v18, 2, v121
	ds_write_b32 v18, v114
	v_lshlrev_b32_e32 v18, 2, v122
	ds_write_b32 v18, v113
	v_lshlrev_b32_e32 v18, 2, v123
	ds_write_b32 v18, v112
	v_lshlrev_b32_e32 v18, 2, v124
	ds_write_b32 v18, v111
	v_lshlrev_b32_e32 v18, 2, v118
	v_lshlrev_b32_e32 v22, 2, v80
	ds_write_b32 v18, v110
	s_waitcnt lgkmcnt(0)
	s_barrier
	ds_read2_b32 v[18:19], v22 offset1:1
	ds_read2_b32 v[20:21], v22 offset0:2 offset1:3
	ds_read2_b32 v[62:63], v22 offset0:4 offset1:5
	;; [unrolled: 1-line block ×3, first 2 shown]
	v_lshlrev_b32_e32 v23, 3, v59
	v_lshlrev_b32_e32 v24, 3, v119
	;; [unrolled: 1-line block ×9, first 2 shown]
	s_waitcnt lgkmcnt(3)
	v_xor_b32_e32 v58, 0x80000000, v18
	v_xor_b32_e32 v60, 0x80000000, v19
	s_waitcnt lgkmcnt(2)
	v_xor_b32_e32 v59, 0x80000000, v20
	v_xor_b32_e32 v61, 0x80000000, v21
	s_waitcnt lgkmcnt(0)
	s_barrier
	ds_write_b64 v23, v[56:57]
	ds_write_b64 v24, v[54:55]
	;; [unrolled: 1-line block ×8, first 2 shown]
	s_waitcnt lgkmcnt(0)
	s_barrier
	ds_read2_b64 v[18:21], v31 offset1:1
	ds_read2_b64 v[22:25], v31 offset0:2 offset1:3
	ds_read2_b64 v[26:29], v31 offset0:4 offset1:5
	;; [unrolled: 1-line block ×3, first 2 shown]
	v_xor_b32_e32 v62, 0x80000000, v62
	v_xor_b32_e32 v0, 0x80000000, v63
	;; [unrolled: 1-line block ×4, first 2 shown]
	s_branch .LBB137_106
.LBB137_71:
	v_mad_u64_u32 v[2:3], s[16:17], v34, s46, 0
	v_mov_b32_e32 v4, v3
	v_mad_u64_u32 v[4:5], s[16:17], v34, s47, v[4:5]
	v_mov_b32_e32 v3, v4
	v_lshlrev_b64 v[2:3], 3, v[2:3]
	v_mov_b32_e32 v4, s52
	v_add_co_u32_e32 v2, vcc, s51, v2
	v_addc_co_u32_e32 v3, vcc, v4, v3, vcc
	global_load_dwordx2 v[2:3], v[2:3], off
	v_mov_b32_e32 v4, 0
	v_mov_b32_e32 v5, v4
	;; [unrolled: 1-line block ×14, first 2 shown]
	s_or_b64 exec, exec, s[4:5]
	s_and_saveexec_b64 s[4:5], s[2:3]
	s_cbranch_execz .LBB137_36
.LBB137_72:
	v_mad_u64_u32 v[4:5], s[16:17], v24, s46, 0
	v_mov_b32_e32 v44, v5
	v_mad_u64_u32 v[44:45], s[16:17], v24, s47, v[44:45]
	v_mov_b32_e32 v5, v44
	v_lshlrev_b64 v[4:5], 3, v[4:5]
	v_mov_b32_e32 v24, s52
	v_add_co_u32_e32 v4, vcc, s51, v4
	v_addc_co_u32_e32 v5, vcc, v24, v5, vcc
	global_load_dwordx2 v[4:5], v[4:5], off
	s_or_b64 exec, exec, s[4:5]
	s_and_saveexec_b64 s[4:5], s[42:43]
	s_cbranch_execz .LBB137_37
.LBB137_73:
	v_mad_u64_u32 v[6:7], s[16:17], v22, s46, 0
	v_mov_b32_e32 v24, v7
	v_mad_u64_u32 v[44:45], s[16:17], v22, s47, v[24:25]
	v_mov_b32_e32 v7, v44
	v_lshlrev_b64 v[6:7], 3, v[6:7]
	v_mov_b32_e32 v22, s52
	v_add_co_u32_e32 v6, vcc, s51, v6
	v_addc_co_u32_e32 v7, vcc, v22, v7, vcc
	global_load_dwordx2 v[6:7], v[6:7], off
	s_or_b64 exec, exec, s[4:5]
	s_and_saveexec_b64 s[4:5], s[6:7]
	s_cbranch_execz .LBB137_38
.LBB137_74:
	v_mad_u64_u32 v[8:9], s[16:17], v21, s46, 0
	v_mov_b32_e32 v22, v9
	v_mad_u64_u32 v[44:45], s[16:17], v21, s47, v[22:23]
	v_mov_b32_e32 v9, v44
	v_lshlrev_b64 v[8:9], 3, v[8:9]
	v_mov_b32_e32 v21, s52
	v_add_co_u32_e32 v8, vcc, s51, v8
	v_addc_co_u32_e32 v9, vcc, v21, v9, vcc
	global_load_dwordx2 v[8:9], v[8:9], off
	s_or_b64 exec, exec, s[4:5]
	s_and_saveexec_b64 s[4:5], s[8:9]
	s_cbranch_execz .LBB137_39
.LBB137_75:
	v_mad_u64_u32 v[10:11], s[16:17], v20, s46, 0
	v_mov_b32_e32 v22, v11
	v_mad_u64_u32 v[20:21], s[16:17], v20, s47, v[22:23]
	v_mov_b32_e32 v11, v20
	v_lshlrev_b64 v[10:11], 3, v[10:11]
	v_mov_b32_e32 v20, s52
	v_add_co_u32_e32 v10, vcc, s51, v10
	v_addc_co_u32_e32 v11, vcc, v20, v11, vcc
	global_load_dwordx2 v[10:11], v[10:11], off
	s_or_b64 exec, exec, s[4:5]
	s_and_saveexec_b64 s[4:5], s[10:11]
	s_cbranch_execz .LBB137_40
.LBB137_76:
	v_mad_u64_u32 v[12:13], s[16:17], v18, s46, 0
	v_mov_b32_e32 v20, v13
	v_mad_u64_u32 v[20:21], s[16:17], v18, s47, v[20:21]
	v_mov_b32_e32 v13, v20
	v_lshlrev_b64 v[12:13], 3, v[12:13]
	v_mov_b32_e32 v18, s52
	v_add_co_u32_e32 v12, vcc, s51, v12
	v_addc_co_u32_e32 v13, vcc, v18, v13, vcc
	global_load_dwordx2 v[12:13], v[12:13], off
	s_or_b64 exec, exec, s[4:5]
	s_and_saveexec_b64 s[4:5], s[12:13]
	s_cbranch_execz .LBB137_41
.LBB137_77:
	v_mad_u64_u32 v[14:15], s[16:17], v19, s46, 0
	v_mov_b32_e32 v18, v15
	v_mad_u64_u32 v[18:19], s[16:17], v19, s47, v[18:19]
	v_mov_b32_e32 v15, v18
	v_lshlrev_b64 v[14:15], 3, v[14:15]
	v_mov_b32_e32 v18, s52
	v_add_co_u32_e32 v14, vcc, s51, v14
	v_addc_co_u32_e32 v15, vcc, v18, v15, vcc
	global_load_dwordx2 v[14:15], v[14:15], off
	s_or_b64 exec, exec, s[4:5]
	s_xor_b64 s[4:5], s[34:35], -1
	s_and_saveexec_b64 s[16:17], s[14:15]
	s_cbranch_execnz .LBB137_42
	s_branch .LBB137_43
.LBB137_78:
                                        ; implicit-def: $vgpr44
                                        ; implicit-def: $vgpr1
                                        ; implicit-def: $vgpr0
                                        ; implicit-def: $vgpr62
                                        ; implicit-def: $vgpr61
                                        ; implicit-def: $vgpr59
                                        ; implicit-def: $vgpr60
                                        ; implicit-def: $vgpr58
                                        ; implicit-def: $vgpr32_vgpr33
                                        ; implicit-def: $vgpr28_vgpr29
                                        ; implicit-def: $vgpr24_vgpr25
                                        ; implicit-def: $vgpr20_vgpr21
	s_cbranch_execz .LBB137_106
; %bb.79:
	v_xor_b32_e32 v0, 0x7fffffff, v43
	v_xor_b32_e32 v1, 0x7fffffff, v42
	s_waitcnt lgkmcnt(3)
	v_xor_b32_e32 v18, 0x7fffffff, v41
	v_xor_b32_e32 v19, 0x7fffffff, v40
	v_xor_b32_e32 v20, 0x7fffffff, v39
	v_xor_b32_e32 v21, 0x7fffffff, v38
	s_waitcnt lgkmcnt(2)
	v_xor_b32_e32 v22, 0x7fffffff, v37
	v_xor_b32_e32 v23, 0x7fffffff, v36
	ds_write2_b32 v102, v1, v0 offset1:1
	ds_write2_b32 v102, v19, v18 offset0:2 offset1:3
	ds_write2_b32 v102, v21, v20 offset0:4 offset1:5
	;; [unrolled: 1-line block ×3, first 2 shown]
	; wave barrier
	ds_read2st64_b32 v[36:37], v101 offset1:1
	ds_read2st64_b32 v[38:39], v101 offset0:2 offset1:3
	ds_read2st64_b32 v[40:41], v101 offset0:4 offset1:5
	;; [unrolled: 1-line block ×3, first 2 shown]
	s_waitcnt lgkmcnt(0)
	s_barrier
	ds_write2_b64 v100, v[14:15], v[16:17] offset1:1
	ds_write2_b64 v100, v[10:11], v[12:13] offset0:2 offset1:3
	ds_write2_b64 v100, v[6:7], v[8:9] offset0:4 offset1:5
	ds_write2_b64 v100, v[2:3], v[4:5] offset0:6 offset1:7
	; wave barrier
	ds_read2st64_b64 v[0:3], v99 offset1:1
	ds_read2st64_b64 v[4:7], v99 offset0:2 offset1:3
	ds_read2st64_b64 v[8:11], v99 offset0:4 offset1:5
	ds_read2st64_b64 v[12:15], v99 offset0:6 offset1:7
	s_waitcnt lgkmcnt(0)
	s_barrier
	s_load_dword s16, s[48:49], 0xc
	s_getpc_b64 s[4:5]
	s_add_u32 s4, s4, _ZN7rocprim17ROCPRIM_400000_NS16block_radix_sortIiLj128ELj8ElLj1ELj1ELj0ELNS0_26block_radix_rank_algorithmE1ELNS0_18block_padding_hintE2ELNS0_4arch9wavefront6targetE1EE19radix_bits_per_passE@rel32@lo+4
	s_addc_u32 s5, s5, _ZN7rocprim17ROCPRIM_400000_NS16block_radix_sortIiLj128ELj8ElLj1ELj1ELj0ELNS0_26block_radix_rank_algorithmE1ELNS0_18block_padding_hintE2ELNS0_4arch9wavefront6targetE1EE19radix_bits_per_passE@rel32@hi+12
	s_load_dword s48, s[4:5], 0x0
	v_cmp_lt_i32_e32 vcc, v90, v96
	v_and_b32_e32 v47, 60, v91
	s_waitcnt lgkmcnt(0)
	s_lshr_b32 s4, s16, 16
	s_and_b32 s5, s16, 0xffff
	v_mad_u32_u24 v16, v98, s4, v97
	v_mad_u64_u32 v[16:17], s[4:5], v16, s5, v[34:35]
	v_lshrrev_b32_e32 v45, 6, v16
	v_or_b32_e32 v16, 63, v95
	v_cmp_eq_u32_e64 s[28:29], v16, v34
	v_cndmask_b32_e32 v16, v90, v88, vcc
	v_or_b32_e32 v44, 8, v87
	s_mov_b32 s49, 0
	v_cmp_eq_u32_e64 s[16:17], 0, v93
	v_cmp_lt_u32_e64 s[18:19], 1, v93
	v_cmp_lt_u32_e64 s[20:21], 3, v93
	;; [unrolled: 1-line block ×3, first 2 shown]
	v_cmp_eq_u32_e64 s[24:25], 0, v94
	v_cmp_lt_u32_e64 s[26:27], 31, v88
	v_cmp_gt_u32_e64 s[30:31], 2, v34
	v_cmp_lt_u32_e64 s[34:35], 63, v34
	v_lshlrev_b32_e32 v46, 2, v16
	v_cmp_eq_u32_e64 s[36:37], 0, v88
	v_cmp_eq_u32_e64 s[38:39], 0, v34
	;; [unrolled: 1-line block ×3, first 2 shown]
	v_add_u32_e32 v48, -4, v47
	v_lshlrev_b32_e32 v49, 2, v89
	v_lshlrev_b32_e32 v50, 3, v89
	s_mov_b32 s53, 32
	v_mov_b32_e32 v32, 0
	s_branch .LBB137_81
.LBB137_80:                             ;   in Loop: Header=BB137_81 Depth=1
	v_lshlrev_b32_e32 v0, 2, v33
	s_barrier
	ds_write_b32 v0, v58
	v_lshlrev_b32_e32 v0, 2, v60
	ds_write_b32 v0, v57
	v_lshlrev_b32_e32 v0, 2, v61
	;; [unrolled: 2-line block ×8, first 2 shown]
	s_waitcnt lgkmcnt(0)
	s_barrier
	ds_read2st64_b32 v[36:37], v49 offset1:1
	ds_read2st64_b32 v[38:39], v49 offset0:2 offset1:3
	ds_read2st64_b32 v[40:41], v49 offset0:4 offset1:5
	;; [unrolled: 1-line block ×3, first 2 shown]
	s_waitcnt lgkmcnt(0)
	s_barrier
	ds_write_b64 v0, v[30:31]
	v_lshlrev_b32_e32 v0, 3, v60
	ds_write_b64 v0, v[28:29]
	v_lshlrev_b32_e32 v0, 3, v61
	;; [unrolled: 2-line block ×7, first 2 shown]
	ds_write_b64 v0, v[16:17]
	s_waitcnt lgkmcnt(0)
	s_barrier
	ds_read2st64_b64 v[0:3], v50 offset1:1
	ds_read2st64_b64 v[4:7], v50 offset0:2 offset1:3
	ds_read2st64_b64 v[8:11], v50 offset0:4 offset1:5
	;; [unrolled: 1-line block ×3, first 2 shown]
	s_add_i32 s49, s49, 8
	s_add_i32 s53, s53, -8
	s_waitcnt lgkmcnt(0)
	s_barrier
	s_cbranch_execz .LBB137_105
.LBB137_81:                             ; =>This Inner Loop Header: Depth=1
	s_min_u32 s4, s48, s53
	v_mov_b32_e32 v58, v36
	s_lshl_b32 s4, -1, s4
	v_pk_mov_b32 v[30:31], v[0:1], v[0:1] op_sel:[0,1]
	s_not_b32 s54, s4
	v_lshrrev_b32_e32 v0, s49, v58
	v_and_b32_e32 v0, s54, v0
	v_lshl_add_u32 v1, v0, 1, v45
	v_pk_mov_b32 v[26:27], v[4:5], v[4:5] op_sel:[0,1]
	v_lshl_add_u32 v4, v1, 2, 8
	v_and_b32_e32 v1, 1, v0
	v_pk_mov_b32 v[28:29], v[2:3], v[2:3] op_sel:[0,1]
	v_add_co_u32_e32 v2, vcc, -1, v1
	v_addc_co_u32_e64 v3, s[4:5], 0, -1, vcc
	v_cmp_ne_u32_e32 vcc, 0, v1
	v_lshlrev_b32_e32 v33, 30, v0
	v_xor_b32_e32 v1, vcc_hi, v3
	v_not_b32_e32 v3, v33
	v_xor_b32_e32 v2, vcc_lo, v2
	v_cmp_gt_i64_e32 vcc, 0, v[32:33]
	v_ashrrev_i32_e32 v3, 31, v3
	v_and_b32_e32 v2, exec_lo, v2
	v_xor_b32_e32 v5, vcc_hi, v3
	v_xor_b32_e32 v3, vcc_lo, v3
	v_lshlrev_b32_e32 v33, 29, v0
	v_and_b32_e32 v2, v2, v3
	v_not_b32_e32 v3, v33
	v_and_b32_e32 v1, exec_hi, v1
	v_cmp_gt_i64_e32 vcc, 0, v[32:33]
	v_ashrrev_i32_e32 v3, 31, v3
	v_and_b32_e32 v1, v1, v5
	v_xor_b32_e32 v5, vcc_hi, v3
	v_xor_b32_e32 v3, vcc_lo, v3
	v_lshlrev_b32_e32 v33, 28, v0
	v_and_b32_e32 v2, v2, v3
	v_not_b32_e32 v3, v33
	v_cmp_gt_i64_e32 vcc, 0, v[32:33]
	v_ashrrev_i32_e32 v3, 31, v3
	v_and_b32_e32 v1, v1, v5
	v_xor_b32_e32 v5, vcc_hi, v3
	v_xor_b32_e32 v3, vcc_lo, v3
	v_lshlrev_b32_e32 v33, 27, v0
	v_and_b32_e32 v2, v2, v3
	v_not_b32_e32 v3, v33
	;; [unrolled: 8-line block ×3, first 2 shown]
	v_cmp_gt_i64_e32 vcc, 0, v[32:33]
	v_ashrrev_i32_e32 v3, 31, v3
	v_and_b32_e32 v1, v1, v5
	v_xor_b32_e32 v5, vcc_hi, v3
	v_xor_b32_e32 v3, vcc_lo, v3
	v_lshlrev_b32_e32 v33, 25, v0
	v_and_b32_e32 v2, v2, v3
	v_cmp_gt_i64_e32 vcc, 0, v[32:33]
	v_not_b32_e32 v3, v33
	v_lshlrev_b32_e32 v33, 24, v0
	v_ashrrev_i32_e32 v3, 31, v3
	v_not_b32_e32 v0, v33
	v_and_b32_e32 v1, v1, v5
	v_xor_b32_e32 v5, vcc_hi, v3
	v_xor_b32_e32 v3, vcc_lo, v3
	v_cmp_gt_i64_e32 vcc, 0, v[32:33]
	v_ashrrev_i32_e32 v0, 31, v0
	v_and_b32_e32 v2, v2, v3
	v_xor_b32_e32 v3, vcc_hi, v0
	v_xor_b32_e32 v0, vcc_lo, v0
	v_and_b32_e32 v1, v1, v5
	v_and_b32_e32 v0, v2, v0
	;; [unrolled: 1-line block ×3, first 2 shown]
	v_mbcnt_lo_u32_b32 v2, v0, 0
	v_mbcnt_hi_u32_b32 v5, v1, v2
	v_cmp_eq_u32_e32 vcc, 0, v5
	v_cmp_ne_u64_e64 s[4:5], 0, v[0:1]
	v_mov_b32_e32 v51, v43
	v_mov_b32_e32 v52, v42
	;; [unrolled: 1-line block ×7, first 2 shown]
	v_pk_mov_b32 v[16:17], v[14:15], v[14:15] op_sel:[0,1]
	v_pk_mov_b32 v[18:19], v[12:13], v[12:13] op_sel:[0,1]
	;; [unrolled: 1-line block ×5, first 2 shown]
	s_and_b64 s[56:57], s[4:5], vcc
	ds_write2_b32 v87, v32, v32 offset0:2 offset1:3
	ds_write2_b32 v44, v32, v32 offset0:2 offset1:3
	s_waitcnt lgkmcnt(0)
	s_barrier
	s_waitcnt lgkmcnt(0)
	; wave barrier
	s_and_saveexec_b64 s[4:5], s[56:57]
	s_cbranch_execz .LBB137_83
; %bb.82:                               ;   in Loop: Header=BB137_81 Depth=1
	v_bcnt_u32_b32 v0, v0, 0
	v_bcnt_u32_b32 v0, v1, v0
	ds_write_b32 v4, v0
.LBB137_83:                             ;   in Loop: Header=BB137_81 Depth=1
	s_or_b64 exec, exec, s[4:5]
	v_lshrrev_b32_e32 v0, s49, v57
	v_and_b32_e32 v0, s54, v0
	v_lshlrev_b32_e32 v1, 1, v0
	v_add_lshl_u32 v1, v1, v45, 2
	; wave barrier
	v_add_u32_e32 v7, 8, v1
	ds_read_b32 v6, v1 offset:8
	v_and_b32_e32 v1, 1, v0
	v_add_co_u32_e32 v2, vcc, -1, v1
	v_addc_co_u32_e64 v3, s[4:5], 0, -1, vcc
	v_cmp_ne_u32_e32 vcc, 0, v1
	v_lshlrev_b32_e32 v33, 30, v0
	v_xor_b32_e32 v1, vcc_hi, v3
	v_not_b32_e32 v3, v33
	v_xor_b32_e32 v2, vcc_lo, v2
	v_cmp_gt_i64_e32 vcc, 0, v[32:33]
	v_ashrrev_i32_e32 v3, 31, v3
	v_and_b32_e32 v2, exec_lo, v2
	v_xor_b32_e32 v8, vcc_hi, v3
	v_xor_b32_e32 v3, vcc_lo, v3
	v_lshlrev_b32_e32 v33, 29, v0
	v_and_b32_e32 v2, v2, v3
	v_not_b32_e32 v3, v33
	v_and_b32_e32 v1, exec_hi, v1
	v_cmp_gt_i64_e32 vcc, 0, v[32:33]
	v_ashrrev_i32_e32 v3, 31, v3
	v_and_b32_e32 v1, v1, v8
	v_xor_b32_e32 v8, vcc_hi, v3
	v_xor_b32_e32 v3, vcc_lo, v3
	v_lshlrev_b32_e32 v33, 28, v0
	v_and_b32_e32 v2, v2, v3
	v_not_b32_e32 v3, v33
	v_cmp_gt_i64_e32 vcc, 0, v[32:33]
	v_ashrrev_i32_e32 v3, 31, v3
	v_and_b32_e32 v1, v1, v8
	v_xor_b32_e32 v8, vcc_hi, v3
	v_xor_b32_e32 v3, vcc_lo, v3
	v_lshlrev_b32_e32 v33, 27, v0
	v_and_b32_e32 v2, v2, v3
	v_not_b32_e32 v3, v33
	;; [unrolled: 8-line block ×3, first 2 shown]
	v_cmp_gt_i64_e32 vcc, 0, v[32:33]
	v_ashrrev_i32_e32 v3, 31, v3
	v_and_b32_e32 v1, v1, v8
	v_xor_b32_e32 v8, vcc_hi, v3
	v_xor_b32_e32 v3, vcc_lo, v3
	v_lshlrev_b32_e32 v33, 25, v0
	v_and_b32_e32 v2, v2, v3
	v_cmp_gt_i64_e32 vcc, 0, v[32:33]
	v_not_b32_e32 v3, v33
	v_lshlrev_b32_e32 v33, 24, v0
	v_ashrrev_i32_e32 v3, 31, v3
	v_not_b32_e32 v0, v33
	v_and_b32_e32 v1, v1, v8
	v_xor_b32_e32 v8, vcc_hi, v3
	v_xor_b32_e32 v3, vcc_lo, v3
	v_cmp_gt_i64_e32 vcc, 0, v[32:33]
	v_ashrrev_i32_e32 v0, 31, v0
	v_and_b32_e32 v2, v2, v3
	v_xor_b32_e32 v3, vcc_hi, v0
	v_xor_b32_e32 v0, vcc_lo, v0
	v_and_b32_e32 v1, v1, v8
	v_and_b32_e32 v0, v2, v0
	;; [unrolled: 1-line block ×3, first 2 shown]
	v_mbcnt_lo_u32_b32 v2, v0, 0
	v_mbcnt_hi_u32_b32 v8, v1, v2
	v_cmp_eq_u32_e32 vcc, 0, v8
	v_cmp_ne_u64_e64 s[4:5], 0, v[0:1]
	s_and_b64 s[56:57], s[4:5], vcc
	; wave barrier
	s_and_saveexec_b64 s[4:5], s[56:57]
	s_cbranch_execz .LBB137_85
; %bb.84:                               ;   in Loop: Header=BB137_81 Depth=1
	v_bcnt_u32_b32 v0, v0, 0
	v_bcnt_u32_b32 v0, v1, v0
	s_waitcnt lgkmcnt(0)
	v_add_u32_e32 v0, v6, v0
	ds_write_b32 v7, v0
.LBB137_85:                             ;   in Loop: Header=BB137_81 Depth=1
	s_or_b64 exec, exec, s[4:5]
	v_lshrrev_b32_e32 v0, s49, v56
	v_and_b32_e32 v0, s54, v0
	v_lshlrev_b32_e32 v1, 1, v0
	v_add_lshl_u32 v1, v1, v45, 2
	; wave barrier
	v_add_u32_e32 v10, 8, v1
	ds_read_b32 v9, v1 offset:8
	v_and_b32_e32 v1, 1, v0
	v_add_co_u32_e32 v2, vcc, -1, v1
	v_addc_co_u32_e64 v3, s[4:5], 0, -1, vcc
	v_cmp_ne_u32_e32 vcc, 0, v1
	v_lshlrev_b32_e32 v33, 30, v0
	v_xor_b32_e32 v1, vcc_hi, v3
	v_not_b32_e32 v3, v33
	v_xor_b32_e32 v2, vcc_lo, v2
	v_cmp_gt_i64_e32 vcc, 0, v[32:33]
	v_ashrrev_i32_e32 v3, 31, v3
	v_and_b32_e32 v2, exec_lo, v2
	v_xor_b32_e32 v11, vcc_hi, v3
	v_xor_b32_e32 v3, vcc_lo, v3
	v_lshlrev_b32_e32 v33, 29, v0
	v_and_b32_e32 v2, v2, v3
	v_not_b32_e32 v3, v33
	v_and_b32_e32 v1, exec_hi, v1
	v_cmp_gt_i64_e32 vcc, 0, v[32:33]
	v_ashrrev_i32_e32 v3, 31, v3
	v_and_b32_e32 v1, v1, v11
	v_xor_b32_e32 v11, vcc_hi, v3
	v_xor_b32_e32 v3, vcc_lo, v3
	v_lshlrev_b32_e32 v33, 28, v0
	v_and_b32_e32 v2, v2, v3
	v_not_b32_e32 v3, v33
	v_cmp_gt_i64_e32 vcc, 0, v[32:33]
	v_ashrrev_i32_e32 v3, 31, v3
	v_and_b32_e32 v1, v1, v11
	v_xor_b32_e32 v11, vcc_hi, v3
	v_xor_b32_e32 v3, vcc_lo, v3
	v_lshlrev_b32_e32 v33, 27, v0
	v_and_b32_e32 v2, v2, v3
	v_not_b32_e32 v3, v33
	;; [unrolled: 8-line block ×3, first 2 shown]
	v_cmp_gt_i64_e32 vcc, 0, v[32:33]
	v_ashrrev_i32_e32 v3, 31, v3
	v_and_b32_e32 v1, v1, v11
	v_xor_b32_e32 v11, vcc_hi, v3
	v_xor_b32_e32 v3, vcc_lo, v3
	v_lshlrev_b32_e32 v33, 25, v0
	v_and_b32_e32 v2, v2, v3
	v_cmp_gt_i64_e32 vcc, 0, v[32:33]
	v_not_b32_e32 v3, v33
	v_lshlrev_b32_e32 v33, 24, v0
	v_ashrrev_i32_e32 v3, 31, v3
	v_not_b32_e32 v0, v33
	v_and_b32_e32 v1, v1, v11
	v_xor_b32_e32 v11, vcc_hi, v3
	v_xor_b32_e32 v3, vcc_lo, v3
	v_cmp_gt_i64_e32 vcc, 0, v[32:33]
	v_ashrrev_i32_e32 v0, 31, v0
	v_and_b32_e32 v2, v2, v3
	v_xor_b32_e32 v3, vcc_hi, v0
	v_xor_b32_e32 v0, vcc_lo, v0
	v_and_b32_e32 v1, v1, v11
	v_and_b32_e32 v0, v2, v0
	;; [unrolled: 1-line block ×3, first 2 shown]
	v_mbcnt_lo_u32_b32 v2, v0, 0
	v_mbcnt_hi_u32_b32 v11, v1, v2
	v_cmp_eq_u32_e32 vcc, 0, v11
	v_cmp_ne_u64_e64 s[4:5], 0, v[0:1]
	s_and_b64 s[56:57], s[4:5], vcc
	; wave barrier
	s_and_saveexec_b64 s[4:5], s[56:57]
	s_cbranch_execz .LBB137_87
; %bb.86:                               ;   in Loop: Header=BB137_81 Depth=1
	v_bcnt_u32_b32 v0, v0, 0
	v_bcnt_u32_b32 v0, v1, v0
	s_waitcnt lgkmcnt(0)
	v_add_u32_e32 v0, v9, v0
	ds_write_b32 v10, v0
.LBB137_87:                             ;   in Loop: Header=BB137_81 Depth=1
	s_or_b64 exec, exec, s[4:5]
	v_lshrrev_b32_e32 v0, s49, v55
	v_and_b32_e32 v0, s54, v0
	v_lshlrev_b32_e32 v1, 1, v0
	v_add_lshl_u32 v1, v1, v45, 2
	; wave barrier
	v_add_u32_e32 v13, 8, v1
	ds_read_b32 v12, v1 offset:8
	v_and_b32_e32 v1, 1, v0
	v_add_co_u32_e32 v2, vcc, -1, v1
	v_addc_co_u32_e64 v3, s[4:5], 0, -1, vcc
	v_cmp_ne_u32_e32 vcc, 0, v1
	v_lshlrev_b32_e32 v33, 30, v0
	v_xor_b32_e32 v1, vcc_hi, v3
	v_not_b32_e32 v3, v33
	v_xor_b32_e32 v2, vcc_lo, v2
	v_cmp_gt_i64_e32 vcc, 0, v[32:33]
	v_ashrrev_i32_e32 v3, 31, v3
	v_and_b32_e32 v2, exec_lo, v2
	v_xor_b32_e32 v14, vcc_hi, v3
	v_xor_b32_e32 v3, vcc_lo, v3
	v_lshlrev_b32_e32 v33, 29, v0
	v_and_b32_e32 v2, v2, v3
	v_not_b32_e32 v3, v33
	v_and_b32_e32 v1, exec_hi, v1
	v_cmp_gt_i64_e32 vcc, 0, v[32:33]
	v_ashrrev_i32_e32 v3, 31, v3
	v_and_b32_e32 v1, v1, v14
	v_xor_b32_e32 v14, vcc_hi, v3
	v_xor_b32_e32 v3, vcc_lo, v3
	v_lshlrev_b32_e32 v33, 28, v0
	v_and_b32_e32 v2, v2, v3
	v_not_b32_e32 v3, v33
	v_cmp_gt_i64_e32 vcc, 0, v[32:33]
	v_ashrrev_i32_e32 v3, 31, v3
	v_and_b32_e32 v1, v1, v14
	v_xor_b32_e32 v14, vcc_hi, v3
	v_xor_b32_e32 v3, vcc_lo, v3
	v_lshlrev_b32_e32 v33, 27, v0
	v_and_b32_e32 v2, v2, v3
	v_not_b32_e32 v3, v33
	;; [unrolled: 8-line block ×3, first 2 shown]
	v_cmp_gt_i64_e32 vcc, 0, v[32:33]
	v_ashrrev_i32_e32 v3, 31, v3
	v_and_b32_e32 v1, v1, v14
	v_xor_b32_e32 v14, vcc_hi, v3
	v_xor_b32_e32 v3, vcc_lo, v3
	v_lshlrev_b32_e32 v33, 25, v0
	v_and_b32_e32 v2, v2, v3
	v_cmp_gt_i64_e32 vcc, 0, v[32:33]
	v_not_b32_e32 v3, v33
	v_lshlrev_b32_e32 v33, 24, v0
	v_ashrrev_i32_e32 v3, 31, v3
	v_not_b32_e32 v0, v33
	v_and_b32_e32 v1, v1, v14
	v_xor_b32_e32 v14, vcc_hi, v3
	v_xor_b32_e32 v3, vcc_lo, v3
	v_cmp_gt_i64_e32 vcc, 0, v[32:33]
	v_ashrrev_i32_e32 v0, 31, v0
	v_and_b32_e32 v2, v2, v3
	v_xor_b32_e32 v3, vcc_hi, v0
	v_xor_b32_e32 v0, vcc_lo, v0
	v_and_b32_e32 v1, v1, v14
	v_and_b32_e32 v0, v2, v0
	;; [unrolled: 1-line block ×3, first 2 shown]
	v_mbcnt_lo_u32_b32 v2, v0, 0
	v_mbcnt_hi_u32_b32 v14, v1, v2
	v_cmp_eq_u32_e32 vcc, 0, v14
	v_cmp_ne_u64_e64 s[4:5], 0, v[0:1]
	s_and_b64 s[56:57], s[4:5], vcc
	; wave barrier
	s_and_saveexec_b64 s[4:5], s[56:57]
	s_cbranch_execz .LBB137_89
; %bb.88:                               ;   in Loop: Header=BB137_81 Depth=1
	v_bcnt_u32_b32 v0, v0, 0
	v_bcnt_u32_b32 v0, v1, v0
	s_waitcnt lgkmcnt(0)
	v_add_u32_e32 v0, v12, v0
	ds_write_b32 v13, v0
.LBB137_89:                             ;   in Loop: Header=BB137_81 Depth=1
	s_or_b64 exec, exec, s[4:5]
	v_lshrrev_b32_e32 v0, s49, v54
	v_and_b32_e32 v0, s54, v0
	v_lshlrev_b32_e32 v1, 1, v0
	v_add_lshl_u32 v1, v1, v45, 2
	; wave barrier
	v_add_u32_e32 v36, 8, v1
	ds_read_b32 v15, v1 offset:8
	v_and_b32_e32 v1, 1, v0
	v_add_co_u32_e32 v2, vcc, -1, v1
	v_addc_co_u32_e64 v3, s[4:5], 0, -1, vcc
	v_cmp_ne_u32_e32 vcc, 0, v1
	v_lshlrev_b32_e32 v33, 30, v0
	v_xor_b32_e32 v1, vcc_hi, v3
	v_not_b32_e32 v3, v33
	v_xor_b32_e32 v2, vcc_lo, v2
	v_cmp_gt_i64_e32 vcc, 0, v[32:33]
	v_ashrrev_i32_e32 v3, 31, v3
	v_and_b32_e32 v1, exec_hi, v1
	v_xor_b32_e32 v33, vcc_hi, v3
	v_and_b32_e32 v2, exec_lo, v2
	v_xor_b32_e32 v3, vcc_lo, v3
	v_and_b32_e32 v1, v1, v33
	v_lshlrev_b32_e32 v33, 29, v0
	v_and_b32_e32 v2, v2, v3
	v_not_b32_e32 v3, v33
	v_cmp_gt_i64_e32 vcc, 0, v[32:33]
	v_ashrrev_i32_e32 v3, 31, v3
	v_xor_b32_e32 v33, vcc_hi, v3
	v_xor_b32_e32 v3, vcc_lo, v3
	v_and_b32_e32 v1, v1, v33
	v_lshlrev_b32_e32 v33, 28, v0
	v_and_b32_e32 v2, v2, v3
	v_not_b32_e32 v3, v33
	v_cmp_gt_i64_e32 vcc, 0, v[32:33]
	v_ashrrev_i32_e32 v3, 31, v3
	v_xor_b32_e32 v33, vcc_hi, v3
	;; [unrolled: 8-line block ×5, first 2 shown]
	v_and_b32_e32 v1, v1, v33
	v_lshlrev_b32_e32 v33, 24, v0
	v_not_b32_e32 v0, v33
	v_xor_b32_e32 v3, vcc_lo, v3
	v_cmp_gt_i64_e32 vcc, 0, v[32:33]
	v_ashrrev_i32_e32 v0, 31, v0
	v_and_b32_e32 v2, v2, v3
	v_xor_b32_e32 v3, vcc_hi, v0
	v_xor_b32_e32 v0, vcc_lo, v0
	v_and_b32_e32 v0, v2, v0
	v_and_b32_e32 v1, v1, v3
	v_mbcnt_lo_u32_b32 v2, v0, 0
	v_mbcnt_hi_u32_b32 v37, v1, v2
	v_cmp_eq_u32_e32 vcc, 0, v37
	v_cmp_ne_u64_e64 s[4:5], 0, v[0:1]
	s_and_b64 s[56:57], s[4:5], vcc
	; wave barrier
	s_and_saveexec_b64 s[4:5], s[56:57]
	s_cbranch_execz .LBB137_91
; %bb.90:                               ;   in Loop: Header=BB137_81 Depth=1
	v_bcnt_u32_b32 v0, v0, 0
	v_bcnt_u32_b32 v0, v1, v0
	s_waitcnt lgkmcnt(0)
	v_add_u32_e32 v0, v15, v0
	ds_write_b32 v36, v0
.LBB137_91:                             ;   in Loop: Header=BB137_81 Depth=1
	s_or_b64 exec, exec, s[4:5]
	v_lshrrev_b32_e32 v0, s49, v53
	v_and_b32_e32 v0, s54, v0
	v_lshlrev_b32_e32 v1, 1, v0
	v_add_lshl_u32 v1, v1, v45, 2
	; wave barrier
	v_add_u32_e32 v39, 8, v1
	ds_read_b32 v38, v1 offset:8
	v_and_b32_e32 v1, 1, v0
	v_add_co_u32_e32 v2, vcc, -1, v1
	v_addc_co_u32_e64 v3, s[4:5], 0, -1, vcc
	v_cmp_ne_u32_e32 vcc, 0, v1
	v_lshlrev_b32_e32 v33, 30, v0
	v_xor_b32_e32 v1, vcc_hi, v3
	v_not_b32_e32 v3, v33
	v_xor_b32_e32 v2, vcc_lo, v2
	v_cmp_gt_i64_e32 vcc, 0, v[32:33]
	v_ashrrev_i32_e32 v3, 31, v3
	v_and_b32_e32 v1, exec_hi, v1
	v_xor_b32_e32 v33, vcc_hi, v3
	v_and_b32_e32 v2, exec_lo, v2
	v_xor_b32_e32 v3, vcc_lo, v3
	v_and_b32_e32 v1, v1, v33
	v_lshlrev_b32_e32 v33, 29, v0
	v_and_b32_e32 v2, v2, v3
	v_not_b32_e32 v3, v33
	v_cmp_gt_i64_e32 vcc, 0, v[32:33]
	v_ashrrev_i32_e32 v3, 31, v3
	v_xor_b32_e32 v33, vcc_hi, v3
	v_xor_b32_e32 v3, vcc_lo, v3
	v_and_b32_e32 v1, v1, v33
	v_lshlrev_b32_e32 v33, 28, v0
	v_and_b32_e32 v2, v2, v3
	v_not_b32_e32 v3, v33
	v_cmp_gt_i64_e32 vcc, 0, v[32:33]
	v_ashrrev_i32_e32 v3, 31, v3
	v_xor_b32_e32 v33, vcc_hi, v3
	v_xor_b32_e32 v3, vcc_lo, v3
	v_and_b32_e32 v1, v1, v33
	v_lshlrev_b32_e32 v33, 27, v0
	v_and_b32_e32 v2, v2, v3
	v_not_b32_e32 v3, v33
	v_cmp_gt_i64_e32 vcc, 0, v[32:33]
	v_ashrrev_i32_e32 v3, 31, v3
	v_xor_b32_e32 v33, vcc_hi, v3
	v_xor_b32_e32 v3, vcc_lo, v3
	v_and_b32_e32 v1, v1, v33
	v_lshlrev_b32_e32 v33, 26, v0
	v_and_b32_e32 v2, v2, v3
	v_not_b32_e32 v3, v33
	v_cmp_gt_i64_e32 vcc, 0, v[32:33]
	v_ashrrev_i32_e32 v3, 31, v3
	v_xor_b32_e32 v33, vcc_hi, v3
	v_xor_b32_e32 v3, vcc_lo, v3
	v_and_b32_e32 v1, v1, v33
	v_lshlrev_b32_e32 v33, 25, v0
	v_and_b32_e32 v2, v2, v3
	v_not_b32_e32 v3, v33
	v_cmp_gt_i64_e32 vcc, 0, v[32:33]
	v_ashrrev_i32_e32 v3, 31, v3
	v_xor_b32_e32 v33, vcc_hi, v3
	v_and_b32_e32 v1, v1, v33
	v_lshlrev_b32_e32 v33, 24, v0
	v_not_b32_e32 v0, v33
	v_xor_b32_e32 v3, vcc_lo, v3
	v_cmp_gt_i64_e32 vcc, 0, v[32:33]
	v_ashrrev_i32_e32 v0, 31, v0
	v_and_b32_e32 v2, v2, v3
	v_xor_b32_e32 v3, vcc_hi, v0
	v_xor_b32_e32 v0, vcc_lo, v0
	v_and_b32_e32 v0, v2, v0
	v_and_b32_e32 v1, v1, v3
	v_mbcnt_lo_u32_b32 v2, v0, 0
	v_mbcnt_hi_u32_b32 v40, v1, v2
	v_cmp_eq_u32_e32 vcc, 0, v40
	v_cmp_ne_u64_e64 s[4:5], 0, v[0:1]
	s_and_b64 s[56:57], s[4:5], vcc
	; wave barrier
	s_and_saveexec_b64 s[4:5], s[56:57]
	s_cbranch_execz .LBB137_93
; %bb.92:                               ;   in Loop: Header=BB137_81 Depth=1
	v_bcnt_u32_b32 v0, v0, 0
	v_bcnt_u32_b32 v0, v1, v0
	s_waitcnt lgkmcnt(0)
	v_add_u32_e32 v0, v38, v0
	ds_write_b32 v39, v0
.LBB137_93:                             ;   in Loop: Header=BB137_81 Depth=1
	s_or_b64 exec, exec, s[4:5]
	v_lshrrev_b32_e32 v0, s49, v52
	v_and_b32_e32 v0, s54, v0
	v_lshlrev_b32_e32 v1, 1, v0
	v_add_lshl_u32 v1, v1, v45, 2
	; wave barrier
	v_add_u32_e32 v42, 8, v1
	ds_read_b32 v41, v1 offset:8
	v_and_b32_e32 v1, 1, v0
	v_add_co_u32_e32 v2, vcc, -1, v1
	v_addc_co_u32_e64 v3, s[4:5], 0, -1, vcc
	v_cmp_ne_u32_e32 vcc, 0, v1
	v_lshlrev_b32_e32 v33, 30, v0
	v_xor_b32_e32 v1, vcc_hi, v3
	v_not_b32_e32 v3, v33
	v_xor_b32_e32 v2, vcc_lo, v2
	v_cmp_gt_i64_e32 vcc, 0, v[32:33]
	v_ashrrev_i32_e32 v3, 31, v3
	v_and_b32_e32 v1, exec_hi, v1
	v_xor_b32_e32 v33, vcc_hi, v3
	v_and_b32_e32 v2, exec_lo, v2
	v_xor_b32_e32 v3, vcc_lo, v3
	v_and_b32_e32 v1, v1, v33
	v_lshlrev_b32_e32 v33, 29, v0
	v_and_b32_e32 v2, v2, v3
	v_not_b32_e32 v3, v33
	v_cmp_gt_i64_e32 vcc, 0, v[32:33]
	v_ashrrev_i32_e32 v3, 31, v3
	v_xor_b32_e32 v33, vcc_hi, v3
	v_xor_b32_e32 v3, vcc_lo, v3
	v_and_b32_e32 v1, v1, v33
	v_lshlrev_b32_e32 v33, 28, v0
	v_and_b32_e32 v2, v2, v3
	v_not_b32_e32 v3, v33
	v_cmp_gt_i64_e32 vcc, 0, v[32:33]
	v_ashrrev_i32_e32 v3, 31, v3
	v_xor_b32_e32 v33, vcc_hi, v3
	;; [unrolled: 8-line block ×5, first 2 shown]
	v_and_b32_e32 v1, v1, v33
	v_lshlrev_b32_e32 v33, 24, v0
	v_not_b32_e32 v0, v33
	v_xor_b32_e32 v3, vcc_lo, v3
	v_cmp_gt_i64_e32 vcc, 0, v[32:33]
	v_ashrrev_i32_e32 v0, 31, v0
	v_and_b32_e32 v2, v2, v3
	v_xor_b32_e32 v3, vcc_hi, v0
	v_xor_b32_e32 v0, vcc_lo, v0
	v_and_b32_e32 v0, v2, v0
	v_and_b32_e32 v1, v1, v3
	v_mbcnt_lo_u32_b32 v2, v0, 0
	v_mbcnt_hi_u32_b32 v43, v1, v2
	v_cmp_eq_u32_e32 vcc, 0, v43
	v_cmp_ne_u64_e64 s[4:5], 0, v[0:1]
	s_and_b64 s[56:57], s[4:5], vcc
	; wave barrier
	s_and_saveexec_b64 s[4:5], s[56:57]
	s_cbranch_execz .LBB137_95
; %bb.94:                               ;   in Loop: Header=BB137_81 Depth=1
	v_bcnt_u32_b32 v0, v0, 0
	v_bcnt_u32_b32 v0, v1, v0
	s_waitcnt lgkmcnt(0)
	v_add_u32_e32 v0, v41, v0
	ds_write_b32 v42, v0
.LBB137_95:                             ;   in Loop: Header=BB137_81 Depth=1
	s_or_b64 exec, exec, s[4:5]
	v_lshrrev_b32_e32 v0, s49, v51
	v_and_b32_e32 v0, s54, v0
	v_lshlrev_b32_e32 v1, 1, v0
	v_add_lshl_u32 v1, v1, v45, 2
	; wave barrier
	v_add_u32_e32 v60, 8, v1
	ds_read_b32 v59, v1 offset:8
	v_and_b32_e32 v1, 1, v0
	v_add_co_u32_e32 v2, vcc, -1, v1
	v_addc_co_u32_e64 v3, s[4:5], 0, -1, vcc
	v_cmp_ne_u32_e32 vcc, 0, v1
	v_lshlrev_b32_e32 v33, 30, v0
	v_xor_b32_e32 v1, vcc_hi, v3
	v_not_b32_e32 v3, v33
	v_xor_b32_e32 v2, vcc_lo, v2
	v_cmp_gt_i64_e32 vcc, 0, v[32:33]
	v_ashrrev_i32_e32 v3, 31, v3
	v_and_b32_e32 v1, exec_hi, v1
	v_xor_b32_e32 v33, vcc_hi, v3
	v_and_b32_e32 v2, exec_lo, v2
	v_xor_b32_e32 v3, vcc_lo, v3
	v_and_b32_e32 v1, v1, v33
	v_lshlrev_b32_e32 v33, 29, v0
	v_and_b32_e32 v2, v2, v3
	v_not_b32_e32 v3, v33
	v_cmp_gt_i64_e32 vcc, 0, v[32:33]
	v_ashrrev_i32_e32 v3, 31, v3
	v_xor_b32_e32 v33, vcc_hi, v3
	v_xor_b32_e32 v3, vcc_lo, v3
	v_and_b32_e32 v1, v1, v33
	v_lshlrev_b32_e32 v33, 28, v0
	v_and_b32_e32 v2, v2, v3
	v_not_b32_e32 v3, v33
	v_cmp_gt_i64_e32 vcc, 0, v[32:33]
	v_ashrrev_i32_e32 v3, 31, v3
	v_xor_b32_e32 v33, vcc_hi, v3
	;; [unrolled: 8-line block ×5, first 2 shown]
	v_and_b32_e32 v1, v1, v33
	v_lshlrev_b32_e32 v33, 24, v0
	v_not_b32_e32 v0, v33
	v_xor_b32_e32 v3, vcc_lo, v3
	v_cmp_gt_i64_e32 vcc, 0, v[32:33]
	v_ashrrev_i32_e32 v0, 31, v0
	v_and_b32_e32 v2, v2, v3
	v_xor_b32_e32 v3, vcc_hi, v0
	v_xor_b32_e32 v0, vcc_lo, v0
	v_and_b32_e32 v0, v2, v0
	v_and_b32_e32 v1, v1, v3
	v_mbcnt_lo_u32_b32 v2, v0, 0
	v_mbcnt_hi_u32_b32 v66, v1, v2
	v_cmp_eq_u32_e32 vcc, 0, v66
	v_cmp_ne_u64_e64 s[4:5], 0, v[0:1]
	s_and_b64 s[54:55], s[4:5], vcc
	; wave barrier
	s_and_saveexec_b64 s[4:5], s[54:55]
	s_cbranch_execz .LBB137_97
; %bb.96:                               ;   in Loop: Header=BB137_81 Depth=1
	v_bcnt_u32_b32 v0, v0, 0
	v_bcnt_u32_b32 v0, v1, v0
	s_waitcnt lgkmcnt(0)
	v_add_u32_e32 v0, v59, v0
	ds_write_b32 v60, v0
.LBB137_97:                             ;   in Loop: Header=BB137_81 Depth=1
	s_or_b64 exec, exec, s[4:5]
	; wave barrier
	s_waitcnt lgkmcnt(0)
	s_barrier
	ds_read2_b32 v[2:3], v87 offset0:2 offset1:3
	ds_read2_b32 v[0:1], v44 offset0:2 offset1:3
	s_waitcnt lgkmcnt(1)
	v_add_u32_e32 v33, v3, v2
	s_waitcnt lgkmcnt(0)
	v_add3_u32 v1, v33, v0, v1
	s_nop 1
	v_mov_b32_dpp v33, v1 row_shr:1 row_mask:0xf bank_mask:0xf
	v_cndmask_b32_e64 v33, v33, 0, s[16:17]
	v_add_u32_e32 v1, v33, v1
	s_nop 1
	v_mov_b32_dpp v33, v1 row_shr:2 row_mask:0xf bank_mask:0xf
	v_cndmask_b32_e64 v33, 0, v33, s[18:19]
	v_add_u32_e32 v1, v1, v33
	;; [unrolled: 4-line block ×4, first 2 shown]
	s_nop 1
	v_mov_b32_dpp v33, v1 row_bcast:15 row_mask:0xf bank_mask:0xf
	v_cndmask_b32_e64 v33, v33, 0, s[24:25]
	v_add_u32_e32 v1, v1, v33
	s_nop 1
	v_mov_b32_dpp v33, v1 row_bcast:31 row_mask:0xf bank_mask:0xf
	v_cndmask_b32_e64 v33, 0, v33, s[26:27]
	v_add_u32_e32 v1, v1, v33
	s_and_saveexec_b64 s[4:5], s[28:29]
	s_cbranch_execz .LBB137_99
; %bb.98:                               ;   in Loop: Header=BB137_81 Depth=1
	ds_write_b32 v47, v1
.LBB137_99:                             ;   in Loop: Header=BB137_81 Depth=1
	s_or_b64 exec, exec, s[4:5]
	s_waitcnt lgkmcnt(0)
	s_barrier
	s_and_saveexec_b64 s[4:5], s[30:31]
	s_cbranch_execz .LBB137_101
; %bb.100:                              ;   in Loop: Header=BB137_81 Depth=1
	ds_read_b32 v33, v86
	s_waitcnt lgkmcnt(0)
	s_nop 0
	v_mov_b32_dpp v61, v33 row_shr:1 row_mask:0xf bank_mask:0xf
	v_cndmask_b32_e64 v61, v61, 0, s[40:41]
	v_add_u32_e32 v33, v61, v33
	ds_write_b32 v86, v33
.LBB137_101:                            ;   in Loop: Header=BB137_81 Depth=1
	s_or_b64 exec, exec, s[4:5]
	v_mov_b32_e32 v33, 0
	s_waitcnt lgkmcnt(0)
	s_barrier
	s_and_saveexec_b64 s[4:5], s[34:35]
	s_cbranch_execz .LBB137_103
; %bb.102:                              ;   in Loop: Header=BB137_81 Depth=1
	ds_read_b32 v33, v48
.LBB137_103:                            ;   in Loop: Header=BB137_81 Depth=1
	s_or_b64 exec, exec, s[4:5]
	s_waitcnt lgkmcnt(0)
	v_add_u32_e32 v1, v33, v1
	ds_bpermute_b32 v1, v46, v1
	s_cmp_gt_u32 s49, 23
	s_waitcnt lgkmcnt(0)
	v_cndmask_b32_e64 v1, v1, v33, s[36:37]
	v_cndmask_b32_e64 v1, v1, 0, s[38:39]
	v_add_u32_e32 v2, v1, v2
	v_add_u32_e32 v3, v2, v3
	;; [unrolled: 1-line block ×3, first 2 shown]
	ds_write2_b32 v87, v1, v2 offset0:2 offset1:3
	ds_write2_b32 v44, v3, v0 offset0:2 offset1:3
	s_waitcnt lgkmcnt(0)
	s_barrier
	ds_read_b32 v0, v4
	ds_read_b32 v1, v7
	;; [unrolled: 1-line block ×8, first 2 shown]
	s_waitcnt lgkmcnt(7)
	v_add_u32_e32 v33, v0, v5
	s_waitcnt lgkmcnt(6)
	v_add3_u32 v60, v8, v6, v1
	s_waitcnt lgkmcnt(5)
	v_add3_u32 v61, v11, v9, v2
	;; [unrolled: 2-line block ×7, first 2 shown]
	s_cbranch_scc0 .LBB137_80
; %bb.104:
                                        ; implicit-def: $vgpr43
                                        ; implicit-def: $vgpr41
                                        ; implicit-def: $vgpr39
                                        ; implicit-def: $vgpr37
                                        ; implicit-def: $vgpr14_vgpr15
                                        ; implicit-def: $vgpr10_vgpr11
                                        ; implicit-def: $vgpr6_vgpr7
                                        ; implicit-def: $vgpr2_vgpr3
                                        ; implicit-def: $sgpr49
                                        ; implicit-def: $sgpr53
.LBB137_105:
	v_lshlrev_b32_e32 v0, 2, v33
	s_barrier
	ds_write_b32 v0, v58
	v_lshlrev_b32_e32 v0, 2, v60
	ds_write_b32 v0, v57
	v_lshlrev_b32_e32 v0, 2, v61
	;; [unrolled: 2-line block ×7, first 2 shown]
	v_lshlrev_b32_e32 v6, 2, v80
	v_lshlrev_b32_e32 v8, 3, v33
	;; [unrolled: 1-line block ×3, first 2 shown]
	ds_write_b32 v0, v51
	s_waitcnt lgkmcnt(0)
	s_barrier
	v_lshlrev_b32_e32 v9, 3, v60
	v_lshlrev_b32_e32 v10, 3, v61
	;; [unrolled: 1-line block ×7, first 2 shown]
	ds_read2_b32 v[0:1], v6 offset1:1
	ds_read2_b32 v[2:3], v6 offset0:2 offset1:3
	ds_read2_b32 v[4:5], v6 offset0:4 offset1:5
	;; [unrolled: 1-line block ×3, first 2 shown]
	s_waitcnt lgkmcnt(0)
	s_barrier
	ds_write_b64 v8, v[30:31]
	ds_write_b64 v9, v[28:29]
	;; [unrolled: 1-line block ×8, first 2 shown]
	s_waitcnt lgkmcnt(0)
	s_barrier
	ds_read2_b64 v[18:21], v32 offset1:1
	ds_read2_b64 v[22:25], v32 offset0:2 offset1:3
	ds_read2_b64 v[26:29], v32 offset0:4 offset1:5
	;; [unrolled: 1-line block ×3, first 2 shown]
	v_xor_b32_e32 v58, 0x7fffffff, v0
	v_xor_b32_e32 v60, 0x7fffffff, v1
	;; [unrolled: 1-line block ×8, first 2 shown]
.LBB137_106:
	s_waitcnt lgkmcnt(0)
	s_barrier
	ds_write2_b32 v75, v58, v60 offset1:1
	ds_write2_b32 v75, v59, v61 offset0:2 offset1:3
	ds_write2_b32 v75, v62, v0 offset0:4 offset1:5
	;; [unrolled: 1-line block ×3, first 2 shown]
	s_waitcnt lgkmcnt(0)
	s_barrier
	ds_read_b32 v8, v68 offset:512
	ds_read_b32 v7, v69 offset:1024
	;; [unrolled: 1-line block ×7, first 2 shown]
	v_mad_u64_u32 v[0:1], s[4:5], v34, s44, 0
	v_mov_b32_e32 v10, v1
	v_mad_u64_u32 v[10:11], s[4:5], v34, s45, v[10:11]
	v_mov_b32_e32 v1, v10
	v_lshlrev_b64 v[0:1], 2, v[0:1]
	v_mov_b32_e32 v9, s50
	v_add_co_u32_e32 v0, vcc, s33, v0
	v_addc_co_u32_e32 v1, vcc, v9, v1, vcc
	s_and_saveexec_b64 s[4:5], s[0:1]
	s_cbranch_execnz .LBB137_125
; %bb.107:
	s_or_b64 exec, exec, s[4:5]
	s_and_saveexec_b64 s[4:5], s[2:3]
	s_cbranch_execnz .LBB137_126
.LBB137_108:
	s_or_b64 exec, exec, s[4:5]
	s_and_saveexec_b64 s[4:5], s[42:43]
	s_cbranch_execnz .LBB137_127
.LBB137_109:
	s_or_b64 exec, exec, s[4:5]
	s_and_saveexec_b64 s[4:5], s[6:7]
	s_cbranch_execnz .LBB137_128
.LBB137_110:
	s_or_b64 exec, exec, s[4:5]
	s_and_saveexec_b64 s[4:5], s[8:9]
	s_cbranch_execnz .LBB137_129
.LBB137_111:
	s_or_b64 exec, exec, s[4:5]
	s_and_saveexec_b64 s[4:5], s[10:11]
	s_cbranch_execnz .LBB137_130
.LBB137_112:
	s_or_b64 exec, exec, s[4:5]
	s_and_saveexec_b64 s[4:5], s[12:13]
	s_cbranch_execnz .LBB137_131
.LBB137_113:
	s_or_b64 exec, exec, s[4:5]
	s_and_saveexec_b64 s[4:5], s[14:15]
	s_cbranch_execz .LBB137_115
.LBB137_114:
	s_waitcnt lgkmcnt(1)
	v_mov_b32_e32 v3, 0xe00
	v_mad_u64_u32 v[0:1], s[16:17], s44, v3, v[0:1]
	s_mul_i32 s16, s45, 0xe00
	v_add_u32_e32 v1, s16, v1
	s_waitcnt lgkmcnt(0)
	global_store_dword v[0:1], v2, off
.LBB137_115:
	s_or_b64 exec, exec, s[4:5]
	s_waitcnt lgkmcnt(0)
	s_barrier
	ds_write2_b64 v85, v[18:19], v[20:21] offset1:1
	ds_write2_b64 v85, v[22:23], v[24:25] offset0:2 offset1:3
	ds_write2_b64 v85, v[26:27], v[28:29] offset0:4 offset1:5
	;; [unrolled: 1-line block ×3, first 2 shown]
	s_waitcnt lgkmcnt(0)
	s_barrier
	ds_read_b64 v[14:15], v77 offset:1024
	ds_read_b64 v[12:13], v78 offset:2048
	;; [unrolled: 1-line block ×7, first 2 shown]
	v_mad_u64_u32 v[4:5], s[4:5], v34, s46, 0
	v_mov_b32_e32 v16, v5
	v_mad_u64_u32 v[16:17], s[4:5], v34, s47, v[16:17]
	v_mov_b32_e32 v5, v16
	v_lshlrev_b64 v[4:5], 3, v[4:5]
	v_mov_b32_e32 v16, s52
	v_add_co_u32_e32 v4, vcc, s51, v4
	v_addc_co_u32_e32 v5, vcc, v16, v5, vcc
	s_and_saveexec_b64 s[4:5], s[0:1]
	s_cbranch_execnz .LBB137_132
; %bb.116:
	s_or_b64 exec, exec, s[4:5]
	s_and_saveexec_b64 s[0:1], s[2:3]
	s_cbranch_execnz .LBB137_133
.LBB137_117:
	s_or_b64 exec, exec, s[0:1]
	s_and_saveexec_b64 s[0:1], s[42:43]
	s_cbranch_execnz .LBB137_134
.LBB137_118:
	s_or_b64 exec, exec, s[0:1]
	s_and_saveexec_b64 s[0:1], s[6:7]
	s_cbranch_execnz .LBB137_135
.LBB137_119:
	s_or_b64 exec, exec, s[0:1]
	s_and_saveexec_b64 s[0:1], s[8:9]
	s_cbranch_execnz .LBB137_136
.LBB137_120:
	s_or_b64 exec, exec, s[0:1]
	s_and_saveexec_b64 s[0:1], s[10:11]
	s_cbranch_execnz .LBB137_137
.LBB137_121:
	s_or_b64 exec, exec, s[0:1]
	s_and_saveexec_b64 s[0:1], s[12:13]
	s_cbranch_execnz .LBB137_138
.LBB137_122:
	s_or_b64 exec, exec, s[0:1]
	s_and_saveexec_b64 s[0:1], s[14:15]
	s_cbranch_execz .LBB137_124
.LBB137_123:
	s_waitcnt lgkmcnt(1)
	v_mov_b32_e32 v2, 0x1c00
	v_mad_u64_u32 v[2:3], s[0:1], s46, v2, v[4:5]
	s_mul_i32 s0, s47, 0x1c00
	v_add_u32_e32 v3, s0, v3
	s_waitcnt lgkmcnt(0)
	global_store_dwordx2 v[2:3], v[0:1], off
.LBB137_124:
	s_endpgm
.LBB137_125:
	ds_read_b32 v9, v35
	s_waitcnt lgkmcnt(0)
	global_store_dword v[0:1], v9, off
	s_or_b64 exec, exec, s[4:5]
	s_and_saveexec_b64 s[4:5], s[2:3]
	s_cbranch_execz .LBB137_108
.LBB137_126:
	s_lshl_b64 s[16:17], s[44:45], 9
	v_mov_b32_e32 v9, s17
	v_add_co_u32_e32 v10, vcc, s16, v0
	v_addc_co_u32_e32 v11, vcc, v1, v9, vcc
	s_waitcnt lgkmcnt(6)
	global_store_dword v[10:11], v8, off
	s_or_b64 exec, exec, s[4:5]
	s_and_saveexec_b64 s[4:5], s[42:43]
	s_cbranch_execz .LBB137_109
.LBB137_127:
	s_lshl_b64 s[16:17], s[44:45], 10
	v_mov_b32_e32 v9, s17
	s_waitcnt lgkmcnt(6)
	v_add_co_u32_e32 v8, vcc, s16, v0
	v_addc_co_u32_e32 v9, vcc, v1, v9, vcc
	s_waitcnt lgkmcnt(5)
	global_store_dword v[8:9], v7, off
	s_or_b64 exec, exec, s[4:5]
	s_and_saveexec_b64 s[4:5], s[6:7]
	s_cbranch_execz .LBB137_110
.LBB137_128:
	s_waitcnt lgkmcnt(5)
	v_mov_b32_e32 v7, 0x600
	v_mad_u64_u32 v[8:9], s[16:17], s44, v7, v[0:1]
	s_mul_i32 s16, s45, 0x600
	v_add_u32_e32 v9, s16, v9
	s_waitcnt lgkmcnt(4)
	global_store_dword v[8:9], v6, off
	s_or_b64 exec, exec, s[4:5]
	s_and_saveexec_b64 s[4:5], s[8:9]
	s_cbranch_execz .LBB137_111
.LBB137_129:
	s_lshl_b64 s[16:17], s[44:45], 11
	s_waitcnt lgkmcnt(5)
	v_mov_b32_e32 v7, s17
	s_waitcnt lgkmcnt(4)
	v_add_co_u32_e32 v6, vcc, s16, v0
	v_addc_co_u32_e32 v7, vcc, v1, v7, vcc
	s_waitcnt lgkmcnt(3)
	global_store_dword v[6:7], v5, off
	s_or_b64 exec, exec, s[4:5]
	s_and_saveexec_b64 s[4:5], s[10:11]
	s_cbranch_execz .LBB137_112
.LBB137_130:
	s_waitcnt lgkmcnt(3)
	v_mov_b32_e32 v5, 0xa00
	v_mad_u64_u32 v[6:7], s[16:17], s44, v5, v[0:1]
	s_mul_i32 s16, s45, 0xa00
	v_add_u32_e32 v7, s16, v7
	s_waitcnt lgkmcnt(2)
	global_store_dword v[6:7], v4, off
	s_or_b64 exec, exec, s[4:5]
	s_and_saveexec_b64 s[4:5], s[12:13]
	s_cbranch_execz .LBB137_113
.LBB137_131:
	s_waitcnt lgkmcnt(2)
	v_mov_b32_e32 v4, 0xc00
	v_mad_u64_u32 v[4:5], s[16:17], s44, v4, v[0:1]
	s_mul_i32 s16, s45, 0xc00
	v_add_u32_e32 v5, s16, v5
	s_waitcnt lgkmcnt(1)
	global_store_dword v[4:5], v3, off
	s_or_b64 exec, exec, s[4:5]
	s_and_saveexec_b64 s[4:5], s[14:15]
	s_cbranch_execnz .LBB137_114
	s_branch .LBB137_115
.LBB137_132:
	ds_read_b64 v[16:17], v76
	s_waitcnt lgkmcnt(0)
	global_store_dwordx2 v[4:5], v[16:17], off
	s_or_b64 exec, exec, s[4:5]
	s_and_saveexec_b64 s[0:1], s[2:3]
	s_cbranch_execz .LBB137_117
.LBB137_133:
	s_lshl_b64 s[2:3], s[46:47], 10
	v_mov_b32_e32 v17, s3
	v_add_co_u32_e32 v16, vcc, s2, v4
	v_addc_co_u32_e32 v17, vcc, v5, v17, vcc
	s_waitcnt lgkmcnt(6)
	global_store_dwordx2 v[16:17], v[14:15], off
	s_or_b64 exec, exec, s[0:1]
	s_and_saveexec_b64 s[0:1], s[42:43]
	s_cbranch_execz .LBB137_118
.LBB137_134:
	s_lshl_b64 s[2:3], s[46:47], 11
	s_waitcnt lgkmcnt(6)
	v_mov_b32_e32 v15, s3
	v_add_co_u32_e32 v14, vcc, s2, v4
	v_addc_co_u32_e32 v15, vcc, v5, v15, vcc
	s_waitcnt lgkmcnt(5)
	global_store_dwordx2 v[14:15], v[12:13], off
	s_or_b64 exec, exec, s[0:1]
	s_and_saveexec_b64 s[0:1], s[6:7]
	s_cbranch_execz .LBB137_119
.LBB137_135:
	s_waitcnt lgkmcnt(5)
	v_mov_b32_e32 v12, 0xc00
	v_mad_u64_u32 v[12:13], s[2:3], s46, v12, v[4:5]
	s_mul_i32 s2, s47, 0xc00
	v_add_u32_e32 v13, s2, v13
	s_waitcnt lgkmcnt(4)
	global_store_dwordx2 v[12:13], v[10:11], off
	s_or_b64 exec, exec, s[0:1]
	s_and_saveexec_b64 s[0:1], s[8:9]
	s_cbranch_execz .LBB137_120
.LBB137_136:
	s_lshl_b64 s[2:3], s[46:47], 12
	s_waitcnt lgkmcnt(4)
	v_mov_b32_e32 v11, s3
	v_add_co_u32_e32 v10, vcc, s2, v4
	v_addc_co_u32_e32 v11, vcc, v5, v11, vcc
	s_waitcnt lgkmcnt(3)
	global_store_dwordx2 v[10:11], v[8:9], off
	s_or_b64 exec, exec, s[0:1]
	s_and_saveexec_b64 s[0:1], s[10:11]
	s_cbranch_execz .LBB137_121
.LBB137_137:
	s_waitcnt lgkmcnt(3)
	v_mov_b32_e32 v8, 0x1400
	v_mad_u64_u32 v[8:9], s[2:3], s46, v8, v[4:5]
	s_mul_i32 s2, s47, 0x1400
	v_add_u32_e32 v9, s2, v9
	s_waitcnt lgkmcnt(2)
	global_store_dwordx2 v[8:9], v[6:7], off
	s_or_b64 exec, exec, s[0:1]
	s_and_saveexec_b64 s[0:1], s[12:13]
	s_cbranch_execz .LBB137_122
.LBB137_138:
	s_waitcnt lgkmcnt(2)
	v_mov_b32_e32 v6, 0x1800
	v_mad_u64_u32 v[6:7], s[2:3], s46, v6, v[4:5]
	s_mul_i32 s2, s47, 0x1800
	v_add_u32_e32 v7, s2, v7
	s_waitcnt lgkmcnt(1)
	global_store_dwordx2 v[6:7], v[2:3], off
	s_or_b64 exec, exec, s[0:1]
	s_and_saveexec_b64 s[0:1], s[14:15]
	s_cbranch_execnz .LBB137_123
	s_branch .LBB137_124
	.section	.rodata,"a",@progbits
	.p2align	6, 0x0
	.amdhsa_kernel _ZN2at6native18radixSortKVInPlaceILin1ELin1ELi128ELi8EilmEEvNS_4cuda6detail10TensorInfoIT3_T5_EES6_S6_S6_NS4_IT4_S6_EES6_b
		.amdhsa_group_segment_fixed_size 8448
		.amdhsa_private_segment_fixed_size 0
		.amdhsa_kernarg_size 1128
		.amdhsa_user_sgpr_count 6
		.amdhsa_user_sgpr_private_segment_buffer 1
		.amdhsa_user_sgpr_dispatch_ptr 0
		.amdhsa_user_sgpr_queue_ptr 0
		.amdhsa_user_sgpr_kernarg_segment_ptr 1
		.amdhsa_user_sgpr_dispatch_id 0
		.amdhsa_user_sgpr_flat_scratch_init 0
		.amdhsa_user_sgpr_kernarg_preload_length 0
		.amdhsa_user_sgpr_kernarg_preload_offset 0
		.amdhsa_user_sgpr_private_segment_size 0
		.amdhsa_uses_dynamic_stack 0
		.amdhsa_system_sgpr_private_segment_wavefront_offset 0
		.amdhsa_system_sgpr_workgroup_id_x 1
		.amdhsa_system_sgpr_workgroup_id_y 1
		.amdhsa_system_sgpr_workgroup_id_z 1
		.amdhsa_system_sgpr_workgroup_info 0
		.amdhsa_system_vgpr_workitem_id 2
		.amdhsa_next_free_vgpr 126
		.amdhsa_next_free_sgpr 60
		.amdhsa_accum_offset 128
		.amdhsa_reserve_vcc 1
		.amdhsa_reserve_flat_scratch 0
		.amdhsa_float_round_mode_32 0
		.amdhsa_float_round_mode_16_64 0
		.amdhsa_float_denorm_mode_32 3
		.amdhsa_float_denorm_mode_16_64 3
		.amdhsa_dx10_clamp 1
		.amdhsa_ieee_mode 1
		.amdhsa_fp16_overflow 0
		.amdhsa_tg_split 0
		.amdhsa_exception_fp_ieee_invalid_op 0
		.amdhsa_exception_fp_denorm_src 0
		.amdhsa_exception_fp_ieee_div_zero 0
		.amdhsa_exception_fp_ieee_overflow 0
		.amdhsa_exception_fp_ieee_underflow 0
		.amdhsa_exception_fp_ieee_inexact 0
		.amdhsa_exception_int_div_zero 0
	.end_amdhsa_kernel
	.section	.text._ZN2at6native18radixSortKVInPlaceILin1ELin1ELi128ELi8EilmEEvNS_4cuda6detail10TensorInfoIT3_T5_EES6_S6_S6_NS4_IT4_S6_EES6_b,"axG",@progbits,_ZN2at6native18radixSortKVInPlaceILin1ELin1ELi128ELi8EilmEEvNS_4cuda6detail10TensorInfoIT3_T5_EES6_S6_S6_NS4_IT4_S6_EES6_b,comdat
.Lfunc_end137:
	.size	_ZN2at6native18radixSortKVInPlaceILin1ELin1ELi128ELi8EilmEEvNS_4cuda6detail10TensorInfoIT3_T5_EES6_S6_S6_NS4_IT4_S6_EES6_b, .Lfunc_end137-_ZN2at6native18radixSortKVInPlaceILin1ELin1ELi128ELi8EilmEEvNS_4cuda6detail10TensorInfoIT3_T5_EES6_S6_S6_NS4_IT4_S6_EES6_b
                                        ; -- End function
	.section	.AMDGPU.csdata,"",@progbits
; Kernel info:
; codeLenInByte = 14532
; NumSgprs: 64
; NumVgprs: 126
; NumAgprs: 0
; TotalNumVgprs: 126
; ScratchSize: 0
; MemoryBound: 0
; FloatMode: 240
; IeeeMode: 1
; LDSByteSize: 8448 bytes/workgroup (compile time only)
; SGPRBlocks: 7
; VGPRBlocks: 15
; NumSGPRsForWavesPerEU: 64
; NumVGPRsForWavesPerEU: 126
; AccumOffset: 128
; Occupancy: 4
; WaveLimiterHint : 1
; COMPUTE_PGM_RSRC2:SCRATCH_EN: 0
; COMPUTE_PGM_RSRC2:USER_SGPR: 6
; COMPUTE_PGM_RSRC2:TRAP_HANDLER: 0
; COMPUTE_PGM_RSRC2:TGID_X_EN: 1
; COMPUTE_PGM_RSRC2:TGID_Y_EN: 1
; COMPUTE_PGM_RSRC2:TGID_Z_EN: 1
; COMPUTE_PGM_RSRC2:TIDIG_COMP_CNT: 2
; COMPUTE_PGM_RSRC3_GFX90A:ACCUM_OFFSET: 31
; COMPUTE_PGM_RSRC3_GFX90A:TG_SPLIT: 0
	.section	.text._ZN2at6native18radixSortKVInPlaceILin1ELin1ELi32ELi4EilmEEvNS_4cuda6detail10TensorInfoIT3_T5_EES6_S6_S6_NS4_IT4_S6_EES6_b,"axG",@progbits,_ZN2at6native18radixSortKVInPlaceILin1ELin1ELi32ELi4EilmEEvNS_4cuda6detail10TensorInfoIT3_T5_EES6_S6_S6_NS4_IT4_S6_EES6_b,comdat
	.protected	_ZN2at6native18radixSortKVInPlaceILin1ELin1ELi32ELi4EilmEEvNS_4cuda6detail10TensorInfoIT3_T5_EES6_S6_S6_NS4_IT4_S6_EES6_b ; -- Begin function _ZN2at6native18radixSortKVInPlaceILin1ELin1ELi32ELi4EilmEEvNS_4cuda6detail10TensorInfoIT3_T5_EES6_S6_S6_NS4_IT4_S6_EES6_b
	.globl	_ZN2at6native18radixSortKVInPlaceILin1ELin1ELi32ELi4EilmEEvNS_4cuda6detail10TensorInfoIT3_T5_EES6_S6_S6_NS4_IT4_S6_EES6_b
	.p2align	8
	.type	_ZN2at6native18radixSortKVInPlaceILin1ELin1ELi32ELi4EilmEEvNS_4cuda6detail10TensorInfoIT3_T5_EES6_S6_S6_NS4_IT4_S6_EES6_b,@function
_ZN2at6native18radixSortKVInPlaceILin1ELin1ELi32ELi4EilmEEvNS_4cuda6detail10TensorInfoIT3_T5_EES6_S6_S6_NS4_IT4_S6_EES6_b: ; @_ZN2at6native18radixSortKVInPlaceILin1ELin1ELi32ELi4EilmEEvNS_4cuda6detail10TensorInfoIT3_T5_EES6_S6_S6_NS4_IT4_S6_EES6_b
; %bb.0:
	s_load_dwordx4 s[12:15], s[4:5], 0x1a0
	s_load_dwordx2 s[0:1], s[4:5], 0x368
	s_waitcnt lgkmcnt(0)
	v_mov_b32_e32 v2, s12
	s_mul_i32 s1, s1, s8
	s_add_i32 s1, s1, s7
	s_mul_i32 s0, s1, s0
	v_mov_b32_e32 v3, s13
	s_add_i32 s6, s0, s6
	s_mov_b32 s7, 0
	v_cmp_ge_u64_e32 vcc, s[6:7], v[2:3]
	s_cbranch_vccnz .LBB138_74
; %bb.1:
	s_load_dword s0, s[4:5], 0x198
	s_load_dwordx2 s[26:27], s[4:5], 0x1b0
	s_mov_b64 s[2:3], 0
	s_mov_b64 s[8:9], s[6:7]
	s_waitcnt lgkmcnt(0)
	s_cmp_lt_i32 s0, 2
	s_cbranch_scc1 .LBB138_9
; %bb.2:
	s_mov_b32 s10, 0
	s_add_i32 s15, s0, 1
	s_add_i32 s0, s0, -1
	s_mov_b32 s1, s10
	s_lshl_b64 s[0:1], s[0:1], 3
	s_add_u32 s0, s0, s4
	s_addc_u32 s1, s1, s5
	s_add_u32 s12, s0, 8
	s_addc_u32 s13, s1, 0
	s_mov_b64 s[16:17], s[6:7]
.LBB138_3:                              ; =>This Inner Loop Header: Depth=1
	s_load_dwordx2 s[18:19], s[12:13], 0x0
	s_waitcnt lgkmcnt(0)
	s_or_b64 s[0:1], s[16:17], s[18:19]
	s_mov_b32 s11, s1
	s_cmp_lg_u64 s[10:11], 0
	s_cbranch_scc0 .LBB138_8
; %bb.4:                                ;   in Loop: Header=BB138_3 Depth=1
	v_cvt_f32_u32_e32 v1, s18
	v_cvt_f32_u32_e32 v2, s19
	s_sub_u32 s0, 0, s18
	s_subb_u32 s1, 0, s19
	v_mac_f32_e32 v1, 0x4f800000, v2
	v_rcp_f32_e32 v1, v1
	v_mul_f32_e32 v1, 0x5f7ffffc, v1
	v_mul_f32_e32 v2, 0x2f800000, v1
	v_trunc_f32_e32 v2, v2
	v_mac_f32_e32 v1, 0xcf800000, v2
	v_cvt_u32_f32_e32 v2, v2
	v_cvt_u32_f32_e32 v1, v1
	v_readfirstlane_b32 s8, v2
	v_readfirstlane_b32 s9, v1
	s_mul_i32 s11, s0, s8
	s_mul_hi_u32 s21, s0, s9
	s_mul_i32 s20, s1, s9
	s_add_i32 s11, s21, s11
	s_mul_i32 s22, s0, s9
	s_add_i32 s11, s11, s20
	s_mul_hi_u32 s20, s9, s11
	s_mul_i32 s21, s9, s11
	s_mul_hi_u32 s9, s9, s22
	s_add_u32 s9, s9, s21
	s_addc_u32 s20, 0, s20
	s_mul_hi_u32 s23, s8, s22
	s_mul_i32 s22, s8, s22
	s_add_u32 s9, s9, s22
	s_mul_hi_u32 s21, s8, s11
	s_addc_u32 s9, s20, s23
	s_addc_u32 s20, s21, 0
	s_mul_i32 s11, s8, s11
	s_add_u32 s9, s9, s11
	s_addc_u32 s11, 0, s20
	v_add_co_u32_e32 v1, vcc, s9, v1
	s_cmp_lg_u64 vcc, 0
	s_addc_u32 s8, s8, s11
	v_readfirstlane_b32 s11, v1
	s_mul_i32 s9, s0, s8
	s_mul_hi_u32 s20, s0, s11
	s_add_i32 s9, s20, s9
	s_mul_i32 s1, s1, s11
	s_add_i32 s9, s9, s1
	s_mul_i32 s0, s0, s11
	s_mul_hi_u32 s20, s8, s0
	s_mul_i32 s21, s8, s0
	s_mul_i32 s23, s11, s9
	s_mul_hi_u32 s0, s11, s0
	s_mul_hi_u32 s22, s11, s9
	s_add_u32 s0, s0, s23
	s_addc_u32 s11, 0, s22
	s_add_u32 s0, s0, s21
	s_mul_hi_u32 s1, s8, s9
	s_addc_u32 s0, s11, s20
	s_addc_u32 s1, s1, 0
	s_mul_i32 s9, s8, s9
	s_add_u32 s0, s0, s9
	s_addc_u32 s1, 0, s1
	v_add_co_u32_e32 v1, vcc, s0, v1
	s_cmp_lg_u64 vcc, 0
	s_addc_u32 s0, s8, s1
	v_readfirstlane_b32 s9, v1
	s_mul_i32 s8, s16, s0
	s_mul_hi_u32 s11, s16, s9
	s_mul_hi_u32 s1, s16, s0
	s_add_u32 s8, s11, s8
	s_addc_u32 s1, 0, s1
	s_mul_hi_u32 s20, s17, s9
	s_mul_i32 s9, s17, s9
	s_add_u32 s8, s8, s9
	s_mul_hi_u32 s11, s17, s0
	s_addc_u32 s1, s1, s20
	s_addc_u32 s8, s11, 0
	s_mul_i32 s0, s17, s0
	s_add_u32 s11, s1, s0
	s_addc_u32 s8, 0, s8
	s_mul_i32 s0, s18, s8
	s_mul_hi_u32 s1, s18, s11
	s_add_i32 s0, s1, s0
	s_mul_i32 s1, s19, s11
	s_add_i32 s9, s0, s1
	s_mul_i32 s1, s18, s11
	v_mov_b32_e32 v1, s1
	s_sub_i32 s0, s17, s9
	v_sub_co_u32_e32 v1, vcc, s16, v1
	s_cmp_lg_u64 vcc, 0
	s_subb_u32 s20, s0, s19
	v_subrev_co_u32_e64 v2, s[0:1], s18, v1
	s_cmp_lg_u64 s[0:1], 0
	s_subb_u32 s0, s20, 0
	s_cmp_ge_u32 s0, s19
	v_readfirstlane_b32 s20, v2
	s_cselect_b32 s1, -1, 0
	s_cmp_ge_u32 s20, s18
	s_cselect_b32 s20, -1, 0
	s_cmp_eq_u32 s0, s19
	s_cselect_b32 s0, s20, s1
	s_add_u32 s1, s11, 1
	s_addc_u32 s20, s8, 0
	s_add_u32 s21, s11, 2
	s_addc_u32 s22, s8, 0
	s_cmp_lg_u32 s0, 0
	s_cselect_b32 s0, s21, s1
	s_cselect_b32 s1, s22, s20
	s_cmp_lg_u64 vcc, 0
	s_subb_u32 s9, s17, s9
	s_cmp_ge_u32 s9, s19
	v_readfirstlane_b32 s21, v1
	s_cselect_b32 s20, -1, 0
	s_cmp_ge_u32 s21, s18
	s_cselect_b32 s21, -1, 0
	s_cmp_eq_u32 s9, s19
	s_cselect_b32 s9, s21, s20
	s_cmp_lg_u32 s9, 0
	s_cselect_b32 s9, s1, s8
	s_cselect_b32 s8, s0, s11
	s_cbranch_execnz .LBB138_6
.LBB138_5:                              ;   in Loop: Header=BB138_3 Depth=1
	v_cvt_f32_u32_e32 v1, s18
	s_sub_i32 s0, 0, s18
	v_rcp_iflag_f32_e32 v1, v1
	v_mul_f32_e32 v1, 0x4f7ffffe, v1
	v_cvt_u32_f32_e32 v1, v1
	v_readfirstlane_b32 s1, v1
	s_mul_i32 s0, s0, s1
	s_mul_hi_u32 s0, s1, s0
	s_add_i32 s1, s1, s0
	s_mul_hi_u32 s0, s16, s1
	s_mul_i32 s8, s0, s18
	s_sub_i32 s8, s16, s8
	s_add_i32 s1, s0, 1
	s_sub_i32 s9, s8, s18
	s_cmp_ge_u32 s8, s18
	s_cselect_b32 s0, s1, s0
	s_cselect_b32 s8, s9, s8
	s_add_i32 s1, s0, 1
	s_cmp_ge_u32 s8, s18
	s_cselect_b32 s8, s1, s0
	s_mov_b32 s9, s10
.LBB138_6:                              ;   in Loop: Header=BB138_3 Depth=1
	s_mul_i32 s0, s8, s19
	s_mul_hi_u32 s1, s8, s18
	s_add_i32 s11, s1, s0
	s_load_dwordx2 s[0:1], s[12:13], 0xc8
	s_mul_i32 s19, s9, s18
	s_add_i32 s11, s11, s19
	s_mul_i32 s18, s8, s18
	s_sub_u32 s16, s16, s18
	s_subb_u32 s11, s17, s11
	s_waitcnt lgkmcnt(0)
	s_mul_i32 s11, s0, s11
	s_mul_hi_u32 s17, s0, s16
	s_add_i32 s11, s17, s11
	s_mul_i32 s1, s1, s16
	s_add_i32 s11, s11, s1
	s_mul_i32 s0, s0, s16
	s_add_u32 s2, s0, s2
	s_addc_u32 s3, s11, s3
	s_add_i32 s15, s15, -1
	s_add_u32 s12, s12, -8
	s_addc_u32 s13, s13, -1
	s_cmp_gt_u32 s15, 2
	s_cbranch_scc0 .LBB138_9
; %bb.7:                                ;   in Loop: Header=BB138_3 Depth=1
	s_mov_b64 s[16:17], s[8:9]
	s_branch .LBB138_3
.LBB138_8:                              ;   in Loop: Header=BB138_3 Depth=1
                                        ; implicit-def: $sgpr8_sgpr9
	s_branch .LBB138_5
.LBB138_9:
	s_load_dword s0, s[4:5], 0x350
	s_load_dwordx2 s[10:11], s[4:5], 0xd0
	s_mov_b64 s[12:13], 0
	s_waitcnt lgkmcnt(0)
	s_cmp_lt_i32 s0, 2
	s_cbranch_scc1 .LBB138_17
; %bb.10:
	s_mov_b32 s16, 0
	s_add_i32 s15, s0, 1
	s_add_i32 s0, s0, -1
	s_mov_b32 s1, s16
	s_lshl_b64 s[0:1], s[0:1], 3
	s_add_u32 s0, s0, s4
	s_addc_u32 s1, s1, s5
	s_add_u32 s18, s0, 0x1c0
	s_addc_u32 s19, s1, 0
.LBB138_11:                             ; =>This Inner Loop Header: Depth=1
	s_load_dwordx2 s[22:23], s[18:19], 0x0
	s_waitcnt lgkmcnt(0)
	s_or_b64 s[0:1], s[6:7], s[22:23]
	s_mov_b32 s17, s1
	s_cmp_lg_u64 s[16:17], 0
	s_cbranch_scc0 .LBB138_16
; %bb.12:                               ;   in Loop: Header=BB138_11 Depth=1
	v_cvt_f32_u32_e32 v1, s22
	v_cvt_f32_u32_e32 v2, s23
	s_sub_u32 s0, 0, s22
	s_subb_u32 s1, 0, s23
	v_mac_f32_e32 v1, 0x4f800000, v2
	v_rcp_f32_e32 v1, v1
	v_mul_f32_e32 v1, 0x5f7ffffc, v1
	v_mul_f32_e32 v2, 0x2f800000, v1
	v_trunc_f32_e32 v2, v2
	v_mac_f32_e32 v1, 0xcf800000, v2
	v_cvt_u32_f32_e32 v2, v2
	v_cvt_u32_f32_e32 v1, v1
	v_readfirstlane_b32 s17, v2
	v_readfirstlane_b32 s20, v1
	s_mul_i32 s21, s0, s17
	s_mul_hi_u32 s25, s0, s20
	s_mul_i32 s24, s1, s20
	s_add_i32 s21, s25, s21
	s_mul_i32 s28, s0, s20
	s_add_i32 s21, s21, s24
	s_mul_hi_u32 s24, s20, s21
	s_mul_i32 s25, s20, s21
	s_mul_hi_u32 s20, s20, s28
	s_add_u32 s20, s20, s25
	s_addc_u32 s24, 0, s24
	s_mul_hi_u32 s29, s17, s28
	s_mul_i32 s28, s17, s28
	s_add_u32 s20, s20, s28
	s_mul_hi_u32 s25, s17, s21
	s_addc_u32 s20, s24, s29
	s_addc_u32 s24, s25, 0
	s_mul_i32 s21, s17, s21
	s_add_u32 s20, s20, s21
	s_addc_u32 s21, 0, s24
	v_add_co_u32_e32 v1, vcc, s20, v1
	s_cmp_lg_u64 vcc, 0
	s_addc_u32 s17, s17, s21
	v_readfirstlane_b32 s21, v1
	s_mul_i32 s20, s0, s17
	s_mul_hi_u32 s24, s0, s21
	s_add_i32 s20, s24, s20
	s_mul_i32 s1, s1, s21
	s_add_i32 s20, s20, s1
	s_mul_i32 s0, s0, s21
	s_mul_hi_u32 s24, s17, s0
	s_mul_i32 s25, s17, s0
	s_mul_i32 s29, s21, s20
	s_mul_hi_u32 s0, s21, s0
	s_mul_hi_u32 s28, s21, s20
	s_add_u32 s0, s0, s29
	s_addc_u32 s21, 0, s28
	s_add_u32 s0, s0, s25
	s_mul_hi_u32 s1, s17, s20
	s_addc_u32 s0, s21, s24
	s_addc_u32 s1, s1, 0
	s_mul_i32 s20, s17, s20
	s_add_u32 s0, s0, s20
	s_addc_u32 s1, 0, s1
	v_add_co_u32_e32 v1, vcc, s0, v1
	s_cmp_lg_u64 vcc, 0
	s_addc_u32 s0, s17, s1
	v_readfirstlane_b32 s20, v1
	s_mul_i32 s17, s6, s0
	s_mul_hi_u32 s21, s6, s20
	s_mul_hi_u32 s1, s6, s0
	s_add_u32 s17, s21, s17
	s_addc_u32 s1, 0, s1
	s_mul_hi_u32 s24, s7, s20
	s_mul_i32 s20, s7, s20
	s_add_u32 s17, s17, s20
	s_mul_hi_u32 s21, s7, s0
	s_addc_u32 s1, s1, s24
	s_addc_u32 s17, s21, 0
	s_mul_i32 s0, s7, s0
	s_add_u32 s20, s1, s0
	s_addc_u32 s17, 0, s17
	s_mul_i32 s0, s22, s17
	s_mul_hi_u32 s1, s22, s20
	s_add_i32 s0, s1, s0
	s_mul_i32 s1, s23, s20
	s_add_i32 s21, s0, s1
	s_mul_i32 s1, s22, s20
	v_mov_b32_e32 v1, s1
	s_sub_i32 s0, s7, s21
	v_sub_co_u32_e32 v1, vcc, s6, v1
	s_cmp_lg_u64 vcc, 0
	s_subb_u32 s24, s0, s23
	v_subrev_co_u32_e64 v2, s[0:1], s22, v1
	s_cmp_lg_u64 s[0:1], 0
	s_subb_u32 s0, s24, 0
	s_cmp_ge_u32 s0, s23
	v_readfirstlane_b32 s24, v2
	s_cselect_b32 s1, -1, 0
	s_cmp_ge_u32 s24, s22
	s_cselect_b32 s24, -1, 0
	s_cmp_eq_u32 s0, s23
	s_cselect_b32 s0, s24, s1
	s_add_u32 s1, s20, 1
	s_addc_u32 s24, s17, 0
	s_add_u32 s25, s20, 2
	s_addc_u32 s28, s17, 0
	s_cmp_lg_u32 s0, 0
	s_cselect_b32 s0, s25, s1
	s_cselect_b32 s1, s28, s24
	s_cmp_lg_u64 vcc, 0
	s_subb_u32 s21, s7, s21
	s_cmp_ge_u32 s21, s23
	v_readfirstlane_b32 s25, v1
	s_cselect_b32 s24, -1, 0
	s_cmp_ge_u32 s25, s22
	s_cselect_b32 s25, -1, 0
	s_cmp_eq_u32 s21, s23
	s_cselect_b32 s21, s25, s24
	s_cmp_lg_u32 s21, 0
	s_cselect_b32 s21, s1, s17
	s_cselect_b32 s20, s0, s20
	s_cbranch_execnz .LBB138_14
.LBB138_13:                             ;   in Loop: Header=BB138_11 Depth=1
	v_cvt_f32_u32_e32 v1, s22
	s_sub_i32 s0, 0, s22
	s_mov_b32 s21, s16
	v_rcp_iflag_f32_e32 v1, v1
	v_mul_f32_e32 v1, 0x4f7ffffe, v1
	v_cvt_u32_f32_e32 v1, v1
	v_readfirstlane_b32 s1, v1
	s_mul_i32 s0, s0, s1
	s_mul_hi_u32 s0, s1, s0
	s_add_i32 s1, s1, s0
	s_mul_hi_u32 s0, s6, s1
	s_mul_i32 s17, s0, s22
	s_sub_i32 s17, s6, s17
	s_add_i32 s1, s0, 1
	s_sub_i32 s20, s17, s22
	s_cmp_ge_u32 s17, s22
	s_cselect_b32 s0, s1, s0
	s_cselect_b32 s17, s20, s17
	s_add_i32 s1, s0, 1
	s_cmp_ge_u32 s17, s22
	s_cselect_b32 s20, s1, s0
.LBB138_14:                             ;   in Loop: Header=BB138_11 Depth=1
	s_mul_i32 s0, s20, s23
	s_mul_hi_u32 s1, s20, s22
	s_add_i32 s17, s1, s0
	s_load_dwordx2 s[0:1], s[18:19], 0xc8
	s_mul_i32 s23, s21, s22
	s_add_i32 s17, s17, s23
	s_mul_i32 s22, s20, s22
	s_sub_u32 s6, s6, s22
	s_subb_u32 s7, s7, s17
	s_waitcnt lgkmcnt(0)
	s_mul_i32 s7, s0, s7
	s_mul_hi_u32 s17, s0, s6
	s_add_i32 s7, s17, s7
	s_mul_i32 s1, s1, s6
	s_add_i32 s7, s7, s1
	s_mul_i32 s0, s0, s6
	s_add_u32 s12, s0, s12
	s_addc_u32 s13, s7, s13
	s_add_i32 s15, s15, -1
	s_add_u32 s18, s18, -8
	s_addc_u32 s19, s19, -1
	s_cmp_gt_u32 s15, 2
	s_cbranch_scc0 .LBB138_18
; %bb.15:                               ;   in Loop: Header=BB138_11 Depth=1
	s_mov_b64 s[6:7], s[20:21]
	s_branch .LBB138_11
.LBB138_16:                             ;   in Loop: Header=BB138_11 Depth=1
                                        ; implicit-def: $sgpr20_sgpr21
	s_branch .LBB138_13
.LBB138_17:
	s_mov_b64 s[20:21], s[6:7]
.LBB138_18:
	s_mul_i32 s0, s10, s9
	s_load_dword s9, s[4:5], 0x360
	s_load_dwordx2 s[6:7], s[4:5], 0x0
	s_mul_hi_u32 s1, s10, s8
	s_add_i32 s0, s1, s0
	s_mul_i32 s1, s11, s8
	s_add_i32 s1, s0, s1
	s_waitcnt lgkmcnt(0)
	s_bitcmp1_b32 s9, 0
	s_cselect_b64 s[16:17], -1, 0
	s_mul_i32 s0, s10, s8
	s_brev_b32 s10, 1
	s_and_b64 s[8:9], s[16:17], exec
	s_cselect_b32 s8, s10, 0x7fffffff
	s_lshl_b64 s[0:1], s[0:1], 2
	s_add_u32 s6, s6, s0
	s_addc_u32 s7, s7, s1
	s_lshl_b64 s[0:1], s[2:3], 2
	s_mov_b32 s9, s8
	s_add_u32 s33, s6, s0
	s_mov_b32 s10, s8
	s_mov_b32 s11, s8
	v_pk_mov_b32 v[2:3], s[8:9], s[8:9] op_sel:[0,1]
	s_addc_u32 s38, s7, s1
	v_cmp_gt_u32_e64 s[0:1], s14, v0
	v_pk_mov_b32 v[4:5], s[10:11], s[10:11] op_sel:[0,1]
	v_mov_b32_e32 v6, s8
	s_and_saveexec_b64 s[2:3], s[0:1]
	s_cbranch_execz .LBB138_20
; %bb.19:
	v_mad_u64_u32 v[2:3], s[6:7], v0, s26, 0
	v_mov_b32_e32 v4, v3
	v_mad_u64_u32 v[4:5], s[6:7], v0, s27, v[4:5]
	v_mov_b32_e32 v3, v4
	v_lshlrev_b64 v[2:3], 2, v[2:3]
	v_mov_b32_e32 v1, s38
	v_add_co_u32_e32 v2, vcc, s33, v2
	v_addc_co_u32_e32 v3, vcc, v1, v3, vcc
	global_load_dword v6, v[2:3], off
	v_pk_mov_b32 v[2:3], s[8:9], s[8:9] op_sel:[0,1]
	v_pk_mov_b32 v[4:5], s[10:11], s[10:11] op_sel:[0,1]
                                        ; kill: def $vgpr2 killed $vgpr6 killed $exec
.LBB138_20:
	s_or_b64 exec, exec, s[2:3]
	v_or_b32_e32 v1, 32, v0
	v_cmp_gt_u32_e64 s[2:3], s14, v1
	s_and_saveexec_b64 s[6:7], s[2:3]
	s_cbranch_execz .LBB138_22
; %bb.21:
	v_mad_u64_u32 v[2:3], s[8:9], v1, s26, 0
	v_mov_b32_e32 v8, v3
	v_mad_u64_u32 v[8:9], s[8:9], v1, s27, v[8:9]
	v_mov_b32_e32 v3, v8
	v_lshlrev_b64 v[2:3], 2, v[2:3]
	v_mov_b32_e32 v7, s38
	v_add_co_u32_e32 v2, vcc, s33, v2
	v_addc_co_u32_e32 v3, vcc, v7, v3, vcc
	global_load_dword v3, v[2:3], off
.LBB138_22:
	s_or_b64 exec, exec, s[6:7]
	s_load_dwordx2 s[10:11], s[4:5], 0x288
	s_load_dwordx2 s[8:9], s[4:5], 0x1b8
	v_or_b32_e32 v11, 64, v0
	v_cmp_gt_u32_e64 s[24:25], s14, v11
	s_and_saveexec_b64 s[6:7], s[24:25]
	s_cbranch_execz .LBB138_24
; %bb.23:
	v_mad_u64_u32 v[8:9], s[18:19], v11, s26, 0
	v_mov_b32_e32 v2, v9
	s_waitcnt vmcnt(0)
	v_mad_u64_u32 v[12:13], s[18:19], v11, s27, v[2:3]
	v_mov_b32_e32 v9, v12
	v_lshlrev_b64 v[8:9], 2, v[8:9]
	v_mov_b32_e32 v2, s38
	v_add_co_u32_e32 v8, vcc, s33, v8
	v_addc_co_u32_e32 v9, vcc, v2, v9, vcc
	global_load_dword v4, v[8:9], off
.LBB138_24:
	s_or_b64 exec, exec, s[6:7]
	v_or_b32_e32 v10, 0x60, v0
	v_cmp_gt_u32_e64 s[6:7], s14, v10
	s_and_saveexec_b64 s[14:15], s[6:7]
	s_cbranch_execz .LBB138_26
; %bb.25:
	v_mad_u64_u32 v[8:9], s[18:19], v10, s26, 0
	v_mov_b32_e32 v2, v9
	s_waitcnt vmcnt(0)
	v_mad_u64_u32 v[12:13], s[18:19], v10, s27, v[2:3]
	v_mov_b32_e32 v9, v12
	v_lshlrev_b64 v[8:9], 2, v[8:9]
	v_mov_b32_e32 v2, s38
	v_add_co_u32_e32 v8, vcc, s33, v8
	v_addc_co_u32_e32 v9, vcc, v2, v9, vcc
	global_load_dword v5, v[8:9], off
.LBB138_26:
	s_or_b64 exec, exec, s[14:15]
	v_lshrrev_b32_e32 v2, 5, v1
	s_waitcnt lgkmcnt(0)
	s_mul_i32 s14, s10, s21
	s_mul_hi_u32 s15, s10, s20
	v_add_u32_e32 v15, v2, v0
	v_lshrrev_b32_e32 v2, 5, v11
	s_add_i32 s14, s15, s14
	s_mul_i32 s11, s11, s20
	v_add_u32_e32 v13, v2, v0
	v_lshrrev_b32_e32 v2, 5, v10
	s_add_i32 s11, s14, s11
	s_mul_i32 s10, s10, s20
	v_lshlrev_b32_e32 v34, 2, v0
	v_add_u32_e32 v12, v2, v0
	v_lshrrev_b32_e32 v2, 3, v0
	s_lshl_b64 s[10:11], s[10:11], 3
	v_or_b32_e32 v14, v2, v34
	s_add_u32 s10, s8, s10
	v_lshlrev_b32_e32 v35, 2, v15
	v_lshlrev_b32_e32 v36, 2, v13
	;; [unrolled: 1-line block ×4, first 2 shown]
	s_addc_u32 s11, s9, s11
	s_lshl_b64 s[8:9], s[12:13], 3
	s_load_dwordx2 s[4:5], s[4:5], 0x358
	s_waitcnt vmcnt(0)
	ds_write_b32 v34, v6
	ds_write_b32 v35, v3 offset:128
	ds_write_b32 v36, v4 offset:256
	ds_write_b32 v37, v5 offset:384
	s_waitcnt lgkmcnt(0)
	; wave barrier
	s_waitcnt lgkmcnt(0)
	ds_read2_b32 v[24:25], v38 offset1:1
	ds_read2_b32 v[22:23], v38 offset0:2 offset1:3
	s_add_u32 s39, s10, s8
	s_mov_b32 s8, 0
	s_addc_u32 s40, s11, s9
	s_mov_b32 s9, s8
	s_mov_b32 s10, s8
	;; [unrolled: 1-line block ×7, first 2 shown]
	v_pk_mov_b32 v[2:3], s[8:9], s[8:9] op_sel:[0,1]
	v_pk_mov_b32 v[4:5], s[10:11], s[10:11] op_sel:[0,1]
	;; [unrolled: 1-line block ×4, first 2 shown]
	v_pk_mov_b32 v[2:3], 0, 0
	s_waitcnt lgkmcnt(0)
	; wave barrier
	s_waitcnt lgkmcnt(0)
	s_and_saveexec_b64 s[8:9], s[0:1]
	s_cbranch_execnz .LBB138_46
; %bb.27:
	s_or_b64 exec, exec, s[8:9]
	s_and_saveexec_b64 s[8:9], s[2:3]
	s_cbranch_execnz .LBB138_47
.LBB138_28:
	s_or_b64 exec, exec, s[8:9]
	s_and_saveexec_b64 s[8:9], s[24:25]
	s_cbranch_execnz .LBB138_48
.LBB138_29:
	s_or_b64 exec, exec, s[8:9]
	s_xor_b64 s[28:29], s[16:17], -1
	s_and_saveexec_b64 s[8:9], s[6:7]
	s_cbranch_execz .LBB138_31
.LBB138_30:
	v_mad_u64_u32 v[8:9], s[10:11], v10, s4, 0
	v_mov_b32_e32 v16, v9
	v_mad_u64_u32 v[10:11], s[10:11], v10, s5, v[16:17]
	v_mov_b32_e32 v9, v10
	v_lshlrev_b64 v[8:9], 3, v[8:9]
	v_mov_b32_e32 v10, s40
	v_add_co_u32_e32 v8, vcc, s39, v8
	v_addc_co_u32_e32 v9, vcc, v10, v9, vcc
	global_load_dwordx2 v[8:9], v[8:9], off
.LBB138_31:
	s_or_b64 exec, exec, s[8:9]
	v_mbcnt_lo_u32_b32 v10, -1, 0
	v_mbcnt_hi_u32_b32 v10, -1, v10
	v_lshlrev_b32_e32 v39, 3, v0
	v_lshlrev_b32_e32 v40, 3, v15
	;; [unrolled: 1-line block ×5, first 2 shown]
	s_getpc_b64 s[8:9]
	s_add_u32 s8, s8, _ZN7rocprim17ROCPRIM_400000_NS16block_radix_sortIiLj32ELj4ElLj1ELj1ELj0ELNS0_26block_radix_rank_algorithmE1ELNS0_18block_padding_hintE2ELNS0_4arch9wavefront6targetE1EE19radix_bits_per_passE@rel32@lo+4
	s_addc_u32 s9, s9, _ZN7rocprim17ROCPRIM_400000_NS16block_radix_sortIiLj32ELj4ElLj1ELj1ELj0ELNS0_26block_radix_rank_algorithmE1ELNS0_18block_padding_hintE2ELNS0_4arch9wavefront6targetE1EE19radix_bits_per_passE@rel32@hi+12
	v_and_b32_e32 v11, 15, v10
	s_waitcnt vmcnt(0)
	ds_write_b64 v39, v[2:3]
	ds_write_b64 v40, v[4:5] offset:256
	ds_write_b64 v41, v[6:7] offset:512
	;; [unrolled: 1-line block ×3, first 2 shown]
	s_waitcnt lgkmcnt(0)
	; wave barrier
	s_waitcnt lgkmcnt(0)
	ds_read2_b64 v[2:5], v43 offset1:1
	ds_read2_b64 v[6:9], v43 offset0:2 offset1:3
	s_load_dword s41, s[8:9], 0x0
	v_cmp_eq_u32_e64 s[10:11], 0, v11
	v_cmp_lt_u32_e64 s[12:13], 1, v11
	v_cmp_lt_u32_e64 s[14:15], 3, v11
	;; [unrolled: 1-line block ×3, first 2 shown]
	v_and_b32_e32 v11, 16, v10
	v_cmp_eq_u32_e64 s[18:19], 0, v11
	v_add_u32_e32 v11, -1, v10
	v_and_b32_e32 v12, 0x60, v10
	v_cmp_lt_i32_e32 vcc, v11, v12
	s_movk_i32 s8, 0x100
	v_cndmask_b32_e32 v11, v11, v10, vcc
	v_cmp_gt_u32_e64 s[8:9], s8, v0
	v_lshlrev_b32_e32 v46, 5, v0
	s_mov_b32 s42, 0
	v_cmp_eq_u32_e64 s[20:21], 31, v0
	v_lshlrev_b32_e32 v47, 2, v11
	v_cmp_eq_u32_e64 s[22:23], 0, v10
	v_lshlrev_b32_e32 v45, 2, v34
	v_lshlrev_b32_e32 v44, 3, v34
	s_and_b64 vcc, exec, s[28:29]
	v_add_u32_e64 v48, 7, 2
	s_waitcnt lgkmcnt(0)
	; wave barrier
	s_waitcnt lgkmcnt(0)
	s_cbranch_vccz .LBB138_49
; %bb.32:
	v_xor_b32_e32 v30, 0x80000000, v24
	v_xor_b32_e32 v31, 0x80000000, v25
	;; [unrolled: 1-line block ×4, first 2 shown]
	v_and_b32_e32 v49, 14, v48
	v_mov_b32_e32 v50, 0
	s_movk_i32 s43, 0xe0
	v_pk_mov_b32 v[10:11], v[2:3], v[2:3] op_sel:[0,1]
	v_pk_mov_b32 v[12:13], v[4:5], v[4:5] op_sel:[0,1]
	;; [unrolled: 1-line block ×4, first 2 shown]
	s_branch .LBB138_34
.LBB138_33:                             ;   in Loop: Header=BB138_34 Depth=1
	v_lshlrev_b32_e32 v10, 2, v55
	s_waitcnt lgkmcnt(0)
	; wave barrier
	ds_write_b32 v10, v54
	v_lshlrev_b32_e32 v10, 2, v56
	ds_write_b32 v10, v53
	v_lshlrev_b32_e32 v10, 2, v57
	;; [unrolled: 2-line block ×4, first 2 shown]
	s_waitcnt lgkmcnt(0)
	; wave barrier
	s_waitcnt lgkmcnt(0)
	ds_read2_b32 v[30:31], v45 offset1:1
	ds_read2_b32 v[32:33], v45 offset0:2 offset1:3
	s_waitcnt lgkmcnt(0)
	; wave barrier
	s_waitcnt lgkmcnt(0)
	ds_write_b64 v10, v[28:29]
	v_lshlrev_b32_e32 v10, 3, v56
	ds_write_b64 v10, v[26:27]
	v_lshlrev_b32_e32 v10, 3, v57
	;; [unrolled: 2-line block ×3, first 2 shown]
	ds_write_b64 v10, v[18:19]
	s_waitcnt lgkmcnt(0)
	; wave barrier
	s_waitcnt lgkmcnt(0)
	ds_read2_b64 v[10:13], v44 offset1:1
	ds_read2_b64 v[14:17], v44 offset0:2 offset1:3
	s_add_i32 s42, s42, 4
	s_waitcnt lgkmcnt(0)
	; wave barrier
	s_waitcnt lgkmcnt(0)
	s_cbranch_execz .LBB138_45
.LBB138_34:                             ; =>This Loop Header: Depth=1
                                        ;     Child Loop BB138_37 Depth 2
	v_mov_b32_e32 v51, v33
	v_mov_b32_e32 v52, v32
	;; [unrolled: 1-line block ×4, first 2 shown]
	v_pk_mov_b32 v[18:19], v[16:17], v[16:17] op_sel:[0,1]
	v_pk_mov_b32 v[20:21], v[14:15], v[14:15] op_sel:[0,1]
	;; [unrolled: 1-line block ×4, first 2 shown]
	s_and_saveexec_b64 s[28:29], s[8:9]
	s_cbranch_execz .LBB138_41
; %bb.35:                               ;   in Loop: Header=BB138_34 Depth=1
	s_mov_b32 s44, 0
	s_mov_b64 s[30:31], 0
	v_pk_mov_b32 v[10:11], v[0:1], v[0:1] op_sel:[0,1]
	s_branch .LBB138_37
.LBB138_36:                             ;   in Loop: Header=BB138_37 Depth=2
	s_or_b64 exec, exec, s[36:37]
	s_add_i32 s44, s44, 2
	v_cmp_eq_u32_e32 vcc, s44, v49
	v_add_u32_e32 v11, 64, v11
	s_or_b64 s[30:31], vcc, s[30:31]
	v_add_u32_e32 v10, 64, v10
	s_andn2_b64 exec, exec, s[30:31]
	s_cbranch_execz .LBB138_41
.LBB138_37:                             ;   Parent Loop BB138_34 Depth=1
                                        ; =>  This Inner Loop Header: Depth=2
	s_or_b32 s34, s44, 1
	v_cmp_le_u32_e64 s[34:35], s34, 7
	v_cmp_le_u32_e64 s[46:47], s44, 7
	s_and_saveexec_b64 s[36:37], s[46:47]
	s_cbranch_execz .LBB138_39
; %bb.38:                               ;   in Loop: Header=BB138_37 Depth=2
	v_lshlrev_b32_e32 v12, 2, v10
	ds_write_b32 v12, v50
.LBB138_39:                             ;   in Loop: Header=BB138_37 Depth=2
	s_or_b64 exec, exec, s[36:37]
	s_and_saveexec_b64 s[36:37], s[34:35]
	s_cbranch_execz .LBB138_36
; %bb.40:                               ;   in Loop: Header=BB138_37 Depth=2
	v_lshlrev_b32_e32 v12, 2, v11
	ds_write_b32 v12, v50
	s_branch .LBB138_36
.LBB138_41:                             ;   in Loop: Header=BB138_34 Depth=1
	s_or_b64 exec, exec, s[28:29]
	s_sub_i32 s28, 32, s42
	s_min_u32 s28, s41, s28
	s_lshl_b32 s28, -1, s28
	s_not_b32 s28, s28
	v_lshrrev_b32_e32 v10, s42, v54
	v_and_b32_e32 v10, s28, v10
	v_lshrrev_b32_e32 v11, 3, v10
	v_lshlrev_b32_e32 v10, 5, v10
	v_and_or_b32 v10, v10, s43, v0
	v_lshlrev_b32_e32 v10, 1, v10
	v_add_lshl_u32 v31, v10, v11, 1
	ds_read_u16 v30, v31
	v_lshrrev_b32_e32 v10, s42, v53
	v_and_b32_e32 v10, s28, v10
	s_waitcnt lgkmcnt(0)
	v_add_u16_e32 v11, 1, v30
	ds_write_b16 v31, v11
	v_lshrrev_b32_e32 v11, 3, v10
	v_lshlrev_b32_e32 v10, 5, v10
	v_and_or_b32 v10, v10, s43, v0
	v_lshlrev_b32_e32 v10, 1, v10
	v_add_lshl_u32 v33, v10, v11, 1
	ds_read_u16 v32, v33
	s_waitcnt lgkmcnt(0)
	v_add_u16_e32 v10, 1, v32
	ds_write_b16 v33, v10
	v_lshrrev_b32_e32 v10, s42, v52
	v_and_b32_e32 v10, s28, v10
	v_lshrrev_b32_e32 v11, 3, v10
	v_lshlrev_b32_e32 v10, 5, v10
	v_and_or_b32 v10, v10, s43, v0
	v_lshlrev_b32_e32 v10, 1, v10
	v_add_lshl_u32 v55, v10, v11, 1
	ds_read_u16 v57, v55
	s_waitcnt lgkmcnt(0)
	v_add_u16_e32 v10, 1, v57
	ds_write_b16 v55, v10
	v_lshrrev_b32_e32 v10, s42, v51
	v_and_b32_e32 v10, s28, v10
	v_lshrrev_b32_e32 v11, 3, v10
	v_lshlrev_b32_e32 v10, 5, v10
	v_and_or_b32 v10, v10, s43, v0
	v_lshlrev_b32_e32 v10, 1, v10
	v_add_lshl_u32 v56, v10, v11, 1
	ds_read_u16 v58, v56
	s_waitcnt lgkmcnt(0)
	v_add_u16_e32 v10, 1, v58
	ds_write_b16 v56, v10
	s_waitcnt lgkmcnt(0)
	; wave barrier
	s_waitcnt lgkmcnt(0)
	ds_read2_b32 v[16:17], v46 offset1:1
	ds_read2_b32 v[14:15], v46 offset0:2 offset1:3
	ds_read2_b32 v[10:11], v46 offset0:4 offset1:5
	;; [unrolled: 1-line block ×3, first 2 shown]
	s_waitcnt lgkmcnt(3)
	v_add_u32_e32 v59, v17, v16
	s_waitcnt lgkmcnt(2)
	v_add3_u32 v59, v59, v14, v15
	s_waitcnt lgkmcnt(1)
	v_add3_u32 v59, v59, v10, v11
	;; [unrolled: 2-line block ×3, first 2 shown]
	s_nop 1
	v_mov_b32_dpp v59, v13 row_shr:1 row_mask:0xf bank_mask:0xf
	v_cndmask_b32_e64 v59, v59, 0, s[10:11]
	v_add_u32_e32 v13, v59, v13
	s_nop 1
	v_mov_b32_dpp v59, v13 row_shr:2 row_mask:0xf bank_mask:0xf
	v_cndmask_b32_e64 v59, 0, v59, s[12:13]
	v_add_u32_e32 v13, v13, v59
	;; [unrolled: 4-line block ×4, first 2 shown]
	s_nop 1
	v_mov_b32_dpp v59, v13 row_bcast:15 row_mask:0xf bank_mask:0xf
	v_cndmask_b32_e64 v59, v59, 0, s[18:19]
	v_add_u32_e32 v13, v13, v59
	s_and_saveexec_b64 s[28:29], s[20:21]
	s_cbranch_execz .LBB138_43
; %bb.42:                               ;   in Loop: Header=BB138_34 Depth=1
	ds_write_b32 v50, v13 offset:1024
.LBB138_43:                             ;   in Loop: Header=BB138_34 Depth=1
	s_or_b64 exec, exec, s[28:29]
	ds_bpermute_b32 v13, v47, v13
	s_waitcnt lgkmcnt(0)
	; wave barrier
	s_waitcnt lgkmcnt(0)
	ds_read_b32 v59, v50 offset:1024
	s_cmp_gt_u32 s42, 27
	v_cndmask_b32_e64 v13, v13, 0, s[22:23]
	s_waitcnt lgkmcnt(0)
	v_lshl_add_u32 v13, v59, 16, v13
	v_add_u32_e32 v16, v13, v16
	v_add_u32_e32 v17, v16, v17
	ds_write2_b32 v46, v13, v16 offset1:1
	v_add_u32_e32 v13, v17, v14
	v_add_u32_e32 v14, v13, v15
	;; [unrolled: 1-line block ×5, first 2 shown]
	ds_write2_b32 v46, v17, v13 offset0:2 offset1:3
	ds_write2_b32 v46, v14, v10 offset0:4 offset1:5
	;; [unrolled: 1-line block ×3, first 2 shown]
	s_waitcnt lgkmcnt(0)
	; wave barrier
	s_waitcnt lgkmcnt(0)
	ds_read_u16 v10, v31
	ds_read_u16 v11, v33
	ds_read_u16 v12, v55
	ds_read_u16 v13, v56
	s_waitcnt lgkmcnt(3)
	v_add_u32_sdwa v55, v10, v30 dst_sel:DWORD dst_unused:UNUSED_PAD src0_sel:DWORD src1_sel:WORD_0
	s_waitcnt lgkmcnt(2)
	v_add_u32_sdwa v56, v11, v32 dst_sel:DWORD dst_unused:UNUSED_PAD src0_sel:DWORD src1_sel:WORD_0
	;; [unrolled: 2-line block ×4, first 2 shown]
	s_cbranch_scc0 .LBB138_33
; %bb.44:
                                        ; implicit-def: $vgpr33
                                        ; implicit-def: $vgpr31
                                        ; implicit-def: $vgpr16_vgpr17
                                        ; implicit-def: $vgpr12_vgpr13
                                        ; implicit-def: $sgpr42
.LBB138_45:
	v_lshlrev_b32_e32 v10, 2, v55
	s_waitcnt lgkmcnt(0)
	; wave barrier
	ds_write_b32 v10, v54
	v_lshlrev_b32_e32 v10, 2, v56
	ds_write_b32 v10, v53
	v_lshlrev_b32_e32 v10, 2, v57
	;; [unrolled: 2-line block ×4, first 2 shown]
	v_lshlrev_b32_e32 v11, 3, v56
	v_lshlrev_b32_e32 v12, 3, v57
	;; [unrolled: 1-line block ×3, first 2 shown]
	s_waitcnt lgkmcnt(0)
	; wave barrier
	s_waitcnt lgkmcnt(0)
	ds_read2_b32 v[30:31], v45 offset1:1
	ds_read2_b32 v[32:33], v45 offset0:2 offset1:3
	s_waitcnt lgkmcnt(0)
	; wave barrier
	s_waitcnt lgkmcnt(0)
	ds_write_b64 v10, v[28:29]
	ds_write_b64 v11, v[26:27]
	;; [unrolled: 1-line block ×4, first 2 shown]
	s_waitcnt lgkmcnt(0)
	; wave barrier
	s_waitcnt lgkmcnt(0)
	ds_read2_b64 v[10:13], v44 offset1:1
	ds_read2_b64 v[14:17], v44 offset0:2 offset1:3
	v_xor_b32_e32 v21, 0x80000000, v33
	v_xor_b32_e32 v20, 0x80000000, v32
	;; [unrolled: 1-line block ×4, first 2 shown]
	s_branch .LBB138_64
.LBB138_46:
	v_mad_u64_u32 v[2:3], s[10:11], v0, s4, 0
	v_mov_b32_e32 v4, v3
	v_mad_u64_u32 v[4:5], s[10:11], v0, s5, v[4:5]
	v_mov_b32_e32 v3, v4
	v_lshlrev_b64 v[2:3], 3, v[2:3]
	v_mov_b32_e32 v4, s40
	v_add_co_u32_e32 v2, vcc, s39, v2
	v_addc_co_u32_e32 v3, vcc, v4, v3, vcc
	global_load_dwordx2 v[2:3], v[2:3], off
	v_mov_b32_e32 v4, 0
	v_mov_b32_e32 v5, v4
	;; [unrolled: 1-line block ×6, first 2 shown]
	s_or_b64 exec, exec, s[8:9]
	s_and_saveexec_b64 s[8:9], s[2:3]
	s_cbranch_execz .LBB138_28
.LBB138_47:
	v_mad_u64_u32 v[4:5], s[10:11], v1, s4, 0
	v_mov_b32_e32 v16, v5
	v_mad_u64_u32 v[16:17], s[10:11], v1, s5, v[16:17]
	v_mov_b32_e32 v5, v16
	v_lshlrev_b64 v[4:5], 3, v[4:5]
	v_mov_b32_e32 v16, s40
	v_add_co_u32_e32 v4, vcc, s39, v4
	v_addc_co_u32_e32 v5, vcc, v16, v5, vcc
	global_load_dwordx2 v[4:5], v[4:5], off
	s_or_b64 exec, exec, s[8:9]
	s_and_saveexec_b64 s[8:9], s[24:25]
	s_cbranch_execz .LBB138_29
.LBB138_48:
	v_mad_u64_u32 v[6:7], s[10:11], v11, s4, 0
	v_mov_b32_e32 v16, v7
	v_mad_u64_u32 v[16:17], s[10:11], v11, s5, v[16:17]
	v_mov_b32_e32 v7, v16
	v_lshlrev_b64 v[6:7], 3, v[6:7]
	v_mov_b32_e32 v11, s40
	v_add_co_u32_e32 v6, vcc, s39, v6
	v_addc_co_u32_e32 v7, vcc, v11, v7, vcc
	global_load_dwordx2 v[6:7], v[6:7], off
	s_or_b64 exec, exec, s[8:9]
	s_xor_b64 s[28:29], s[16:17], -1
	s_and_saveexec_b64 s[8:9], s[6:7]
	s_cbranch_execnz .LBB138_30
	s_branch .LBB138_31
.LBB138_49:
                                        ; implicit-def: $vgpr16_vgpr17
                                        ; implicit-def: $vgpr12_vgpr13
                                        ; implicit-def: $vgpr18_vgpr19_vgpr20_vgpr21
	s_cbranch_execz .LBB138_64
; %bb.50:
	v_xor_b32_e32 v18, 0x7fffffff, v24
	v_xor_b32_e32 v19, 0x7fffffff, v25
	;; [unrolled: 1-line block ×4, first 2 shown]
	v_and_b32_e32 v22, 14, v48
	s_mov_b32 s43, 0
	v_mov_b32_e32 v23, 0
	s_movk_i32 s42, 0xe0
	s_branch .LBB138_52
.LBB138_51:                             ;   in Loop: Header=BB138_52 Depth=1
	v_lshlrev_b32_e32 v2, 2, v28
	s_waitcnt lgkmcnt(0)
	; wave barrier
	ds_write_b32 v2, v27
	v_lshlrev_b32_e32 v2, 2, v29
	ds_write_b32 v2, v26
	v_lshlrev_b32_e32 v2, 2, v30
	;; [unrolled: 2-line block ×4, first 2 shown]
	s_waitcnt lgkmcnt(0)
	; wave barrier
	s_waitcnt lgkmcnt(0)
	ds_read2_b32 v[18:19], v45 offset1:1
	ds_read2_b32 v[20:21], v45 offset0:2 offset1:3
	s_waitcnt lgkmcnt(0)
	; wave barrier
	s_waitcnt lgkmcnt(0)
	ds_write_b64 v2, v[16:17]
	v_lshlrev_b32_e32 v2, 3, v29
	ds_write_b64 v2, v[14:15]
	v_lshlrev_b32_e32 v2, 3, v30
	;; [unrolled: 2-line block ×3, first 2 shown]
	ds_write_b64 v2, v[10:11]
	s_waitcnt lgkmcnt(0)
	; wave barrier
	s_waitcnt lgkmcnt(0)
	ds_read2_b64 v[2:5], v44 offset1:1
	ds_read2_b64 v[6:9], v44 offset0:2 offset1:3
	s_add_i32 s43, s43, 4
	s_waitcnt lgkmcnt(0)
	; wave barrier
	s_waitcnt lgkmcnt(0)
	s_cbranch_execz .LBB138_63
.LBB138_52:                             ; =>This Loop Header: Depth=1
                                        ;     Child Loop BB138_55 Depth 2
	v_mov_b32_e32 v24, v21
	v_mov_b32_e32 v25, v20
	;; [unrolled: 1-line block ×4, first 2 shown]
	s_waitcnt lgkmcnt(1)
	v_pk_mov_b32 v[10:11], v[8:9], v[8:9] op_sel:[0,1]
	v_pk_mov_b32 v[12:13], v[6:7], v[6:7] op_sel:[0,1]
	s_waitcnt lgkmcnt(0)
	v_pk_mov_b32 v[14:15], v[4:5], v[4:5] op_sel:[0,1]
	v_pk_mov_b32 v[16:17], v[2:3], v[2:3] op_sel:[0,1]
	s_and_saveexec_b64 s[28:29], s[8:9]
	s_cbranch_execz .LBB138_59
; %bb.53:                               ;   in Loop: Header=BB138_52 Depth=1
	s_mov_b32 s44, 0
	s_mov_b64 s[30:31], 0
	v_pk_mov_b32 v[2:3], v[0:1], v[0:1] op_sel:[0,1]
	s_branch .LBB138_55
.LBB138_54:                             ;   in Loop: Header=BB138_55 Depth=2
	s_or_b64 exec, exec, s[36:37]
	s_add_i32 s44, s44, 2
	v_cmp_eq_u32_e32 vcc, s44, v22
	v_add_u32_e32 v3, 64, v3
	s_or_b64 s[30:31], vcc, s[30:31]
	v_add_u32_e32 v2, 64, v2
	s_andn2_b64 exec, exec, s[30:31]
	s_cbranch_execz .LBB138_59
.LBB138_55:                             ;   Parent Loop BB138_52 Depth=1
                                        ; =>  This Inner Loop Header: Depth=2
	s_or_b32 s34, s44, 1
	v_cmp_le_u32_e64 s[34:35], s34, 7
	v_cmp_le_u32_e64 s[46:47], s44, 7
	s_and_saveexec_b64 s[36:37], s[46:47]
	s_cbranch_execz .LBB138_57
; %bb.56:                               ;   in Loop: Header=BB138_55 Depth=2
	v_lshlrev_b32_e32 v4, 2, v2
	ds_write_b32 v4, v23
.LBB138_57:                             ;   in Loop: Header=BB138_55 Depth=2
	s_or_b64 exec, exec, s[36:37]
	s_and_saveexec_b64 s[36:37], s[34:35]
	s_cbranch_execz .LBB138_54
; %bb.58:                               ;   in Loop: Header=BB138_55 Depth=2
	v_lshlrev_b32_e32 v4, 2, v3
	ds_write_b32 v4, v23
	s_branch .LBB138_54
.LBB138_59:                             ;   in Loop: Header=BB138_52 Depth=1
	s_or_b64 exec, exec, s[28:29]
	s_sub_i32 s28, 32, s43
	s_min_u32 s28, s41, s28
	s_lshl_b32 s28, -1, s28
	s_not_b32 s28, s28
	v_lshrrev_b32_e32 v2, s43, v27
	v_and_b32_e32 v2, s28, v2
	v_lshrrev_b32_e32 v3, 3, v2
	v_lshlrev_b32_e32 v2, 5, v2
	v_and_or_b32 v2, v2, s42, v0
	v_lshlrev_b32_e32 v2, 1, v2
	v_add_lshl_u32 v19, v2, v3, 1
	ds_read_u16 v18, v19
	v_lshrrev_b32_e32 v2, s43, v26
	v_and_b32_e32 v2, s28, v2
	s_waitcnt lgkmcnt(0)
	v_add_u16_e32 v3, 1, v18
	ds_write_b16 v19, v3
	v_lshrrev_b32_e32 v3, 3, v2
	v_lshlrev_b32_e32 v2, 5, v2
	v_and_or_b32 v2, v2, s42, v0
	v_lshlrev_b32_e32 v2, 1, v2
	v_add_lshl_u32 v21, v2, v3, 1
	ds_read_u16 v20, v21
	s_waitcnt lgkmcnt(0)
	v_add_u16_e32 v2, 1, v20
	ds_write_b16 v21, v2
	v_lshrrev_b32_e32 v2, s43, v25
	v_and_b32_e32 v2, s28, v2
	v_lshrrev_b32_e32 v3, 3, v2
	v_lshlrev_b32_e32 v2, 5, v2
	v_and_or_b32 v2, v2, s42, v0
	v_lshlrev_b32_e32 v2, 1, v2
	v_add_lshl_u32 v28, v2, v3, 1
	ds_read_u16 v30, v28
	s_waitcnt lgkmcnt(0)
	v_add_u16_e32 v2, 1, v30
	ds_write_b16 v28, v2
	v_lshrrev_b32_e32 v2, s43, v24
	v_and_b32_e32 v2, s28, v2
	v_lshrrev_b32_e32 v3, 3, v2
	v_lshlrev_b32_e32 v2, 5, v2
	v_and_or_b32 v2, v2, s42, v0
	v_lshlrev_b32_e32 v2, 1, v2
	v_add_lshl_u32 v29, v2, v3, 1
	ds_read_u16 v31, v29
	s_waitcnt lgkmcnt(0)
	v_add_u16_e32 v2, 1, v31
	ds_write_b16 v29, v2
	s_waitcnt lgkmcnt(0)
	; wave barrier
	s_waitcnt lgkmcnt(0)
	ds_read2_b32 v[8:9], v46 offset1:1
	ds_read2_b32 v[6:7], v46 offset0:2 offset1:3
	ds_read2_b32 v[2:3], v46 offset0:4 offset1:5
	;; [unrolled: 1-line block ×3, first 2 shown]
	s_waitcnt lgkmcnt(3)
	v_add_u32_e32 v32, v9, v8
	s_waitcnt lgkmcnt(2)
	v_add3_u32 v32, v32, v6, v7
	s_waitcnt lgkmcnt(1)
	v_add3_u32 v32, v32, v2, v3
	;; [unrolled: 2-line block ×3, first 2 shown]
	s_nop 1
	v_mov_b32_dpp v32, v5 row_shr:1 row_mask:0xf bank_mask:0xf
	v_cndmask_b32_e64 v32, v32, 0, s[10:11]
	v_add_u32_e32 v5, v32, v5
	s_nop 1
	v_mov_b32_dpp v32, v5 row_shr:2 row_mask:0xf bank_mask:0xf
	v_cndmask_b32_e64 v32, 0, v32, s[12:13]
	v_add_u32_e32 v5, v5, v32
	;; [unrolled: 4-line block ×4, first 2 shown]
	s_nop 1
	v_mov_b32_dpp v32, v5 row_bcast:15 row_mask:0xf bank_mask:0xf
	v_cndmask_b32_e64 v32, v32, 0, s[18:19]
	v_add_u32_e32 v5, v5, v32
	s_and_saveexec_b64 s[28:29], s[20:21]
	s_cbranch_execz .LBB138_61
; %bb.60:                               ;   in Loop: Header=BB138_52 Depth=1
	ds_write_b32 v23, v5 offset:1024
.LBB138_61:                             ;   in Loop: Header=BB138_52 Depth=1
	s_or_b64 exec, exec, s[28:29]
	ds_bpermute_b32 v5, v47, v5
	s_waitcnt lgkmcnt(0)
	; wave barrier
	s_waitcnt lgkmcnt(0)
	ds_read_b32 v32, v23 offset:1024
	s_cmp_gt_u32 s43, 27
	v_cndmask_b32_e64 v5, v5, 0, s[22:23]
	s_waitcnt lgkmcnt(0)
	v_lshl_add_u32 v5, v32, 16, v5
	v_add_u32_e32 v8, v5, v8
	v_add_u32_e32 v9, v8, v9
	ds_write2_b32 v46, v5, v8 offset1:1
	v_add_u32_e32 v5, v9, v6
	v_add_u32_e32 v6, v5, v7
	;; [unrolled: 1-line block ×5, first 2 shown]
	ds_write2_b32 v46, v9, v5 offset0:2 offset1:3
	ds_write2_b32 v46, v6, v2 offset0:4 offset1:5
	;; [unrolled: 1-line block ×3, first 2 shown]
	s_waitcnt lgkmcnt(0)
	; wave barrier
	s_waitcnt lgkmcnt(0)
	ds_read_u16 v2, v19
	ds_read_u16 v3, v21
	;; [unrolled: 1-line block ×4, first 2 shown]
	s_waitcnt lgkmcnt(3)
	v_add_u32_sdwa v28, v2, v18 dst_sel:DWORD dst_unused:UNUSED_PAD src0_sel:DWORD src1_sel:WORD_0
	s_waitcnt lgkmcnt(2)
	v_add_u32_sdwa v29, v3, v20 dst_sel:DWORD dst_unused:UNUSED_PAD src0_sel:DWORD src1_sel:WORD_0
	;; [unrolled: 2-line block ×4, first 2 shown]
	s_cbranch_scc0 .LBB138_51
; %bb.62:
                                        ; implicit-def: $vgpr21
                                        ; implicit-def: $vgpr19
                                        ; implicit-def: $vgpr8_vgpr9
                                        ; implicit-def: $vgpr4_vgpr5
                                        ; implicit-def: $sgpr43
.LBB138_63:
	v_lshlrev_b32_e32 v1, 2, v28
	s_waitcnt lgkmcnt(0)
	; wave barrier
	ds_write_b32 v1, v27
	v_lshlrev_b32_e32 v1, 2, v29
	ds_write_b32 v1, v26
	v_lshlrev_b32_e32 v1, 2, v30
	;; [unrolled: 2-line block ×4, first 2 shown]
	s_waitcnt lgkmcnt(0)
	; wave barrier
	s_waitcnt lgkmcnt(0)
	v_lshlrev_b32_e32 v6, 3, v29
	v_lshlrev_b32_e32 v7, 3, v30
	v_lshlrev_b32_e32 v8, 3, v31
	ds_read2_b32 v[2:3], v45 offset1:1
	ds_read2_b32 v[4:5], v45 offset0:2 offset1:3
	s_waitcnt lgkmcnt(0)
	; wave barrier
	s_waitcnt lgkmcnt(0)
	ds_write_b64 v1, v[16:17]
	ds_write_b64 v6, v[14:15]
	;; [unrolled: 1-line block ×4, first 2 shown]
	s_waitcnt lgkmcnt(0)
	; wave barrier
	s_waitcnt lgkmcnt(0)
	ds_read2_b64 v[10:13], v44 offset1:1
	ds_read2_b64 v[14:17], v44 offset0:2 offset1:3
	v_xor_b32_e32 v21, 0x7fffffff, v5
	v_xor_b32_e32 v20, 0x7fffffff, v4
	;; [unrolled: 1-line block ×4, first 2 shown]
.LBB138_64:
	v_mad_u64_u32 v[2:3], s[8:9], v0, s26, 0
	s_waitcnt lgkmcnt(0)
	; wave barrier
	s_waitcnt lgkmcnt(0)
	ds_write2_b32 v38, v18, v19 offset1:1
	ds_write2_b32 v38, v20, v21 offset0:2 offset1:3
	s_waitcnt lgkmcnt(0)
	; wave barrier
	s_waitcnt lgkmcnt(0)
	ds_read_b32 v5, v35 offset:128
	ds_read_b32 v4, v36 offset:256
	;; [unrolled: 1-line block ×3, first 2 shown]
	v_mov_b32_e32 v6, v3
	v_mad_u64_u32 v[6:7], s[8:9], v0, s27, v[6:7]
	v_mov_b32_e32 v3, v6
	v_lshlrev_b64 v[2:3], 2, v[2:3]
	v_mov_b32_e32 v6, s38
	v_add_co_u32_e32 v2, vcc, s33, v2
	v_addc_co_u32_e32 v3, vcc, v6, v3, vcc
	s_and_saveexec_b64 s[8:9], s[0:1]
	s_cbranch_execnz .LBB138_75
; %bb.65:
	s_or_b64 exec, exec, s[8:9]
	s_and_saveexec_b64 s[8:9], s[2:3]
	s_cbranch_execnz .LBB138_76
.LBB138_66:
	s_or_b64 exec, exec, s[8:9]
	s_and_saveexec_b64 s[8:9], s[24:25]
	s_cbranch_execnz .LBB138_77
.LBB138_67:
	s_or_b64 exec, exec, s[8:9]
	s_and_saveexec_b64 s[8:9], s[6:7]
	s_cbranch_execz .LBB138_69
.LBB138_68:
	s_waitcnt lgkmcnt(1)
	v_mov_b32_e32 v4, 0x180
	v_mad_u64_u32 v[2:3], s[10:11], s26, v4, v[2:3]
	s_mul_i32 s10, s27, 0x180
	v_add_u32_e32 v3, s10, v3
	s_waitcnt lgkmcnt(0)
	global_store_dword v[2:3], v1, off
.LBB138_69:
	s_or_b64 exec, exec, s[8:9]
	v_mad_u64_u32 v[8:9], s[8:9], v0, s4, 0
	s_waitcnt lgkmcnt(0)
	; wave barrier
	s_waitcnt lgkmcnt(0)
	ds_write2_b64 v43, v[10:11], v[12:13] offset1:1
	ds_write2_b64 v43, v[14:15], v[16:17] offset0:2 offset1:3
	s_waitcnt lgkmcnt(0)
	; wave barrier
	s_waitcnt lgkmcnt(0)
	ds_read_b64 v[6:7], v40 offset:256
	ds_read_b64 v[4:5], v41 offset:512
	;; [unrolled: 1-line block ×3, first 2 shown]
	v_mov_b32_e32 v10, v9
	v_mad_u64_u32 v[0:1], s[8:9], v0, s5, v[10:11]
	v_mov_b32_e32 v9, v0
	v_lshlrev_b64 v[0:1], 3, v[8:9]
	v_mov_b32_e32 v8, s40
	v_add_co_u32_e32 v0, vcc, s39, v0
	v_addc_co_u32_e32 v1, vcc, v8, v1, vcc
	s_and_saveexec_b64 s[8:9], s[0:1]
	s_cbranch_execnz .LBB138_78
; %bb.70:
	s_or_b64 exec, exec, s[8:9]
	s_and_saveexec_b64 s[0:1], s[2:3]
	s_cbranch_execnz .LBB138_79
.LBB138_71:
	s_or_b64 exec, exec, s[0:1]
	s_and_saveexec_b64 s[0:1], s[24:25]
	s_cbranch_execnz .LBB138_80
.LBB138_72:
	s_or_b64 exec, exec, s[0:1]
	s_and_saveexec_b64 s[0:1], s[6:7]
	s_cbranch_execz .LBB138_74
.LBB138_73:
	s_waitcnt lgkmcnt(1)
	v_mov_b32_e32 v4, 0x300
	v_mad_u64_u32 v[0:1], s[0:1], s4, v4, v[0:1]
	s_mul_i32 s0, s5, 0x300
	v_add_u32_e32 v1, s0, v1
	s_waitcnt lgkmcnt(0)
	global_store_dwordx2 v[0:1], v[2:3], off
.LBB138_74:
	s_endpgm
.LBB138_75:
	ds_read_b32 v6, v34
	s_waitcnt lgkmcnt(0)
	global_store_dword v[2:3], v6, off
	s_or_b64 exec, exec, s[8:9]
	s_and_saveexec_b64 s[8:9], s[2:3]
	s_cbranch_execz .LBB138_66
.LBB138_76:
	s_lshl_b64 s[10:11], s[26:27], 7
	v_mov_b32_e32 v7, s11
	v_add_co_u32_e32 v6, vcc, s10, v2
	v_addc_co_u32_e32 v7, vcc, v3, v7, vcc
	s_waitcnt lgkmcnt(2)
	global_store_dword v[6:7], v5, off
	s_or_b64 exec, exec, s[8:9]
	s_and_saveexec_b64 s[8:9], s[24:25]
	s_cbranch_execz .LBB138_67
.LBB138_77:
	s_lshl_b64 s[10:11], s[26:27], 8
	s_waitcnt lgkmcnt(2)
	v_mov_b32_e32 v5, s11
	v_add_co_u32_e32 v6, vcc, s10, v2
	v_addc_co_u32_e32 v7, vcc, v3, v5, vcc
	s_waitcnt lgkmcnt(1)
	global_store_dword v[6:7], v4, off
	s_or_b64 exec, exec, s[8:9]
	s_and_saveexec_b64 s[8:9], s[6:7]
	s_cbranch_execnz .LBB138_68
	s_branch .LBB138_69
.LBB138_78:
	ds_read_b64 v[8:9], v39
	s_waitcnt lgkmcnt(0)
	global_store_dwordx2 v[0:1], v[8:9], off
	s_or_b64 exec, exec, s[8:9]
	s_and_saveexec_b64 s[0:1], s[2:3]
	s_cbranch_execz .LBB138_71
.LBB138_79:
	s_lshl_b64 s[2:3], s[4:5], 8
	v_mov_b32_e32 v9, s3
	v_add_co_u32_e32 v8, vcc, s2, v0
	v_addc_co_u32_e32 v9, vcc, v1, v9, vcc
	s_waitcnt lgkmcnt(2)
	global_store_dwordx2 v[8:9], v[6:7], off
	s_or_b64 exec, exec, s[0:1]
	s_and_saveexec_b64 s[0:1], s[24:25]
	s_cbranch_execz .LBB138_72
.LBB138_80:
	s_lshl_b64 s[2:3], s[4:5], 9
	s_waitcnt lgkmcnt(2)
	v_mov_b32_e32 v7, s3
	v_add_co_u32_e32 v6, vcc, s2, v0
	v_addc_co_u32_e32 v7, vcc, v1, v7, vcc
	s_waitcnt lgkmcnt(1)
	global_store_dwordx2 v[6:7], v[4:5], off
	s_or_b64 exec, exec, s[0:1]
	s_and_saveexec_b64 s[0:1], s[6:7]
	s_cbranch_execnz .LBB138_73
	s_branch .LBB138_74
	.section	.rodata,"a",@progbits
	.p2align	6, 0x0
	.amdhsa_kernel _ZN2at6native18radixSortKVInPlaceILin1ELin1ELi32ELi4EilmEEvNS_4cuda6detail10TensorInfoIT3_T5_EES6_S6_S6_NS4_IT4_S6_EES6_b
		.amdhsa_group_segment_fixed_size 1056
		.amdhsa_private_segment_fixed_size 0
		.amdhsa_kernarg_size 1128
		.amdhsa_user_sgpr_count 6
		.amdhsa_user_sgpr_private_segment_buffer 1
		.amdhsa_user_sgpr_dispatch_ptr 0
		.amdhsa_user_sgpr_queue_ptr 0
		.amdhsa_user_sgpr_kernarg_segment_ptr 1
		.amdhsa_user_sgpr_dispatch_id 0
		.amdhsa_user_sgpr_flat_scratch_init 0
		.amdhsa_user_sgpr_kernarg_preload_length 0
		.amdhsa_user_sgpr_kernarg_preload_offset 0
		.amdhsa_user_sgpr_private_segment_size 0
		.amdhsa_uses_dynamic_stack 0
		.amdhsa_system_sgpr_private_segment_wavefront_offset 0
		.amdhsa_system_sgpr_workgroup_id_x 1
		.amdhsa_system_sgpr_workgroup_id_y 1
		.amdhsa_system_sgpr_workgroup_id_z 1
		.amdhsa_system_sgpr_workgroup_info 0
		.amdhsa_system_vgpr_workitem_id 0
		.amdhsa_next_free_vgpr 60
		.amdhsa_next_free_sgpr 48
		.amdhsa_accum_offset 60
		.amdhsa_reserve_vcc 1
		.amdhsa_reserve_flat_scratch 0
		.amdhsa_float_round_mode_32 0
		.amdhsa_float_round_mode_16_64 0
		.amdhsa_float_denorm_mode_32 3
		.amdhsa_float_denorm_mode_16_64 3
		.amdhsa_dx10_clamp 1
		.amdhsa_ieee_mode 1
		.amdhsa_fp16_overflow 0
		.amdhsa_tg_split 0
		.amdhsa_exception_fp_ieee_invalid_op 0
		.amdhsa_exception_fp_denorm_src 0
		.amdhsa_exception_fp_ieee_div_zero 0
		.amdhsa_exception_fp_ieee_overflow 0
		.amdhsa_exception_fp_ieee_underflow 0
		.amdhsa_exception_fp_ieee_inexact 0
		.amdhsa_exception_int_div_zero 0
	.end_amdhsa_kernel
	.section	.text._ZN2at6native18radixSortKVInPlaceILin1ELin1ELi32ELi4EilmEEvNS_4cuda6detail10TensorInfoIT3_T5_EES6_S6_S6_NS4_IT4_S6_EES6_b,"axG",@progbits,_ZN2at6native18radixSortKVInPlaceILin1ELin1ELi32ELi4EilmEEvNS_4cuda6detail10TensorInfoIT3_T5_EES6_S6_S6_NS4_IT4_S6_EES6_b,comdat
.Lfunc_end138:
	.size	_ZN2at6native18radixSortKVInPlaceILin1ELin1ELi32ELi4EilmEEvNS_4cuda6detail10TensorInfoIT3_T5_EES6_S6_S6_NS4_IT4_S6_EES6_b, .Lfunc_end138-_ZN2at6native18radixSortKVInPlaceILin1ELin1ELi32ELi4EilmEEvNS_4cuda6detail10TensorInfoIT3_T5_EES6_S6_S6_NS4_IT4_S6_EES6_b
                                        ; -- End function
	.section	.AMDGPU.csdata,"",@progbits
; Kernel info:
; codeLenInByte = 6156
; NumSgprs: 52
; NumVgprs: 60
; NumAgprs: 0
; TotalNumVgprs: 60
; ScratchSize: 0
; MemoryBound: 0
; FloatMode: 240
; IeeeMode: 1
; LDSByteSize: 1056 bytes/workgroup (compile time only)
; SGPRBlocks: 6
; VGPRBlocks: 7
; NumSGPRsForWavesPerEU: 52
; NumVGPRsForWavesPerEU: 60
; AccumOffset: 60
; Occupancy: 8
; WaveLimiterHint : 1
; COMPUTE_PGM_RSRC2:SCRATCH_EN: 0
; COMPUTE_PGM_RSRC2:USER_SGPR: 6
; COMPUTE_PGM_RSRC2:TRAP_HANDLER: 0
; COMPUTE_PGM_RSRC2:TGID_X_EN: 1
; COMPUTE_PGM_RSRC2:TGID_Y_EN: 1
; COMPUTE_PGM_RSRC2:TGID_Z_EN: 1
; COMPUTE_PGM_RSRC2:TIDIG_COMP_CNT: 0
; COMPUTE_PGM_RSRC3_GFX90A:ACCUM_OFFSET: 14
; COMPUTE_PGM_RSRC3_GFX90A:TG_SPLIT: 0
	.section	.text._ZN2at6native18radixSortKVInPlaceILin1ELin1ELi16ELi2EilmEEvNS_4cuda6detail10TensorInfoIT3_T5_EES6_S6_S6_NS4_IT4_S6_EES6_b,"axG",@progbits,_ZN2at6native18radixSortKVInPlaceILin1ELin1ELi16ELi2EilmEEvNS_4cuda6detail10TensorInfoIT3_T5_EES6_S6_S6_NS4_IT4_S6_EES6_b,comdat
	.protected	_ZN2at6native18radixSortKVInPlaceILin1ELin1ELi16ELi2EilmEEvNS_4cuda6detail10TensorInfoIT3_T5_EES6_S6_S6_NS4_IT4_S6_EES6_b ; -- Begin function _ZN2at6native18radixSortKVInPlaceILin1ELin1ELi16ELi2EilmEEvNS_4cuda6detail10TensorInfoIT3_T5_EES6_S6_S6_NS4_IT4_S6_EES6_b
	.globl	_ZN2at6native18radixSortKVInPlaceILin1ELin1ELi16ELi2EilmEEvNS_4cuda6detail10TensorInfoIT3_T5_EES6_S6_S6_NS4_IT4_S6_EES6_b
	.p2align	8
	.type	_ZN2at6native18radixSortKVInPlaceILin1ELin1ELi16ELi2EilmEEvNS_4cuda6detail10TensorInfoIT3_T5_EES6_S6_S6_NS4_IT4_S6_EES6_b,@function
_ZN2at6native18radixSortKVInPlaceILin1ELin1ELi16ELi2EilmEEvNS_4cuda6detail10TensorInfoIT3_T5_EES6_S6_S6_NS4_IT4_S6_EES6_b: ; @_ZN2at6native18radixSortKVInPlaceILin1ELin1ELi16ELi2EilmEEvNS_4cuda6detail10TensorInfoIT3_T5_EES6_S6_S6_NS4_IT4_S6_EES6_b
; %bb.0:
	s_load_dwordx4 s[0:3], s[4:5], 0x1a0
	s_load_dwordx2 s[10:11], s[4:5], 0x368
	s_mov_b32 s9, 0
	s_waitcnt lgkmcnt(0)
	v_mov_b32_e32 v2, s0
	s_mul_i32 s0, s11, s8
	s_add_i32 s0, s0, s7
	s_mul_i32 s0, s0, s10
	v_mov_b32_e32 v3, s1
	s_add_i32 s8, s0, s6
	v_cmp_ge_u64_e32 vcc, s[8:9], v[2:3]
	s_cbranch_vccnz .LBB139_64
; %bb.1:
	s_load_dword s0, s[4:5], 0x198
	s_load_dwordx2 s[18:19], s[4:5], 0x1b0
	s_mov_b64 s[6:7], 0
	s_mov_b64 s[12:13], s[8:9]
	s_waitcnt lgkmcnt(0)
	s_cmp_lt_i32 s0, 2
	s_cbranch_scc1 .LBB139_9
; %bb.2:
	s_mov_b32 s10, 0
	s_add_i32 s3, s0, 1
	s_add_i32 s0, s0, -1
	s_mov_b32 s1, s10
	s_lshl_b64 s[0:1], s[0:1], 3
	s_add_u32 s0, s0, s4
	s_addc_u32 s1, s1, s5
	s_add_u32 s14, s0, 8
	s_addc_u32 s15, s1, 0
	s_mov_b64 s[16:17], s[8:9]
.LBB139_3:                              ; =>This Inner Loop Header: Depth=1
	s_load_dwordx2 s[20:21], s[14:15], 0x0
	s_waitcnt lgkmcnt(0)
	s_or_b64 s[0:1], s[16:17], s[20:21]
	s_mov_b32 s11, s1
	s_cmp_lg_u64 s[10:11], 0
	s_cbranch_scc0 .LBB139_8
; %bb.4:                                ;   in Loop: Header=BB139_3 Depth=1
	v_cvt_f32_u32_e32 v1, s20
	v_cvt_f32_u32_e32 v2, s21
	s_sub_u32 s0, 0, s20
	s_subb_u32 s1, 0, s21
	v_mac_f32_e32 v1, 0x4f800000, v2
	v_rcp_f32_e32 v1, v1
	v_mul_f32_e32 v1, 0x5f7ffffc, v1
	v_mul_f32_e32 v2, 0x2f800000, v1
	v_trunc_f32_e32 v2, v2
	v_mac_f32_e32 v1, 0xcf800000, v2
	v_cvt_u32_f32_e32 v2, v2
	v_cvt_u32_f32_e32 v1, v1
	v_readfirstlane_b32 s11, v2
	v_readfirstlane_b32 s12, v1
	s_mul_i32 s13, s0, s11
	s_mul_hi_u32 s23, s0, s12
	s_mul_i32 s22, s1, s12
	s_add_i32 s13, s23, s13
	s_mul_i32 s24, s0, s12
	s_add_i32 s13, s13, s22
	s_mul_hi_u32 s22, s12, s13
	s_mul_i32 s23, s12, s13
	s_mul_hi_u32 s12, s12, s24
	s_add_u32 s12, s12, s23
	s_addc_u32 s22, 0, s22
	s_mul_hi_u32 s25, s11, s24
	s_mul_i32 s24, s11, s24
	s_add_u32 s12, s12, s24
	s_mul_hi_u32 s23, s11, s13
	s_addc_u32 s12, s22, s25
	s_addc_u32 s22, s23, 0
	s_mul_i32 s13, s11, s13
	s_add_u32 s12, s12, s13
	s_addc_u32 s13, 0, s22
	v_add_co_u32_e32 v1, vcc, s12, v1
	s_cmp_lg_u64 vcc, 0
	s_addc_u32 s11, s11, s13
	v_readfirstlane_b32 s13, v1
	s_mul_i32 s12, s0, s11
	s_mul_hi_u32 s22, s0, s13
	s_add_i32 s12, s22, s12
	s_mul_i32 s1, s1, s13
	s_add_i32 s12, s12, s1
	s_mul_i32 s0, s0, s13
	s_mul_hi_u32 s22, s11, s0
	s_mul_i32 s23, s11, s0
	s_mul_i32 s25, s13, s12
	s_mul_hi_u32 s0, s13, s0
	s_mul_hi_u32 s24, s13, s12
	s_add_u32 s0, s0, s25
	s_addc_u32 s13, 0, s24
	s_add_u32 s0, s0, s23
	s_mul_hi_u32 s1, s11, s12
	s_addc_u32 s0, s13, s22
	s_addc_u32 s1, s1, 0
	s_mul_i32 s12, s11, s12
	s_add_u32 s0, s0, s12
	s_addc_u32 s1, 0, s1
	v_add_co_u32_e32 v1, vcc, s0, v1
	s_cmp_lg_u64 vcc, 0
	s_addc_u32 s0, s11, s1
	v_readfirstlane_b32 s12, v1
	s_mul_i32 s11, s16, s0
	s_mul_hi_u32 s13, s16, s12
	s_mul_hi_u32 s1, s16, s0
	s_add_u32 s11, s13, s11
	s_addc_u32 s1, 0, s1
	s_mul_hi_u32 s22, s17, s12
	s_mul_i32 s12, s17, s12
	s_add_u32 s11, s11, s12
	s_mul_hi_u32 s13, s17, s0
	s_addc_u32 s1, s1, s22
	s_addc_u32 s11, s13, 0
	s_mul_i32 s0, s17, s0
	s_add_u32 s12, s1, s0
	s_addc_u32 s11, 0, s11
	s_mul_i32 s0, s20, s11
	s_mul_hi_u32 s1, s20, s12
	s_add_i32 s0, s1, s0
	s_mul_i32 s1, s21, s12
	s_add_i32 s13, s0, s1
	s_mul_i32 s1, s20, s12
	v_mov_b32_e32 v1, s1
	s_sub_i32 s0, s17, s13
	v_sub_co_u32_e32 v1, vcc, s16, v1
	s_cmp_lg_u64 vcc, 0
	s_subb_u32 s22, s0, s21
	v_subrev_co_u32_e64 v2, s[0:1], s20, v1
	s_cmp_lg_u64 s[0:1], 0
	s_subb_u32 s0, s22, 0
	s_cmp_ge_u32 s0, s21
	v_readfirstlane_b32 s22, v2
	s_cselect_b32 s1, -1, 0
	s_cmp_ge_u32 s22, s20
	s_cselect_b32 s22, -1, 0
	s_cmp_eq_u32 s0, s21
	s_cselect_b32 s0, s22, s1
	s_add_u32 s1, s12, 1
	s_addc_u32 s22, s11, 0
	s_add_u32 s23, s12, 2
	s_addc_u32 s24, s11, 0
	s_cmp_lg_u32 s0, 0
	s_cselect_b32 s0, s23, s1
	s_cselect_b32 s1, s24, s22
	s_cmp_lg_u64 vcc, 0
	s_subb_u32 s13, s17, s13
	s_cmp_ge_u32 s13, s21
	v_readfirstlane_b32 s23, v1
	s_cselect_b32 s22, -1, 0
	s_cmp_ge_u32 s23, s20
	s_cselect_b32 s23, -1, 0
	s_cmp_eq_u32 s13, s21
	s_cselect_b32 s13, s23, s22
	s_cmp_lg_u32 s13, 0
	s_cselect_b32 s13, s1, s11
	s_cselect_b32 s12, s0, s12
	s_cbranch_execnz .LBB139_6
.LBB139_5:                              ;   in Loop: Header=BB139_3 Depth=1
	v_cvt_f32_u32_e32 v1, s20
	s_sub_i32 s0, 0, s20
	s_mov_b32 s13, s10
	v_rcp_iflag_f32_e32 v1, v1
	v_mul_f32_e32 v1, 0x4f7ffffe, v1
	v_cvt_u32_f32_e32 v1, v1
	v_readfirstlane_b32 s1, v1
	s_mul_i32 s0, s0, s1
	s_mul_hi_u32 s0, s1, s0
	s_add_i32 s1, s1, s0
	s_mul_hi_u32 s0, s16, s1
	s_mul_i32 s11, s0, s20
	s_sub_i32 s11, s16, s11
	s_add_i32 s1, s0, 1
	s_sub_i32 s12, s11, s20
	s_cmp_ge_u32 s11, s20
	s_cselect_b32 s0, s1, s0
	s_cselect_b32 s11, s12, s11
	s_add_i32 s1, s0, 1
	s_cmp_ge_u32 s11, s20
	s_cselect_b32 s12, s1, s0
.LBB139_6:                              ;   in Loop: Header=BB139_3 Depth=1
	s_mul_i32 s0, s12, s21
	s_mul_hi_u32 s1, s12, s20
	s_add_i32 s11, s1, s0
	s_load_dwordx2 s[0:1], s[14:15], 0xc8
	s_mul_i32 s21, s13, s20
	s_add_i32 s11, s11, s21
	s_mul_i32 s20, s12, s20
	s_sub_u32 s16, s16, s20
	s_subb_u32 s11, s17, s11
	s_waitcnt lgkmcnt(0)
	s_mul_i32 s11, s0, s11
	s_mul_hi_u32 s17, s0, s16
	s_add_i32 s11, s17, s11
	s_mul_i32 s1, s1, s16
	s_add_i32 s11, s11, s1
	s_mul_i32 s0, s0, s16
	s_add_u32 s6, s0, s6
	s_addc_u32 s7, s11, s7
	s_add_i32 s3, s3, -1
	s_add_u32 s14, s14, -8
	s_addc_u32 s15, s15, -1
	s_cmp_gt_u32 s3, 2
	s_cbranch_scc0 .LBB139_9
; %bb.7:                                ;   in Loop: Header=BB139_3 Depth=1
	s_mov_b64 s[16:17], s[12:13]
	s_branch .LBB139_3
.LBB139_8:                              ;   in Loop: Header=BB139_3 Depth=1
                                        ; implicit-def: $sgpr12_sgpr13
	s_branch .LBB139_5
.LBB139_9:
	s_load_dword s0, s[4:5], 0x350
	s_load_dwordx2 s[14:15], s[4:5], 0xd0
	s_mov_b64 s[10:11], 0
	s_waitcnt lgkmcnt(0)
	s_cmp_lt_i32 s0, 2
	s_cbranch_scc1 .LBB139_17
; %bb.10:
	s_mov_b32 s16, 0
	s_add_i32 s3, s0, 1
	s_add_i32 s0, s0, -1
	s_mov_b32 s1, s16
	s_lshl_b64 s[0:1], s[0:1], 3
	s_add_u32 s0, s0, s4
	s_addc_u32 s1, s1, s5
	s_add_u32 s20, s0, 0x1c0
	s_addc_u32 s21, s1, 0
.LBB139_11:                             ; =>This Inner Loop Header: Depth=1
	s_load_dwordx2 s[22:23], s[20:21], 0x0
	s_waitcnt lgkmcnt(0)
	s_or_b64 s[0:1], s[8:9], s[22:23]
	s_mov_b32 s17, s1
	s_cmp_lg_u64 s[16:17], 0
	s_cbranch_scc0 .LBB139_16
; %bb.12:                               ;   in Loop: Header=BB139_11 Depth=1
	v_cvt_f32_u32_e32 v1, s22
	v_cvt_f32_u32_e32 v2, s23
	s_sub_u32 s0, 0, s22
	s_subb_u32 s1, 0, s23
	v_mac_f32_e32 v1, 0x4f800000, v2
	v_rcp_f32_e32 v1, v1
	v_mul_f32_e32 v1, 0x5f7ffffc, v1
	v_mul_f32_e32 v2, 0x2f800000, v1
	v_trunc_f32_e32 v2, v2
	v_mac_f32_e32 v1, 0xcf800000, v2
	v_cvt_u32_f32_e32 v2, v2
	v_cvt_u32_f32_e32 v1, v1
	v_readfirstlane_b32 s17, v2
	v_readfirstlane_b32 s24, v1
	s_mul_i32 s25, s0, s17
	s_mul_hi_u32 s27, s0, s24
	s_mul_i32 s26, s1, s24
	s_add_i32 s25, s27, s25
	s_mul_i32 s28, s0, s24
	s_add_i32 s25, s25, s26
	s_mul_hi_u32 s26, s24, s25
	s_mul_i32 s27, s24, s25
	s_mul_hi_u32 s24, s24, s28
	s_add_u32 s24, s24, s27
	s_addc_u32 s26, 0, s26
	s_mul_hi_u32 s29, s17, s28
	s_mul_i32 s28, s17, s28
	s_add_u32 s24, s24, s28
	s_mul_hi_u32 s27, s17, s25
	s_addc_u32 s24, s26, s29
	s_addc_u32 s26, s27, 0
	s_mul_i32 s25, s17, s25
	s_add_u32 s24, s24, s25
	s_addc_u32 s25, 0, s26
	v_add_co_u32_e32 v1, vcc, s24, v1
	s_cmp_lg_u64 vcc, 0
	s_addc_u32 s17, s17, s25
	v_readfirstlane_b32 s25, v1
	s_mul_i32 s24, s0, s17
	s_mul_hi_u32 s26, s0, s25
	s_add_i32 s24, s26, s24
	s_mul_i32 s1, s1, s25
	s_add_i32 s24, s24, s1
	s_mul_i32 s0, s0, s25
	s_mul_hi_u32 s26, s17, s0
	s_mul_i32 s27, s17, s0
	s_mul_i32 s29, s25, s24
	s_mul_hi_u32 s0, s25, s0
	s_mul_hi_u32 s28, s25, s24
	s_add_u32 s0, s0, s29
	s_addc_u32 s25, 0, s28
	s_add_u32 s0, s0, s27
	s_mul_hi_u32 s1, s17, s24
	s_addc_u32 s0, s25, s26
	s_addc_u32 s1, s1, 0
	s_mul_i32 s24, s17, s24
	s_add_u32 s0, s0, s24
	s_addc_u32 s1, 0, s1
	v_add_co_u32_e32 v1, vcc, s0, v1
	s_cmp_lg_u64 vcc, 0
	s_addc_u32 s0, s17, s1
	v_readfirstlane_b32 s24, v1
	s_mul_i32 s17, s8, s0
	s_mul_hi_u32 s25, s8, s24
	s_mul_hi_u32 s1, s8, s0
	s_add_u32 s17, s25, s17
	s_addc_u32 s1, 0, s1
	s_mul_hi_u32 s26, s9, s24
	s_mul_i32 s24, s9, s24
	s_add_u32 s17, s17, s24
	s_mul_hi_u32 s25, s9, s0
	s_addc_u32 s1, s1, s26
	s_addc_u32 s17, s25, 0
	s_mul_i32 s0, s9, s0
	s_add_u32 s24, s1, s0
	s_addc_u32 s17, 0, s17
	s_mul_i32 s0, s22, s17
	s_mul_hi_u32 s1, s22, s24
	s_add_i32 s0, s1, s0
	s_mul_i32 s1, s23, s24
	s_add_i32 s25, s0, s1
	s_mul_i32 s1, s22, s24
	v_mov_b32_e32 v1, s1
	s_sub_i32 s0, s9, s25
	v_sub_co_u32_e32 v1, vcc, s8, v1
	s_cmp_lg_u64 vcc, 0
	s_subb_u32 s26, s0, s23
	v_subrev_co_u32_e64 v2, s[0:1], s22, v1
	s_cmp_lg_u64 s[0:1], 0
	s_subb_u32 s0, s26, 0
	s_cmp_ge_u32 s0, s23
	v_readfirstlane_b32 s26, v2
	s_cselect_b32 s1, -1, 0
	s_cmp_ge_u32 s26, s22
	s_cselect_b32 s26, -1, 0
	s_cmp_eq_u32 s0, s23
	s_cselect_b32 s0, s26, s1
	s_add_u32 s1, s24, 1
	s_addc_u32 s26, s17, 0
	s_add_u32 s27, s24, 2
	s_addc_u32 s28, s17, 0
	s_cmp_lg_u32 s0, 0
	s_cselect_b32 s0, s27, s1
	s_cselect_b32 s1, s28, s26
	s_cmp_lg_u64 vcc, 0
	s_subb_u32 s25, s9, s25
	s_cmp_ge_u32 s25, s23
	v_readfirstlane_b32 s27, v1
	s_cselect_b32 s26, -1, 0
	s_cmp_ge_u32 s27, s22
	s_cselect_b32 s27, -1, 0
	s_cmp_eq_u32 s25, s23
	s_cselect_b32 s25, s27, s26
	s_cmp_lg_u32 s25, 0
	s_cselect_b32 s25, s1, s17
	s_cselect_b32 s24, s0, s24
	s_cbranch_execnz .LBB139_14
.LBB139_13:                             ;   in Loop: Header=BB139_11 Depth=1
	v_cvt_f32_u32_e32 v1, s22
	s_sub_i32 s0, 0, s22
	s_mov_b32 s25, s16
	v_rcp_iflag_f32_e32 v1, v1
	v_mul_f32_e32 v1, 0x4f7ffffe, v1
	v_cvt_u32_f32_e32 v1, v1
	v_readfirstlane_b32 s1, v1
	s_mul_i32 s0, s0, s1
	s_mul_hi_u32 s0, s1, s0
	s_add_i32 s1, s1, s0
	s_mul_hi_u32 s0, s8, s1
	s_mul_i32 s17, s0, s22
	s_sub_i32 s17, s8, s17
	s_add_i32 s1, s0, 1
	s_sub_i32 s24, s17, s22
	s_cmp_ge_u32 s17, s22
	s_cselect_b32 s0, s1, s0
	s_cselect_b32 s17, s24, s17
	s_add_i32 s1, s0, 1
	s_cmp_ge_u32 s17, s22
	s_cselect_b32 s24, s1, s0
.LBB139_14:                             ;   in Loop: Header=BB139_11 Depth=1
	s_mul_i32 s0, s24, s23
	s_mul_hi_u32 s1, s24, s22
	s_add_i32 s17, s1, s0
	s_load_dwordx2 s[0:1], s[20:21], 0xc8
	s_mul_i32 s23, s25, s22
	s_add_i32 s17, s17, s23
	s_mul_i32 s22, s24, s22
	s_sub_u32 s8, s8, s22
	s_subb_u32 s9, s9, s17
	s_waitcnt lgkmcnt(0)
	s_mul_i32 s9, s0, s9
	s_mul_hi_u32 s17, s0, s8
	s_add_i32 s9, s17, s9
	s_mul_i32 s1, s1, s8
	s_add_i32 s9, s9, s1
	s_mul_i32 s0, s0, s8
	s_add_u32 s10, s0, s10
	s_addc_u32 s11, s9, s11
	s_add_i32 s3, s3, -1
	s_add_u32 s20, s20, -8
	s_addc_u32 s21, s21, -1
	s_cmp_gt_u32 s3, 2
	s_cbranch_scc0 .LBB139_18
; %bb.15:                               ;   in Loop: Header=BB139_11 Depth=1
	s_mov_b64 s[8:9], s[24:25]
	s_branch .LBB139_11
.LBB139_16:                             ;   in Loop: Header=BB139_11 Depth=1
                                        ; implicit-def: $sgpr24_sgpr25
	s_branch .LBB139_13
.LBB139_17:
	s_mov_b64 s[24:25], s[8:9]
.LBB139_18:
	s_load_dword s3, s[4:5], 0x360
	s_mul_i32 s0, s14, s13
	s_mul_hi_u32 s1, s14, s12
	s_add_i32 s0, s1, s0
	s_mul_i32 s1, s15, s12
	s_add_i32 s1, s0, s1
	s_load_dwordx2 s[20:21], s[4:5], 0x0
	s_mul_i32 s0, s14, s12
	s_load_dwordx2 s[12:13], s[4:5], 0x288
	s_waitcnt lgkmcnt(0)
	s_bitcmp1_b32 s3, 0
	s_cselect_b64 s[8:9], -1, 0
	s_brev_b32 s3, 1
	s_and_b64 s[14:15], s[8:9], exec
	s_load_dwordx2 s[14:15], s[4:5], 0x1b8
	s_cselect_b32 s16, s3, 0x7fffffff
	s_lshl_b64 s[0:1], s[0:1], 2
	s_add_u32 s3, s20, s0
	s_addc_u32 s17, s21, s1
	s_lshl_b64 s[0:1], s[6:7], 2
	s_add_u32 s30, s3, s0
	s_addc_u32 s31, s17, s1
	s_mov_b32 s17, s16
	v_cmp_gt_u32_e64 s[0:1], s2, v0
	v_pk_mov_b32 v[2:3], s[16:17], s[16:17] op_sel:[0,1]
	s_and_saveexec_b64 s[6:7], s[0:1]
	s_cbranch_execz .LBB139_20
; %bb.19:
	v_mad_u64_u32 v[2:3], s[20:21], v0, s18, 0
	v_mov_b32_e32 v4, v3
	v_mad_u64_u32 v[4:5], s[20:21], v0, s19, v[4:5]
	v_mov_b32_e32 v3, v4
	v_lshlrev_b64 v[2:3], 2, v[2:3]
	v_mov_b32_e32 v1, s31
	v_add_co_u32_e32 v2, vcc, s30, v2
	v_addc_co_u32_e32 v3, vcc, v1, v3, vcc
	global_load_dword v2, v[2:3], off
	v_mov_b32_e32 v3, s16
.LBB139_20:
	s_or_b64 exec, exec, s[6:7]
	v_or_b32_e32 v1, 16, v0
	v_cmp_gt_u32_e64 s[2:3], s2, v1
	s_and_saveexec_b64 s[6:7], s[2:3]
	s_cbranch_execz .LBB139_22
; %bb.21:
	v_mad_u64_u32 v[4:5], s[16:17], v1, s18, 0
	v_mov_b32_e32 v6, v5
	v_mad_u64_u32 v[6:7], s[16:17], v1, s19, v[6:7]
	v_mov_b32_e32 v5, v6
	v_lshlrev_b64 v[4:5], 2, v[4:5]
	v_mov_b32_e32 v3, s31
	v_add_co_u32_e32 v4, vcc, s30, v4
	v_addc_co_u32_e32 v5, vcc, v3, v5, vcc
	global_load_dword v3, v[4:5], off
.LBB139_22:
	s_or_b64 exec, exec, s[6:7]
	s_mul_i32 s6, s12, s25
	s_mul_hi_u32 s7, s12, s24
	s_add_i32 s6, s7, s6
	s_mul_i32 s7, s13, s24
	s_add_i32 s7, s6, s7
	s_mul_i32 s6, s12, s24
	s_lshl_b64 s[6:7], s[6:7], 3
	v_lshlrev_b32_e32 v21, 2, v0
	v_lshlrev_b32_e32 v20, 3, v0
	s_waitcnt lgkmcnt(0)
	s_add_u32 s12, s14, s6
	s_load_dwordx2 s[20:21], s[4:5], 0x358
	s_waitcnt vmcnt(0)
	ds_write2_b32 v21, v2, v3 offset1:16
	s_waitcnt lgkmcnt(0)
	; wave barrier
	s_waitcnt lgkmcnt(0)
	ds_read2_b32 v[10:11], v20 offset1:1
	s_addc_u32 s13, s15, s7
	s_lshl_b64 s[6:7], s[10:11], 3
	s_mov_b32 s4, 0
	s_add_u32 s33, s12, s6
	s_mov_b32 s5, s4
	s_addc_u32 s34, s13, s7
	s_mov_b32 s6, s4
	s_mov_b32 s7, s4
	v_pk_mov_b32 v[2:3], s[4:5], s[4:5] op_sel:[0,1]
	v_pk_mov_b32 v[4:5], s[6:7], s[6:7] op_sel:[0,1]
	v_pk_mov_b32 v[2:3], 0, 0
	s_waitcnt lgkmcnt(0)
	; wave barrier
	s_waitcnt lgkmcnt(0)
	s_and_saveexec_b64 s[4:5], s[0:1]
	s_cbranch_execz .LBB139_24
; %bb.23:
	v_mad_u64_u32 v[2:3], s[6:7], v0, s20, 0
	v_mov_b32_e32 v4, v3
	v_mad_u64_u32 v[4:5], s[6:7], v0, s21, v[4:5]
	v_mov_b32_e32 v3, v4
	v_lshlrev_b64 v[2:3], 3, v[2:3]
	v_mov_b32_e32 v4, s34
	v_add_co_u32_e32 v2, vcc, s33, v2
	v_addc_co_u32_e32 v3, vcc, v4, v3, vcc
	global_load_dwordx2 v[2:3], v[2:3], off
	v_mov_b32_e32 v4, 0
	v_mov_b32_e32 v5, v4
.LBB139_24:
	s_or_b64 exec, exec, s[4:5]
	s_xor_b64 s[22:23], s[8:9], -1
	v_lshlrev_b32_e32 v6, 1, v0
	s_and_saveexec_b64 s[4:5], s[2:3]
	s_cbranch_execz .LBB139_26
; %bb.25:
	v_mad_u64_u32 v[4:5], s[6:7], v1, s20, 0
	v_mov_b32_e32 v8, v5
	v_mad_u64_u32 v[8:9], s[6:7], v1, s21, v[8:9]
	v_mov_b32_e32 v5, v8
	v_lshlrev_b64 v[4:5], 3, v[4:5]
	v_mov_b32_e32 v7, s34
	v_add_co_u32_e32 v4, vcc, s33, v4
	v_addc_co_u32_e32 v5, vcc, v7, v5, vcc
	global_load_dwordx2 v[4:5], v[4:5], off
.LBB139_26:
	s_or_b64 exec, exec, s[4:5]
	v_mbcnt_lo_u32_b32 v7, -1, 0
	v_lshlrev_b32_e32 v22, 3, v6
	s_getpc_b64 s[4:5]
	s_add_u32 s4, s4, _ZN7rocprim17ROCPRIM_400000_NS16block_radix_sortIiLj16ELj2ElLj1ELj1ELj0ELNS0_26block_radix_rank_algorithmE1ELNS0_18block_padding_hintE2ELNS0_4arch9wavefront6targetE1EE19radix_bits_per_passE@rel32@lo+4
	s_addc_u32 s5, s5, _ZN7rocprim17ROCPRIM_400000_NS16block_radix_sortIiLj16ELj2ElLj1ELj1ELj0ELNS0_26block_radix_rank_algorithmE1ELNS0_18block_padding_hintE2ELNS0_4arch9wavefront6targetE1EE19radix_bits_per_passE@rel32@hi+12
	v_mbcnt_hi_u32_b32 v7, -1, v7
	s_waitcnt vmcnt(0)
	ds_write2_b64 v20, v[2:3], v[4:5] offset1:16
	s_waitcnt lgkmcnt(0)
	; wave barrier
	s_waitcnt lgkmcnt(0)
	ds_read2_b64 v[2:5], v22 offset1:1
	s_load_dword s35, s[4:5], 0x0
	v_and_b32_e32 v8, 15, v7
	v_cmp_eq_u32_e64 s[6:7], 0, v8
	v_cmp_lt_u32_e64 s[8:9], 1, v8
	v_cmp_lt_u32_e64 s[10:11], 3, v8
	;; [unrolled: 1-line block ×3, first 2 shown]
	v_add_u32_e32 v8, -1, v7
	v_and_b32_e32 v9, 0x70, v7
	v_cmp_lt_i32_e32 vcc, v8, v9
	s_movk_i32 s4, 0x80
	v_cndmask_b32_e32 v8, v8, v7, vcc
	v_cmp_gt_u32_e64 s[4:5], s4, v0
	v_lshlrev_b32_e32 v23, 5, v0
	s_mov_b32 s36, 0
	v_cmp_eq_u32_e64 s[14:15], 15, v0
	s_movk_i32 s37, 0x70
	v_lshlrev_b32_e32 v25, 2, v8
	v_cmp_eq_u32_e64 s[16:17], 0, v7
	v_lshlrev_b32_e32 v24, 2, v6
	s_and_b64 vcc, exec, s[22:23]
	v_add_u32_e64 v26, 7, 2
	s_waitcnt lgkmcnt(0)
	; wave barrier
	s_waitcnt lgkmcnt(0)
	s_cbranch_vccz .LBB139_41
; %bb.27:
	v_xor_b32_e32 v16, 0x80000000, v10
	v_xor_b32_e32 v17, 0x80000000, v11
	v_and_b32_e32 v27, 14, v26
	v_mov_b32_e32 v28, 0
	v_pk_mov_b32 v[6:7], v[2:3], v[2:3] op_sel:[0,1]
	v_pk_mov_b32 v[8:9], v[4:5], v[4:5] op_sel:[0,1]
	s_branch .LBB139_29
.LBB139_28:                             ;   in Loop: Header=BB139_29 Depth=1
	v_lshlrev_b32_e32 v6, 2, v18
	s_waitcnt lgkmcnt(0)
	; wave barrier
	ds_write_b32 v6, v30
	v_lshlrev_b32_e32 v6, 2, v19
	ds_write_b32 v6, v29
	v_lshlrev_b32_e32 v6, 3, v18
	s_waitcnt lgkmcnt(0)
	; wave barrier
	s_waitcnt lgkmcnt(0)
	ds_read2_b32 v[16:17], v24 offset1:1
	s_waitcnt lgkmcnt(0)
	; wave barrier
	s_waitcnt lgkmcnt(0)
	ds_write_b64 v6, v[14:15]
	v_lshlrev_b32_e32 v6, 3, v19
	ds_write_b64 v6, v[12:13]
	s_waitcnt lgkmcnt(0)
	; wave barrier
	s_waitcnt lgkmcnt(0)
	ds_read2_b64 v[6:9], v22 offset1:1
	s_add_i32 s36, s36, 4
	s_waitcnt lgkmcnt(0)
	; wave barrier
	s_waitcnt lgkmcnt(0)
	s_cbranch_execz .LBB139_40
.LBB139_29:                             ; =>This Loop Header: Depth=1
                                        ;     Child Loop BB139_32 Depth 2
	v_mov_b32_e32 v29, v17
	v_mov_b32_e32 v30, v16
	v_pk_mov_b32 v[12:13], v[8:9], v[8:9] op_sel:[0,1]
	v_pk_mov_b32 v[14:15], v[6:7], v[6:7] op_sel:[0,1]
	s_and_saveexec_b64 s[22:23], s[4:5]
	s_cbranch_execz .LBB139_36
; %bb.30:                               ;   in Loop: Header=BB139_29 Depth=1
	s_mov_b32 s38, 0
	s_mov_b64 s[24:25], 0
	v_pk_mov_b32 v[6:7], v[0:1], v[0:1] op_sel:[0,1]
	s_branch .LBB139_32
.LBB139_31:                             ;   in Loop: Header=BB139_32 Depth=2
	s_or_b64 exec, exec, s[28:29]
	s_add_i32 s38, s38, 2
	v_cmp_eq_u32_e32 vcc, s38, v27
	v_add_u32_e32 v7, 32, v7
	s_or_b64 s[24:25], vcc, s[24:25]
	v_add_u32_e32 v6, 32, v6
	s_andn2_b64 exec, exec, s[24:25]
	s_cbranch_execz .LBB139_36
.LBB139_32:                             ;   Parent Loop BB139_29 Depth=1
                                        ; =>  This Inner Loop Header: Depth=2
	s_or_b32 s26, s38, 1
	v_cmp_le_u32_e64 s[26:27], s26, 7
	v_cmp_le_u32_e64 s[40:41], s38, 7
	s_and_saveexec_b64 s[28:29], s[40:41]
	s_cbranch_execz .LBB139_34
; %bb.33:                               ;   in Loop: Header=BB139_32 Depth=2
	v_lshlrev_b32_e32 v8, 2, v6
	ds_write_b32 v8, v28
.LBB139_34:                             ;   in Loop: Header=BB139_32 Depth=2
	s_or_b64 exec, exec, s[28:29]
	s_and_saveexec_b64 s[28:29], s[26:27]
	s_cbranch_execz .LBB139_31
; %bb.35:                               ;   in Loop: Header=BB139_32 Depth=2
	v_lshlrev_b32_e32 v8, 2, v7
	ds_write_b32 v8, v28
	s_branch .LBB139_31
.LBB139_36:                             ;   in Loop: Header=BB139_29 Depth=1
	s_or_b64 exec, exec, s[22:23]
	s_sub_i32 s22, 32, s36
	s_min_u32 s22, s35, s22
	s_lshl_b32 s22, -1, s22
	s_not_b32 s22, s22
	v_lshrrev_b32_e32 v6, s36, v30
	v_and_b32_e32 v6, s22, v6
	v_lshrrev_b32_e32 v7, 3, v6
	v_lshlrev_b32_e32 v6, 4, v6
	v_and_or_b32 v6, v6, s37, v0
	v_lshlrev_b32_e32 v6, 1, v6
	v_add_lshl_u32 v32, v6, v7, 1
	ds_read_u16 v31, v32
	v_lshrrev_b32_e32 v6, s36, v29
	v_and_b32_e32 v6, s22, v6
	s_waitcnt lgkmcnt(0)
	v_add_u16_e32 v7, 1, v31
	ds_write_b16 v32, v7
	v_lshrrev_b32_e32 v7, 3, v6
	v_lshlrev_b32_e32 v6, 4, v6
	v_and_or_b32 v6, v6, s37, v0
	v_lshlrev_b32_e32 v6, 1, v6
	v_add_lshl_u32 v34, v6, v7, 1
	ds_read_u16 v33, v34
	s_waitcnt lgkmcnt(0)
	v_add_u16_e32 v6, 1, v33
	ds_write_b16 v34, v6
	s_waitcnt lgkmcnt(0)
	; wave barrier
	s_waitcnt lgkmcnt(0)
	ds_read2_b32 v[18:19], v23 offset1:1
	ds_read2_b32 v[16:17], v23 offset0:2 offset1:3
	ds_read2_b32 v[6:7], v23 offset0:4 offset1:5
	;; [unrolled: 1-line block ×3, first 2 shown]
	s_waitcnt lgkmcnt(3)
	v_add_u32_e32 v35, v19, v18
	s_waitcnt lgkmcnt(2)
	v_add3_u32 v35, v35, v16, v17
	s_waitcnt lgkmcnt(1)
	v_add3_u32 v35, v35, v6, v7
	;; [unrolled: 2-line block ×3, first 2 shown]
	s_nop 1
	v_mov_b32_dpp v35, v9 row_shr:1 row_mask:0xf bank_mask:0xf
	v_cndmask_b32_e64 v35, v35, 0, s[6:7]
	v_add_u32_e32 v9, v35, v9
	s_nop 1
	v_mov_b32_dpp v35, v9 row_shr:2 row_mask:0xf bank_mask:0xf
	v_cndmask_b32_e64 v35, 0, v35, s[8:9]
	v_add_u32_e32 v9, v9, v35
	;; [unrolled: 4-line block ×4, first 2 shown]
	s_and_saveexec_b64 s[22:23], s[14:15]
	s_cbranch_execz .LBB139_38
; %bb.37:                               ;   in Loop: Header=BB139_29 Depth=1
	ds_write_b32 v28, v9 offset:512
.LBB139_38:                             ;   in Loop: Header=BB139_29 Depth=1
	s_or_b64 exec, exec, s[22:23]
	ds_bpermute_b32 v9, v25, v9
	s_waitcnt lgkmcnt(0)
	; wave barrier
	s_waitcnt lgkmcnt(0)
	ds_read_b32 v35, v28 offset:512
	s_cmp_gt_u32 s36, 27
	v_cndmask_b32_e64 v9, v9, 0, s[16:17]
	s_waitcnt lgkmcnt(0)
	v_lshl_add_u32 v9, v35, 16, v9
	v_add_u32_e32 v18, v9, v18
	v_add_u32_e32 v19, v18, v19
	ds_write2_b32 v23, v9, v18 offset1:1
	v_add_u32_e32 v9, v19, v16
	v_add_u32_e32 v16, v9, v17
	;; [unrolled: 1-line block ×5, first 2 shown]
	ds_write2_b32 v23, v19, v9 offset0:2 offset1:3
	ds_write2_b32 v23, v16, v6 offset0:4 offset1:5
	;; [unrolled: 1-line block ×3, first 2 shown]
	s_waitcnt lgkmcnt(0)
	; wave barrier
	s_waitcnt lgkmcnt(0)
	ds_read_u16 v6, v32
	ds_read_u16 v7, v34
	s_waitcnt lgkmcnt(1)
	v_add_u32_sdwa v18, v6, v31 dst_sel:DWORD dst_unused:UNUSED_PAD src0_sel:DWORD src1_sel:WORD_0
	s_waitcnt lgkmcnt(0)
	v_add_u32_sdwa v19, v7, v33 dst_sel:DWORD dst_unused:UNUSED_PAD src0_sel:DWORD src1_sel:WORD_0
	s_cbranch_scc0 .LBB139_28
; %bb.39:
                                        ; implicit-def: $vgpr17
                                        ; implicit-def: $vgpr8_vgpr9
                                        ; implicit-def: $sgpr36
.LBB139_40:
	v_lshlrev_b32_e32 v6, 2, v18
	s_waitcnt lgkmcnt(0)
	; wave barrier
	ds_write_b32 v6, v30
	v_lshlrev_b32_e32 v6, 2, v19
	ds_write_b32 v6, v29
	s_waitcnt lgkmcnt(0)
	; wave barrier
	s_waitcnt lgkmcnt(0)
	v_lshlrev_b32_e32 v6, 3, v18
	v_lshlrev_b32_e32 v7, 3, v19
	ds_read2_b32 v[16:17], v24 offset1:1
	s_waitcnt lgkmcnt(0)
	; wave barrier
	s_waitcnt lgkmcnt(0)
	ds_write_b64 v6, v[14:15]
	ds_write_b64 v7, v[12:13]
	s_waitcnt lgkmcnt(0)
	; wave barrier
	s_waitcnt lgkmcnt(0)
	ds_read2_b64 v[6:9], v22 offset1:1
	v_xor_b32_e32 v13, 0x80000000, v17
	v_xor_b32_e32 v12, 0x80000000, v16
	s_branch .LBB139_56
.LBB139_41:
                                        ; implicit-def: $vgpr8_vgpr9
                                        ; implicit-def: $vgpr12_vgpr13
	s_cbranch_execz .LBB139_56
; %bb.42:
	v_xor_b32_e32 v10, 0x7fffffff, v10
	v_xor_b32_e32 v11, 0x7fffffff, v11
	v_and_b32_e32 v14, 14, v26
	s_mov_b32 s37, 0
	v_mov_b32_e32 v15, 0
	s_movk_i32 s36, 0x70
	s_branch .LBB139_44
.LBB139_43:                             ;   in Loop: Header=BB139_44 Depth=1
	v_lshlrev_b32_e32 v2, 2, v12
	s_waitcnt lgkmcnt(0)
	; wave barrier
	ds_write_b32 v2, v17
	v_lshlrev_b32_e32 v2, 2, v13
	ds_write_b32 v2, v16
	v_lshlrev_b32_e32 v2, 3, v12
	s_waitcnt lgkmcnt(0)
	; wave barrier
	s_waitcnt lgkmcnt(0)
	ds_read2_b32 v[10:11], v24 offset1:1
	s_waitcnt lgkmcnt(0)
	; wave barrier
	s_waitcnt lgkmcnt(0)
	ds_write_b64 v2, v[8:9]
	v_lshlrev_b32_e32 v2, 3, v13
	ds_write_b64 v2, v[6:7]
	s_waitcnt lgkmcnt(0)
	; wave barrier
	s_waitcnt lgkmcnt(0)
	ds_read2_b64 v[2:5], v22 offset1:1
	s_add_i32 s37, s37, 4
	s_waitcnt lgkmcnt(0)
	; wave barrier
	s_waitcnt lgkmcnt(0)
	s_cbranch_execz .LBB139_55
.LBB139_44:                             ; =>This Loop Header: Depth=1
                                        ;     Child Loop BB139_47 Depth 2
	v_mov_b32_e32 v16, v11
	v_mov_b32_e32 v17, v10
	s_waitcnt lgkmcnt(0)
	v_pk_mov_b32 v[6:7], v[4:5], v[4:5] op_sel:[0,1]
	v_pk_mov_b32 v[8:9], v[2:3], v[2:3] op_sel:[0,1]
	s_and_saveexec_b64 s[22:23], s[4:5]
	s_cbranch_execz .LBB139_51
; %bb.45:                               ;   in Loop: Header=BB139_44 Depth=1
	s_mov_b32 s38, 0
	s_mov_b64 s[24:25], 0
	v_pk_mov_b32 v[2:3], v[0:1], v[0:1] op_sel:[0,1]
	s_branch .LBB139_47
.LBB139_46:                             ;   in Loop: Header=BB139_47 Depth=2
	s_or_b64 exec, exec, s[28:29]
	s_add_i32 s38, s38, 2
	v_cmp_eq_u32_e32 vcc, s38, v14
	v_add_u32_e32 v3, 32, v3
	s_or_b64 s[24:25], vcc, s[24:25]
	v_add_u32_e32 v2, 32, v2
	s_andn2_b64 exec, exec, s[24:25]
	s_cbranch_execz .LBB139_51
.LBB139_47:                             ;   Parent Loop BB139_44 Depth=1
                                        ; =>  This Inner Loop Header: Depth=2
	s_or_b32 s26, s38, 1
	v_cmp_le_u32_e64 s[26:27], s26, 7
	v_cmp_le_u32_e64 s[40:41], s38, 7
	s_and_saveexec_b64 s[28:29], s[40:41]
	s_cbranch_execz .LBB139_49
; %bb.48:                               ;   in Loop: Header=BB139_47 Depth=2
	v_lshlrev_b32_e32 v4, 2, v2
	ds_write_b32 v4, v15
.LBB139_49:                             ;   in Loop: Header=BB139_47 Depth=2
	s_or_b64 exec, exec, s[28:29]
	s_and_saveexec_b64 s[28:29], s[26:27]
	s_cbranch_execz .LBB139_46
; %bb.50:                               ;   in Loop: Header=BB139_47 Depth=2
	v_lshlrev_b32_e32 v4, 2, v3
	ds_write_b32 v4, v15
	s_branch .LBB139_46
.LBB139_51:                             ;   in Loop: Header=BB139_44 Depth=1
	s_or_b64 exec, exec, s[22:23]
	s_sub_i32 s22, 32, s37
	s_min_u32 s22, s35, s22
	s_lshl_b32 s22, -1, s22
	s_not_b32 s22, s22
	v_lshrrev_b32_e32 v2, s37, v17
	v_and_b32_e32 v2, s22, v2
	v_lshrrev_b32_e32 v3, 3, v2
	v_lshlrev_b32_e32 v2, 4, v2
	v_and_or_b32 v2, v2, s36, v0
	v_lshlrev_b32_e32 v2, 1, v2
	v_add_lshl_u32 v19, v2, v3, 1
	ds_read_u16 v18, v19
	v_lshrrev_b32_e32 v2, s37, v16
	v_and_b32_e32 v2, s22, v2
	s_waitcnt lgkmcnt(0)
	v_add_u16_e32 v3, 1, v18
	ds_write_b16 v19, v3
	v_lshrrev_b32_e32 v3, 3, v2
	v_lshlrev_b32_e32 v2, 4, v2
	v_and_or_b32 v2, v2, s36, v0
	v_lshlrev_b32_e32 v2, 1, v2
	v_add_lshl_u32 v27, v2, v3, 1
	ds_read_u16 v26, v27
	s_waitcnt lgkmcnt(0)
	v_add_u16_e32 v2, 1, v26
	ds_write_b16 v27, v2
	s_waitcnt lgkmcnt(0)
	; wave barrier
	s_waitcnt lgkmcnt(0)
	ds_read2_b32 v[12:13], v23 offset1:1
	ds_read2_b32 v[10:11], v23 offset0:2 offset1:3
	ds_read2_b32 v[2:3], v23 offset0:4 offset1:5
	;; [unrolled: 1-line block ×3, first 2 shown]
	s_waitcnt lgkmcnt(3)
	v_add_u32_e32 v28, v13, v12
	s_waitcnt lgkmcnt(2)
	v_add3_u32 v28, v28, v10, v11
	s_waitcnt lgkmcnt(1)
	v_add3_u32 v28, v28, v2, v3
	;; [unrolled: 2-line block ×3, first 2 shown]
	s_nop 1
	v_mov_b32_dpp v28, v5 row_shr:1 row_mask:0xf bank_mask:0xf
	v_cndmask_b32_e64 v28, v28, 0, s[6:7]
	v_add_u32_e32 v5, v28, v5
	s_nop 1
	v_mov_b32_dpp v28, v5 row_shr:2 row_mask:0xf bank_mask:0xf
	v_cndmask_b32_e64 v28, 0, v28, s[8:9]
	v_add_u32_e32 v5, v5, v28
	;; [unrolled: 4-line block ×4, first 2 shown]
	s_and_saveexec_b64 s[22:23], s[14:15]
	s_cbranch_execz .LBB139_53
; %bb.52:                               ;   in Loop: Header=BB139_44 Depth=1
	ds_write_b32 v15, v5 offset:512
.LBB139_53:                             ;   in Loop: Header=BB139_44 Depth=1
	s_or_b64 exec, exec, s[22:23]
	ds_bpermute_b32 v5, v25, v5
	s_waitcnt lgkmcnt(0)
	; wave barrier
	s_waitcnt lgkmcnt(0)
	ds_read_b32 v28, v15 offset:512
	s_cmp_gt_u32 s37, 27
	v_cndmask_b32_e64 v5, v5, 0, s[16:17]
	s_waitcnt lgkmcnt(0)
	v_lshl_add_u32 v5, v28, 16, v5
	v_add_u32_e32 v12, v5, v12
	v_add_u32_e32 v13, v12, v13
	ds_write2_b32 v23, v5, v12 offset1:1
	v_add_u32_e32 v5, v13, v10
	v_add_u32_e32 v10, v5, v11
	;; [unrolled: 1-line block ×5, first 2 shown]
	ds_write2_b32 v23, v13, v5 offset0:2 offset1:3
	ds_write2_b32 v23, v10, v2 offset0:4 offset1:5
	;; [unrolled: 1-line block ×3, first 2 shown]
	s_waitcnt lgkmcnt(0)
	; wave barrier
	s_waitcnt lgkmcnt(0)
	ds_read_u16 v2, v19
	ds_read_u16 v3, v27
	s_waitcnt lgkmcnt(1)
	v_add_u32_sdwa v12, v2, v18 dst_sel:DWORD dst_unused:UNUSED_PAD src0_sel:DWORD src1_sel:WORD_0
	s_waitcnt lgkmcnt(0)
	v_add_u32_sdwa v13, v3, v26 dst_sel:DWORD dst_unused:UNUSED_PAD src0_sel:DWORD src1_sel:WORD_0
	s_cbranch_scc0 .LBB139_43
; %bb.54:
                                        ; implicit-def: $vgpr11
                                        ; implicit-def: $vgpr4_vgpr5
                                        ; implicit-def: $sgpr37
.LBB139_55:
	v_lshlrev_b32_e32 v1, 2, v12
	s_waitcnt lgkmcnt(0)
	; wave barrier
	ds_write_b32 v1, v17
	v_lshlrev_b32_e32 v1, 2, v13
	ds_write_b32 v1, v16
	s_waitcnt lgkmcnt(0)
	; wave barrier
	s_waitcnt lgkmcnt(0)
	v_lshlrev_b32_e32 v1, 3, v12
	ds_read2_b32 v[2:3], v24 offset1:1
	v_lshlrev_b32_e32 v4, 3, v13
	s_waitcnt lgkmcnt(0)
	; wave barrier
	s_waitcnt lgkmcnt(0)
	ds_write_b64 v1, v[8:9]
	ds_write_b64 v4, v[6:7]
	s_waitcnt lgkmcnt(0)
	; wave barrier
	s_waitcnt lgkmcnt(0)
	ds_read2_b64 v[6:9], v22 offset1:1
	v_xor_b32_e32 v13, 0x7fffffff, v3
	v_xor_b32_e32 v12, 0x7fffffff, v2
.LBB139_56:
	v_mad_u64_u32 v[2:3], s[4:5], v0, s18, 0
	v_mov_b32_e32 v4, v3
	s_waitcnt lgkmcnt(0)
	; wave barrier
	s_waitcnt lgkmcnt(0)
	ds_write2_b32 v20, v12, v13 offset1:1
	s_waitcnt lgkmcnt(0)
	; wave barrier
	s_waitcnt lgkmcnt(0)
	ds_read_b32 v1, v21 offset:64
	v_mad_u64_u32 v[4:5], s[4:5], v0, s19, v[4:5]
	v_mov_b32_e32 v3, v4
	v_lshlrev_b64 v[2:3], 2, v[2:3]
	v_mov_b32_e32 v4, s31
	v_add_co_u32_e32 v2, vcc, s30, v2
	v_addc_co_u32_e32 v3, vcc, v4, v3, vcc
	s_and_saveexec_b64 s[4:5], s[0:1]
	s_cbranch_execz .LBB139_58
; %bb.57:
	ds_read_b32 v4, v21
	s_waitcnt lgkmcnt(0)
	global_store_dword v[2:3], v4, off
.LBB139_58:
	s_or_b64 exec, exec, s[4:5]
	s_and_saveexec_b64 s[4:5], s[2:3]
	s_cbranch_execz .LBB139_60
; %bb.59:
	s_lshl_b64 s[6:7], s[18:19], 6
	v_mov_b32_e32 v4, s7
	v_add_co_u32_e32 v2, vcc, s6, v2
	v_addc_co_u32_e32 v3, vcc, v3, v4, vcc
	s_waitcnt lgkmcnt(0)
	global_store_dword v[2:3], v1, off
.LBB139_60:
	s_or_b64 exec, exec, s[4:5]
	v_mad_u64_u32 v[4:5], s[4:5], v0, s20, 0
	s_waitcnt lgkmcnt(0)
	; wave barrier
	s_waitcnt lgkmcnt(0)
	ds_write2_b64 v22, v[6:7], v[8:9] offset1:1
	v_mov_b32_e32 v6, v5
	s_waitcnt lgkmcnt(0)
	; wave barrier
	s_waitcnt lgkmcnt(0)
	ds_read_b64 v[2:3], v20 offset:128
	v_mad_u64_u32 v[0:1], s[4:5], v0, s21, v[6:7]
	v_mov_b32_e32 v5, v0
	v_lshlrev_b64 v[0:1], 3, v[4:5]
	v_mov_b32_e32 v4, s34
	v_add_co_u32_e32 v0, vcc, s33, v0
	v_addc_co_u32_e32 v1, vcc, v4, v1, vcc
	s_and_saveexec_b64 s[4:5], s[0:1]
	s_cbranch_execz .LBB139_62
; %bb.61:
	ds_read_b64 v[4:5], v20
	s_waitcnt lgkmcnt(0)
	global_store_dwordx2 v[0:1], v[4:5], off
.LBB139_62:
	s_or_b64 exec, exec, s[4:5]
	s_and_saveexec_b64 s[0:1], s[2:3]
	s_cbranch_execz .LBB139_64
; %bb.63:
	s_lshl_b64 s[0:1], s[20:21], 7
	v_mov_b32_e32 v4, s1
	v_add_co_u32_e32 v0, vcc, s0, v0
	v_addc_co_u32_e32 v1, vcc, v1, v4, vcc
	s_waitcnt lgkmcnt(0)
	global_store_dwordx2 v[0:1], v[2:3], off
.LBB139_64:
	s_endpgm
	.section	.rodata,"a",@progbits
	.p2align	6, 0x0
	.amdhsa_kernel _ZN2at6native18radixSortKVInPlaceILin1ELin1ELi16ELi2EilmEEvNS_4cuda6detail10TensorInfoIT3_T5_EES6_S6_S6_NS4_IT4_S6_EES6_b
		.amdhsa_group_segment_fixed_size 528
		.amdhsa_private_segment_fixed_size 0
		.amdhsa_kernarg_size 1128
		.amdhsa_user_sgpr_count 6
		.amdhsa_user_sgpr_private_segment_buffer 1
		.amdhsa_user_sgpr_dispatch_ptr 0
		.amdhsa_user_sgpr_queue_ptr 0
		.amdhsa_user_sgpr_kernarg_segment_ptr 1
		.amdhsa_user_sgpr_dispatch_id 0
		.amdhsa_user_sgpr_flat_scratch_init 0
		.amdhsa_user_sgpr_kernarg_preload_length 0
		.amdhsa_user_sgpr_kernarg_preload_offset 0
		.amdhsa_user_sgpr_private_segment_size 0
		.amdhsa_uses_dynamic_stack 0
		.amdhsa_system_sgpr_private_segment_wavefront_offset 0
		.amdhsa_system_sgpr_workgroup_id_x 1
		.amdhsa_system_sgpr_workgroup_id_y 1
		.amdhsa_system_sgpr_workgroup_id_z 1
		.amdhsa_system_sgpr_workgroup_info 0
		.amdhsa_system_vgpr_workitem_id 0
		.amdhsa_next_free_vgpr 36
		.amdhsa_next_free_sgpr 42
		.amdhsa_accum_offset 36
		.amdhsa_reserve_vcc 1
		.amdhsa_reserve_flat_scratch 0
		.amdhsa_float_round_mode_32 0
		.amdhsa_float_round_mode_16_64 0
		.amdhsa_float_denorm_mode_32 3
		.amdhsa_float_denorm_mode_16_64 3
		.amdhsa_dx10_clamp 1
		.amdhsa_ieee_mode 1
		.amdhsa_fp16_overflow 0
		.amdhsa_tg_split 0
		.amdhsa_exception_fp_ieee_invalid_op 0
		.amdhsa_exception_fp_denorm_src 0
		.amdhsa_exception_fp_ieee_div_zero 0
		.amdhsa_exception_fp_ieee_overflow 0
		.amdhsa_exception_fp_ieee_underflow 0
		.amdhsa_exception_fp_ieee_inexact 0
		.amdhsa_exception_int_div_zero 0
	.end_amdhsa_kernel
	.section	.text._ZN2at6native18radixSortKVInPlaceILin1ELin1ELi16ELi2EilmEEvNS_4cuda6detail10TensorInfoIT3_T5_EES6_S6_S6_NS4_IT4_S6_EES6_b,"axG",@progbits,_ZN2at6native18radixSortKVInPlaceILin1ELin1ELi16ELi2EilmEEvNS_4cuda6detail10TensorInfoIT3_T5_EES6_S6_S6_NS4_IT4_S6_EES6_b,comdat
.Lfunc_end139:
	.size	_ZN2at6native18radixSortKVInPlaceILin1ELin1ELi16ELi2EilmEEvNS_4cuda6detail10TensorInfoIT3_T5_EES6_S6_S6_NS4_IT4_S6_EES6_b, .Lfunc_end139-_ZN2at6native18radixSortKVInPlaceILin1ELin1ELi16ELi2EilmEEvNS_4cuda6detail10TensorInfoIT3_T5_EES6_S6_S6_NS4_IT4_S6_EES6_b
                                        ; -- End function
	.section	.AMDGPU.csdata,"",@progbits
; Kernel info:
; codeLenInByte = 4520
; NumSgprs: 46
; NumVgprs: 36
; NumAgprs: 0
; TotalNumVgprs: 36
; ScratchSize: 0
; MemoryBound: 0
; FloatMode: 240
; IeeeMode: 1
; LDSByteSize: 528 bytes/workgroup (compile time only)
; SGPRBlocks: 5
; VGPRBlocks: 4
; NumSGPRsForWavesPerEU: 46
; NumVGPRsForWavesPerEU: 36
; AccumOffset: 36
; Occupancy: 8
; WaveLimiterHint : 1
; COMPUTE_PGM_RSRC2:SCRATCH_EN: 0
; COMPUTE_PGM_RSRC2:USER_SGPR: 6
; COMPUTE_PGM_RSRC2:TRAP_HANDLER: 0
; COMPUTE_PGM_RSRC2:TGID_X_EN: 1
; COMPUTE_PGM_RSRC2:TGID_Y_EN: 1
; COMPUTE_PGM_RSRC2:TGID_Z_EN: 1
; COMPUTE_PGM_RSRC2:TIDIG_COMP_CNT: 0
; COMPUTE_PGM_RSRC3_GFX90A:ACCUM_OFFSET: 8
; COMPUTE_PGM_RSRC3_GFX90A:TG_SPLIT: 0
	.section	.text._ZN2at6native18radixSortKVInPlaceILin2ELin1ELi512ELi8ElljEEvNS_4cuda6detail10TensorInfoIT3_T5_EES6_S6_S6_NS4_IT4_S6_EES6_b,"axG",@progbits,_ZN2at6native18radixSortKVInPlaceILin2ELin1ELi512ELi8ElljEEvNS_4cuda6detail10TensorInfoIT3_T5_EES6_S6_S6_NS4_IT4_S6_EES6_b,comdat
	.protected	_ZN2at6native18radixSortKVInPlaceILin2ELin1ELi512ELi8ElljEEvNS_4cuda6detail10TensorInfoIT3_T5_EES6_S6_S6_NS4_IT4_S6_EES6_b ; -- Begin function _ZN2at6native18radixSortKVInPlaceILin2ELin1ELi512ELi8ElljEEvNS_4cuda6detail10TensorInfoIT3_T5_EES6_S6_S6_NS4_IT4_S6_EES6_b
	.globl	_ZN2at6native18radixSortKVInPlaceILin2ELin1ELi512ELi8ElljEEvNS_4cuda6detail10TensorInfoIT3_T5_EES6_S6_S6_NS4_IT4_S6_EES6_b
	.p2align	8
	.type	_ZN2at6native18radixSortKVInPlaceILin2ELin1ELi512ELi8ElljEEvNS_4cuda6detail10TensorInfoIT3_T5_EES6_S6_S6_NS4_IT4_S6_EES6_b,@function
_ZN2at6native18radixSortKVInPlaceILin2ELin1ELi512ELi8ElljEEvNS_4cuda6detail10TensorInfoIT3_T5_EES6_S6_S6_NS4_IT4_S6_EES6_b: ; @_ZN2at6native18radixSortKVInPlaceILin2ELin1ELi512ELi8ElljEEvNS_4cuda6detail10TensorInfoIT3_T5_EES6_S6_S6_NS4_IT4_S6_EES6_b
; %bb.0:
	s_load_dwordx2 s[0:1], s[4:5], 0x1c8
	s_load_dwordx4 s[48:51], s[4:5], 0xd8
	s_add_u32 s54, s4, 0x1c8
	s_addc_u32 s55, s5, 0
	s_waitcnt lgkmcnt(0)
	s_mul_i32 s1, s1, s8
	s_add_i32 s1, s1, s7
	s_mul_i32 s0, s1, s0
	s_add_i32 s6, s0, s6
	s_cmp_ge_u32 s6, s48
	s_cbranch_scc1 .LBB140_110
; %bb.1:
	s_load_dword s2, s[4:5], 0x1b8
	s_load_dwordx2 s[0:1], s[4:5], 0x0
	s_add_u32 s22, s4, 0xe8
	s_addc_u32 s23, s5, 0
	s_mov_b32 s21, 0
	s_waitcnt lgkmcnt(0)
	s_cmp_lt_i32 s2, 2
	s_mov_b32 s20, s6
	s_cbranch_scc1 .LBB140_4
; %bb.2:
	s_add_i32 s20, s2, -1
	s_add_i32 s7, s2, 1
	s_lshl_b64 s[2:3], s[20:21], 2
	s_add_u32 s2, s2, s22
	s_addc_u32 s3, s3, s23
	s_add_u32 s2, s2, 8
	s_addc_u32 s3, s3, 0
	s_mov_b32 s20, s6
.LBB140_3:                              ; =>This Inner Loop Header: Depth=1
	s_load_dword s8, s[2:3], 0x0
	s_load_dword s10, s[2:3], 0x64
	s_mov_b32 s9, s20
	s_waitcnt lgkmcnt(0)
	v_cvt_f32_u32_e32 v1, s8
	s_sub_i32 s11, 0, s8
	v_rcp_iflag_f32_e32 v1, v1
	v_mul_f32_e32 v1, 0x4f7ffffe, v1
	v_cvt_u32_f32_e32 v1, v1
	v_readfirstlane_b32 s12, v1
	s_mul_i32 s11, s11, s12
	s_mul_hi_u32 s11, s12, s11
	s_add_i32 s12, s12, s11
	s_mul_hi_u32 s11, s20, s12
	s_mul_i32 s12, s11, s8
	s_sub_i32 s12, s20, s12
	s_add_i32 s13, s11, 1
	s_sub_i32 s14, s12, s8
	s_cmp_ge_u32 s12, s8
	s_cselect_b32 s11, s13, s11
	s_cselect_b32 s12, s14, s12
	s_add_i32 s13, s11, 1
	s_cmp_ge_u32 s12, s8
	s_cselect_b32 s20, s13, s11
	s_mul_i32 s8, s20, s8
	s_sub_i32 s8, s9, s8
	s_mul_i32 s8, s10, s8
	s_add_i32 s7, s7, -1
	s_add_i32 s21, s8, s21
	s_add_u32 s2, s2, -4
	s_addc_u32 s3, s3, -1
	s_cmp_gt_u32 s7, 2
	s_cbranch_scc1 .LBB140_3
.LBB140_4:
	s_load_dword s2, s[4:5], 0x6c
	s_load_dwordx2 s[52:53], s[4:5], 0x1c0
	s_mov_b32 s3, 0
	v_and_b32_e32 v70, 0x3ff, v0
	v_mul_lo_u32 v66, v70, s50
	s_waitcnt lgkmcnt(0)
	s_mul_i32 s2, s2, s6
	s_bitcmp1_b32 s53, 0
	s_cselect_b64 s[34:35], -1, 0
	s_brev_b32 s6, 1
	s_and_b64 s[4:5], s[34:35], exec
	s_cselect_b32 s4, 0, -1
	s_cselect_b32 s5, s6, 0x7fffffff
	s_lshl_b64 s[2:3], s[2:3], 3
	s_add_u32 s33, s0, s2
	s_mov_b32 s6, s4
	s_mov_b32 s7, s5
	;; [unrolled: 1-line block ×14, first 2 shown]
	v_pk_mov_b32 v[2:3], s[4:5], s[4:5] op_sel:[0,1]
	s_addc_u32 s51, s1, s3
	v_cmp_gt_u32_e64 s[0:1], s49, v70
	v_pk_mov_b32 v[4:5], s[6:7], s[6:7] op_sel:[0,1]
	v_pk_mov_b32 v[6:7], s[8:9], s[8:9] op_sel:[0,1]
	;; [unrolled: 1-line block ×8, first 2 shown]
	s_and_saveexec_b64 s[2:3], s[0:1]
	s_cbranch_execz .LBB140_6
; %bb.5:
	v_mov_b32_e32 v67, 0
	v_lshlrev_b64 v[2:3], 3, v[66:67]
	v_mov_b32_e32 v1, s51
	v_add_co_u32_e32 v2, vcc, s33, v2
	v_addc_co_u32_e32 v3, vcc, v1, v3, vcc
	global_load_dwordx2 v[18:19], v[2:3], off
	v_pk_mov_b32 v[2:3], s[4:5], s[4:5] op_sel:[0,1]
	v_pk_mov_b32 v[4:5], s[6:7], s[6:7] op_sel:[0,1]
	v_pk_mov_b32 v[6:7], s[8:9], s[8:9] op_sel:[0,1]
	v_pk_mov_b32 v[8:9], s[10:11], s[10:11] op_sel:[0,1]
	v_pk_mov_b32 v[10:11], s[12:13], s[12:13] op_sel:[0,1]
	v_pk_mov_b32 v[12:13], s[14:15], s[14:15] op_sel:[0,1]
	v_pk_mov_b32 v[14:15], s[16:17], s[16:17] op_sel:[0,1]
	v_pk_mov_b32 v[16:17], s[18:19], s[18:19] op_sel:[0,1]
.LBB140_6:
	s_or_b64 exec, exec, s[2:3]
	v_add_u32_e32 v1, 0x200, v70
	v_cmp_gt_u32_e64 s[2:3], s49, v1
	s_and_saveexec_b64 s[4:5], s[2:3]
	s_cbranch_execz .LBB140_8
; %bb.7:
	v_mul_lo_u32 v2, v1, s50
	v_mov_b32_e32 v3, 0
	v_lshlrev_b64 v[2:3], 3, v[2:3]
	v_mov_b32_e32 v4, s51
	v_add_co_u32_e32 v2, vcc, s33, v2
	v_addc_co_u32_e32 v3, vcc, v4, v3, vcc
	global_load_dwordx2 v[4:5], v[2:3], off
.LBB140_8:
	s_or_b64 exec, exec, s[4:5]
	v_or_b32_e32 v34, 0x400, v70
	v_cmp_gt_u32_e64 s[4:5], s49, v34
	s_and_saveexec_b64 s[6:7], s[4:5]
	s_cbranch_execz .LBB140_10
; %bb.9:
	v_mul_lo_u32 v2, v34, s50
	v_mov_b32_e32 v3, 0
	v_lshlrev_b64 v[2:3], 3, v[2:3]
	v_mov_b32_e32 v6, s51
	v_add_co_u32_e32 v2, vcc, s33, v2
	v_addc_co_u32_e32 v3, vcc, v6, v3, vcc
	global_load_dwordx2 v[6:7], v[2:3], off
.LBB140_10:
	s_or_b64 exec, exec, s[6:7]
	v_add_u32_e32 v35, 0x600, v70
	v_cmp_gt_u32_e64 s[6:7], s49, v35
	s_and_saveexec_b64 s[8:9], s[6:7]
	s_cbranch_execz .LBB140_12
; %bb.11:
	v_mul_lo_u32 v2, v35, s50
	v_mov_b32_e32 v3, 0
	v_lshlrev_b64 v[2:3], 3, v[2:3]
	v_mov_b32_e32 v8, s51
	v_add_co_u32_e32 v2, vcc, s33, v2
	v_addc_co_u32_e32 v3, vcc, v8, v3, vcc
	global_load_dwordx2 v[8:9], v[2:3], off
.LBB140_12:
	s_or_b64 exec, exec, s[8:9]
	v_or_b32_e32 v36, 0x800, v70
	v_cmp_gt_u32_e64 s[8:9], s49, v36
	s_and_saveexec_b64 s[10:11], s[8:9]
	s_cbranch_execz .LBB140_14
; %bb.13:
	v_mul_lo_u32 v2, v36, s50
	v_mov_b32_e32 v3, 0
	v_lshlrev_b64 v[2:3], 3, v[2:3]
	v_mov_b32_e32 v10, s51
	v_add_co_u32_e32 v2, vcc, s33, v2
	v_addc_co_u32_e32 v3, vcc, v10, v3, vcc
	global_load_dwordx2 v[10:11], v[2:3], off
.LBB140_14:
	s_or_b64 exec, exec, s[10:11]
	v_add_u32_e32 v37, 0xa00, v70
	v_cmp_gt_u32_e64 s[10:11], s49, v37
	s_and_saveexec_b64 s[12:13], s[10:11]
	s_cbranch_execz .LBB140_16
; %bb.15:
	v_mul_lo_u32 v2, v37, s50
	v_mov_b32_e32 v3, 0
	v_lshlrev_b64 v[2:3], 3, v[2:3]
	v_mov_b32_e32 v12, s51
	v_add_co_u32_e32 v2, vcc, s33, v2
	v_addc_co_u32_e32 v3, vcc, v12, v3, vcc
	global_load_dwordx2 v[12:13], v[2:3], off
.LBB140_16:
	s_or_b64 exec, exec, s[12:13]
	s_load_dwordx2 s[18:19], s[22:23], 0x0
	v_or_b32_e32 v38, 0xc00, v70
	v_cmp_gt_u32_e64 s[12:13], s49, v38
	s_and_saveexec_b64 s[14:15], s[12:13]
	s_cbranch_execz .LBB140_18
; %bb.17:
	v_mul_lo_u32 v2, v38, s50
	v_mov_b32_e32 v3, 0
	v_lshlrev_b64 v[2:3], 3, v[2:3]
	v_mov_b32_e32 v14, s51
	v_add_co_u32_e32 v2, vcc, s33, v2
	v_addc_co_u32_e32 v3, vcc, v14, v3, vcc
	global_load_dwordx2 v[14:15], v[2:3], off
.LBB140_18:
	s_or_b64 exec, exec, s[14:15]
	s_load_dword s22, s[22:23], 0x6c
	v_add_u32_e32 v39, 0xe00, v70
	v_cmp_gt_u32_e64 s[14:15], s49, v39
	s_and_saveexec_b64 s[16:17], s[14:15]
	s_cbranch_execz .LBB140_20
; %bb.19:
	v_mul_lo_u32 v2, v39, s50
	v_mov_b32_e32 v3, 0
	v_lshlrev_b64 v[2:3], 3, v[2:3]
	v_mov_b32_e32 v16, s51
	v_add_co_u32_e32 v2, vcc, s33, v2
	v_addc_co_u32_e32 v3, vcc, v16, v3, vcc
	global_load_dwordx2 v[16:17], v[2:3], off
.LBB140_20:
	s_or_b64 exec, exec, s[16:17]
	v_lshrrev_b32_e32 v2, 5, v70
	v_add_lshl_u32 v71, v2, v70, 3
	v_lshrrev_b32_e32 v2, 5, v1
	v_add_lshl_u32 v104, v2, v70, 3
	;; [unrolled: 2-line block ×8, first 2 shown]
	v_lshlrev_b32_e32 v67, 3, v70
	v_lshrrev_b32_e32 v2, 2, v70
	v_add_lshl_u32 v111, v2, v67, 3
	s_waitcnt vmcnt(0)
	ds_write_b64 v71, v[18:19]
	ds_write_b64 v104, v[4:5] offset:4096
	ds_write_b64 v105, v[6:7] offset:8192
	;; [unrolled: 1-line block ×7, first 2 shown]
	s_waitcnt lgkmcnt(0)
	s_barrier
	ds_read2_b64 v[30:33], v111 offset1:1
	ds_read2_b64 v[26:29], v111 offset0:2 offset1:3
	ds_read2_b64 v[22:25], v111 offset0:4 offset1:5
	;; [unrolled: 1-line block ×3, first 2 shown]
	s_mul_i32 s16, s22, s20
	s_add_i32 s16, s16, s21
	s_mov_b32 s17, 0
	s_lshl_b64 s[20:21], s[16:17], 3
	s_add_u32 s53, s18, s20
	s_mov_b32 s16, s17
	s_addc_u32 s56, s19, s21
	s_mov_b32 s18, s17
	s_mov_b32 s19, s17
	;; [unrolled: 1-line block ×14, first 2 shown]
	v_pk_mov_b32 v[2:3], s[16:17], s[16:17] op_sel:[0,1]
	v_pk_mov_b32 v[4:5], s[18:19], s[18:19] op_sel:[0,1]
	;; [unrolled: 1-line block ×8, first 2 shown]
	v_pk_mov_b32 v[2:3], 0, 0
	v_mul_lo_u32 v68, v70, s52
	s_waitcnt lgkmcnt(0)
	s_barrier
	s_and_saveexec_b64 s[16:17], s[0:1]
	s_cbranch_execnz .LBB140_57
; %bb.21:
	s_or_b64 exec, exec, s[16:17]
	s_and_saveexec_b64 s[16:17], s[2:3]
	s_cbranch_execnz .LBB140_58
.LBB140_22:
	s_or_b64 exec, exec, s[16:17]
	s_and_saveexec_b64 s[16:17], s[4:5]
	s_cbranch_execnz .LBB140_59
.LBB140_23:
	s_or_b64 exec, exec, s[16:17]
	s_and_saveexec_b64 s[16:17], s[6:7]
	s_cbranch_execnz .LBB140_60
.LBB140_24:
	s_or_b64 exec, exec, s[16:17]
	s_and_saveexec_b64 s[16:17], s[8:9]
	s_cbranch_execnz .LBB140_61
.LBB140_25:
	s_or_b64 exec, exec, s[16:17]
	s_and_saveexec_b64 s[16:17], s[10:11]
	s_cbranch_execnz .LBB140_62
.LBB140_26:
	s_or_b64 exec, exec, s[16:17]
	s_and_saveexec_b64 s[16:17], s[12:13]
	s_cbranch_execnz .LBB140_63
.LBB140_27:
	s_or_b64 exec, exec, s[16:17]
	s_xor_b64 s[16:17], s[34:35], -1
	s_and_saveexec_b64 s[18:19], s[14:15]
	s_cbranch_execz .LBB140_29
.LBB140_28:
	v_mul_lo_u32 v16, v39, s52
	v_mov_b32_e32 v17, 0
	v_lshlrev_b64 v[16:17], 3, v[16:17]
	v_mov_b32_e32 v1, s56
	v_add_co_u32_e32 v16, vcc, s53, v16
	v_addc_co_u32_e32 v17, vcc, v1, v17, vcc
	global_load_dwordx2 v[16:17], v[16:17], off
.LBB140_29:
	s_or_b64 exec, exec, s[18:19]
	s_waitcnt vmcnt(0)
	ds_write_b64 v71, v[2:3]
	ds_write_b64 v104, v[4:5] offset:4096
	ds_write_b64 v105, v[6:7] offset:8192
	;; [unrolled: 1-line block ×7, first 2 shown]
	s_waitcnt lgkmcnt(0)
	s_barrier
	ds_read2_b64 v[14:17], v111 offset1:1
	ds_read2_b64 v[10:13], v111 offset0:2 offset1:3
	ds_read2_b64 v[6:9], v111 offset0:4 offset1:5
	;; [unrolled: 1-line block ×3, first 2 shown]
	v_mbcnt_lo_u32_b32 v1, -1, 0
	v_mbcnt_hi_u32_b32 v113, -1, v1
	v_and_b32_e32 v1, 0x1e00, v67
	v_and_b32_e32 v114, 0x3c0, v70
	v_or_b32_e32 v34, v113, v1
	v_add_lshl_u32 v125, v113, v114, 6
	v_lshlrev_b32_e32 v124, 3, v34
	s_and_b64 vcc, exec, s[16:17]
	v_bfe_u32 v122, v0, 10, 10
	v_bfe_u32 v123, v0, 20, 10
	v_lshlrev_b32_e32 v69, 2, v70
	v_lshlrev_b32_e32 v112, 4, v70
	v_and_b32_e32 v120, 15, v113
	v_and_b32_e32 v121, 16, v113
	v_cmp_lt_u32_e64 s[16:17], 31, v113
	v_cmp_gt_u32_e64 s[18:19], 8, v70
	v_cmp_lt_u32_e64 s[20:21], 63, v70
	v_add_u32_e32 v117, -1, v113
	v_and_b32_e32 v119, 64, v113
	v_cmp_eq_u32_e64 s[22:23], 0, v113
	v_cmp_eq_u32_e64 s[24:25], 0, v70
	v_lshrrev_b32_e32 v118, 4, v70
	v_and_b32_e32 v116, 7, v113
	v_and_or_b32 v115, v113, 63, v1
	s_waitcnt lgkmcnt(0)
	s_barrier
	s_cbranch_vccz .LBB140_64
; %bb.30:
	v_xor_b32_e32 v1, 0x80000000, v31
	v_xor_b32_e32 v35, 0x80000000, v33
	;; [unrolled: 1-line block ×8, first 2 shown]
	v_mov_b32_e32 v0, v30
	v_mov_b32_e32 v34, v32
	;; [unrolled: 1-line block ×8, first 2 shown]
	ds_write2_b64 v125, v[0:1], v[34:35] offset1:1
	ds_write2_b64 v125, v[36:37], v[38:39] offset0:2 offset1:3
	ds_write2_b64 v125, v[40:41], v[42:43] offset0:4 offset1:5
	;; [unrolled: 1-line block ×3, first 2 shown]
	; wave barrier
	ds_read2st64_b64 v[34:37], v124 offset1:1
	ds_read2st64_b64 v[38:41], v124 offset0:2 offset1:3
	ds_read2st64_b64 v[42:45], v124 offset0:4 offset1:5
	ds_read2st64_b64 v[46:49], v124 offset0:6 offset1:7
	; wave barrier
	ds_write2_b64 v125, v[14:15], v[16:17] offset1:1
	ds_write2_b64 v125, v[10:11], v[12:13] offset0:2 offset1:3
	ds_write2_b64 v125, v[6:7], v[8:9] offset0:4 offset1:5
	;; [unrolled: 1-line block ×3, first 2 shown]
	; wave barrier
	ds_read2st64_b64 v[50:53], v124 offset1:1
	ds_read2st64_b64 v[54:57], v124 offset0:2 offset1:3
	ds_read2st64_b64 v[58:61], v124 offset0:4 offset1:5
	;; [unrolled: 1-line block ×3, first 2 shown]
	s_waitcnt lgkmcnt(0)
	s_barrier
	s_load_dword s28, s[54:55], 0xc
	s_getpc_b64 s[26:27]
	s_add_u32 s26, s26, _ZN7rocprim17ROCPRIM_400000_NS16block_radix_sortIlLj512ELj8ElLj1ELj1ELj0ELNS0_26block_radix_rank_algorithmE1ELNS0_18block_padding_hintE2ELNS0_4arch9wavefront6targetE1EE19radix_bits_per_passE@rel32@lo+4
	s_addc_u32 s27, s27, _ZN7rocprim17ROCPRIM_400000_NS16block_radix_sortIlLj512ELj8ElLj1ELj1ELj0ELNS0_26block_radix_rank_algorithmE1ELNS0_18block_padding_hintE2ELNS0_4arch9wavefront6targetE1EE19radix_bits_per_passE@rel32@hi+12
	s_load_dword s57, s[26:27], 0x0
	v_cmp_lt_i32_e32 vcc, v117, v119
	v_and_b32_e32 v129, 60, v118
	s_waitcnt lgkmcnt(0)
	s_lshr_b32 s26, s28, 16
	s_and_b32 s27, s28, 0xffff
	v_mad_u32_u24 v0, v123, s26, v122
	v_mad_u64_u32 v[0:1], s[26:27], v0, s27, v[70:71]
	v_lshrrev_b32_e32 v127, 6, v0
	v_min_u32_e32 v0, 0x1c0, v114
	v_or_b32_e32 v0, 63, v0
	v_cmp_eq_u32_e64 s[38:39], v0, v70
	v_cndmask_b32_e32 v0, v117, v113, vcc
	v_add_u32_e32 v126, 32, v112
	v_cmp_eq_u32_e64 s[26:27], 0, v120
	v_cmp_lt_u32_e64 s[28:29], 1, v120
	v_cmp_lt_u32_e64 s[30:31], 3, v120
	;; [unrolled: 1-line block ×3, first 2 shown]
	v_cmp_eq_u32_e64 s[36:37], 0, v121
	s_mov_b32 s58, 64
	v_lshlrev_b32_e32 v128, 2, v0
	v_cmp_eq_u32_e64 s[40:41], 0, v116
	v_cmp_lt_u32_e64 s[42:43], 1, v116
	v_cmp_lt_u32_e64 s[44:45], 3, v116
	v_add_u32_e32 v130, -4, v129
	v_lshlrev_b32_e32 v131, 3, v115
	s_mov_b64 s[48:49], 0
	v_mov_b32_e32 v86, 0
	s_branch .LBB140_32
.LBB140_31:                             ;   in Loop: Header=BB140_32 Depth=1
	v_lshlrev_b32_e32 v50, 3, v138
	v_lshlrev_b32_e32 v51, 3, v137
	;; [unrolled: 1-line block ×8, first 2 shown]
	s_barrier
	ds_write_b64 v50, v[102:103]
	ds_write_b64 v51, v[100:101]
	;; [unrolled: 1-line block ×8, first 2 shown]
	s_waitcnt lgkmcnt(0)
	s_barrier
	ds_read2st64_b64 v[34:37], v131 offset1:1
	ds_read2st64_b64 v[38:41], v131 offset0:2 offset1:3
	ds_read2st64_b64 v[42:45], v131 offset0:4 offset1:5
	;; [unrolled: 1-line block ×3, first 2 shown]
	s_waitcnt lgkmcnt(0)
	s_barrier
	ds_write_b64 v50, v[84:85]
	ds_write_b64 v51, v[82:83]
	ds_write_b64 v52, v[80:81]
	ds_write_b64 v53, v[78:79]
	ds_write_b64 v54, v[76:77]
	ds_write_b64 v55, v[74:75]
	ds_write_b64 v56, v[72:73]
	ds_write_b64 v57, v[0:1]
	s_waitcnt lgkmcnt(0)
	s_barrier
	ds_read2st64_b64 v[50:53], v131 offset1:1
	ds_read2st64_b64 v[54:57], v131 offset0:2 offset1:3
	ds_read2st64_b64 v[58:61], v131 offset0:4 offset1:5
	;; [unrolled: 1-line block ×3, first 2 shown]
	s_add_u32 s48, s48, 8
	s_addc_u32 s49, s49, 0
	s_add_i32 s58, s58, -8
	s_waitcnt lgkmcnt(0)
	s_barrier
	s_cbranch_execz .LBB140_56
.LBB140_32:                             ; =>This Inner Loop Header: Depth=1
	s_min_u32 s46, s57, s58
	v_pk_mov_b32 v[102:103], v[34:35], v[34:35] op_sel:[0,1]
	s_lshl_b32 s46, -1, s46
	s_not_b32 s59, s46
	v_lshrrev_b64 v[34:35], s48, v[102:103]
	v_and_b32_e32 v34, s59, v34
	v_lshl_add_u32 v35, v34, 3, v127
	v_pk_mov_b32 v[98:99], v[38:39], v[38:39] op_sel:[0,1]
	v_lshl_add_u32 v38, v35, 2, 32
	v_and_b32_e32 v35, 1, v34
	v_pk_mov_b32 v[100:101], v[36:37], v[36:37] op_sel:[0,1]
	v_add_co_u32_e32 v36, vcc, -1, v35
	v_addc_co_u32_e64 v37, s[46:47], 0, -1, vcc
	v_cmp_ne_u32_e32 vcc, 0, v35
	v_lshlrev_b32_e32 v87, 30, v34
	v_xor_b32_e32 v35, vcc_hi, v37
	v_not_b32_e32 v37, v87
	v_xor_b32_e32 v36, vcc_lo, v36
	v_cmp_gt_i64_e32 vcc, 0, v[86:87]
	v_ashrrev_i32_e32 v37, 31, v37
	v_and_b32_e32 v36, exec_lo, v36
	v_xor_b32_e32 v39, vcc_hi, v37
	v_xor_b32_e32 v37, vcc_lo, v37
	v_lshlrev_b32_e32 v87, 29, v34
	v_and_b32_e32 v36, v36, v37
	v_not_b32_e32 v37, v87
	v_and_b32_e32 v35, exec_hi, v35
	v_cmp_gt_i64_e32 vcc, 0, v[86:87]
	v_ashrrev_i32_e32 v37, 31, v37
	v_and_b32_e32 v35, v35, v39
	v_xor_b32_e32 v39, vcc_hi, v37
	v_xor_b32_e32 v37, vcc_lo, v37
	v_lshlrev_b32_e32 v87, 28, v34
	v_and_b32_e32 v36, v36, v37
	v_not_b32_e32 v37, v87
	v_cmp_gt_i64_e32 vcc, 0, v[86:87]
	v_ashrrev_i32_e32 v37, 31, v37
	v_and_b32_e32 v35, v35, v39
	v_xor_b32_e32 v39, vcc_hi, v37
	v_xor_b32_e32 v37, vcc_lo, v37
	v_lshlrev_b32_e32 v87, 27, v34
	v_and_b32_e32 v36, v36, v37
	v_not_b32_e32 v37, v87
	;; [unrolled: 8-line block ×3, first 2 shown]
	v_cmp_gt_i64_e32 vcc, 0, v[86:87]
	v_ashrrev_i32_e32 v37, 31, v37
	v_and_b32_e32 v35, v35, v39
	v_xor_b32_e32 v39, vcc_hi, v37
	v_xor_b32_e32 v37, vcc_lo, v37
	v_lshlrev_b32_e32 v87, 25, v34
	v_and_b32_e32 v36, v36, v37
	v_cmp_gt_i64_e32 vcc, 0, v[86:87]
	v_not_b32_e32 v37, v87
	v_lshlrev_b32_e32 v87, 24, v34
	v_ashrrev_i32_e32 v37, 31, v37
	v_not_b32_e32 v34, v87
	v_and_b32_e32 v35, v35, v39
	v_xor_b32_e32 v39, vcc_hi, v37
	v_xor_b32_e32 v37, vcc_lo, v37
	v_cmp_gt_i64_e32 vcc, 0, v[86:87]
	v_ashrrev_i32_e32 v34, 31, v34
	v_and_b32_e32 v36, v36, v37
	v_xor_b32_e32 v37, vcc_hi, v34
	v_xor_b32_e32 v34, vcc_lo, v34
	v_and_b32_e32 v35, v35, v39
	v_and_b32_e32 v34, v36, v34
	;; [unrolled: 1-line block ×3, first 2 shown]
	v_mbcnt_lo_u32_b32 v36, v34, 0
	v_mbcnt_hi_u32_b32 v39, v35, v36
	v_cmp_eq_u32_e32 vcc, 0, v39
	v_cmp_ne_u64_e64 s[46:47], 0, v[34:35]
	v_pk_mov_b32 v[88:89], v[48:49], v[48:49] op_sel:[0,1]
	v_pk_mov_b32 v[90:91], v[46:47], v[46:47] op_sel:[0,1]
	;; [unrolled: 1-line block ×13, first 2 shown]
	s_and_b64 s[60:61], s[46:47], vcc
	ds_write2_b32 v112, v86, v86 offset0:8 offset1:9
	ds_write2_b32 v126, v86, v86 offset0:2 offset1:3
	s_waitcnt lgkmcnt(0)
	s_barrier
	s_waitcnt lgkmcnt(0)
	; wave barrier
	s_and_saveexec_b64 s[46:47], s[60:61]
	s_cbranch_execz .LBB140_34
; %bb.33:                               ;   in Loop: Header=BB140_32 Depth=1
	v_bcnt_u32_b32 v34, v34, 0
	v_bcnt_u32_b32 v34, v35, v34
	ds_write_b32 v38, v34
.LBB140_34:                             ;   in Loop: Header=BB140_32 Depth=1
	s_or_b64 exec, exec, s[46:47]
	v_lshrrev_b64 v[34:35], s48, v[100:101]
	v_and_b32_e32 v34, s59, v34
	v_lshlrev_b32_e32 v35, 3, v34
	v_add_lshl_u32 v35, v35, v127, 2
	; wave barrier
	v_add_u32_e32 v41, 32, v35
	ds_read_b32 v40, v35 offset:32
	v_and_b32_e32 v35, 1, v34
	v_add_co_u32_e32 v36, vcc, -1, v35
	v_addc_co_u32_e64 v37, s[46:47], 0, -1, vcc
	v_cmp_ne_u32_e32 vcc, 0, v35
	v_lshlrev_b32_e32 v87, 30, v34
	v_xor_b32_e32 v35, vcc_hi, v37
	v_not_b32_e32 v37, v87
	v_xor_b32_e32 v36, vcc_lo, v36
	v_cmp_gt_i64_e32 vcc, 0, v[86:87]
	v_ashrrev_i32_e32 v37, 31, v37
	v_and_b32_e32 v36, exec_lo, v36
	v_xor_b32_e32 v42, vcc_hi, v37
	v_xor_b32_e32 v37, vcc_lo, v37
	v_lshlrev_b32_e32 v87, 29, v34
	v_and_b32_e32 v36, v36, v37
	v_not_b32_e32 v37, v87
	v_and_b32_e32 v35, exec_hi, v35
	v_cmp_gt_i64_e32 vcc, 0, v[86:87]
	v_ashrrev_i32_e32 v37, 31, v37
	v_and_b32_e32 v35, v35, v42
	v_xor_b32_e32 v42, vcc_hi, v37
	v_xor_b32_e32 v37, vcc_lo, v37
	v_lshlrev_b32_e32 v87, 28, v34
	v_and_b32_e32 v36, v36, v37
	v_not_b32_e32 v37, v87
	v_cmp_gt_i64_e32 vcc, 0, v[86:87]
	v_ashrrev_i32_e32 v37, 31, v37
	v_and_b32_e32 v35, v35, v42
	v_xor_b32_e32 v42, vcc_hi, v37
	v_xor_b32_e32 v37, vcc_lo, v37
	v_lshlrev_b32_e32 v87, 27, v34
	v_and_b32_e32 v36, v36, v37
	v_not_b32_e32 v37, v87
	;; [unrolled: 8-line block ×3, first 2 shown]
	v_cmp_gt_i64_e32 vcc, 0, v[86:87]
	v_ashrrev_i32_e32 v37, 31, v37
	v_and_b32_e32 v35, v35, v42
	v_xor_b32_e32 v42, vcc_hi, v37
	v_xor_b32_e32 v37, vcc_lo, v37
	v_lshlrev_b32_e32 v87, 25, v34
	v_and_b32_e32 v36, v36, v37
	v_cmp_gt_i64_e32 vcc, 0, v[86:87]
	v_not_b32_e32 v37, v87
	v_lshlrev_b32_e32 v87, 24, v34
	v_ashrrev_i32_e32 v37, 31, v37
	v_not_b32_e32 v34, v87
	v_and_b32_e32 v35, v35, v42
	v_xor_b32_e32 v42, vcc_hi, v37
	v_xor_b32_e32 v37, vcc_lo, v37
	v_cmp_gt_i64_e32 vcc, 0, v[86:87]
	v_ashrrev_i32_e32 v34, 31, v34
	v_and_b32_e32 v36, v36, v37
	v_xor_b32_e32 v37, vcc_hi, v34
	v_xor_b32_e32 v34, vcc_lo, v34
	v_and_b32_e32 v35, v35, v42
	v_and_b32_e32 v34, v36, v34
	;; [unrolled: 1-line block ×3, first 2 shown]
	v_mbcnt_lo_u32_b32 v36, v34, 0
	v_mbcnt_hi_u32_b32 v42, v35, v36
	v_cmp_eq_u32_e32 vcc, 0, v42
	v_cmp_ne_u64_e64 s[46:47], 0, v[34:35]
	s_and_b64 s[60:61], s[46:47], vcc
	; wave barrier
	s_and_saveexec_b64 s[46:47], s[60:61]
	s_cbranch_execz .LBB140_36
; %bb.35:                               ;   in Loop: Header=BB140_32 Depth=1
	v_bcnt_u32_b32 v34, v34, 0
	v_bcnt_u32_b32 v34, v35, v34
	s_waitcnt lgkmcnt(0)
	v_add_u32_e32 v34, v40, v34
	ds_write_b32 v41, v34
.LBB140_36:                             ;   in Loop: Header=BB140_32 Depth=1
	s_or_b64 exec, exec, s[46:47]
	v_lshrrev_b64 v[34:35], s48, v[98:99]
	v_and_b32_e32 v34, s59, v34
	v_lshlrev_b32_e32 v35, 3, v34
	v_add_lshl_u32 v35, v35, v127, 2
	; wave barrier
	v_add_u32_e32 v44, 32, v35
	ds_read_b32 v43, v35 offset:32
	v_and_b32_e32 v35, 1, v34
	v_add_co_u32_e32 v36, vcc, -1, v35
	v_addc_co_u32_e64 v37, s[46:47], 0, -1, vcc
	v_cmp_ne_u32_e32 vcc, 0, v35
	v_lshlrev_b32_e32 v87, 30, v34
	v_xor_b32_e32 v35, vcc_hi, v37
	v_not_b32_e32 v37, v87
	v_xor_b32_e32 v36, vcc_lo, v36
	v_cmp_gt_i64_e32 vcc, 0, v[86:87]
	v_ashrrev_i32_e32 v37, 31, v37
	v_and_b32_e32 v36, exec_lo, v36
	v_xor_b32_e32 v45, vcc_hi, v37
	v_xor_b32_e32 v37, vcc_lo, v37
	v_lshlrev_b32_e32 v87, 29, v34
	v_and_b32_e32 v36, v36, v37
	v_not_b32_e32 v37, v87
	v_and_b32_e32 v35, exec_hi, v35
	v_cmp_gt_i64_e32 vcc, 0, v[86:87]
	v_ashrrev_i32_e32 v37, 31, v37
	v_and_b32_e32 v35, v35, v45
	v_xor_b32_e32 v45, vcc_hi, v37
	v_xor_b32_e32 v37, vcc_lo, v37
	v_lshlrev_b32_e32 v87, 28, v34
	v_and_b32_e32 v36, v36, v37
	v_not_b32_e32 v37, v87
	v_cmp_gt_i64_e32 vcc, 0, v[86:87]
	v_ashrrev_i32_e32 v37, 31, v37
	v_and_b32_e32 v35, v35, v45
	v_xor_b32_e32 v45, vcc_hi, v37
	v_xor_b32_e32 v37, vcc_lo, v37
	v_lshlrev_b32_e32 v87, 27, v34
	v_and_b32_e32 v36, v36, v37
	v_not_b32_e32 v37, v87
	;; [unrolled: 8-line block ×3, first 2 shown]
	v_cmp_gt_i64_e32 vcc, 0, v[86:87]
	v_ashrrev_i32_e32 v37, 31, v37
	v_and_b32_e32 v35, v35, v45
	v_xor_b32_e32 v45, vcc_hi, v37
	v_xor_b32_e32 v37, vcc_lo, v37
	v_lshlrev_b32_e32 v87, 25, v34
	v_and_b32_e32 v36, v36, v37
	v_cmp_gt_i64_e32 vcc, 0, v[86:87]
	v_not_b32_e32 v37, v87
	v_lshlrev_b32_e32 v87, 24, v34
	v_ashrrev_i32_e32 v37, 31, v37
	v_not_b32_e32 v34, v87
	v_and_b32_e32 v35, v35, v45
	v_xor_b32_e32 v45, vcc_hi, v37
	v_xor_b32_e32 v37, vcc_lo, v37
	v_cmp_gt_i64_e32 vcc, 0, v[86:87]
	v_ashrrev_i32_e32 v34, 31, v34
	v_and_b32_e32 v36, v36, v37
	v_xor_b32_e32 v37, vcc_hi, v34
	v_xor_b32_e32 v34, vcc_lo, v34
	v_and_b32_e32 v35, v35, v45
	v_and_b32_e32 v34, v36, v34
	;; [unrolled: 1-line block ×3, first 2 shown]
	v_mbcnt_lo_u32_b32 v36, v34, 0
	v_mbcnt_hi_u32_b32 v45, v35, v36
	v_cmp_eq_u32_e32 vcc, 0, v45
	v_cmp_ne_u64_e64 s[46:47], 0, v[34:35]
	s_and_b64 s[60:61], s[46:47], vcc
	; wave barrier
	s_and_saveexec_b64 s[46:47], s[60:61]
	s_cbranch_execz .LBB140_38
; %bb.37:                               ;   in Loop: Header=BB140_32 Depth=1
	v_bcnt_u32_b32 v34, v34, 0
	v_bcnt_u32_b32 v34, v35, v34
	s_waitcnt lgkmcnt(0)
	v_add_u32_e32 v34, v43, v34
	ds_write_b32 v44, v34
.LBB140_38:                             ;   in Loop: Header=BB140_32 Depth=1
	s_or_b64 exec, exec, s[46:47]
	v_lshrrev_b64 v[34:35], s48, v[96:97]
	v_and_b32_e32 v34, s59, v34
	v_lshlrev_b32_e32 v35, 3, v34
	v_add_lshl_u32 v35, v35, v127, 2
	; wave barrier
	v_add_u32_e32 v47, 32, v35
	ds_read_b32 v46, v35 offset:32
	v_and_b32_e32 v35, 1, v34
	v_add_co_u32_e32 v36, vcc, -1, v35
	v_addc_co_u32_e64 v37, s[46:47], 0, -1, vcc
	v_cmp_ne_u32_e32 vcc, 0, v35
	v_lshlrev_b32_e32 v87, 30, v34
	v_xor_b32_e32 v35, vcc_hi, v37
	v_not_b32_e32 v37, v87
	v_xor_b32_e32 v36, vcc_lo, v36
	v_cmp_gt_i64_e32 vcc, 0, v[86:87]
	v_ashrrev_i32_e32 v37, 31, v37
	v_and_b32_e32 v36, exec_lo, v36
	v_xor_b32_e32 v48, vcc_hi, v37
	v_xor_b32_e32 v37, vcc_lo, v37
	v_lshlrev_b32_e32 v87, 29, v34
	v_and_b32_e32 v36, v36, v37
	v_not_b32_e32 v37, v87
	v_and_b32_e32 v35, exec_hi, v35
	v_cmp_gt_i64_e32 vcc, 0, v[86:87]
	v_ashrrev_i32_e32 v37, 31, v37
	v_and_b32_e32 v35, v35, v48
	v_xor_b32_e32 v48, vcc_hi, v37
	v_xor_b32_e32 v37, vcc_lo, v37
	v_lshlrev_b32_e32 v87, 28, v34
	v_and_b32_e32 v36, v36, v37
	v_not_b32_e32 v37, v87
	v_cmp_gt_i64_e32 vcc, 0, v[86:87]
	v_ashrrev_i32_e32 v37, 31, v37
	v_and_b32_e32 v35, v35, v48
	v_xor_b32_e32 v48, vcc_hi, v37
	v_xor_b32_e32 v37, vcc_lo, v37
	v_lshlrev_b32_e32 v87, 27, v34
	v_and_b32_e32 v36, v36, v37
	v_not_b32_e32 v37, v87
	v_cmp_gt_i64_e32 vcc, 0, v[86:87]
	v_ashrrev_i32_e32 v37, 31, v37
	v_and_b32_e32 v35, v35, v48
	v_xor_b32_e32 v48, vcc_hi, v37
	v_xor_b32_e32 v37, vcc_lo, v37
	v_lshlrev_b32_e32 v87, 26, v34
	v_and_b32_e32 v36, v36, v37
	v_not_b32_e32 v37, v87
	v_cmp_gt_i64_e32 vcc, 0, v[86:87]
	v_ashrrev_i32_e32 v37, 31, v37
	v_and_b32_e32 v35, v35, v48
	v_xor_b32_e32 v48, vcc_hi, v37
	v_xor_b32_e32 v37, vcc_lo, v37
	v_lshlrev_b32_e32 v87, 25, v34
	v_and_b32_e32 v36, v36, v37
	v_cmp_gt_i64_e32 vcc, 0, v[86:87]
	v_not_b32_e32 v37, v87
	v_lshlrev_b32_e32 v87, 24, v34
	v_ashrrev_i32_e32 v37, 31, v37
	v_not_b32_e32 v34, v87
	v_and_b32_e32 v35, v35, v48
	v_xor_b32_e32 v48, vcc_hi, v37
	v_xor_b32_e32 v37, vcc_lo, v37
	v_cmp_gt_i64_e32 vcc, 0, v[86:87]
	v_ashrrev_i32_e32 v34, 31, v34
	v_and_b32_e32 v36, v36, v37
	v_xor_b32_e32 v37, vcc_hi, v34
	v_xor_b32_e32 v34, vcc_lo, v34
	v_and_b32_e32 v35, v35, v48
	v_and_b32_e32 v34, v36, v34
	;; [unrolled: 1-line block ×3, first 2 shown]
	v_mbcnt_lo_u32_b32 v36, v34, 0
	v_mbcnt_hi_u32_b32 v48, v35, v36
	v_cmp_eq_u32_e32 vcc, 0, v48
	v_cmp_ne_u64_e64 s[46:47], 0, v[34:35]
	s_and_b64 s[60:61], s[46:47], vcc
	; wave barrier
	s_and_saveexec_b64 s[46:47], s[60:61]
	s_cbranch_execz .LBB140_40
; %bb.39:                               ;   in Loop: Header=BB140_32 Depth=1
	v_bcnt_u32_b32 v34, v34, 0
	v_bcnt_u32_b32 v34, v35, v34
	s_waitcnt lgkmcnt(0)
	v_add_u32_e32 v34, v46, v34
	ds_write_b32 v47, v34
.LBB140_40:                             ;   in Loop: Header=BB140_32 Depth=1
	s_or_b64 exec, exec, s[46:47]
	v_lshrrev_b64 v[34:35], s48, v[94:95]
	v_and_b32_e32 v34, s59, v34
	v_lshlrev_b32_e32 v35, 3, v34
	v_add_lshl_u32 v35, v35, v127, 2
	; wave barrier
	v_add_u32_e32 v50, 32, v35
	ds_read_b32 v49, v35 offset:32
	v_and_b32_e32 v35, 1, v34
	v_add_co_u32_e32 v36, vcc, -1, v35
	v_addc_co_u32_e64 v37, s[46:47], 0, -1, vcc
	v_cmp_ne_u32_e32 vcc, 0, v35
	v_lshlrev_b32_e32 v87, 30, v34
	v_xor_b32_e32 v35, vcc_hi, v37
	v_not_b32_e32 v37, v87
	v_xor_b32_e32 v36, vcc_lo, v36
	v_cmp_gt_i64_e32 vcc, 0, v[86:87]
	v_ashrrev_i32_e32 v37, 31, v37
	v_and_b32_e32 v36, exec_lo, v36
	v_xor_b32_e32 v51, vcc_hi, v37
	v_xor_b32_e32 v37, vcc_lo, v37
	v_lshlrev_b32_e32 v87, 29, v34
	v_and_b32_e32 v36, v36, v37
	v_not_b32_e32 v37, v87
	v_and_b32_e32 v35, exec_hi, v35
	v_cmp_gt_i64_e32 vcc, 0, v[86:87]
	v_ashrrev_i32_e32 v37, 31, v37
	v_and_b32_e32 v35, v35, v51
	v_xor_b32_e32 v51, vcc_hi, v37
	v_xor_b32_e32 v37, vcc_lo, v37
	v_lshlrev_b32_e32 v87, 28, v34
	v_and_b32_e32 v36, v36, v37
	v_not_b32_e32 v37, v87
	v_cmp_gt_i64_e32 vcc, 0, v[86:87]
	v_ashrrev_i32_e32 v37, 31, v37
	v_and_b32_e32 v35, v35, v51
	v_xor_b32_e32 v51, vcc_hi, v37
	v_xor_b32_e32 v37, vcc_lo, v37
	v_lshlrev_b32_e32 v87, 27, v34
	v_and_b32_e32 v36, v36, v37
	v_not_b32_e32 v37, v87
	;; [unrolled: 8-line block ×3, first 2 shown]
	v_cmp_gt_i64_e32 vcc, 0, v[86:87]
	v_ashrrev_i32_e32 v37, 31, v37
	v_and_b32_e32 v35, v35, v51
	v_xor_b32_e32 v51, vcc_hi, v37
	v_xor_b32_e32 v37, vcc_lo, v37
	v_lshlrev_b32_e32 v87, 25, v34
	v_and_b32_e32 v36, v36, v37
	v_cmp_gt_i64_e32 vcc, 0, v[86:87]
	v_not_b32_e32 v37, v87
	v_lshlrev_b32_e32 v87, 24, v34
	v_ashrrev_i32_e32 v37, 31, v37
	v_not_b32_e32 v34, v87
	v_and_b32_e32 v35, v35, v51
	v_xor_b32_e32 v51, vcc_hi, v37
	v_xor_b32_e32 v37, vcc_lo, v37
	v_cmp_gt_i64_e32 vcc, 0, v[86:87]
	v_ashrrev_i32_e32 v34, 31, v34
	v_and_b32_e32 v36, v36, v37
	v_xor_b32_e32 v37, vcc_hi, v34
	v_xor_b32_e32 v34, vcc_lo, v34
	v_and_b32_e32 v35, v35, v51
	v_and_b32_e32 v34, v36, v34
	v_and_b32_e32 v35, v35, v37
	v_mbcnt_lo_u32_b32 v36, v34, 0
	v_mbcnt_hi_u32_b32 v51, v35, v36
	v_cmp_eq_u32_e32 vcc, 0, v51
	v_cmp_ne_u64_e64 s[46:47], 0, v[34:35]
	s_and_b64 s[60:61], s[46:47], vcc
	; wave barrier
	s_and_saveexec_b64 s[46:47], s[60:61]
	s_cbranch_execz .LBB140_42
; %bb.41:                               ;   in Loop: Header=BB140_32 Depth=1
	v_bcnt_u32_b32 v34, v34, 0
	v_bcnt_u32_b32 v34, v35, v34
	s_waitcnt lgkmcnt(0)
	v_add_u32_e32 v34, v49, v34
	ds_write_b32 v50, v34
.LBB140_42:                             ;   in Loop: Header=BB140_32 Depth=1
	s_or_b64 exec, exec, s[46:47]
	v_lshrrev_b64 v[34:35], s48, v[92:93]
	v_and_b32_e32 v34, s59, v34
	v_lshlrev_b32_e32 v35, 3, v34
	v_add_lshl_u32 v35, v35, v127, 2
	; wave barrier
	v_add_u32_e32 v53, 32, v35
	ds_read_b32 v52, v35 offset:32
	v_and_b32_e32 v35, 1, v34
	v_add_co_u32_e32 v36, vcc, -1, v35
	v_addc_co_u32_e64 v37, s[46:47], 0, -1, vcc
	v_cmp_ne_u32_e32 vcc, 0, v35
	v_lshlrev_b32_e32 v87, 30, v34
	v_xor_b32_e32 v35, vcc_hi, v37
	v_not_b32_e32 v37, v87
	v_xor_b32_e32 v36, vcc_lo, v36
	v_cmp_gt_i64_e32 vcc, 0, v[86:87]
	v_ashrrev_i32_e32 v37, 31, v37
	v_and_b32_e32 v36, exec_lo, v36
	v_xor_b32_e32 v54, vcc_hi, v37
	v_xor_b32_e32 v37, vcc_lo, v37
	v_lshlrev_b32_e32 v87, 29, v34
	v_and_b32_e32 v36, v36, v37
	v_not_b32_e32 v37, v87
	v_and_b32_e32 v35, exec_hi, v35
	v_cmp_gt_i64_e32 vcc, 0, v[86:87]
	v_ashrrev_i32_e32 v37, 31, v37
	v_and_b32_e32 v35, v35, v54
	v_xor_b32_e32 v54, vcc_hi, v37
	v_xor_b32_e32 v37, vcc_lo, v37
	v_lshlrev_b32_e32 v87, 28, v34
	v_and_b32_e32 v36, v36, v37
	v_not_b32_e32 v37, v87
	v_cmp_gt_i64_e32 vcc, 0, v[86:87]
	v_ashrrev_i32_e32 v37, 31, v37
	v_and_b32_e32 v35, v35, v54
	v_xor_b32_e32 v54, vcc_hi, v37
	v_xor_b32_e32 v37, vcc_lo, v37
	v_lshlrev_b32_e32 v87, 27, v34
	v_and_b32_e32 v36, v36, v37
	v_not_b32_e32 v37, v87
	;; [unrolled: 8-line block ×3, first 2 shown]
	v_cmp_gt_i64_e32 vcc, 0, v[86:87]
	v_ashrrev_i32_e32 v37, 31, v37
	v_and_b32_e32 v35, v35, v54
	v_xor_b32_e32 v54, vcc_hi, v37
	v_xor_b32_e32 v37, vcc_lo, v37
	v_lshlrev_b32_e32 v87, 25, v34
	v_and_b32_e32 v36, v36, v37
	v_cmp_gt_i64_e32 vcc, 0, v[86:87]
	v_not_b32_e32 v37, v87
	v_lshlrev_b32_e32 v87, 24, v34
	v_ashrrev_i32_e32 v37, 31, v37
	v_not_b32_e32 v34, v87
	v_and_b32_e32 v35, v35, v54
	v_xor_b32_e32 v54, vcc_hi, v37
	v_xor_b32_e32 v37, vcc_lo, v37
	v_cmp_gt_i64_e32 vcc, 0, v[86:87]
	v_ashrrev_i32_e32 v34, 31, v34
	v_and_b32_e32 v36, v36, v37
	v_xor_b32_e32 v37, vcc_hi, v34
	v_xor_b32_e32 v34, vcc_lo, v34
	v_and_b32_e32 v35, v35, v54
	v_and_b32_e32 v34, v36, v34
	;; [unrolled: 1-line block ×3, first 2 shown]
	v_mbcnt_lo_u32_b32 v36, v34, 0
	v_mbcnt_hi_u32_b32 v54, v35, v36
	v_cmp_eq_u32_e32 vcc, 0, v54
	v_cmp_ne_u64_e64 s[46:47], 0, v[34:35]
	s_and_b64 s[60:61], s[46:47], vcc
	; wave barrier
	s_and_saveexec_b64 s[46:47], s[60:61]
	s_cbranch_execz .LBB140_44
; %bb.43:                               ;   in Loop: Header=BB140_32 Depth=1
	v_bcnt_u32_b32 v34, v34, 0
	v_bcnt_u32_b32 v34, v35, v34
	s_waitcnt lgkmcnt(0)
	v_add_u32_e32 v34, v52, v34
	ds_write_b32 v53, v34
.LBB140_44:                             ;   in Loop: Header=BB140_32 Depth=1
	s_or_b64 exec, exec, s[46:47]
	v_lshrrev_b64 v[34:35], s48, v[90:91]
	v_and_b32_e32 v34, s59, v34
	v_lshlrev_b32_e32 v35, 3, v34
	v_add_lshl_u32 v35, v35, v127, 2
	; wave barrier
	v_add_u32_e32 v56, 32, v35
	ds_read_b32 v55, v35 offset:32
	v_and_b32_e32 v35, 1, v34
	v_add_co_u32_e32 v36, vcc, -1, v35
	v_addc_co_u32_e64 v37, s[46:47], 0, -1, vcc
	v_cmp_ne_u32_e32 vcc, 0, v35
	v_lshlrev_b32_e32 v87, 30, v34
	v_xor_b32_e32 v35, vcc_hi, v37
	v_not_b32_e32 v37, v87
	v_xor_b32_e32 v36, vcc_lo, v36
	v_cmp_gt_i64_e32 vcc, 0, v[86:87]
	v_ashrrev_i32_e32 v37, 31, v37
	v_and_b32_e32 v36, exec_lo, v36
	v_xor_b32_e32 v57, vcc_hi, v37
	v_xor_b32_e32 v37, vcc_lo, v37
	v_lshlrev_b32_e32 v87, 29, v34
	v_and_b32_e32 v36, v36, v37
	v_not_b32_e32 v37, v87
	v_and_b32_e32 v35, exec_hi, v35
	v_cmp_gt_i64_e32 vcc, 0, v[86:87]
	v_ashrrev_i32_e32 v37, 31, v37
	v_and_b32_e32 v35, v35, v57
	v_xor_b32_e32 v57, vcc_hi, v37
	v_xor_b32_e32 v37, vcc_lo, v37
	v_lshlrev_b32_e32 v87, 28, v34
	v_and_b32_e32 v36, v36, v37
	v_not_b32_e32 v37, v87
	v_cmp_gt_i64_e32 vcc, 0, v[86:87]
	v_ashrrev_i32_e32 v37, 31, v37
	v_and_b32_e32 v35, v35, v57
	v_xor_b32_e32 v57, vcc_hi, v37
	v_xor_b32_e32 v37, vcc_lo, v37
	v_lshlrev_b32_e32 v87, 27, v34
	v_and_b32_e32 v36, v36, v37
	v_not_b32_e32 v37, v87
	;; [unrolled: 8-line block ×3, first 2 shown]
	v_cmp_gt_i64_e32 vcc, 0, v[86:87]
	v_ashrrev_i32_e32 v37, 31, v37
	v_and_b32_e32 v35, v35, v57
	v_xor_b32_e32 v57, vcc_hi, v37
	v_xor_b32_e32 v37, vcc_lo, v37
	v_lshlrev_b32_e32 v87, 25, v34
	v_and_b32_e32 v36, v36, v37
	v_cmp_gt_i64_e32 vcc, 0, v[86:87]
	v_not_b32_e32 v37, v87
	v_lshlrev_b32_e32 v87, 24, v34
	v_ashrrev_i32_e32 v37, 31, v37
	v_not_b32_e32 v34, v87
	v_and_b32_e32 v35, v35, v57
	v_xor_b32_e32 v57, vcc_hi, v37
	v_xor_b32_e32 v37, vcc_lo, v37
	v_cmp_gt_i64_e32 vcc, 0, v[86:87]
	v_ashrrev_i32_e32 v34, 31, v34
	v_and_b32_e32 v36, v36, v37
	v_xor_b32_e32 v37, vcc_hi, v34
	v_xor_b32_e32 v34, vcc_lo, v34
	v_and_b32_e32 v35, v35, v57
	v_and_b32_e32 v34, v36, v34
	;; [unrolled: 1-line block ×3, first 2 shown]
	v_mbcnt_lo_u32_b32 v36, v34, 0
	v_mbcnt_hi_u32_b32 v57, v35, v36
	v_cmp_eq_u32_e32 vcc, 0, v57
	v_cmp_ne_u64_e64 s[46:47], 0, v[34:35]
	s_and_b64 s[60:61], s[46:47], vcc
	; wave barrier
	s_and_saveexec_b64 s[46:47], s[60:61]
	s_cbranch_execz .LBB140_46
; %bb.45:                               ;   in Loop: Header=BB140_32 Depth=1
	v_bcnt_u32_b32 v34, v34, 0
	v_bcnt_u32_b32 v34, v35, v34
	s_waitcnt lgkmcnt(0)
	v_add_u32_e32 v34, v55, v34
	ds_write_b32 v56, v34
.LBB140_46:                             ;   in Loop: Header=BB140_32 Depth=1
	s_or_b64 exec, exec, s[46:47]
	v_lshrrev_b64 v[34:35], s48, v[88:89]
	v_and_b32_e32 v34, s59, v34
	v_lshlrev_b32_e32 v35, 3, v34
	v_add_lshl_u32 v35, v35, v127, 2
	; wave barrier
	v_add_u32_e32 v59, 32, v35
	ds_read_b32 v58, v35 offset:32
	v_and_b32_e32 v35, 1, v34
	v_add_co_u32_e32 v36, vcc, -1, v35
	v_addc_co_u32_e64 v37, s[46:47], 0, -1, vcc
	v_cmp_ne_u32_e32 vcc, 0, v35
	v_lshlrev_b32_e32 v87, 30, v34
	v_xor_b32_e32 v35, vcc_hi, v37
	v_not_b32_e32 v37, v87
	v_xor_b32_e32 v36, vcc_lo, v36
	v_cmp_gt_i64_e32 vcc, 0, v[86:87]
	v_ashrrev_i32_e32 v37, 31, v37
	v_and_b32_e32 v36, exec_lo, v36
	v_xor_b32_e32 v60, vcc_hi, v37
	v_xor_b32_e32 v37, vcc_lo, v37
	v_lshlrev_b32_e32 v87, 29, v34
	v_and_b32_e32 v36, v36, v37
	v_not_b32_e32 v37, v87
	v_and_b32_e32 v35, exec_hi, v35
	v_cmp_gt_i64_e32 vcc, 0, v[86:87]
	v_ashrrev_i32_e32 v37, 31, v37
	v_and_b32_e32 v35, v35, v60
	v_xor_b32_e32 v60, vcc_hi, v37
	v_xor_b32_e32 v37, vcc_lo, v37
	v_lshlrev_b32_e32 v87, 28, v34
	v_and_b32_e32 v36, v36, v37
	v_not_b32_e32 v37, v87
	v_cmp_gt_i64_e32 vcc, 0, v[86:87]
	v_ashrrev_i32_e32 v37, 31, v37
	v_and_b32_e32 v35, v35, v60
	v_xor_b32_e32 v60, vcc_hi, v37
	v_xor_b32_e32 v37, vcc_lo, v37
	v_lshlrev_b32_e32 v87, 27, v34
	v_and_b32_e32 v36, v36, v37
	v_not_b32_e32 v37, v87
	;; [unrolled: 8-line block ×3, first 2 shown]
	v_cmp_gt_i64_e32 vcc, 0, v[86:87]
	v_ashrrev_i32_e32 v37, 31, v37
	v_and_b32_e32 v35, v35, v60
	v_xor_b32_e32 v60, vcc_hi, v37
	v_xor_b32_e32 v37, vcc_lo, v37
	v_lshlrev_b32_e32 v87, 25, v34
	v_and_b32_e32 v36, v36, v37
	v_cmp_gt_i64_e32 vcc, 0, v[86:87]
	v_not_b32_e32 v37, v87
	v_lshlrev_b32_e32 v87, 24, v34
	v_ashrrev_i32_e32 v37, 31, v37
	v_not_b32_e32 v34, v87
	v_and_b32_e32 v35, v35, v60
	v_xor_b32_e32 v60, vcc_hi, v37
	v_xor_b32_e32 v37, vcc_lo, v37
	v_cmp_gt_i64_e32 vcc, 0, v[86:87]
	v_ashrrev_i32_e32 v34, 31, v34
	v_and_b32_e32 v36, v36, v37
	v_xor_b32_e32 v37, vcc_hi, v34
	v_xor_b32_e32 v34, vcc_lo, v34
	v_and_b32_e32 v35, v35, v60
	v_and_b32_e32 v34, v36, v34
	;; [unrolled: 1-line block ×3, first 2 shown]
	v_mbcnt_lo_u32_b32 v36, v34, 0
	v_mbcnt_hi_u32_b32 v60, v35, v36
	v_cmp_eq_u32_e32 vcc, 0, v60
	v_cmp_ne_u64_e64 s[46:47], 0, v[34:35]
	s_and_b64 s[60:61], s[46:47], vcc
	; wave barrier
	s_and_saveexec_b64 s[46:47], s[60:61]
	s_cbranch_execz .LBB140_48
; %bb.47:                               ;   in Loop: Header=BB140_32 Depth=1
	v_bcnt_u32_b32 v34, v34, 0
	v_bcnt_u32_b32 v34, v35, v34
	s_waitcnt lgkmcnt(0)
	v_add_u32_e32 v34, v58, v34
	ds_write_b32 v59, v34
.LBB140_48:                             ;   in Loop: Header=BB140_32 Depth=1
	s_or_b64 exec, exec, s[46:47]
	; wave barrier
	s_waitcnt lgkmcnt(0)
	s_barrier
	ds_read2_b32 v[36:37], v112 offset0:8 offset1:9
	ds_read2_b32 v[34:35], v126 offset0:2 offset1:3
	s_waitcnt lgkmcnt(1)
	v_add_u32_e32 v61, v37, v36
	s_waitcnt lgkmcnt(0)
	v_add3_u32 v35, v61, v34, v35
	s_nop 1
	v_mov_b32_dpp v61, v35 row_shr:1 row_mask:0xf bank_mask:0xf
	v_cndmask_b32_e64 v61, v61, 0, s[26:27]
	v_add_u32_e32 v35, v61, v35
	s_nop 1
	v_mov_b32_dpp v61, v35 row_shr:2 row_mask:0xf bank_mask:0xf
	v_cndmask_b32_e64 v61, 0, v61, s[28:29]
	v_add_u32_e32 v35, v35, v61
	;; [unrolled: 4-line block ×4, first 2 shown]
	s_nop 1
	v_mov_b32_dpp v61, v35 row_bcast:15 row_mask:0xf bank_mask:0xf
	v_cndmask_b32_e64 v61, v61, 0, s[36:37]
	v_add_u32_e32 v35, v35, v61
	s_nop 1
	v_mov_b32_dpp v61, v35 row_bcast:31 row_mask:0xf bank_mask:0xf
	v_cndmask_b32_e64 v61, 0, v61, s[16:17]
	v_add_u32_e32 v35, v35, v61
	s_and_saveexec_b64 s[46:47], s[38:39]
	s_cbranch_execz .LBB140_50
; %bb.49:                               ;   in Loop: Header=BB140_32 Depth=1
	ds_write_b32 v129, v35
.LBB140_50:                             ;   in Loop: Header=BB140_32 Depth=1
	s_or_b64 exec, exec, s[46:47]
	s_waitcnt lgkmcnt(0)
	s_barrier
	s_and_saveexec_b64 s[46:47], s[18:19]
	s_cbranch_execz .LBB140_52
; %bb.51:                               ;   in Loop: Header=BB140_32 Depth=1
	ds_read_b32 v61, v69
	s_waitcnt lgkmcnt(0)
	s_nop 0
	v_mov_b32_dpp v62, v61 row_shr:1 row_mask:0xf bank_mask:0xf
	v_cndmask_b32_e64 v62, v62, 0, s[40:41]
	v_add_u32_e32 v61, v62, v61
	s_nop 1
	v_mov_b32_dpp v62, v61 row_shr:2 row_mask:0xf bank_mask:0xf
	v_cndmask_b32_e64 v62, 0, v62, s[42:43]
	v_add_u32_e32 v61, v61, v62
	;; [unrolled: 4-line block ×3, first 2 shown]
	ds_write_b32 v69, v61
.LBB140_52:                             ;   in Loop: Header=BB140_32 Depth=1
	s_or_b64 exec, exec, s[46:47]
	v_mov_b32_e32 v61, 0
	s_waitcnt lgkmcnt(0)
	s_barrier
	s_and_saveexec_b64 s[46:47], s[20:21]
	s_cbranch_execz .LBB140_54
; %bb.53:                               ;   in Loop: Header=BB140_32 Depth=1
	ds_read_b32 v61, v130
.LBB140_54:                             ;   in Loop: Header=BB140_32 Depth=1
	s_or_b64 exec, exec, s[46:47]
	s_waitcnt lgkmcnt(0)
	v_add_u32_e32 v35, v61, v35
	ds_bpermute_b32 v35, v128, v35
	s_cmp_gt_u32 s48, 55
	s_waitcnt lgkmcnt(0)
	v_cndmask_b32_e64 v35, v35, v61, s[22:23]
	v_cndmask_b32_e64 v35, v35, 0, s[24:25]
	v_add_u32_e32 v36, v35, v36
	v_add_u32_e32 v37, v36, v37
	;; [unrolled: 1-line block ×3, first 2 shown]
	ds_write2_b32 v112, v35, v36 offset0:8 offset1:9
	ds_write2_b32 v126, v37, v34 offset0:2 offset1:3
	s_waitcnt lgkmcnt(0)
	s_barrier
	ds_read_b32 v34, v38
	ds_read_b32 v35, v41
	;; [unrolled: 1-line block ×8, first 2 shown]
	s_waitcnt lgkmcnt(7)
	v_add_u32_e32 v138, v34, v39
	s_waitcnt lgkmcnt(6)
	v_add3_u32 v137, v42, v40, v35
	s_waitcnt lgkmcnt(5)
	v_add3_u32 v136, v45, v43, v36
	;; [unrolled: 2-line block ×7, first 2 shown]
	s_cbranch_scc0 .LBB140_31
; %bb.55:
                                        ; implicit-def: $vgpr48_vgpr49
                                        ; implicit-def: $vgpr44_vgpr45
                                        ; implicit-def: $vgpr40_vgpr41
                                        ; implicit-def: $vgpr36_vgpr37
                                        ; implicit-def: $vgpr64_vgpr65
                                        ; implicit-def: $vgpr60_vgpr61
                                        ; implicit-def: $vgpr56_vgpr57
                                        ; implicit-def: $vgpr52_vgpr53
                                        ; implicit-def: $sgpr48_sgpr49
                                        ; implicit-def: $sgpr58
.LBB140_56:
	v_lshlrev_b32_e32 v34, 3, v138
	v_lshlrev_b32_e32 v35, 3, v137
	;; [unrolled: 1-line block ×9, first 2 shown]
	s_barrier
	ds_write_b64 v34, v[102:103]
	ds_write_b64 v35, v[100:101]
	;; [unrolled: 1-line block ×8, first 2 shown]
	s_waitcnt lgkmcnt(0)
	s_barrier
	ds_read2_b64 v[50:53], v46 offset1:1
	ds_read2_b64 v[54:57], v46 offset0:2 offset1:3
	ds_read2_b64 v[58:61], v46 offset0:4 offset1:5
	;; [unrolled: 1-line block ×3, first 2 shown]
	s_waitcnt lgkmcnt(0)
	s_barrier
	ds_write_b64 v34, v[84:85]
	ds_write_b64 v35, v[82:83]
	;; [unrolled: 1-line block ×8, first 2 shown]
	s_waitcnt lgkmcnt(0)
	s_barrier
	ds_read2_b64 v[34:37], v46 offset1:1
	ds_read2_b64 v[38:41], v46 offset0:2 offset1:3
	ds_read2_b64 v[42:45], v46 offset0:4 offset1:5
	;; [unrolled: 1-line block ×3, first 2 shown]
	v_xor_b32_e32 v51, 0x80000000, v51
	v_xor_b32_e32 v53, 0x80000000, v53
	;; [unrolled: 1-line block ×8, first 2 shown]
	s_branch .LBB140_92
.LBB140_57:
	v_mov_b32_e32 v69, 0
	v_lshlrev_b64 v[2:3], 3, v[68:69]
	v_mov_b32_e32 v4, s56
	v_add_co_u32_e32 v2, vcc, s53, v2
	v_addc_co_u32_e32 v3, vcc, v4, v3, vcc
	global_load_dwordx2 v[2:3], v[2:3], off
	v_mov_b32_e32 v4, v69
	v_mov_b32_e32 v5, v69
	;; [unrolled: 1-line block ×14, first 2 shown]
	s_or_b64 exec, exec, s[16:17]
	s_and_saveexec_b64 s[16:17], s[2:3]
	s_cbranch_execz .LBB140_22
.LBB140_58:
	v_mul_lo_u32 v4, v1, s52
	v_mov_b32_e32 v5, 0
	v_lshlrev_b64 v[4:5], 3, v[4:5]
	v_mov_b32_e32 v1, s56
	v_add_co_u32_e32 v4, vcc, s53, v4
	v_addc_co_u32_e32 v5, vcc, v1, v5, vcc
	global_load_dwordx2 v[4:5], v[4:5], off
	s_or_b64 exec, exec, s[16:17]
	s_and_saveexec_b64 s[16:17], s[4:5]
	s_cbranch_execz .LBB140_23
.LBB140_59:
	v_mul_lo_u32 v6, v34, s52
	v_mov_b32_e32 v7, 0
	v_lshlrev_b64 v[6:7], 3, v[6:7]
	v_mov_b32_e32 v1, s56
	v_add_co_u32_e32 v6, vcc, s53, v6
	v_addc_co_u32_e32 v7, vcc, v1, v7, vcc
	global_load_dwordx2 v[6:7], v[6:7], off
	s_or_b64 exec, exec, s[16:17]
	s_and_saveexec_b64 s[16:17], s[6:7]
	s_cbranch_execz .LBB140_24
.LBB140_60:
	v_mul_lo_u32 v8, v35, s52
	v_mov_b32_e32 v9, 0
	v_lshlrev_b64 v[8:9], 3, v[8:9]
	v_mov_b32_e32 v1, s56
	v_add_co_u32_e32 v8, vcc, s53, v8
	v_addc_co_u32_e32 v9, vcc, v1, v9, vcc
	global_load_dwordx2 v[8:9], v[8:9], off
	s_or_b64 exec, exec, s[16:17]
	s_and_saveexec_b64 s[16:17], s[8:9]
	s_cbranch_execz .LBB140_25
.LBB140_61:
	v_mul_lo_u32 v10, v36, s52
	v_mov_b32_e32 v11, 0
	v_lshlrev_b64 v[10:11], 3, v[10:11]
	v_mov_b32_e32 v1, s56
	v_add_co_u32_e32 v10, vcc, s53, v10
	v_addc_co_u32_e32 v11, vcc, v1, v11, vcc
	global_load_dwordx2 v[10:11], v[10:11], off
	s_or_b64 exec, exec, s[16:17]
	s_and_saveexec_b64 s[16:17], s[10:11]
	s_cbranch_execz .LBB140_26
.LBB140_62:
	v_mul_lo_u32 v12, v37, s52
	v_mov_b32_e32 v13, 0
	v_lshlrev_b64 v[12:13], 3, v[12:13]
	v_mov_b32_e32 v1, s56
	v_add_co_u32_e32 v12, vcc, s53, v12
	v_addc_co_u32_e32 v13, vcc, v1, v13, vcc
	global_load_dwordx2 v[12:13], v[12:13], off
	s_or_b64 exec, exec, s[16:17]
	s_and_saveexec_b64 s[16:17], s[12:13]
	s_cbranch_execz .LBB140_27
.LBB140_63:
	v_mul_lo_u32 v14, v38, s52
	v_mov_b32_e32 v15, 0
	v_lshlrev_b64 v[14:15], 3, v[14:15]
	v_mov_b32_e32 v1, s56
	v_add_co_u32_e32 v14, vcc, s53, v14
	v_addc_co_u32_e32 v15, vcc, v1, v15, vcc
	global_load_dwordx2 v[14:15], v[14:15], off
	s_or_b64 exec, exec, s[16:17]
	s_xor_b64 s[16:17], s[34:35], -1
	s_and_saveexec_b64 s[18:19], s[14:15]
	s_cbranch_execnz .LBB140_28
	s_branch .LBB140_29
.LBB140_64:
                                        ; implicit-def: $vgpr64_vgpr65
                                        ; implicit-def: $vgpr60_vgpr61
                                        ; implicit-def: $vgpr56_vgpr57
                                        ; implicit-def: $vgpr52_vgpr53
                                        ; implicit-def: $vgpr48_vgpr49
                                        ; implicit-def: $vgpr44_vgpr45
                                        ; implicit-def: $vgpr40_vgpr41
                                        ; implicit-def: $vgpr36_vgpr37
	s_cbranch_execz .LBB140_92
; %bb.65:
	v_xor_b32_e32 v1, 0x7fffffff, v31
	v_xor_b32_e32 v0, -1, v30
	v_xor_b32_e32 v31, 0x7fffffff, v33
	v_xor_b32_e32 v30, -1, v32
	;; [unrolled: 2-line block ×8, first 2 shown]
	ds_write2_b64 v125, v[0:1], v[30:31] offset1:1
	ds_write2_b64 v125, v[26:27], v[28:29] offset0:2 offset1:3
	ds_write2_b64 v125, v[22:23], v[24:25] offset0:4 offset1:5
	;; [unrolled: 1-line block ×3, first 2 shown]
	; wave barrier
	ds_read2st64_b64 v[18:21], v124 offset1:1
	ds_read2st64_b64 v[22:25], v124 offset0:2 offset1:3
	ds_read2st64_b64 v[26:29], v124 offset0:4 offset1:5
	;; [unrolled: 1-line block ×3, first 2 shown]
	; wave barrier
	ds_write2_b64 v125, v[14:15], v[16:17] offset1:1
	ds_write2_b64 v125, v[10:11], v[12:13] offset0:2 offset1:3
	ds_write2_b64 v125, v[6:7], v[8:9] offset0:4 offset1:5
	;; [unrolled: 1-line block ×3, first 2 shown]
	; wave barrier
	ds_read2st64_b64 v[0:3], v124 offset1:1
	ds_read2st64_b64 v[4:7], v124 offset0:2 offset1:3
	ds_read2st64_b64 v[8:11], v124 offset0:4 offset1:5
	;; [unrolled: 1-line block ×3, first 2 shown]
	s_waitcnt lgkmcnt(0)
	s_barrier
	s_load_dword s18, s[54:55], 0xc
	s_getpc_b64 s[16:17]
	s_add_u32 s16, s16, _ZN7rocprim17ROCPRIM_400000_NS16block_radix_sortIlLj512ELj8ElLj1ELj1ELj0ELNS0_26block_radix_rank_algorithmE1ELNS0_18block_padding_hintE2ELNS0_4arch9wavefront6targetE1EE19radix_bits_per_passE@rel32@lo+4
	s_addc_u32 s17, s17, _ZN7rocprim17ROCPRIM_400000_NS16block_radix_sortIlLj512ELj8ElLj1ELj1ELj0ELNS0_26block_radix_rank_algorithmE1ELNS0_18block_padding_hintE2ELNS0_4arch9wavefront6targetE1EE19radix_bits_per_passE@rel32@hi+12
	s_load_dword s54, s[16:17], 0x0
	v_cmp_lt_i32_e32 vcc, v117, v119
	v_cmp_gt_u32_e64 s[30:31], 8, v70
	s_waitcnt lgkmcnt(0)
	s_lshr_b32 s16, s18, 16
	s_and_b32 s17, s18, 0xffff
	v_mad_u32_u24 v16, v123, s16, v122
	v_mad_u64_u32 v[16:17], s[16:17], v16, s17, v[70:71]
	v_lshrrev_b32_e32 v73, 6, v16
	v_min_u32_e32 v16, 0x1c0, v114
	v_or_b32_e32 v16, 63, v16
	v_cmp_eq_u32_e64 s[28:29], v16, v70
	v_cmp_lt_u32_e64 s[34:35], 63, v70
	v_cndmask_b32_e32 v16, v117, v113, vcc
	v_cmp_eq_u32_e64 s[38:39], 0, v70
	v_and_b32_e32 v70, 60, v118
	v_add_u32_e32 v72, 32, v112
	v_cmp_eq_u32_e64 s[16:17], 0, v120
	v_cmp_lt_u32_e64 s[18:19], 1, v120
	v_cmp_lt_u32_e64 s[20:21], 3, v120
	;; [unrolled: 1-line block ×3, first 2 shown]
	v_cmp_eq_u32_e64 s[24:25], 0, v121
	v_cmp_lt_u32_e64 s[26:27], 31, v113
	s_mov_b32 s55, 64
	v_lshlrev_b32_e32 v74, 2, v16
	v_cmp_eq_u32_e64 s[36:37], 0, v113
	v_cmp_eq_u32_e64 s[40:41], 0, v116
	v_cmp_lt_u32_e64 s[42:43], 1, v116
	v_cmp_lt_u32_e64 s[44:45], 3, v116
	v_add_u32_e32 v75, -4, v70
	v_lshlrev_b32_e32 v76, 3, v115
	s_mov_b64 s[48:49], 0
	v_mov_b32_e32 v42, 0
	s_branch .LBB140_67
.LBB140_66:                             ;   in Loop: Header=BB140_67 Depth=1
	v_lshlrev_b32_e32 v0, 3, v83
	v_lshlrev_b32_e32 v1, 3, v82
	;; [unrolled: 1-line block ×8, first 2 shown]
	s_barrier
	ds_write_b64 v0, v[64:65]
	ds_write_b64 v1, v[62:63]
	;; [unrolled: 1-line block ×8, first 2 shown]
	s_waitcnt lgkmcnt(0)
	s_barrier
	ds_read2st64_b64 v[18:21], v76 offset1:1
	ds_read2st64_b64 v[22:25], v76 offset0:2 offset1:3
	ds_read2st64_b64 v[26:29], v76 offset0:4 offset1:5
	;; [unrolled: 1-line block ×3, first 2 shown]
	s_waitcnt lgkmcnt(0)
	s_barrier
	ds_write_b64 v0, v[50:51]
	ds_write_b64 v1, v[48:49]
	;; [unrolled: 1-line block ×8, first 2 shown]
	s_waitcnt lgkmcnt(0)
	s_barrier
	ds_read2st64_b64 v[0:3], v76 offset1:1
	ds_read2st64_b64 v[4:7], v76 offset0:2 offset1:3
	ds_read2st64_b64 v[8:11], v76 offset0:4 offset1:5
	;; [unrolled: 1-line block ×3, first 2 shown]
	s_add_u32 s48, s48, 8
	s_addc_u32 s49, s49, 0
	s_add_i32 s55, s55, -8
	s_waitcnt lgkmcnt(0)
	s_barrier
	s_cbranch_execz .LBB140_91
.LBB140_67:                             ; =>This Inner Loop Header: Depth=1
	s_min_u32 s46, s54, s55
	v_pk_mov_b32 v[64:65], v[18:19], v[18:19] op_sel:[0,1]
	s_lshl_b32 s46, -1, s46
	v_pk_mov_b32 v[50:51], v[0:1], v[0:1] op_sel:[0,1]
	s_not_b32 s57, s46
	v_lshrrev_b64 v[0:1], s48, v[64:65]
	v_and_b32_e32 v0, s57, v0
	v_lshl_add_u32 v1, v0, 3, v73
	v_pk_mov_b32 v[44:45], v[4:5], v[4:5] op_sel:[0,1]
	v_lshl_add_u32 v4, v1, 2, 32
	v_and_b32_e32 v1, 1, v0
	v_pk_mov_b32 v[48:49], v[2:3], v[2:3] op_sel:[0,1]
	v_add_co_u32_e32 v2, vcc, -1, v1
	v_addc_co_u32_e64 v3, s[46:47], 0, -1, vcc
	v_cmp_ne_u32_e32 vcc, 0, v1
	v_lshlrev_b32_e32 v43, 30, v0
	v_xor_b32_e32 v1, vcc_hi, v3
	v_not_b32_e32 v3, v43
	v_xor_b32_e32 v2, vcc_lo, v2
	v_cmp_gt_i64_e32 vcc, 0, v[42:43]
	v_ashrrev_i32_e32 v3, 31, v3
	v_and_b32_e32 v2, exec_lo, v2
	v_xor_b32_e32 v5, vcc_hi, v3
	v_xor_b32_e32 v3, vcc_lo, v3
	v_lshlrev_b32_e32 v43, 29, v0
	v_and_b32_e32 v2, v2, v3
	v_not_b32_e32 v3, v43
	v_and_b32_e32 v1, exec_hi, v1
	v_cmp_gt_i64_e32 vcc, 0, v[42:43]
	v_ashrrev_i32_e32 v3, 31, v3
	v_and_b32_e32 v1, v1, v5
	v_xor_b32_e32 v5, vcc_hi, v3
	v_xor_b32_e32 v3, vcc_lo, v3
	v_lshlrev_b32_e32 v43, 28, v0
	v_and_b32_e32 v2, v2, v3
	v_not_b32_e32 v3, v43
	v_cmp_gt_i64_e32 vcc, 0, v[42:43]
	v_ashrrev_i32_e32 v3, 31, v3
	v_and_b32_e32 v1, v1, v5
	v_xor_b32_e32 v5, vcc_hi, v3
	v_xor_b32_e32 v3, vcc_lo, v3
	v_lshlrev_b32_e32 v43, 27, v0
	v_and_b32_e32 v2, v2, v3
	v_not_b32_e32 v3, v43
	;; [unrolled: 8-line block ×3, first 2 shown]
	v_cmp_gt_i64_e32 vcc, 0, v[42:43]
	v_ashrrev_i32_e32 v3, 31, v3
	v_and_b32_e32 v1, v1, v5
	v_xor_b32_e32 v5, vcc_hi, v3
	v_xor_b32_e32 v3, vcc_lo, v3
	v_lshlrev_b32_e32 v43, 25, v0
	v_and_b32_e32 v2, v2, v3
	v_cmp_gt_i64_e32 vcc, 0, v[42:43]
	v_not_b32_e32 v3, v43
	v_lshlrev_b32_e32 v43, 24, v0
	v_ashrrev_i32_e32 v3, 31, v3
	v_not_b32_e32 v0, v43
	v_and_b32_e32 v1, v1, v5
	v_xor_b32_e32 v5, vcc_hi, v3
	v_xor_b32_e32 v3, vcc_lo, v3
	v_cmp_gt_i64_e32 vcc, 0, v[42:43]
	v_ashrrev_i32_e32 v0, 31, v0
	v_and_b32_e32 v2, v2, v3
	v_xor_b32_e32 v3, vcc_hi, v0
	v_xor_b32_e32 v0, vcc_lo, v0
	v_and_b32_e32 v1, v1, v5
	v_and_b32_e32 v0, v2, v0
	;; [unrolled: 1-line block ×3, first 2 shown]
	v_mbcnt_lo_u32_b32 v2, v0, 0
	v_mbcnt_hi_u32_b32 v5, v1, v2
	v_cmp_eq_u32_e32 vcc, 0, v5
	v_cmp_ne_u64_e64 s[46:47], 0, v[0:1]
	v_pk_mov_b32 v[46:47], v[32:33], v[32:33] op_sel:[0,1]
	v_pk_mov_b32 v[52:53], v[30:31], v[30:31] op_sel:[0,1]
	;; [unrolled: 1-line block ×12, first 2 shown]
	s_and_b64 s[58:59], s[46:47], vcc
	ds_write2_b32 v112, v42, v42 offset0:8 offset1:9
	ds_write2_b32 v72, v42, v42 offset0:2 offset1:3
	s_waitcnt lgkmcnt(0)
	s_barrier
	s_waitcnt lgkmcnt(0)
	; wave barrier
	s_and_saveexec_b64 s[46:47], s[58:59]
	s_cbranch_execz .LBB140_69
; %bb.68:                               ;   in Loop: Header=BB140_67 Depth=1
	v_bcnt_u32_b32 v0, v0, 0
	v_bcnt_u32_b32 v0, v1, v0
	ds_write_b32 v4, v0
.LBB140_69:                             ;   in Loop: Header=BB140_67 Depth=1
	s_or_b64 exec, exec, s[46:47]
	v_lshrrev_b64 v[0:1], s48, v[62:63]
	v_and_b32_e32 v0, s57, v0
	v_lshlrev_b32_e32 v1, 3, v0
	v_add_lshl_u32 v1, v1, v73, 2
	; wave barrier
	v_add_u32_e32 v7, 32, v1
	ds_read_b32 v6, v1 offset:32
	v_and_b32_e32 v1, 1, v0
	v_add_co_u32_e32 v2, vcc, -1, v1
	v_addc_co_u32_e64 v3, s[46:47], 0, -1, vcc
	v_cmp_ne_u32_e32 vcc, 0, v1
	v_lshlrev_b32_e32 v43, 30, v0
	v_xor_b32_e32 v1, vcc_hi, v3
	v_not_b32_e32 v3, v43
	v_xor_b32_e32 v2, vcc_lo, v2
	v_cmp_gt_i64_e32 vcc, 0, v[42:43]
	v_ashrrev_i32_e32 v3, 31, v3
	v_and_b32_e32 v2, exec_lo, v2
	v_xor_b32_e32 v8, vcc_hi, v3
	v_xor_b32_e32 v3, vcc_lo, v3
	v_lshlrev_b32_e32 v43, 29, v0
	v_and_b32_e32 v2, v2, v3
	v_not_b32_e32 v3, v43
	v_and_b32_e32 v1, exec_hi, v1
	v_cmp_gt_i64_e32 vcc, 0, v[42:43]
	v_ashrrev_i32_e32 v3, 31, v3
	v_and_b32_e32 v1, v1, v8
	v_xor_b32_e32 v8, vcc_hi, v3
	v_xor_b32_e32 v3, vcc_lo, v3
	v_lshlrev_b32_e32 v43, 28, v0
	v_and_b32_e32 v2, v2, v3
	v_not_b32_e32 v3, v43
	v_cmp_gt_i64_e32 vcc, 0, v[42:43]
	v_ashrrev_i32_e32 v3, 31, v3
	v_and_b32_e32 v1, v1, v8
	v_xor_b32_e32 v8, vcc_hi, v3
	v_xor_b32_e32 v3, vcc_lo, v3
	v_lshlrev_b32_e32 v43, 27, v0
	v_and_b32_e32 v2, v2, v3
	v_not_b32_e32 v3, v43
	;; [unrolled: 8-line block ×3, first 2 shown]
	v_cmp_gt_i64_e32 vcc, 0, v[42:43]
	v_ashrrev_i32_e32 v3, 31, v3
	v_and_b32_e32 v1, v1, v8
	v_xor_b32_e32 v8, vcc_hi, v3
	v_xor_b32_e32 v3, vcc_lo, v3
	v_lshlrev_b32_e32 v43, 25, v0
	v_and_b32_e32 v2, v2, v3
	v_cmp_gt_i64_e32 vcc, 0, v[42:43]
	v_not_b32_e32 v3, v43
	v_lshlrev_b32_e32 v43, 24, v0
	v_ashrrev_i32_e32 v3, 31, v3
	v_not_b32_e32 v0, v43
	v_and_b32_e32 v1, v1, v8
	v_xor_b32_e32 v8, vcc_hi, v3
	v_xor_b32_e32 v3, vcc_lo, v3
	v_cmp_gt_i64_e32 vcc, 0, v[42:43]
	v_ashrrev_i32_e32 v0, 31, v0
	v_and_b32_e32 v2, v2, v3
	v_xor_b32_e32 v3, vcc_hi, v0
	v_xor_b32_e32 v0, vcc_lo, v0
	v_and_b32_e32 v1, v1, v8
	v_and_b32_e32 v0, v2, v0
	;; [unrolled: 1-line block ×3, first 2 shown]
	v_mbcnt_lo_u32_b32 v2, v0, 0
	v_mbcnt_hi_u32_b32 v8, v1, v2
	v_cmp_eq_u32_e32 vcc, 0, v8
	v_cmp_ne_u64_e64 s[46:47], 0, v[0:1]
	s_and_b64 s[58:59], s[46:47], vcc
	; wave barrier
	s_and_saveexec_b64 s[46:47], s[58:59]
	s_cbranch_execz .LBB140_71
; %bb.70:                               ;   in Loop: Header=BB140_67 Depth=1
	v_bcnt_u32_b32 v0, v0, 0
	v_bcnt_u32_b32 v0, v1, v0
	s_waitcnt lgkmcnt(0)
	v_add_u32_e32 v0, v6, v0
	ds_write_b32 v7, v0
.LBB140_71:                             ;   in Loop: Header=BB140_67 Depth=1
	s_or_b64 exec, exec, s[46:47]
	v_lshrrev_b64 v[0:1], s48, v[60:61]
	v_and_b32_e32 v0, s57, v0
	v_lshlrev_b32_e32 v1, 3, v0
	v_add_lshl_u32 v1, v1, v73, 2
	; wave barrier
	v_add_u32_e32 v10, 32, v1
	ds_read_b32 v9, v1 offset:32
	v_and_b32_e32 v1, 1, v0
	v_add_co_u32_e32 v2, vcc, -1, v1
	v_addc_co_u32_e64 v3, s[46:47], 0, -1, vcc
	v_cmp_ne_u32_e32 vcc, 0, v1
	v_lshlrev_b32_e32 v43, 30, v0
	v_xor_b32_e32 v1, vcc_hi, v3
	v_not_b32_e32 v3, v43
	v_xor_b32_e32 v2, vcc_lo, v2
	v_cmp_gt_i64_e32 vcc, 0, v[42:43]
	v_ashrrev_i32_e32 v3, 31, v3
	v_and_b32_e32 v2, exec_lo, v2
	v_xor_b32_e32 v11, vcc_hi, v3
	v_xor_b32_e32 v3, vcc_lo, v3
	v_lshlrev_b32_e32 v43, 29, v0
	v_and_b32_e32 v2, v2, v3
	v_not_b32_e32 v3, v43
	v_and_b32_e32 v1, exec_hi, v1
	v_cmp_gt_i64_e32 vcc, 0, v[42:43]
	v_ashrrev_i32_e32 v3, 31, v3
	v_and_b32_e32 v1, v1, v11
	v_xor_b32_e32 v11, vcc_hi, v3
	v_xor_b32_e32 v3, vcc_lo, v3
	v_lshlrev_b32_e32 v43, 28, v0
	v_and_b32_e32 v2, v2, v3
	v_not_b32_e32 v3, v43
	v_cmp_gt_i64_e32 vcc, 0, v[42:43]
	v_ashrrev_i32_e32 v3, 31, v3
	v_and_b32_e32 v1, v1, v11
	v_xor_b32_e32 v11, vcc_hi, v3
	v_xor_b32_e32 v3, vcc_lo, v3
	v_lshlrev_b32_e32 v43, 27, v0
	v_and_b32_e32 v2, v2, v3
	v_not_b32_e32 v3, v43
	;; [unrolled: 8-line block ×3, first 2 shown]
	v_cmp_gt_i64_e32 vcc, 0, v[42:43]
	v_ashrrev_i32_e32 v3, 31, v3
	v_and_b32_e32 v1, v1, v11
	v_xor_b32_e32 v11, vcc_hi, v3
	v_xor_b32_e32 v3, vcc_lo, v3
	v_lshlrev_b32_e32 v43, 25, v0
	v_and_b32_e32 v2, v2, v3
	v_cmp_gt_i64_e32 vcc, 0, v[42:43]
	v_not_b32_e32 v3, v43
	v_lshlrev_b32_e32 v43, 24, v0
	v_ashrrev_i32_e32 v3, 31, v3
	v_not_b32_e32 v0, v43
	v_and_b32_e32 v1, v1, v11
	v_xor_b32_e32 v11, vcc_hi, v3
	v_xor_b32_e32 v3, vcc_lo, v3
	v_cmp_gt_i64_e32 vcc, 0, v[42:43]
	v_ashrrev_i32_e32 v0, 31, v0
	v_and_b32_e32 v2, v2, v3
	v_xor_b32_e32 v3, vcc_hi, v0
	v_xor_b32_e32 v0, vcc_lo, v0
	v_and_b32_e32 v1, v1, v11
	v_and_b32_e32 v0, v2, v0
	;; [unrolled: 1-line block ×3, first 2 shown]
	v_mbcnt_lo_u32_b32 v2, v0, 0
	v_mbcnt_hi_u32_b32 v11, v1, v2
	v_cmp_eq_u32_e32 vcc, 0, v11
	v_cmp_ne_u64_e64 s[46:47], 0, v[0:1]
	s_and_b64 s[58:59], s[46:47], vcc
	; wave barrier
	s_and_saveexec_b64 s[46:47], s[58:59]
	s_cbranch_execz .LBB140_73
; %bb.72:                               ;   in Loop: Header=BB140_67 Depth=1
	v_bcnt_u32_b32 v0, v0, 0
	v_bcnt_u32_b32 v0, v1, v0
	s_waitcnt lgkmcnt(0)
	v_add_u32_e32 v0, v9, v0
	ds_write_b32 v10, v0
.LBB140_73:                             ;   in Loop: Header=BB140_67 Depth=1
	s_or_b64 exec, exec, s[46:47]
	v_lshrrev_b64 v[0:1], s48, v[58:59]
	v_and_b32_e32 v0, s57, v0
	v_lshlrev_b32_e32 v1, 3, v0
	v_add_lshl_u32 v1, v1, v73, 2
	; wave barrier
	v_add_u32_e32 v13, 32, v1
	ds_read_b32 v12, v1 offset:32
	v_and_b32_e32 v1, 1, v0
	v_add_co_u32_e32 v2, vcc, -1, v1
	v_addc_co_u32_e64 v3, s[46:47], 0, -1, vcc
	v_cmp_ne_u32_e32 vcc, 0, v1
	v_lshlrev_b32_e32 v43, 30, v0
	v_xor_b32_e32 v1, vcc_hi, v3
	v_not_b32_e32 v3, v43
	v_xor_b32_e32 v2, vcc_lo, v2
	v_cmp_gt_i64_e32 vcc, 0, v[42:43]
	v_ashrrev_i32_e32 v3, 31, v3
	v_and_b32_e32 v2, exec_lo, v2
	v_xor_b32_e32 v14, vcc_hi, v3
	v_xor_b32_e32 v3, vcc_lo, v3
	v_lshlrev_b32_e32 v43, 29, v0
	v_and_b32_e32 v2, v2, v3
	v_not_b32_e32 v3, v43
	v_and_b32_e32 v1, exec_hi, v1
	v_cmp_gt_i64_e32 vcc, 0, v[42:43]
	v_ashrrev_i32_e32 v3, 31, v3
	v_and_b32_e32 v1, v1, v14
	v_xor_b32_e32 v14, vcc_hi, v3
	v_xor_b32_e32 v3, vcc_lo, v3
	v_lshlrev_b32_e32 v43, 28, v0
	v_and_b32_e32 v2, v2, v3
	v_not_b32_e32 v3, v43
	v_cmp_gt_i64_e32 vcc, 0, v[42:43]
	v_ashrrev_i32_e32 v3, 31, v3
	v_and_b32_e32 v1, v1, v14
	v_xor_b32_e32 v14, vcc_hi, v3
	v_xor_b32_e32 v3, vcc_lo, v3
	v_lshlrev_b32_e32 v43, 27, v0
	v_and_b32_e32 v2, v2, v3
	v_not_b32_e32 v3, v43
	;; [unrolled: 8-line block ×3, first 2 shown]
	v_cmp_gt_i64_e32 vcc, 0, v[42:43]
	v_ashrrev_i32_e32 v3, 31, v3
	v_and_b32_e32 v1, v1, v14
	v_xor_b32_e32 v14, vcc_hi, v3
	v_xor_b32_e32 v3, vcc_lo, v3
	v_lshlrev_b32_e32 v43, 25, v0
	v_and_b32_e32 v2, v2, v3
	v_cmp_gt_i64_e32 vcc, 0, v[42:43]
	v_not_b32_e32 v3, v43
	v_lshlrev_b32_e32 v43, 24, v0
	v_ashrrev_i32_e32 v3, 31, v3
	v_not_b32_e32 v0, v43
	v_and_b32_e32 v1, v1, v14
	v_xor_b32_e32 v14, vcc_hi, v3
	v_xor_b32_e32 v3, vcc_lo, v3
	v_cmp_gt_i64_e32 vcc, 0, v[42:43]
	v_ashrrev_i32_e32 v0, 31, v0
	v_and_b32_e32 v2, v2, v3
	v_xor_b32_e32 v3, vcc_hi, v0
	v_xor_b32_e32 v0, vcc_lo, v0
	v_and_b32_e32 v1, v1, v14
	v_and_b32_e32 v0, v2, v0
	v_and_b32_e32 v1, v1, v3
	v_mbcnt_lo_u32_b32 v2, v0, 0
	v_mbcnt_hi_u32_b32 v14, v1, v2
	v_cmp_eq_u32_e32 vcc, 0, v14
	v_cmp_ne_u64_e64 s[46:47], 0, v[0:1]
	s_and_b64 s[58:59], s[46:47], vcc
	; wave barrier
	s_and_saveexec_b64 s[46:47], s[58:59]
	s_cbranch_execz .LBB140_75
; %bb.74:                               ;   in Loop: Header=BB140_67 Depth=1
	v_bcnt_u32_b32 v0, v0, 0
	v_bcnt_u32_b32 v0, v1, v0
	s_waitcnt lgkmcnt(0)
	v_add_u32_e32 v0, v12, v0
	ds_write_b32 v13, v0
.LBB140_75:                             ;   in Loop: Header=BB140_67 Depth=1
	s_or_b64 exec, exec, s[46:47]
	v_lshrrev_b64 v[0:1], s48, v[56:57]
	v_and_b32_e32 v0, s57, v0
	v_lshlrev_b32_e32 v1, 3, v0
	v_add_lshl_u32 v1, v1, v73, 2
	; wave barrier
	v_add_u32_e32 v18, 32, v1
	ds_read_b32 v15, v1 offset:32
	v_and_b32_e32 v1, 1, v0
	v_add_co_u32_e32 v2, vcc, -1, v1
	v_addc_co_u32_e64 v3, s[46:47], 0, -1, vcc
	v_cmp_ne_u32_e32 vcc, 0, v1
	v_lshlrev_b32_e32 v43, 30, v0
	v_xor_b32_e32 v1, vcc_hi, v3
	v_not_b32_e32 v3, v43
	v_xor_b32_e32 v2, vcc_lo, v2
	v_cmp_gt_i64_e32 vcc, 0, v[42:43]
	v_ashrrev_i32_e32 v3, 31, v3
	v_and_b32_e32 v2, exec_lo, v2
	v_xor_b32_e32 v19, vcc_hi, v3
	v_xor_b32_e32 v3, vcc_lo, v3
	v_lshlrev_b32_e32 v43, 29, v0
	v_and_b32_e32 v2, v2, v3
	v_not_b32_e32 v3, v43
	v_and_b32_e32 v1, exec_hi, v1
	v_cmp_gt_i64_e32 vcc, 0, v[42:43]
	v_ashrrev_i32_e32 v3, 31, v3
	v_and_b32_e32 v1, v1, v19
	v_xor_b32_e32 v19, vcc_hi, v3
	v_xor_b32_e32 v3, vcc_lo, v3
	v_lshlrev_b32_e32 v43, 28, v0
	v_and_b32_e32 v2, v2, v3
	v_not_b32_e32 v3, v43
	v_cmp_gt_i64_e32 vcc, 0, v[42:43]
	v_ashrrev_i32_e32 v3, 31, v3
	v_and_b32_e32 v1, v1, v19
	v_xor_b32_e32 v19, vcc_hi, v3
	v_xor_b32_e32 v3, vcc_lo, v3
	v_lshlrev_b32_e32 v43, 27, v0
	v_and_b32_e32 v2, v2, v3
	v_not_b32_e32 v3, v43
	;; [unrolled: 8-line block ×3, first 2 shown]
	v_cmp_gt_i64_e32 vcc, 0, v[42:43]
	v_ashrrev_i32_e32 v3, 31, v3
	v_and_b32_e32 v1, v1, v19
	v_xor_b32_e32 v19, vcc_hi, v3
	v_xor_b32_e32 v3, vcc_lo, v3
	v_lshlrev_b32_e32 v43, 25, v0
	v_and_b32_e32 v2, v2, v3
	v_cmp_gt_i64_e32 vcc, 0, v[42:43]
	v_not_b32_e32 v3, v43
	v_lshlrev_b32_e32 v43, 24, v0
	v_ashrrev_i32_e32 v3, 31, v3
	v_not_b32_e32 v0, v43
	v_and_b32_e32 v1, v1, v19
	v_xor_b32_e32 v19, vcc_hi, v3
	v_xor_b32_e32 v3, vcc_lo, v3
	v_cmp_gt_i64_e32 vcc, 0, v[42:43]
	v_ashrrev_i32_e32 v0, 31, v0
	v_and_b32_e32 v2, v2, v3
	v_xor_b32_e32 v3, vcc_hi, v0
	v_xor_b32_e32 v0, vcc_lo, v0
	v_and_b32_e32 v1, v1, v19
	v_and_b32_e32 v0, v2, v0
	;; [unrolled: 1-line block ×3, first 2 shown]
	v_mbcnt_lo_u32_b32 v2, v0, 0
	v_mbcnt_hi_u32_b32 v19, v1, v2
	v_cmp_eq_u32_e32 vcc, 0, v19
	v_cmp_ne_u64_e64 s[46:47], 0, v[0:1]
	s_and_b64 s[58:59], s[46:47], vcc
	; wave barrier
	s_and_saveexec_b64 s[46:47], s[58:59]
	s_cbranch_execz .LBB140_77
; %bb.76:                               ;   in Loop: Header=BB140_67 Depth=1
	v_bcnt_u32_b32 v0, v0, 0
	v_bcnt_u32_b32 v0, v1, v0
	s_waitcnt lgkmcnt(0)
	v_add_u32_e32 v0, v15, v0
	ds_write_b32 v18, v0
.LBB140_77:                             ;   in Loop: Header=BB140_67 Depth=1
	s_or_b64 exec, exec, s[46:47]
	v_lshrrev_b64 v[0:1], s48, v[54:55]
	v_and_b32_e32 v0, s57, v0
	v_lshlrev_b32_e32 v1, 3, v0
	v_add_lshl_u32 v1, v1, v73, 2
	; wave barrier
	v_add_u32_e32 v21, 32, v1
	ds_read_b32 v20, v1 offset:32
	v_and_b32_e32 v1, 1, v0
	v_add_co_u32_e32 v2, vcc, -1, v1
	v_addc_co_u32_e64 v3, s[46:47], 0, -1, vcc
	v_cmp_ne_u32_e32 vcc, 0, v1
	v_lshlrev_b32_e32 v43, 30, v0
	v_xor_b32_e32 v1, vcc_hi, v3
	v_not_b32_e32 v3, v43
	v_xor_b32_e32 v2, vcc_lo, v2
	v_cmp_gt_i64_e32 vcc, 0, v[42:43]
	v_ashrrev_i32_e32 v3, 31, v3
	v_and_b32_e32 v2, exec_lo, v2
	v_xor_b32_e32 v22, vcc_hi, v3
	v_xor_b32_e32 v3, vcc_lo, v3
	v_lshlrev_b32_e32 v43, 29, v0
	v_and_b32_e32 v2, v2, v3
	v_not_b32_e32 v3, v43
	v_and_b32_e32 v1, exec_hi, v1
	v_cmp_gt_i64_e32 vcc, 0, v[42:43]
	v_ashrrev_i32_e32 v3, 31, v3
	v_and_b32_e32 v1, v1, v22
	v_xor_b32_e32 v22, vcc_hi, v3
	v_xor_b32_e32 v3, vcc_lo, v3
	v_lshlrev_b32_e32 v43, 28, v0
	v_and_b32_e32 v2, v2, v3
	v_not_b32_e32 v3, v43
	v_cmp_gt_i64_e32 vcc, 0, v[42:43]
	v_ashrrev_i32_e32 v3, 31, v3
	v_and_b32_e32 v1, v1, v22
	v_xor_b32_e32 v22, vcc_hi, v3
	v_xor_b32_e32 v3, vcc_lo, v3
	v_lshlrev_b32_e32 v43, 27, v0
	v_and_b32_e32 v2, v2, v3
	v_not_b32_e32 v3, v43
	;; [unrolled: 8-line block ×3, first 2 shown]
	v_cmp_gt_i64_e32 vcc, 0, v[42:43]
	v_ashrrev_i32_e32 v3, 31, v3
	v_and_b32_e32 v1, v1, v22
	v_xor_b32_e32 v22, vcc_hi, v3
	v_xor_b32_e32 v3, vcc_lo, v3
	v_lshlrev_b32_e32 v43, 25, v0
	v_and_b32_e32 v2, v2, v3
	v_cmp_gt_i64_e32 vcc, 0, v[42:43]
	v_not_b32_e32 v3, v43
	v_lshlrev_b32_e32 v43, 24, v0
	v_ashrrev_i32_e32 v3, 31, v3
	v_not_b32_e32 v0, v43
	v_and_b32_e32 v1, v1, v22
	v_xor_b32_e32 v22, vcc_hi, v3
	v_xor_b32_e32 v3, vcc_lo, v3
	v_cmp_gt_i64_e32 vcc, 0, v[42:43]
	v_ashrrev_i32_e32 v0, 31, v0
	v_and_b32_e32 v2, v2, v3
	v_xor_b32_e32 v3, vcc_hi, v0
	v_xor_b32_e32 v0, vcc_lo, v0
	v_and_b32_e32 v1, v1, v22
	v_and_b32_e32 v0, v2, v0
	;; [unrolled: 1-line block ×3, first 2 shown]
	v_mbcnt_lo_u32_b32 v2, v0, 0
	v_mbcnt_hi_u32_b32 v22, v1, v2
	v_cmp_eq_u32_e32 vcc, 0, v22
	v_cmp_ne_u64_e64 s[46:47], 0, v[0:1]
	s_and_b64 s[58:59], s[46:47], vcc
	; wave barrier
	s_and_saveexec_b64 s[46:47], s[58:59]
	s_cbranch_execz .LBB140_79
; %bb.78:                               ;   in Loop: Header=BB140_67 Depth=1
	v_bcnt_u32_b32 v0, v0, 0
	v_bcnt_u32_b32 v0, v1, v0
	s_waitcnt lgkmcnt(0)
	v_add_u32_e32 v0, v20, v0
	ds_write_b32 v21, v0
.LBB140_79:                             ;   in Loop: Header=BB140_67 Depth=1
	s_or_b64 exec, exec, s[46:47]
	v_lshrrev_b64 v[0:1], s48, v[52:53]
	v_and_b32_e32 v0, s57, v0
	v_lshlrev_b32_e32 v1, 3, v0
	v_add_lshl_u32 v1, v1, v73, 2
	; wave barrier
	v_add_u32_e32 v24, 32, v1
	ds_read_b32 v23, v1 offset:32
	v_and_b32_e32 v1, 1, v0
	v_add_co_u32_e32 v2, vcc, -1, v1
	v_addc_co_u32_e64 v3, s[46:47], 0, -1, vcc
	v_cmp_ne_u32_e32 vcc, 0, v1
	v_lshlrev_b32_e32 v43, 30, v0
	v_xor_b32_e32 v1, vcc_hi, v3
	v_not_b32_e32 v3, v43
	v_xor_b32_e32 v2, vcc_lo, v2
	v_cmp_gt_i64_e32 vcc, 0, v[42:43]
	v_ashrrev_i32_e32 v3, 31, v3
	v_and_b32_e32 v2, exec_lo, v2
	v_xor_b32_e32 v25, vcc_hi, v3
	v_xor_b32_e32 v3, vcc_lo, v3
	v_lshlrev_b32_e32 v43, 29, v0
	v_and_b32_e32 v2, v2, v3
	v_not_b32_e32 v3, v43
	v_and_b32_e32 v1, exec_hi, v1
	v_cmp_gt_i64_e32 vcc, 0, v[42:43]
	v_ashrrev_i32_e32 v3, 31, v3
	v_and_b32_e32 v1, v1, v25
	v_xor_b32_e32 v25, vcc_hi, v3
	v_xor_b32_e32 v3, vcc_lo, v3
	v_lshlrev_b32_e32 v43, 28, v0
	v_and_b32_e32 v2, v2, v3
	v_not_b32_e32 v3, v43
	v_cmp_gt_i64_e32 vcc, 0, v[42:43]
	v_ashrrev_i32_e32 v3, 31, v3
	v_and_b32_e32 v1, v1, v25
	v_xor_b32_e32 v25, vcc_hi, v3
	v_xor_b32_e32 v3, vcc_lo, v3
	v_lshlrev_b32_e32 v43, 27, v0
	v_and_b32_e32 v2, v2, v3
	v_not_b32_e32 v3, v43
	;; [unrolled: 8-line block ×3, first 2 shown]
	v_cmp_gt_i64_e32 vcc, 0, v[42:43]
	v_ashrrev_i32_e32 v3, 31, v3
	v_and_b32_e32 v1, v1, v25
	v_xor_b32_e32 v25, vcc_hi, v3
	v_xor_b32_e32 v3, vcc_lo, v3
	v_lshlrev_b32_e32 v43, 25, v0
	v_and_b32_e32 v2, v2, v3
	v_cmp_gt_i64_e32 vcc, 0, v[42:43]
	v_not_b32_e32 v3, v43
	v_lshlrev_b32_e32 v43, 24, v0
	v_ashrrev_i32_e32 v3, 31, v3
	v_not_b32_e32 v0, v43
	v_and_b32_e32 v1, v1, v25
	v_xor_b32_e32 v25, vcc_hi, v3
	v_xor_b32_e32 v3, vcc_lo, v3
	v_cmp_gt_i64_e32 vcc, 0, v[42:43]
	v_ashrrev_i32_e32 v0, 31, v0
	v_and_b32_e32 v2, v2, v3
	v_xor_b32_e32 v3, vcc_hi, v0
	v_xor_b32_e32 v0, vcc_lo, v0
	v_and_b32_e32 v1, v1, v25
	v_and_b32_e32 v0, v2, v0
	;; [unrolled: 1-line block ×3, first 2 shown]
	v_mbcnt_lo_u32_b32 v2, v0, 0
	v_mbcnt_hi_u32_b32 v25, v1, v2
	v_cmp_eq_u32_e32 vcc, 0, v25
	v_cmp_ne_u64_e64 s[46:47], 0, v[0:1]
	s_and_b64 s[58:59], s[46:47], vcc
	; wave barrier
	s_and_saveexec_b64 s[46:47], s[58:59]
	s_cbranch_execz .LBB140_81
; %bb.80:                               ;   in Loop: Header=BB140_67 Depth=1
	v_bcnt_u32_b32 v0, v0, 0
	v_bcnt_u32_b32 v0, v1, v0
	s_waitcnt lgkmcnt(0)
	v_add_u32_e32 v0, v23, v0
	ds_write_b32 v24, v0
.LBB140_81:                             ;   in Loop: Header=BB140_67 Depth=1
	s_or_b64 exec, exec, s[46:47]
	v_lshrrev_b64 v[0:1], s48, v[46:47]
	v_and_b32_e32 v0, s57, v0
	v_lshlrev_b32_e32 v1, 3, v0
	v_add_lshl_u32 v1, v1, v73, 2
	; wave barrier
	v_add_u32_e32 v27, 32, v1
	ds_read_b32 v26, v1 offset:32
	v_and_b32_e32 v1, 1, v0
	v_add_co_u32_e32 v2, vcc, -1, v1
	v_addc_co_u32_e64 v3, s[46:47], 0, -1, vcc
	v_cmp_ne_u32_e32 vcc, 0, v1
	v_lshlrev_b32_e32 v43, 30, v0
	v_xor_b32_e32 v1, vcc_hi, v3
	v_not_b32_e32 v3, v43
	v_xor_b32_e32 v2, vcc_lo, v2
	v_cmp_gt_i64_e32 vcc, 0, v[42:43]
	v_ashrrev_i32_e32 v3, 31, v3
	v_and_b32_e32 v2, exec_lo, v2
	v_xor_b32_e32 v28, vcc_hi, v3
	v_xor_b32_e32 v3, vcc_lo, v3
	v_lshlrev_b32_e32 v43, 29, v0
	v_and_b32_e32 v2, v2, v3
	v_not_b32_e32 v3, v43
	v_and_b32_e32 v1, exec_hi, v1
	v_cmp_gt_i64_e32 vcc, 0, v[42:43]
	v_ashrrev_i32_e32 v3, 31, v3
	v_and_b32_e32 v1, v1, v28
	v_xor_b32_e32 v28, vcc_hi, v3
	v_xor_b32_e32 v3, vcc_lo, v3
	v_lshlrev_b32_e32 v43, 28, v0
	v_and_b32_e32 v2, v2, v3
	v_not_b32_e32 v3, v43
	v_cmp_gt_i64_e32 vcc, 0, v[42:43]
	v_ashrrev_i32_e32 v3, 31, v3
	v_and_b32_e32 v1, v1, v28
	v_xor_b32_e32 v28, vcc_hi, v3
	v_xor_b32_e32 v3, vcc_lo, v3
	v_lshlrev_b32_e32 v43, 27, v0
	v_and_b32_e32 v2, v2, v3
	v_not_b32_e32 v3, v43
	;; [unrolled: 8-line block ×3, first 2 shown]
	v_cmp_gt_i64_e32 vcc, 0, v[42:43]
	v_ashrrev_i32_e32 v3, 31, v3
	v_and_b32_e32 v1, v1, v28
	v_xor_b32_e32 v28, vcc_hi, v3
	v_xor_b32_e32 v3, vcc_lo, v3
	v_lshlrev_b32_e32 v43, 25, v0
	v_and_b32_e32 v2, v2, v3
	v_cmp_gt_i64_e32 vcc, 0, v[42:43]
	v_not_b32_e32 v3, v43
	v_lshlrev_b32_e32 v43, 24, v0
	v_ashrrev_i32_e32 v3, 31, v3
	v_not_b32_e32 v0, v43
	v_and_b32_e32 v1, v1, v28
	v_xor_b32_e32 v28, vcc_hi, v3
	v_xor_b32_e32 v3, vcc_lo, v3
	v_cmp_gt_i64_e32 vcc, 0, v[42:43]
	v_ashrrev_i32_e32 v0, 31, v0
	v_and_b32_e32 v2, v2, v3
	v_xor_b32_e32 v3, vcc_hi, v0
	v_xor_b32_e32 v0, vcc_lo, v0
	v_and_b32_e32 v1, v1, v28
	v_and_b32_e32 v0, v2, v0
	;; [unrolled: 1-line block ×3, first 2 shown]
	v_mbcnt_lo_u32_b32 v2, v0, 0
	v_mbcnt_hi_u32_b32 v28, v1, v2
	v_cmp_eq_u32_e32 vcc, 0, v28
	v_cmp_ne_u64_e64 s[46:47], 0, v[0:1]
	s_and_b64 s[58:59], s[46:47], vcc
	; wave barrier
	s_and_saveexec_b64 s[46:47], s[58:59]
	s_cbranch_execz .LBB140_83
; %bb.82:                               ;   in Loop: Header=BB140_67 Depth=1
	v_bcnt_u32_b32 v0, v0, 0
	v_bcnt_u32_b32 v0, v1, v0
	s_waitcnt lgkmcnt(0)
	v_add_u32_e32 v0, v26, v0
	ds_write_b32 v27, v0
.LBB140_83:                             ;   in Loop: Header=BB140_67 Depth=1
	s_or_b64 exec, exec, s[46:47]
	; wave barrier
	s_waitcnt lgkmcnt(0)
	s_barrier
	ds_read2_b32 v[2:3], v112 offset0:8 offset1:9
	ds_read2_b32 v[0:1], v72 offset0:2 offset1:3
	s_waitcnt lgkmcnt(1)
	v_add_u32_e32 v29, v3, v2
	s_waitcnt lgkmcnt(0)
	v_add3_u32 v1, v29, v0, v1
	s_nop 1
	v_mov_b32_dpp v29, v1 row_shr:1 row_mask:0xf bank_mask:0xf
	v_cndmask_b32_e64 v29, v29, 0, s[16:17]
	v_add_u32_e32 v1, v29, v1
	s_nop 1
	v_mov_b32_dpp v29, v1 row_shr:2 row_mask:0xf bank_mask:0xf
	v_cndmask_b32_e64 v29, 0, v29, s[18:19]
	v_add_u32_e32 v1, v1, v29
	;; [unrolled: 4-line block ×4, first 2 shown]
	s_nop 1
	v_mov_b32_dpp v29, v1 row_bcast:15 row_mask:0xf bank_mask:0xf
	v_cndmask_b32_e64 v29, v29, 0, s[24:25]
	v_add_u32_e32 v1, v1, v29
	s_nop 1
	v_mov_b32_dpp v29, v1 row_bcast:31 row_mask:0xf bank_mask:0xf
	v_cndmask_b32_e64 v29, 0, v29, s[26:27]
	v_add_u32_e32 v1, v1, v29
	s_and_saveexec_b64 s[46:47], s[28:29]
	s_cbranch_execz .LBB140_85
; %bb.84:                               ;   in Loop: Header=BB140_67 Depth=1
	ds_write_b32 v70, v1
.LBB140_85:                             ;   in Loop: Header=BB140_67 Depth=1
	s_or_b64 exec, exec, s[46:47]
	s_waitcnt lgkmcnt(0)
	s_barrier
	s_and_saveexec_b64 s[46:47], s[30:31]
	s_cbranch_execz .LBB140_87
; %bb.86:                               ;   in Loop: Header=BB140_67 Depth=1
	ds_read_b32 v29, v69
	s_waitcnt lgkmcnt(0)
	s_nop 0
	v_mov_b32_dpp v30, v29 row_shr:1 row_mask:0xf bank_mask:0xf
	v_cndmask_b32_e64 v30, v30, 0, s[40:41]
	v_add_u32_e32 v29, v30, v29
	s_nop 1
	v_mov_b32_dpp v30, v29 row_shr:2 row_mask:0xf bank_mask:0xf
	v_cndmask_b32_e64 v30, 0, v30, s[42:43]
	v_add_u32_e32 v29, v29, v30
	;; [unrolled: 4-line block ×3, first 2 shown]
	ds_write_b32 v69, v29
.LBB140_87:                             ;   in Loop: Header=BB140_67 Depth=1
	s_or_b64 exec, exec, s[46:47]
	v_mov_b32_e32 v29, 0
	s_waitcnt lgkmcnt(0)
	s_barrier
	s_and_saveexec_b64 s[46:47], s[34:35]
	s_cbranch_execz .LBB140_89
; %bb.88:                               ;   in Loop: Header=BB140_67 Depth=1
	ds_read_b32 v29, v75
.LBB140_89:                             ;   in Loop: Header=BB140_67 Depth=1
	s_or_b64 exec, exec, s[46:47]
	s_waitcnt lgkmcnt(0)
	v_add_u32_e32 v1, v29, v1
	ds_bpermute_b32 v1, v74, v1
	s_cmp_gt_u32 s48, 55
	s_waitcnt lgkmcnt(0)
	v_cndmask_b32_e64 v1, v1, v29, s[36:37]
	v_cndmask_b32_e64 v1, v1, 0, s[38:39]
	v_add_u32_e32 v2, v1, v2
	v_add_u32_e32 v3, v2, v3
	;; [unrolled: 1-line block ×3, first 2 shown]
	ds_write2_b32 v112, v1, v2 offset0:8 offset1:9
	ds_write2_b32 v72, v3, v0 offset0:2 offset1:3
	s_waitcnt lgkmcnt(0)
	s_barrier
	ds_read_b32 v0, v4
	ds_read_b32 v1, v7
	;; [unrolled: 1-line block ×8, first 2 shown]
	s_waitcnt lgkmcnt(7)
	v_add_u32_e32 v83, v0, v5
	s_waitcnt lgkmcnt(6)
	v_add3_u32 v82, v8, v6, v1
	s_waitcnt lgkmcnt(5)
	v_add3_u32 v81, v11, v9, v2
	;; [unrolled: 2-line block ×7, first 2 shown]
	s_cbranch_scc0 .LBB140_66
; %bb.90:
                                        ; implicit-def: $vgpr32_vgpr33
                                        ; implicit-def: $vgpr28_vgpr29
                                        ; implicit-def: $vgpr24_vgpr25
                                        ; implicit-def: $vgpr20_vgpr21
                                        ; implicit-def: $vgpr14_vgpr15
                                        ; implicit-def: $vgpr10_vgpr11
                                        ; implicit-def: $vgpr6_vgpr7
                                        ; implicit-def: $vgpr2_vgpr3
                                        ; implicit-def: $sgpr48_sgpr49
                                        ; implicit-def: $sgpr55
.LBB140_91:
	v_lshlrev_b32_e32 v18, 3, v83
	v_lshlrev_b32_e32 v19, 3, v82
	;; [unrolled: 1-line block ×9, first 2 shown]
	s_barrier
	ds_write_b64 v18, v[64:65]
	ds_write_b64 v19, v[62:63]
	;; [unrolled: 1-line block ×8, first 2 shown]
	s_waitcnt lgkmcnt(0)
	s_barrier
	ds_read2_b64 v[0:3], v26 offset1:1
	ds_read2_b64 v[4:7], v26 offset0:2 offset1:3
	ds_read2_b64 v[8:11], v26 offset0:4 offset1:5
	;; [unrolled: 1-line block ×3, first 2 shown]
	s_waitcnt lgkmcnt(0)
	s_barrier
	ds_write_b64 v18, v[50:51]
	ds_write_b64 v19, v[48:49]
	;; [unrolled: 1-line block ×8, first 2 shown]
	s_waitcnt lgkmcnt(0)
	s_barrier
	ds_read2_b64 v[34:37], v26 offset1:1
	ds_read2_b64 v[38:41], v26 offset0:2 offset1:3
	ds_read2_b64 v[42:45], v26 offset0:4 offset1:5
	;; [unrolled: 1-line block ×3, first 2 shown]
	v_xor_b32_e32 v51, 0x7fffffff, v1
	v_xor_b32_e32 v50, -1, v0
	v_xor_b32_e32 v53, 0x7fffffff, v3
	v_xor_b32_e32 v52, -1, v2
	;; [unrolled: 2-line block ×8, first 2 shown]
.LBB140_92:
	s_waitcnt lgkmcnt(0)
	s_barrier
	ds_write2_b64 v111, v[50:51], v[52:53] offset1:1
	ds_write2_b64 v111, v[54:55], v[56:57] offset0:2 offset1:3
	ds_write2_b64 v111, v[58:59], v[60:61] offset0:4 offset1:5
	;; [unrolled: 1-line block ×3, first 2 shown]
	s_waitcnt lgkmcnt(0)
	s_barrier
	ds_read_b64 v[14:15], v104 offset:4096
	ds_read_b64 v[12:13], v105 offset:8192
	;; [unrolled: 1-line block ×7, first 2 shown]
	v_mov_b32_e32 v67, 0
	v_lshlrev_b64 v[2:3], 3, v[66:67]
	v_mov_b32_e32 v16, s51
	v_add_co_u32_e32 v2, vcc, s33, v2
	v_addc_co_u32_e32 v3, vcc, v16, v3, vcc
	s_and_saveexec_b64 s[16:17], s[0:1]
	s_cbranch_execnz .LBB140_111
; %bb.93:
	s_or_b64 exec, exec, s[16:17]
	s_and_saveexec_b64 s[16:17], s[2:3]
	s_cbranch_execnz .LBB140_112
.LBB140_94:
	s_or_b64 exec, exec, s[16:17]
	s_and_saveexec_b64 s[16:17], s[4:5]
	s_cbranch_execnz .LBB140_113
.LBB140_95:
	s_or_b64 exec, exec, s[16:17]
	s_and_saveexec_b64 s[16:17], s[6:7]
	s_cbranch_execnz .LBB140_114
.LBB140_96:
	s_or_b64 exec, exec, s[16:17]
	s_and_saveexec_b64 s[16:17], s[8:9]
	s_cbranch_execnz .LBB140_115
.LBB140_97:
	s_or_b64 exec, exec, s[16:17]
	s_and_saveexec_b64 s[16:17], s[10:11]
	s_cbranch_execnz .LBB140_116
.LBB140_98:
	s_or_b64 exec, exec, s[16:17]
	s_and_saveexec_b64 s[16:17], s[12:13]
	s_cbranch_execnz .LBB140_117
.LBB140_99:
	s_or_b64 exec, exec, s[16:17]
	s_and_saveexec_b64 s[16:17], s[14:15]
	s_cbranch_execz .LBB140_101
.LBB140_100:
	s_mul_i32 s18, s50, 0xe00
	s_mov_b32 s19, 0
	s_lshl_b64 s[18:19], s[18:19], 3
	s_waitcnt lgkmcnt(1)
	v_mov_b32_e32 v4, s19
	v_add_co_u32_e32 v2, vcc, s18, v2
	v_addc_co_u32_e32 v3, vcc, v3, v4, vcc
	s_waitcnt lgkmcnt(0)
	global_store_dwordx2 v[2:3], v[0:1], off
.LBB140_101:
	s_or_b64 exec, exec, s[16:17]
	s_waitcnt lgkmcnt(0)
	s_barrier
	ds_write2_b64 v111, v[34:35], v[36:37] offset1:1
	ds_write2_b64 v111, v[38:39], v[40:41] offset0:2 offset1:3
	ds_write2_b64 v111, v[42:43], v[44:45] offset0:4 offset1:5
	;; [unrolled: 1-line block ×3, first 2 shown]
	s_waitcnt lgkmcnt(0)
	s_barrier
	ds_read_b64 v[14:15], v104 offset:4096
	ds_read_b64 v[12:13], v105 offset:8192
	;; [unrolled: 1-line block ×7, first 2 shown]
	v_mov_b32_e32 v69, 0
	v_lshlrev_b64 v[2:3], 3, v[68:69]
	v_mov_b32_e32 v16, s56
	v_add_co_u32_e32 v2, vcc, s53, v2
	v_addc_co_u32_e32 v3, vcc, v16, v3, vcc
	s_and_saveexec_b64 s[16:17], s[0:1]
	s_cbranch_execnz .LBB140_118
; %bb.102:
	s_or_b64 exec, exec, s[16:17]
	s_and_saveexec_b64 s[0:1], s[2:3]
	s_cbranch_execnz .LBB140_119
.LBB140_103:
	s_or_b64 exec, exec, s[0:1]
	s_and_saveexec_b64 s[0:1], s[4:5]
	s_cbranch_execnz .LBB140_120
.LBB140_104:
	s_or_b64 exec, exec, s[0:1]
	s_and_saveexec_b64 s[0:1], s[6:7]
	s_cbranch_execnz .LBB140_121
.LBB140_105:
	s_or_b64 exec, exec, s[0:1]
	s_and_saveexec_b64 s[0:1], s[8:9]
	s_cbranch_execnz .LBB140_122
.LBB140_106:
	s_or_b64 exec, exec, s[0:1]
	s_and_saveexec_b64 s[0:1], s[10:11]
	s_cbranch_execnz .LBB140_123
.LBB140_107:
	s_or_b64 exec, exec, s[0:1]
	s_and_saveexec_b64 s[0:1], s[12:13]
	s_cbranch_execnz .LBB140_124
.LBB140_108:
	s_or_b64 exec, exec, s[0:1]
	s_and_saveexec_b64 s[0:1], s[14:15]
	s_cbranch_execz .LBB140_110
.LBB140_109:
	s_mul_i32 s0, s52, 0xe00
	s_mov_b32 s1, 0
	s_lshl_b64 s[0:1], s[0:1], 3
	s_waitcnt lgkmcnt(1)
	v_mov_b32_e32 v4, s1
	v_add_co_u32_e32 v2, vcc, s0, v2
	v_addc_co_u32_e32 v3, vcc, v3, v4, vcc
	s_waitcnt lgkmcnt(0)
	global_store_dwordx2 v[2:3], v[0:1], off
.LBB140_110:
	s_endpgm
.LBB140_111:
	ds_read_b64 v[16:17], v71
	s_waitcnt lgkmcnt(0)
	global_store_dwordx2 v[2:3], v[16:17], off
	s_or_b64 exec, exec, s[16:17]
	s_and_saveexec_b64 s[16:17], s[2:3]
	s_cbranch_execz .LBB140_94
.LBB140_112:
	s_lshl_b32 s18, s50, 9
	s_mov_b32 s19, 0
	s_lshl_b64 s[18:19], s[18:19], 3
	v_mov_b32_e32 v17, s19
	v_add_co_u32_e32 v16, vcc, s18, v2
	v_addc_co_u32_e32 v17, vcc, v3, v17, vcc
	s_waitcnt lgkmcnt(6)
	global_store_dwordx2 v[16:17], v[14:15], off
	s_or_b64 exec, exec, s[16:17]
	s_and_saveexec_b64 s[16:17], s[4:5]
	s_cbranch_execz .LBB140_95
.LBB140_113:
	s_lshl_b32 s18, s50, 10
	s_mov_b32 s19, 0
	s_lshl_b64 s[18:19], s[18:19], 3
	s_waitcnt lgkmcnt(6)
	v_mov_b32_e32 v15, s19
	v_add_co_u32_e32 v14, vcc, s18, v2
	v_addc_co_u32_e32 v15, vcc, v3, v15, vcc
	s_waitcnt lgkmcnt(5)
	global_store_dwordx2 v[14:15], v[12:13], off
	s_or_b64 exec, exec, s[16:17]
	s_and_saveexec_b64 s[16:17], s[6:7]
	s_cbranch_execz .LBB140_96
.LBB140_114:
	s_mul_i32 s18, s50, 0x600
	s_mov_b32 s19, 0
	s_lshl_b64 s[18:19], s[18:19], 3
	s_waitcnt lgkmcnt(5)
	v_mov_b32_e32 v13, s19
	v_add_co_u32_e32 v12, vcc, s18, v2
	v_addc_co_u32_e32 v13, vcc, v3, v13, vcc
	s_waitcnt lgkmcnt(4)
	global_store_dwordx2 v[12:13], v[10:11], off
	s_or_b64 exec, exec, s[16:17]
	s_and_saveexec_b64 s[16:17], s[8:9]
	s_cbranch_execz .LBB140_97
.LBB140_115:
	s_lshl_b32 s18, s50, 11
	s_mov_b32 s19, 0
	s_lshl_b64 s[18:19], s[18:19], 3
	s_waitcnt lgkmcnt(4)
	v_mov_b32_e32 v11, s19
	v_add_co_u32_e32 v10, vcc, s18, v2
	v_addc_co_u32_e32 v11, vcc, v3, v11, vcc
	s_waitcnt lgkmcnt(3)
	global_store_dwordx2 v[10:11], v[8:9], off
	s_or_b64 exec, exec, s[16:17]
	s_and_saveexec_b64 s[16:17], s[10:11]
	s_cbranch_execz .LBB140_98
.LBB140_116:
	s_mul_i32 s18, s50, 0xa00
	s_mov_b32 s19, 0
	s_lshl_b64 s[18:19], s[18:19], 3
	s_waitcnt lgkmcnt(3)
	v_mov_b32_e32 v9, s19
	v_add_co_u32_e32 v8, vcc, s18, v2
	v_addc_co_u32_e32 v9, vcc, v3, v9, vcc
	s_waitcnt lgkmcnt(2)
	global_store_dwordx2 v[8:9], v[6:7], off
	s_or_b64 exec, exec, s[16:17]
	s_and_saveexec_b64 s[16:17], s[12:13]
	s_cbranch_execz .LBB140_99
.LBB140_117:
	s_mul_i32 s18, s50, 0xc00
	s_mov_b32 s19, 0
	s_lshl_b64 s[18:19], s[18:19], 3
	s_waitcnt lgkmcnt(2)
	v_mov_b32_e32 v7, s19
	v_add_co_u32_e32 v6, vcc, s18, v2
	v_addc_co_u32_e32 v7, vcc, v3, v7, vcc
	s_waitcnt lgkmcnt(1)
	global_store_dwordx2 v[6:7], v[4:5], off
	s_or_b64 exec, exec, s[16:17]
	s_and_saveexec_b64 s[16:17], s[14:15]
	s_cbranch_execnz .LBB140_100
	s_branch .LBB140_101
.LBB140_118:
	ds_read_b64 v[16:17], v71
	s_waitcnt lgkmcnt(0)
	global_store_dwordx2 v[2:3], v[16:17], off
	s_or_b64 exec, exec, s[16:17]
	s_and_saveexec_b64 s[0:1], s[2:3]
	s_cbranch_execz .LBB140_103
.LBB140_119:
	s_lshl_b32 s2, s52, 9
	s_mov_b32 s3, 0
	s_lshl_b64 s[2:3], s[2:3], 3
	v_mov_b32_e32 v17, s3
	v_add_co_u32_e32 v16, vcc, s2, v2
	v_addc_co_u32_e32 v17, vcc, v3, v17, vcc
	s_waitcnt lgkmcnt(6)
	global_store_dwordx2 v[16:17], v[14:15], off
	s_or_b64 exec, exec, s[0:1]
	s_and_saveexec_b64 s[0:1], s[4:5]
	s_cbranch_execz .LBB140_104
.LBB140_120:
	s_lshl_b32 s2, s52, 10
	s_mov_b32 s3, 0
	s_lshl_b64 s[2:3], s[2:3], 3
	s_waitcnt lgkmcnt(6)
	v_mov_b32_e32 v15, s3
	v_add_co_u32_e32 v14, vcc, s2, v2
	v_addc_co_u32_e32 v15, vcc, v3, v15, vcc
	s_waitcnt lgkmcnt(5)
	global_store_dwordx2 v[14:15], v[12:13], off
	s_or_b64 exec, exec, s[0:1]
	s_and_saveexec_b64 s[0:1], s[6:7]
	s_cbranch_execz .LBB140_105
.LBB140_121:
	s_mul_i32 s2, s52, 0x600
	s_mov_b32 s3, 0
	s_lshl_b64 s[2:3], s[2:3], 3
	s_waitcnt lgkmcnt(5)
	v_mov_b32_e32 v13, s3
	v_add_co_u32_e32 v12, vcc, s2, v2
	v_addc_co_u32_e32 v13, vcc, v3, v13, vcc
	s_waitcnt lgkmcnt(4)
	global_store_dwordx2 v[12:13], v[10:11], off
	s_or_b64 exec, exec, s[0:1]
	s_and_saveexec_b64 s[0:1], s[8:9]
	s_cbranch_execz .LBB140_106
.LBB140_122:
	s_lshl_b32 s2, s52, 11
	s_mov_b32 s3, 0
	s_lshl_b64 s[2:3], s[2:3], 3
	s_waitcnt lgkmcnt(4)
	v_mov_b32_e32 v11, s3
	v_add_co_u32_e32 v10, vcc, s2, v2
	v_addc_co_u32_e32 v11, vcc, v3, v11, vcc
	s_waitcnt lgkmcnt(3)
	global_store_dwordx2 v[10:11], v[8:9], off
	s_or_b64 exec, exec, s[0:1]
	s_and_saveexec_b64 s[0:1], s[10:11]
	s_cbranch_execz .LBB140_107
.LBB140_123:
	s_mul_i32 s2, s52, 0xa00
	s_mov_b32 s3, 0
	s_lshl_b64 s[2:3], s[2:3], 3
	s_waitcnt lgkmcnt(3)
	v_mov_b32_e32 v9, s3
	v_add_co_u32_e32 v8, vcc, s2, v2
	v_addc_co_u32_e32 v9, vcc, v3, v9, vcc
	s_waitcnt lgkmcnt(2)
	global_store_dwordx2 v[8:9], v[6:7], off
	s_or_b64 exec, exec, s[0:1]
	s_and_saveexec_b64 s[0:1], s[12:13]
	s_cbranch_execz .LBB140_108
.LBB140_124:
	s_mul_i32 s2, s52, 0xc00
	s_mov_b32 s3, 0
	s_lshl_b64 s[2:3], s[2:3], 3
	s_waitcnt lgkmcnt(2)
	v_mov_b32_e32 v7, s3
	v_add_co_u32_e32 v6, vcc, s2, v2
	v_addc_co_u32_e32 v7, vcc, v3, v7, vcc
	s_waitcnt lgkmcnt(1)
	global_store_dwordx2 v[6:7], v[4:5], off
	s_or_b64 exec, exec, s[0:1]
	s_and_saveexec_b64 s[0:1], s[14:15]
	s_cbranch_execnz .LBB140_109
	s_branch .LBB140_110
	.section	.rodata,"a",@progbits
	.p2align	6, 0x0
	.amdhsa_kernel _ZN2at6native18radixSortKVInPlaceILin2ELin1ELi512ELi8ElljEEvNS_4cuda6detail10TensorInfoIT3_T5_EES6_S6_S6_NS4_IT4_S6_EES6_b
		.amdhsa_group_segment_fixed_size 33792
		.amdhsa_private_segment_fixed_size 0
		.amdhsa_kernarg_size 712
		.amdhsa_user_sgpr_count 6
		.amdhsa_user_sgpr_private_segment_buffer 1
		.amdhsa_user_sgpr_dispatch_ptr 0
		.amdhsa_user_sgpr_queue_ptr 0
		.amdhsa_user_sgpr_kernarg_segment_ptr 1
		.amdhsa_user_sgpr_dispatch_id 0
		.amdhsa_user_sgpr_flat_scratch_init 0
		.amdhsa_user_sgpr_kernarg_preload_length 0
		.amdhsa_user_sgpr_kernarg_preload_offset 0
		.amdhsa_user_sgpr_private_segment_size 0
		.amdhsa_uses_dynamic_stack 0
		.amdhsa_system_sgpr_private_segment_wavefront_offset 0
		.amdhsa_system_sgpr_workgroup_id_x 1
		.amdhsa_system_sgpr_workgroup_id_y 1
		.amdhsa_system_sgpr_workgroup_id_z 1
		.amdhsa_system_sgpr_workgroup_info 0
		.amdhsa_system_vgpr_workitem_id 2
		.amdhsa_next_free_vgpr 139
		.amdhsa_next_free_sgpr 62
		.amdhsa_accum_offset 140
		.amdhsa_reserve_vcc 1
		.amdhsa_reserve_flat_scratch 0
		.amdhsa_float_round_mode_32 0
		.amdhsa_float_round_mode_16_64 0
		.amdhsa_float_denorm_mode_32 3
		.amdhsa_float_denorm_mode_16_64 3
		.amdhsa_dx10_clamp 1
		.amdhsa_ieee_mode 1
		.amdhsa_fp16_overflow 0
		.amdhsa_tg_split 0
		.amdhsa_exception_fp_ieee_invalid_op 0
		.amdhsa_exception_fp_denorm_src 0
		.amdhsa_exception_fp_ieee_div_zero 0
		.amdhsa_exception_fp_ieee_overflow 0
		.amdhsa_exception_fp_ieee_underflow 0
		.amdhsa_exception_fp_ieee_inexact 0
		.amdhsa_exception_int_div_zero 0
	.end_amdhsa_kernel
	.section	.text._ZN2at6native18radixSortKVInPlaceILin2ELin1ELi512ELi8ElljEEvNS_4cuda6detail10TensorInfoIT3_T5_EES6_S6_S6_NS4_IT4_S6_EES6_b,"axG",@progbits,_ZN2at6native18radixSortKVInPlaceILin2ELin1ELi512ELi8ElljEEvNS_4cuda6detail10TensorInfoIT3_T5_EES6_S6_S6_NS4_IT4_S6_EES6_b,comdat
.Lfunc_end140:
	.size	_ZN2at6native18radixSortKVInPlaceILin2ELin1ELi512ELi8ElljEEvNS_4cuda6detail10TensorInfoIT3_T5_EES6_S6_S6_NS4_IT4_S6_EES6_b, .Lfunc_end140-_ZN2at6native18radixSortKVInPlaceILin2ELin1ELi512ELi8ElljEEvNS_4cuda6detail10TensorInfoIT3_T5_EES6_S6_S6_NS4_IT4_S6_EES6_b
                                        ; -- End function
	.section	.AMDGPU.csdata,"",@progbits
; Kernel info:
; codeLenInByte = 13136
; NumSgprs: 66
; NumVgprs: 139
; NumAgprs: 0
; TotalNumVgprs: 139
; ScratchSize: 0
; MemoryBound: 0
; FloatMode: 240
; IeeeMode: 1
; LDSByteSize: 33792 bytes/workgroup (compile time only)
; SGPRBlocks: 8
; VGPRBlocks: 17
; NumSGPRsForWavesPerEU: 66
; NumVGPRsForWavesPerEU: 139
; AccumOffset: 140
; Occupancy: 2
; WaveLimiterHint : 1
; COMPUTE_PGM_RSRC2:SCRATCH_EN: 0
; COMPUTE_PGM_RSRC2:USER_SGPR: 6
; COMPUTE_PGM_RSRC2:TRAP_HANDLER: 0
; COMPUTE_PGM_RSRC2:TGID_X_EN: 1
; COMPUTE_PGM_RSRC2:TGID_Y_EN: 1
; COMPUTE_PGM_RSRC2:TGID_Z_EN: 1
; COMPUTE_PGM_RSRC2:TIDIG_COMP_CNT: 2
; COMPUTE_PGM_RSRC3_GFX90A:ACCUM_OFFSET: 34
; COMPUTE_PGM_RSRC3_GFX90A:TG_SPLIT: 0
	.section	.text._ZN2at6native18radixSortKVInPlaceILin2ELin1ELi256ELi8ElljEEvNS_4cuda6detail10TensorInfoIT3_T5_EES6_S6_S6_NS4_IT4_S6_EES6_b,"axG",@progbits,_ZN2at6native18radixSortKVInPlaceILin2ELin1ELi256ELi8ElljEEvNS_4cuda6detail10TensorInfoIT3_T5_EES6_S6_S6_NS4_IT4_S6_EES6_b,comdat
	.protected	_ZN2at6native18radixSortKVInPlaceILin2ELin1ELi256ELi8ElljEEvNS_4cuda6detail10TensorInfoIT3_T5_EES6_S6_S6_NS4_IT4_S6_EES6_b ; -- Begin function _ZN2at6native18radixSortKVInPlaceILin2ELin1ELi256ELi8ElljEEvNS_4cuda6detail10TensorInfoIT3_T5_EES6_S6_S6_NS4_IT4_S6_EES6_b
	.globl	_ZN2at6native18radixSortKVInPlaceILin2ELin1ELi256ELi8ElljEEvNS_4cuda6detail10TensorInfoIT3_T5_EES6_S6_S6_NS4_IT4_S6_EES6_b
	.p2align	8
	.type	_ZN2at6native18radixSortKVInPlaceILin2ELin1ELi256ELi8ElljEEvNS_4cuda6detail10TensorInfoIT3_T5_EES6_S6_S6_NS4_IT4_S6_EES6_b,@function
_ZN2at6native18radixSortKVInPlaceILin2ELin1ELi256ELi8ElljEEvNS_4cuda6detail10TensorInfoIT3_T5_EES6_S6_S6_NS4_IT4_S6_EES6_b: ; @_ZN2at6native18radixSortKVInPlaceILin2ELin1ELi256ELi8ElljEEvNS_4cuda6detail10TensorInfoIT3_T5_EES6_S6_S6_NS4_IT4_S6_EES6_b
; %bb.0:
	s_load_dwordx2 s[0:1], s[4:5], 0x1c8
	s_load_dwordx4 s[44:47], s[4:5], 0xd8
	s_add_u32 s50, s4, 0x1c8
	s_addc_u32 s51, s5, 0
	s_waitcnt lgkmcnt(0)
	s_mul_i32 s1, s1, s8
	s_add_i32 s1, s1, s7
	s_mul_i32 s0, s1, s0
	s_add_i32 s6, s0, s6
	s_cmp_ge_u32 s6, s44
	s_cbranch_scc1 .LBB141_110
; %bb.1:
	s_load_dword s2, s[4:5], 0x1b8
	s_load_dwordx2 s[0:1], s[4:5], 0x0
	s_add_u32 s22, s4, 0xe8
	s_addc_u32 s23, s5, 0
	s_mov_b32 s21, 0
	s_waitcnt lgkmcnt(0)
	s_cmp_lt_i32 s2, 2
	s_mov_b32 s20, s6
	s_cbranch_scc1 .LBB141_4
; %bb.2:
	s_add_i32 s20, s2, -1
	s_add_i32 s7, s2, 1
	s_lshl_b64 s[2:3], s[20:21], 2
	s_add_u32 s2, s2, s22
	s_addc_u32 s3, s3, s23
	s_add_u32 s2, s2, 8
	s_addc_u32 s3, s3, 0
	s_mov_b32 s20, s6
.LBB141_3:                              ; =>This Inner Loop Header: Depth=1
	s_load_dword s8, s[2:3], 0x0
	s_load_dword s10, s[2:3], 0x64
	s_mov_b32 s9, s20
	s_waitcnt lgkmcnt(0)
	v_cvt_f32_u32_e32 v1, s8
	s_sub_i32 s11, 0, s8
	v_rcp_iflag_f32_e32 v1, v1
	v_mul_f32_e32 v1, 0x4f7ffffe, v1
	v_cvt_u32_f32_e32 v1, v1
	v_readfirstlane_b32 s12, v1
	s_mul_i32 s11, s11, s12
	s_mul_hi_u32 s11, s12, s11
	s_add_i32 s12, s12, s11
	s_mul_hi_u32 s11, s20, s12
	s_mul_i32 s12, s11, s8
	s_sub_i32 s12, s20, s12
	s_add_i32 s13, s11, 1
	s_sub_i32 s14, s12, s8
	s_cmp_ge_u32 s12, s8
	s_cselect_b32 s11, s13, s11
	s_cselect_b32 s12, s14, s12
	s_add_i32 s13, s11, 1
	s_cmp_ge_u32 s12, s8
	s_cselect_b32 s20, s13, s11
	s_mul_i32 s8, s20, s8
	s_sub_i32 s8, s9, s8
	s_mul_i32 s8, s10, s8
	s_add_i32 s7, s7, -1
	s_add_i32 s21, s8, s21
	s_add_u32 s2, s2, -4
	s_addc_u32 s3, s3, -1
	s_cmp_gt_u32 s7, 2
	s_cbranch_scc1 .LBB141_3
.LBB141_4:
	s_load_dword s2, s[4:5], 0x6c
	s_load_dwordx2 s[48:49], s[4:5], 0x1c0
	s_mov_b32 s3, 0
	v_and_b32_e32 v70, 0x3ff, v0
	v_mul_lo_u32 v66, v70, s46
	s_waitcnt lgkmcnt(0)
	s_mul_i32 s2, s2, s6
	s_bitcmp1_b32 s49, 0
	s_cselect_b64 s[34:35], -1, 0
	s_brev_b32 s6, 1
	s_and_b64 s[4:5], s[34:35], exec
	s_cselect_b32 s4, 0, -1
	s_cselect_b32 s5, s6, 0x7fffffff
	s_lshl_b64 s[2:3], s[2:3], 3
	s_add_u32 s33, s0, s2
	s_mov_b32 s6, s4
	s_mov_b32 s7, s5
	;; [unrolled: 1-line block ×14, first 2 shown]
	v_pk_mov_b32 v[2:3], s[4:5], s[4:5] op_sel:[0,1]
	s_addc_u32 s47, s1, s3
	v_cmp_gt_u32_e64 s[0:1], s45, v70
	v_pk_mov_b32 v[4:5], s[6:7], s[6:7] op_sel:[0,1]
	v_pk_mov_b32 v[6:7], s[8:9], s[8:9] op_sel:[0,1]
	;; [unrolled: 1-line block ×8, first 2 shown]
	s_and_saveexec_b64 s[2:3], s[0:1]
	s_cbranch_execz .LBB141_6
; %bb.5:
	v_mov_b32_e32 v67, 0
	v_lshlrev_b64 v[2:3], 3, v[66:67]
	v_mov_b32_e32 v1, s47
	v_add_co_u32_e32 v2, vcc, s33, v2
	v_addc_co_u32_e32 v3, vcc, v1, v3, vcc
	global_load_dwordx2 v[18:19], v[2:3], off
	v_pk_mov_b32 v[2:3], s[4:5], s[4:5] op_sel:[0,1]
	v_pk_mov_b32 v[4:5], s[6:7], s[6:7] op_sel:[0,1]
	;; [unrolled: 1-line block ×8, first 2 shown]
.LBB141_6:
	s_or_b64 exec, exec, s[2:3]
	v_add_u32_e32 v1, 0x100, v70
	v_cmp_gt_u32_e64 s[2:3], s45, v1
	s_and_saveexec_b64 s[4:5], s[2:3]
	s_cbranch_execz .LBB141_8
; %bb.7:
	v_mul_lo_u32 v2, v1, s46
	v_mov_b32_e32 v3, 0
	v_lshlrev_b64 v[2:3], 3, v[2:3]
	v_mov_b32_e32 v4, s47
	v_add_co_u32_e32 v2, vcc, s33, v2
	v_addc_co_u32_e32 v3, vcc, v4, v3, vcc
	global_load_dwordx2 v[4:5], v[2:3], off
.LBB141_8:
	s_or_b64 exec, exec, s[4:5]
	v_add_u32_e32 v34, 0x200, v70
	v_cmp_gt_u32_e64 s[4:5], s45, v34
	s_and_saveexec_b64 s[6:7], s[4:5]
	s_cbranch_execz .LBB141_10
; %bb.9:
	v_mul_lo_u32 v2, v34, s46
	v_mov_b32_e32 v3, 0
	v_lshlrev_b64 v[2:3], 3, v[2:3]
	v_mov_b32_e32 v6, s47
	v_add_co_u32_e32 v2, vcc, s33, v2
	v_addc_co_u32_e32 v3, vcc, v6, v3, vcc
	global_load_dwordx2 v[6:7], v[2:3], off
.LBB141_10:
	;; [unrolled: 14-line block ×3, first 2 shown]
	s_or_b64 exec, exec, s[8:9]
	v_or_b32_e32 v36, 0x400, v70
	v_cmp_gt_u32_e64 s[8:9], s45, v36
	s_and_saveexec_b64 s[10:11], s[8:9]
	s_cbranch_execz .LBB141_14
; %bb.13:
	v_mul_lo_u32 v2, v36, s46
	v_mov_b32_e32 v3, 0
	v_lshlrev_b64 v[2:3], 3, v[2:3]
	v_mov_b32_e32 v10, s47
	v_add_co_u32_e32 v2, vcc, s33, v2
	v_addc_co_u32_e32 v3, vcc, v10, v3, vcc
	global_load_dwordx2 v[10:11], v[2:3], off
.LBB141_14:
	s_or_b64 exec, exec, s[10:11]
	v_add_u32_e32 v37, 0x500, v70
	v_cmp_gt_u32_e64 s[10:11], s45, v37
	s_and_saveexec_b64 s[12:13], s[10:11]
	s_cbranch_execz .LBB141_16
; %bb.15:
	v_mul_lo_u32 v2, v37, s46
	v_mov_b32_e32 v3, 0
	v_lshlrev_b64 v[2:3], 3, v[2:3]
	v_mov_b32_e32 v12, s47
	v_add_co_u32_e32 v2, vcc, s33, v2
	v_addc_co_u32_e32 v3, vcc, v12, v3, vcc
	global_load_dwordx2 v[12:13], v[2:3], off
.LBB141_16:
	s_or_b64 exec, exec, s[12:13]
	s_load_dwordx2 s[18:19], s[22:23], 0x0
	v_add_u32_e32 v38, 0x600, v70
	v_cmp_gt_u32_e64 s[12:13], s45, v38
	s_and_saveexec_b64 s[14:15], s[12:13]
	s_cbranch_execz .LBB141_18
; %bb.17:
	v_mul_lo_u32 v2, v38, s46
	v_mov_b32_e32 v3, 0
	v_lshlrev_b64 v[2:3], 3, v[2:3]
	v_mov_b32_e32 v14, s47
	v_add_co_u32_e32 v2, vcc, s33, v2
	v_addc_co_u32_e32 v3, vcc, v14, v3, vcc
	global_load_dwordx2 v[14:15], v[2:3], off
.LBB141_18:
	s_or_b64 exec, exec, s[14:15]
	s_load_dword s22, s[22:23], 0x6c
	v_add_u32_e32 v39, 0x700, v70
	v_cmp_gt_u32_e64 s[14:15], s45, v39
	s_and_saveexec_b64 s[16:17], s[14:15]
	s_cbranch_execz .LBB141_20
; %bb.19:
	v_mul_lo_u32 v2, v39, s46
	v_mov_b32_e32 v3, 0
	v_lshlrev_b64 v[2:3], 3, v[2:3]
	v_mov_b32_e32 v16, s47
	v_add_co_u32_e32 v2, vcc, s33, v2
	v_addc_co_u32_e32 v3, vcc, v16, v3, vcc
	global_load_dwordx2 v[16:17], v[2:3], off
.LBB141_20:
	s_or_b64 exec, exec, s[16:17]
	v_lshrrev_b32_e32 v2, 5, v70
	v_add_lshl_u32 v71, v2, v70, 3
	v_lshrrev_b32_e32 v2, 5, v1
	v_add_lshl_u32 v104, v2, v70, 3
	;; [unrolled: 2-line block ×8, first 2 shown]
	v_lshlrev_b32_e32 v67, 3, v70
	v_lshrrev_b32_e32 v2, 2, v70
	v_add_lshl_u32 v111, v2, v67, 3
	s_waitcnt vmcnt(0)
	ds_write_b64 v71, v[18:19]
	ds_write_b64 v104, v[4:5] offset:2048
	ds_write_b64 v105, v[6:7] offset:4096
	;; [unrolled: 1-line block ×7, first 2 shown]
	s_waitcnt lgkmcnt(0)
	s_barrier
	ds_read2_b64 v[30:33], v111 offset1:1
	ds_read2_b64 v[26:29], v111 offset0:2 offset1:3
	ds_read2_b64 v[22:25], v111 offset0:4 offset1:5
	;; [unrolled: 1-line block ×3, first 2 shown]
	s_mul_i32 s16, s22, s20
	s_add_i32 s16, s16, s21
	s_mov_b32 s17, 0
	s_lshl_b64 s[20:21], s[16:17], 3
	s_add_u32 s49, s18, s20
	s_mov_b32 s16, s17
	s_addc_u32 s54, s19, s21
	s_mov_b32 s18, s17
	s_mov_b32 s19, s17
	;; [unrolled: 1-line block ×14, first 2 shown]
	v_pk_mov_b32 v[2:3], s[16:17], s[16:17] op_sel:[0,1]
	v_pk_mov_b32 v[4:5], s[18:19], s[18:19] op_sel:[0,1]
	;; [unrolled: 1-line block ×8, first 2 shown]
	v_pk_mov_b32 v[2:3], 0, 0
	v_mul_lo_u32 v68, v70, s48
	s_waitcnt lgkmcnt(0)
	s_barrier
	s_and_saveexec_b64 s[16:17], s[0:1]
	s_cbranch_execnz .LBB141_57
; %bb.21:
	s_or_b64 exec, exec, s[16:17]
	s_and_saveexec_b64 s[16:17], s[2:3]
	s_cbranch_execnz .LBB141_58
.LBB141_22:
	s_or_b64 exec, exec, s[16:17]
	s_and_saveexec_b64 s[16:17], s[4:5]
	s_cbranch_execnz .LBB141_59
.LBB141_23:
	s_or_b64 exec, exec, s[16:17]
	s_and_saveexec_b64 s[16:17], s[6:7]
	s_cbranch_execnz .LBB141_60
.LBB141_24:
	s_or_b64 exec, exec, s[16:17]
	s_and_saveexec_b64 s[16:17], s[8:9]
	s_cbranch_execnz .LBB141_61
.LBB141_25:
	s_or_b64 exec, exec, s[16:17]
	s_and_saveexec_b64 s[16:17], s[10:11]
	s_cbranch_execnz .LBB141_62
.LBB141_26:
	s_or_b64 exec, exec, s[16:17]
	s_and_saveexec_b64 s[16:17], s[12:13]
	s_cbranch_execnz .LBB141_63
.LBB141_27:
	s_or_b64 exec, exec, s[16:17]
	s_xor_b64 s[16:17], s[34:35], -1
	s_and_saveexec_b64 s[18:19], s[14:15]
	s_cbranch_execz .LBB141_29
.LBB141_28:
	v_mul_lo_u32 v16, v39, s48
	v_mov_b32_e32 v17, 0
	v_lshlrev_b64 v[16:17], 3, v[16:17]
	v_mov_b32_e32 v1, s54
	v_add_co_u32_e32 v16, vcc, s49, v16
	v_addc_co_u32_e32 v17, vcc, v1, v17, vcc
	global_load_dwordx2 v[16:17], v[16:17], off
.LBB141_29:
	s_or_b64 exec, exec, s[18:19]
	s_waitcnt vmcnt(0)
	ds_write_b64 v71, v[2:3]
	ds_write_b64 v104, v[4:5] offset:2048
	ds_write_b64 v105, v[6:7] offset:4096
	;; [unrolled: 1-line block ×7, first 2 shown]
	s_waitcnt lgkmcnt(0)
	s_barrier
	ds_read2_b64 v[14:17], v111 offset1:1
	ds_read2_b64 v[10:13], v111 offset0:2 offset1:3
	ds_read2_b64 v[6:9], v111 offset0:4 offset1:5
	;; [unrolled: 1-line block ×3, first 2 shown]
	v_mbcnt_lo_u32_b32 v1, -1, 0
	v_mbcnt_hi_u32_b32 v113, -1, v1
	v_and_b32_e32 v1, 0x1e00, v67
	v_and_b32_e32 v114, 0x3c0, v70
	v_or_b32_e32 v34, v113, v1
	v_add_lshl_u32 v125, v113, v114, 6
	v_lshlrev_b32_e32 v124, 3, v34
	s_and_b64 vcc, exec, s[16:17]
	v_bfe_u32 v122, v0, 10, 10
	v_bfe_u32 v123, v0, 20, 10
	v_lshlrev_b32_e32 v69, 2, v70
	v_lshlrev_b32_e32 v112, 4, v70
	v_and_b32_e32 v120, 15, v113
	v_and_b32_e32 v121, 16, v113
	v_cmp_lt_u32_e64 s[16:17], 31, v113
	v_cmp_gt_u32_e64 s[18:19], 4, v70
	v_cmp_lt_u32_e64 s[20:21], 63, v70
	v_add_u32_e32 v117, -1, v113
	v_and_b32_e32 v119, 64, v113
	v_cmp_eq_u32_e64 s[22:23], 0, v113
	v_cmp_eq_u32_e64 s[24:25], 0, v70
	v_lshrrev_b32_e32 v118, 4, v70
	v_and_b32_e32 v116, 3, v113
	v_and_or_b32 v115, v113, 63, v1
	s_waitcnt lgkmcnt(0)
	s_barrier
	s_cbranch_vccz .LBB141_64
; %bb.30:
	v_xor_b32_e32 v1, 0x80000000, v31
	v_xor_b32_e32 v35, 0x80000000, v33
	;; [unrolled: 1-line block ×8, first 2 shown]
	v_mov_b32_e32 v0, v30
	v_mov_b32_e32 v34, v32
	;; [unrolled: 1-line block ×8, first 2 shown]
	ds_write2_b64 v125, v[0:1], v[34:35] offset1:1
	ds_write2_b64 v125, v[36:37], v[38:39] offset0:2 offset1:3
	ds_write2_b64 v125, v[40:41], v[42:43] offset0:4 offset1:5
	;; [unrolled: 1-line block ×3, first 2 shown]
	; wave barrier
	ds_read2st64_b64 v[34:37], v124 offset1:1
	ds_read2st64_b64 v[38:41], v124 offset0:2 offset1:3
	ds_read2st64_b64 v[42:45], v124 offset0:4 offset1:5
	;; [unrolled: 1-line block ×3, first 2 shown]
	; wave barrier
	ds_write2_b64 v125, v[14:15], v[16:17] offset1:1
	ds_write2_b64 v125, v[10:11], v[12:13] offset0:2 offset1:3
	ds_write2_b64 v125, v[6:7], v[8:9] offset0:4 offset1:5
	;; [unrolled: 1-line block ×3, first 2 shown]
	; wave barrier
	ds_read2st64_b64 v[50:53], v124 offset1:1
	ds_read2st64_b64 v[54:57], v124 offset0:2 offset1:3
	ds_read2st64_b64 v[58:61], v124 offset0:4 offset1:5
	;; [unrolled: 1-line block ×3, first 2 shown]
	s_waitcnt lgkmcnt(0)
	s_barrier
	s_load_dword s28, s[50:51], 0xc
	s_getpc_b64 s[26:27]
	s_add_u32 s26, s26, _ZN7rocprim17ROCPRIM_400000_NS16block_radix_sortIlLj256ELj8ElLj1ELj1ELj0ELNS0_26block_radix_rank_algorithmE1ELNS0_18block_padding_hintE2ELNS0_4arch9wavefront6targetE1EE19radix_bits_per_passE@rel32@lo+4
	s_addc_u32 s27, s27, _ZN7rocprim17ROCPRIM_400000_NS16block_radix_sortIlLj256ELj8ElLj1ELj1ELj0ELNS0_26block_radix_rank_algorithmE1ELNS0_18block_padding_hintE2ELNS0_4arch9wavefront6targetE1EE19radix_bits_per_passE@rel32@hi+12
	s_load_dword s55, s[26:27], 0x0
	v_cmp_lt_i32_e32 vcc, v117, v119
	v_and_b32_e32 v129, 60, v118
	s_waitcnt lgkmcnt(0)
	s_lshr_b32 s26, s28, 16
	s_and_b32 s27, s28, 0xffff
	v_mad_u32_u24 v0, v123, s26, v122
	v_mad_u64_u32 v[0:1], s[26:27], v0, s27, v[70:71]
	v_lshrrev_b32_e32 v127, 6, v0
	v_min_u32_e32 v0, 0xc0, v114
	v_or_b32_e32 v0, 63, v0
	v_cmp_eq_u32_e64 s[38:39], v0, v70
	v_cndmask_b32_e32 v0, v117, v113, vcc
	v_add_u32_e32 v126, 16, v112
	v_cmp_eq_u32_e64 s[26:27], 0, v120
	v_cmp_lt_u32_e64 s[28:29], 1, v120
	v_cmp_lt_u32_e64 s[30:31], 3, v120
	;; [unrolled: 1-line block ×3, first 2 shown]
	v_cmp_eq_u32_e64 s[36:37], 0, v121
	s_mov_b32 s56, 64
	v_lshlrev_b32_e32 v128, 2, v0
	v_cmp_eq_u32_e64 s[40:41], 0, v116
	v_cmp_lt_u32_e64 s[42:43], 1, v116
	v_add_u32_e32 v130, -4, v129
	v_lshlrev_b32_e32 v131, 3, v115
	s_mov_b64 s[52:53], 0
	v_mov_b32_e32 v86, 0
	s_branch .LBB141_32
.LBB141_31:                             ;   in Loop: Header=BB141_32 Depth=1
	v_lshlrev_b32_e32 v50, 3, v138
	v_lshlrev_b32_e32 v51, 3, v137
	v_lshlrev_b32_e32 v52, 3, v136
	v_lshlrev_b32_e32 v53, 3, v135
	v_lshlrev_b32_e32 v54, 3, v134
	v_lshlrev_b32_e32 v55, 3, v132
	v_lshlrev_b32_e32 v56, 3, v87
	v_lshlrev_b32_e32 v57, 3, v133
	s_barrier
	ds_write_b64 v50, v[102:103]
	ds_write_b64 v51, v[100:101]
	;; [unrolled: 1-line block ×8, first 2 shown]
	s_waitcnt lgkmcnt(0)
	s_barrier
	ds_read2st64_b64 v[34:37], v131 offset1:1
	ds_read2st64_b64 v[38:41], v131 offset0:2 offset1:3
	ds_read2st64_b64 v[42:45], v131 offset0:4 offset1:5
	;; [unrolled: 1-line block ×3, first 2 shown]
	s_waitcnt lgkmcnt(0)
	s_barrier
	ds_write_b64 v50, v[84:85]
	ds_write_b64 v51, v[82:83]
	;; [unrolled: 1-line block ×8, first 2 shown]
	s_waitcnt lgkmcnt(0)
	s_barrier
	ds_read2st64_b64 v[50:53], v131 offset1:1
	ds_read2st64_b64 v[54:57], v131 offset0:2 offset1:3
	ds_read2st64_b64 v[58:61], v131 offset0:4 offset1:5
	;; [unrolled: 1-line block ×3, first 2 shown]
	s_add_u32 s52, s52, 8
	s_addc_u32 s53, s53, 0
	s_add_i32 s56, s56, -8
	s_waitcnt lgkmcnt(0)
	s_barrier
	s_cbranch_execz .LBB141_56
.LBB141_32:                             ; =>This Inner Loop Header: Depth=1
	s_min_u32 s44, s55, s56
	v_pk_mov_b32 v[102:103], v[34:35], v[34:35] op_sel:[0,1]
	s_lshl_b32 s44, -1, s44
	s_not_b32 s57, s44
	v_lshrrev_b64 v[34:35], s52, v[102:103]
	v_and_b32_e32 v34, s57, v34
	v_lshl_add_u32 v35, v34, 2, v127
	v_pk_mov_b32 v[98:99], v[38:39], v[38:39] op_sel:[0,1]
	v_lshl_add_u32 v38, v35, 2, 16
	v_and_b32_e32 v35, 1, v34
	v_pk_mov_b32 v[100:101], v[36:37], v[36:37] op_sel:[0,1]
	v_add_co_u32_e32 v36, vcc, -1, v35
	v_addc_co_u32_e64 v37, s[44:45], 0, -1, vcc
	v_cmp_ne_u32_e32 vcc, 0, v35
	v_lshlrev_b32_e32 v87, 30, v34
	v_xor_b32_e32 v35, vcc_hi, v37
	v_not_b32_e32 v37, v87
	v_xor_b32_e32 v36, vcc_lo, v36
	v_cmp_gt_i64_e32 vcc, 0, v[86:87]
	v_ashrrev_i32_e32 v37, 31, v37
	v_and_b32_e32 v36, exec_lo, v36
	v_xor_b32_e32 v39, vcc_hi, v37
	v_xor_b32_e32 v37, vcc_lo, v37
	v_lshlrev_b32_e32 v87, 29, v34
	v_and_b32_e32 v36, v36, v37
	v_not_b32_e32 v37, v87
	v_and_b32_e32 v35, exec_hi, v35
	v_cmp_gt_i64_e32 vcc, 0, v[86:87]
	v_ashrrev_i32_e32 v37, 31, v37
	v_and_b32_e32 v35, v35, v39
	v_xor_b32_e32 v39, vcc_hi, v37
	v_xor_b32_e32 v37, vcc_lo, v37
	v_lshlrev_b32_e32 v87, 28, v34
	v_and_b32_e32 v36, v36, v37
	v_not_b32_e32 v37, v87
	v_cmp_gt_i64_e32 vcc, 0, v[86:87]
	v_ashrrev_i32_e32 v37, 31, v37
	v_and_b32_e32 v35, v35, v39
	v_xor_b32_e32 v39, vcc_hi, v37
	v_xor_b32_e32 v37, vcc_lo, v37
	v_lshlrev_b32_e32 v87, 27, v34
	v_and_b32_e32 v36, v36, v37
	v_not_b32_e32 v37, v87
	;; [unrolled: 8-line block ×3, first 2 shown]
	v_cmp_gt_i64_e32 vcc, 0, v[86:87]
	v_ashrrev_i32_e32 v37, 31, v37
	v_and_b32_e32 v35, v35, v39
	v_xor_b32_e32 v39, vcc_hi, v37
	v_xor_b32_e32 v37, vcc_lo, v37
	v_lshlrev_b32_e32 v87, 25, v34
	v_and_b32_e32 v36, v36, v37
	v_cmp_gt_i64_e32 vcc, 0, v[86:87]
	v_not_b32_e32 v37, v87
	v_lshlrev_b32_e32 v87, 24, v34
	v_ashrrev_i32_e32 v37, 31, v37
	v_not_b32_e32 v34, v87
	v_and_b32_e32 v35, v35, v39
	v_xor_b32_e32 v39, vcc_hi, v37
	v_xor_b32_e32 v37, vcc_lo, v37
	v_cmp_gt_i64_e32 vcc, 0, v[86:87]
	v_ashrrev_i32_e32 v34, 31, v34
	v_and_b32_e32 v36, v36, v37
	v_xor_b32_e32 v37, vcc_hi, v34
	v_xor_b32_e32 v34, vcc_lo, v34
	v_and_b32_e32 v35, v35, v39
	v_and_b32_e32 v34, v36, v34
	;; [unrolled: 1-line block ×3, first 2 shown]
	v_mbcnt_lo_u32_b32 v36, v34, 0
	v_mbcnt_hi_u32_b32 v39, v35, v36
	v_cmp_eq_u32_e32 vcc, 0, v39
	v_cmp_ne_u64_e64 s[44:45], 0, v[34:35]
	v_pk_mov_b32 v[88:89], v[48:49], v[48:49] op_sel:[0,1]
	v_pk_mov_b32 v[90:91], v[46:47], v[46:47] op_sel:[0,1]
	;; [unrolled: 1-line block ×13, first 2 shown]
	s_and_b64 s[58:59], s[44:45], vcc
	ds_write2_b32 v112, v86, v86 offset0:4 offset1:5
	ds_write2_b32 v126, v86, v86 offset0:2 offset1:3
	s_waitcnt lgkmcnt(0)
	s_barrier
	s_waitcnt lgkmcnt(0)
	; wave barrier
	s_and_saveexec_b64 s[44:45], s[58:59]
	s_cbranch_execz .LBB141_34
; %bb.33:                               ;   in Loop: Header=BB141_32 Depth=1
	v_bcnt_u32_b32 v34, v34, 0
	v_bcnt_u32_b32 v34, v35, v34
	ds_write_b32 v38, v34
.LBB141_34:                             ;   in Loop: Header=BB141_32 Depth=1
	s_or_b64 exec, exec, s[44:45]
	v_lshrrev_b64 v[34:35], s52, v[100:101]
	v_and_b32_e32 v34, s57, v34
	v_lshlrev_b32_e32 v35, 2, v34
	v_add_lshl_u32 v35, v35, v127, 2
	; wave barrier
	v_add_u32_e32 v41, 16, v35
	ds_read_b32 v40, v35 offset:16
	v_and_b32_e32 v35, 1, v34
	v_add_co_u32_e32 v36, vcc, -1, v35
	v_addc_co_u32_e64 v37, s[44:45], 0, -1, vcc
	v_cmp_ne_u32_e32 vcc, 0, v35
	v_lshlrev_b32_e32 v87, 30, v34
	v_xor_b32_e32 v35, vcc_hi, v37
	v_not_b32_e32 v37, v87
	v_xor_b32_e32 v36, vcc_lo, v36
	v_cmp_gt_i64_e32 vcc, 0, v[86:87]
	v_ashrrev_i32_e32 v37, 31, v37
	v_and_b32_e32 v36, exec_lo, v36
	v_xor_b32_e32 v42, vcc_hi, v37
	v_xor_b32_e32 v37, vcc_lo, v37
	v_lshlrev_b32_e32 v87, 29, v34
	v_and_b32_e32 v36, v36, v37
	v_not_b32_e32 v37, v87
	v_and_b32_e32 v35, exec_hi, v35
	v_cmp_gt_i64_e32 vcc, 0, v[86:87]
	v_ashrrev_i32_e32 v37, 31, v37
	v_and_b32_e32 v35, v35, v42
	v_xor_b32_e32 v42, vcc_hi, v37
	v_xor_b32_e32 v37, vcc_lo, v37
	v_lshlrev_b32_e32 v87, 28, v34
	v_and_b32_e32 v36, v36, v37
	v_not_b32_e32 v37, v87
	v_cmp_gt_i64_e32 vcc, 0, v[86:87]
	v_ashrrev_i32_e32 v37, 31, v37
	v_and_b32_e32 v35, v35, v42
	v_xor_b32_e32 v42, vcc_hi, v37
	v_xor_b32_e32 v37, vcc_lo, v37
	v_lshlrev_b32_e32 v87, 27, v34
	v_and_b32_e32 v36, v36, v37
	v_not_b32_e32 v37, v87
	;; [unrolled: 8-line block ×3, first 2 shown]
	v_cmp_gt_i64_e32 vcc, 0, v[86:87]
	v_ashrrev_i32_e32 v37, 31, v37
	v_and_b32_e32 v35, v35, v42
	v_xor_b32_e32 v42, vcc_hi, v37
	v_xor_b32_e32 v37, vcc_lo, v37
	v_lshlrev_b32_e32 v87, 25, v34
	v_and_b32_e32 v36, v36, v37
	v_cmp_gt_i64_e32 vcc, 0, v[86:87]
	v_not_b32_e32 v37, v87
	v_lshlrev_b32_e32 v87, 24, v34
	v_ashrrev_i32_e32 v37, 31, v37
	v_not_b32_e32 v34, v87
	v_and_b32_e32 v35, v35, v42
	v_xor_b32_e32 v42, vcc_hi, v37
	v_xor_b32_e32 v37, vcc_lo, v37
	v_cmp_gt_i64_e32 vcc, 0, v[86:87]
	v_ashrrev_i32_e32 v34, 31, v34
	v_and_b32_e32 v36, v36, v37
	v_xor_b32_e32 v37, vcc_hi, v34
	v_xor_b32_e32 v34, vcc_lo, v34
	v_and_b32_e32 v35, v35, v42
	v_and_b32_e32 v34, v36, v34
	;; [unrolled: 1-line block ×3, first 2 shown]
	v_mbcnt_lo_u32_b32 v36, v34, 0
	v_mbcnt_hi_u32_b32 v42, v35, v36
	v_cmp_eq_u32_e32 vcc, 0, v42
	v_cmp_ne_u64_e64 s[44:45], 0, v[34:35]
	s_and_b64 s[58:59], s[44:45], vcc
	; wave barrier
	s_and_saveexec_b64 s[44:45], s[58:59]
	s_cbranch_execz .LBB141_36
; %bb.35:                               ;   in Loop: Header=BB141_32 Depth=1
	v_bcnt_u32_b32 v34, v34, 0
	v_bcnt_u32_b32 v34, v35, v34
	s_waitcnt lgkmcnt(0)
	v_add_u32_e32 v34, v40, v34
	ds_write_b32 v41, v34
.LBB141_36:                             ;   in Loop: Header=BB141_32 Depth=1
	s_or_b64 exec, exec, s[44:45]
	v_lshrrev_b64 v[34:35], s52, v[98:99]
	v_and_b32_e32 v34, s57, v34
	v_lshlrev_b32_e32 v35, 2, v34
	v_add_lshl_u32 v35, v35, v127, 2
	; wave barrier
	v_add_u32_e32 v44, 16, v35
	ds_read_b32 v43, v35 offset:16
	v_and_b32_e32 v35, 1, v34
	v_add_co_u32_e32 v36, vcc, -1, v35
	v_addc_co_u32_e64 v37, s[44:45], 0, -1, vcc
	v_cmp_ne_u32_e32 vcc, 0, v35
	v_lshlrev_b32_e32 v87, 30, v34
	v_xor_b32_e32 v35, vcc_hi, v37
	v_not_b32_e32 v37, v87
	v_xor_b32_e32 v36, vcc_lo, v36
	v_cmp_gt_i64_e32 vcc, 0, v[86:87]
	v_ashrrev_i32_e32 v37, 31, v37
	v_and_b32_e32 v36, exec_lo, v36
	v_xor_b32_e32 v45, vcc_hi, v37
	v_xor_b32_e32 v37, vcc_lo, v37
	v_lshlrev_b32_e32 v87, 29, v34
	v_and_b32_e32 v36, v36, v37
	v_not_b32_e32 v37, v87
	v_and_b32_e32 v35, exec_hi, v35
	v_cmp_gt_i64_e32 vcc, 0, v[86:87]
	v_ashrrev_i32_e32 v37, 31, v37
	v_and_b32_e32 v35, v35, v45
	v_xor_b32_e32 v45, vcc_hi, v37
	v_xor_b32_e32 v37, vcc_lo, v37
	v_lshlrev_b32_e32 v87, 28, v34
	v_and_b32_e32 v36, v36, v37
	v_not_b32_e32 v37, v87
	v_cmp_gt_i64_e32 vcc, 0, v[86:87]
	v_ashrrev_i32_e32 v37, 31, v37
	v_and_b32_e32 v35, v35, v45
	v_xor_b32_e32 v45, vcc_hi, v37
	v_xor_b32_e32 v37, vcc_lo, v37
	v_lshlrev_b32_e32 v87, 27, v34
	v_and_b32_e32 v36, v36, v37
	v_not_b32_e32 v37, v87
	v_cmp_gt_i64_e32 vcc, 0, v[86:87]
	v_ashrrev_i32_e32 v37, 31, v37
	v_and_b32_e32 v35, v35, v45
	v_xor_b32_e32 v45, vcc_hi, v37
	v_xor_b32_e32 v37, vcc_lo, v37
	v_lshlrev_b32_e32 v87, 26, v34
	v_and_b32_e32 v36, v36, v37
	v_not_b32_e32 v37, v87
	v_cmp_gt_i64_e32 vcc, 0, v[86:87]
	v_ashrrev_i32_e32 v37, 31, v37
	v_and_b32_e32 v35, v35, v45
	v_xor_b32_e32 v45, vcc_hi, v37
	v_xor_b32_e32 v37, vcc_lo, v37
	v_lshlrev_b32_e32 v87, 25, v34
	v_and_b32_e32 v36, v36, v37
	v_cmp_gt_i64_e32 vcc, 0, v[86:87]
	v_not_b32_e32 v37, v87
	v_lshlrev_b32_e32 v87, 24, v34
	v_ashrrev_i32_e32 v37, 31, v37
	v_not_b32_e32 v34, v87
	v_and_b32_e32 v35, v35, v45
	v_xor_b32_e32 v45, vcc_hi, v37
	v_xor_b32_e32 v37, vcc_lo, v37
	v_cmp_gt_i64_e32 vcc, 0, v[86:87]
	v_ashrrev_i32_e32 v34, 31, v34
	v_and_b32_e32 v36, v36, v37
	v_xor_b32_e32 v37, vcc_hi, v34
	v_xor_b32_e32 v34, vcc_lo, v34
	v_and_b32_e32 v35, v35, v45
	v_and_b32_e32 v34, v36, v34
	;; [unrolled: 1-line block ×3, first 2 shown]
	v_mbcnt_lo_u32_b32 v36, v34, 0
	v_mbcnt_hi_u32_b32 v45, v35, v36
	v_cmp_eq_u32_e32 vcc, 0, v45
	v_cmp_ne_u64_e64 s[44:45], 0, v[34:35]
	s_and_b64 s[58:59], s[44:45], vcc
	; wave barrier
	s_and_saveexec_b64 s[44:45], s[58:59]
	s_cbranch_execz .LBB141_38
; %bb.37:                               ;   in Loop: Header=BB141_32 Depth=1
	v_bcnt_u32_b32 v34, v34, 0
	v_bcnt_u32_b32 v34, v35, v34
	s_waitcnt lgkmcnt(0)
	v_add_u32_e32 v34, v43, v34
	ds_write_b32 v44, v34
.LBB141_38:                             ;   in Loop: Header=BB141_32 Depth=1
	s_or_b64 exec, exec, s[44:45]
	v_lshrrev_b64 v[34:35], s52, v[96:97]
	v_and_b32_e32 v34, s57, v34
	v_lshlrev_b32_e32 v35, 2, v34
	v_add_lshl_u32 v35, v35, v127, 2
	; wave barrier
	v_add_u32_e32 v47, 16, v35
	ds_read_b32 v46, v35 offset:16
	v_and_b32_e32 v35, 1, v34
	v_add_co_u32_e32 v36, vcc, -1, v35
	v_addc_co_u32_e64 v37, s[44:45], 0, -1, vcc
	v_cmp_ne_u32_e32 vcc, 0, v35
	v_lshlrev_b32_e32 v87, 30, v34
	v_xor_b32_e32 v35, vcc_hi, v37
	v_not_b32_e32 v37, v87
	v_xor_b32_e32 v36, vcc_lo, v36
	v_cmp_gt_i64_e32 vcc, 0, v[86:87]
	v_ashrrev_i32_e32 v37, 31, v37
	v_and_b32_e32 v36, exec_lo, v36
	v_xor_b32_e32 v48, vcc_hi, v37
	v_xor_b32_e32 v37, vcc_lo, v37
	v_lshlrev_b32_e32 v87, 29, v34
	v_and_b32_e32 v36, v36, v37
	v_not_b32_e32 v37, v87
	v_and_b32_e32 v35, exec_hi, v35
	v_cmp_gt_i64_e32 vcc, 0, v[86:87]
	v_ashrrev_i32_e32 v37, 31, v37
	v_and_b32_e32 v35, v35, v48
	v_xor_b32_e32 v48, vcc_hi, v37
	v_xor_b32_e32 v37, vcc_lo, v37
	v_lshlrev_b32_e32 v87, 28, v34
	v_and_b32_e32 v36, v36, v37
	v_not_b32_e32 v37, v87
	v_cmp_gt_i64_e32 vcc, 0, v[86:87]
	v_ashrrev_i32_e32 v37, 31, v37
	v_and_b32_e32 v35, v35, v48
	v_xor_b32_e32 v48, vcc_hi, v37
	v_xor_b32_e32 v37, vcc_lo, v37
	v_lshlrev_b32_e32 v87, 27, v34
	v_and_b32_e32 v36, v36, v37
	v_not_b32_e32 v37, v87
	;; [unrolled: 8-line block ×3, first 2 shown]
	v_cmp_gt_i64_e32 vcc, 0, v[86:87]
	v_ashrrev_i32_e32 v37, 31, v37
	v_and_b32_e32 v35, v35, v48
	v_xor_b32_e32 v48, vcc_hi, v37
	v_xor_b32_e32 v37, vcc_lo, v37
	v_lshlrev_b32_e32 v87, 25, v34
	v_and_b32_e32 v36, v36, v37
	v_cmp_gt_i64_e32 vcc, 0, v[86:87]
	v_not_b32_e32 v37, v87
	v_lshlrev_b32_e32 v87, 24, v34
	v_ashrrev_i32_e32 v37, 31, v37
	v_not_b32_e32 v34, v87
	v_and_b32_e32 v35, v35, v48
	v_xor_b32_e32 v48, vcc_hi, v37
	v_xor_b32_e32 v37, vcc_lo, v37
	v_cmp_gt_i64_e32 vcc, 0, v[86:87]
	v_ashrrev_i32_e32 v34, 31, v34
	v_and_b32_e32 v36, v36, v37
	v_xor_b32_e32 v37, vcc_hi, v34
	v_xor_b32_e32 v34, vcc_lo, v34
	v_and_b32_e32 v35, v35, v48
	v_and_b32_e32 v34, v36, v34
	v_and_b32_e32 v35, v35, v37
	v_mbcnt_lo_u32_b32 v36, v34, 0
	v_mbcnt_hi_u32_b32 v48, v35, v36
	v_cmp_eq_u32_e32 vcc, 0, v48
	v_cmp_ne_u64_e64 s[44:45], 0, v[34:35]
	s_and_b64 s[58:59], s[44:45], vcc
	; wave barrier
	s_and_saveexec_b64 s[44:45], s[58:59]
	s_cbranch_execz .LBB141_40
; %bb.39:                               ;   in Loop: Header=BB141_32 Depth=1
	v_bcnt_u32_b32 v34, v34, 0
	v_bcnt_u32_b32 v34, v35, v34
	s_waitcnt lgkmcnt(0)
	v_add_u32_e32 v34, v46, v34
	ds_write_b32 v47, v34
.LBB141_40:                             ;   in Loop: Header=BB141_32 Depth=1
	s_or_b64 exec, exec, s[44:45]
	v_lshrrev_b64 v[34:35], s52, v[94:95]
	v_and_b32_e32 v34, s57, v34
	v_lshlrev_b32_e32 v35, 2, v34
	v_add_lshl_u32 v35, v35, v127, 2
	; wave barrier
	v_add_u32_e32 v50, 16, v35
	ds_read_b32 v49, v35 offset:16
	v_and_b32_e32 v35, 1, v34
	v_add_co_u32_e32 v36, vcc, -1, v35
	v_addc_co_u32_e64 v37, s[44:45], 0, -1, vcc
	v_cmp_ne_u32_e32 vcc, 0, v35
	v_lshlrev_b32_e32 v87, 30, v34
	v_xor_b32_e32 v35, vcc_hi, v37
	v_not_b32_e32 v37, v87
	v_xor_b32_e32 v36, vcc_lo, v36
	v_cmp_gt_i64_e32 vcc, 0, v[86:87]
	v_ashrrev_i32_e32 v37, 31, v37
	v_and_b32_e32 v36, exec_lo, v36
	v_xor_b32_e32 v51, vcc_hi, v37
	v_xor_b32_e32 v37, vcc_lo, v37
	v_lshlrev_b32_e32 v87, 29, v34
	v_and_b32_e32 v36, v36, v37
	v_not_b32_e32 v37, v87
	v_and_b32_e32 v35, exec_hi, v35
	v_cmp_gt_i64_e32 vcc, 0, v[86:87]
	v_ashrrev_i32_e32 v37, 31, v37
	v_and_b32_e32 v35, v35, v51
	v_xor_b32_e32 v51, vcc_hi, v37
	v_xor_b32_e32 v37, vcc_lo, v37
	v_lshlrev_b32_e32 v87, 28, v34
	v_and_b32_e32 v36, v36, v37
	v_not_b32_e32 v37, v87
	v_cmp_gt_i64_e32 vcc, 0, v[86:87]
	v_ashrrev_i32_e32 v37, 31, v37
	v_and_b32_e32 v35, v35, v51
	v_xor_b32_e32 v51, vcc_hi, v37
	v_xor_b32_e32 v37, vcc_lo, v37
	v_lshlrev_b32_e32 v87, 27, v34
	v_and_b32_e32 v36, v36, v37
	v_not_b32_e32 v37, v87
	;; [unrolled: 8-line block ×3, first 2 shown]
	v_cmp_gt_i64_e32 vcc, 0, v[86:87]
	v_ashrrev_i32_e32 v37, 31, v37
	v_and_b32_e32 v35, v35, v51
	v_xor_b32_e32 v51, vcc_hi, v37
	v_xor_b32_e32 v37, vcc_lo, v37
	v_lshlrev_b32_e32 v87, 25, v34
	v_and_b32_e32 v36, v36, v37
	v_cmp_gt_i64_e32 vcc, 0, v[86:87]
	v_not_b32_e32 v37, v87
	v_lshlrev_b32_e32 v87, 24, v34
	v_ashrrev_i32_e32 v37, 31, v37
	v_not_b32_e32 v34, v87
	v_and_b32_e32 v35, v35, v51
	v_xor_b32_e32 v51, vcc_hi, v37
	v_xor_b32_e32 v37, vcc_lo, v37
	v_cmp_gt_i64_e32 vcc, 0, v[86:87]
	v_ashrrev_i32_e32 v34, 31, v34
	v_and_b32_e32 v36, v36, v37
	v_xor_b32_e32 v37, vcc_hi, v34
	v_xor_b32_e32 v34, vcc_lo, v34
	v_and_b32_e32 v35, v35, v51
	v_and_b32_e32 v34, v36, v34
	;; [unrolled: 1-line block ×3, first 2 shown]
	v_mbcnt_lo_u32_b32 v36, v34, 0
	v_mbcnt_hi_u32_b32 v51, v35, v36
	v_cmp_eq_u32_e32 vcc, 0, v51
	v_cmp_ne_u64_e64 s[44:45], 0, v[34:35]
	s_and_b64 s[58:59], s[44:45], vcc
	; wave barrier
	s_and_saveexec_b64 s[44:45], s[58:59]
	s_cbranch_execz .LBB141_42
; %bb.41:                               ;   in Loop: Header=BB141_32 Depth=1
	v_bcnt_u32_b32 v34, v34, 0
	v_bcnt_u32_b32 v34, v35, v34
	s_waitcnt lgkmcnt(0)
	v_add_u32_e32 v34, v49, v34
	ds_write_b32 v50, v34
.LBB141_42:                             ;   in Loop: Header=BB141_32 Depth=1
	s_or_b64 exec, exec, s[44:45]
	v_lshrrev_b64 v[34:35], s52, v[92:93]
	v_and_b32_e32 v34, s57, v34
	v_lshlrev_b32_e32 v35, 2, v34
	v_add_lshl_u32 v35, v35, v127, 2
	; wave barrier
	v_add_u32_e32 v53, 16, v35
	ds_read_b32 v52, v35 offset:16
	v_and_b32_e32 v35, 1, v34
	v_add_co_u32_e32 v36, vcc, -1, v35
	v_addc_co_u32_e64 v37, s[44:45], 0, -1, vcc
	v_cmp_ne_u32_e32 vcc, 0, v35
	v_lshlrev_b32_e32 v87, 30, v34
	v_xor_b32_e32 v35, vcc_hi, v37
	v_not_b32_e32 v37, v87
	v_xor_b32_e32 v36, vcc_lo, v36
	v_cmp_gt_i64_e32 vcc, 0, v[86:87]
	v_ashrrev_i32_e32 v37, 31, v37
	v_and_b32_e32 v36, exec_lo, v36
	v_xor_b32_e32 v54, vcc_hi, v37
	v_xor_b32_e32 v37, vcc_lo, v37
	v_lshlrev_b32_e32 v87, 29, v34
	v_and_b32_e32 v36, v36, v37
	v_not_b32_e32 v37, v87
	v_and_b32_e32 v35, exec_hi, v35
	v_cmp_gt_i64_e32 vcc, 0, v[86:87]
	v_ashrrev_i32_e32 v37, 31, v37
	v_and_b32_e32 v35, v35, v54
	v_xor_b32_e32 v54, vcc_hi, v37
	v_xor_b32_e32 v37, vcc_lo, v37
	v_lshlrev_b32_e32 v87, 28, v34
	v_and_b32_e32 v36, v36, v37
	v_not_b32_e32 v37, v87
	v_cmp_gt_i64_e32 vcc, 0, v[86:87]
	v_ashrrev_i32_e32 v37, 31, v37
	v_and_b32_e32 v35, v35, v54
	v_xor_b32_e32 v54, vcc_hi, v37
	v_xor_b32_e32 v37, vcc_lo, v37
	v_lshlrev_b32_e32 v87, 27, v34
	v_and_b32_e32 v36, v36, v37
	v_not_b32_e32 v37, v87
	;; [unrolled: 8-line block ×3, first 2 shown]
	v_cmp_gt_i64_e32 vcc, 0, v[86:87]
	v_ashrrev_i32_e32 v37, 31, v37
	v_and_b32_e32 v35, v35, v54
	v_xor_b32_e32 v54, vcc_hi, v37
	v_xor_b32_e32 v37, vcc_lo, v37
	v_lshlrev_b32_e32 v87, 25, v34
	v_and_b32_e32 v36, v36, v37
	v_cmp_gt_i64_e32 vcc, 0, v[86:87]
	v_not_b32_e32 v37, v87
	v_lshlrev_b32_e32 v87, 24, v34
	v_ashrrev_i32_e32 v37, 31, v37
	v_not_b32_e32 v34, v87
	v_and_b32_e32 v35, v35, v54
	v_xor_b32_e32 v54, vcc_hi, v37
	v_xor_b32_e32 v37, vcc_lo, v37
	v_cmp_gt_i64_e32 vcc, 0, v[86:87]
	v_ashrrev_i32_e32 v34, 31, v34
	v_and_b32_e32 v36, v36, v37
	v_xor_b32_e32 v37, vcc_hi, v34
	v_xor_b32_e32 v34, vcc_lo, v34
	v_and_b32_e32 v35, v35, v54
	v_and_b32_e32 v34, v36, v34
	;; [unrolled: 1-line block ×3, first 2 shown]
	v_mbcnt_lo_u32_b32 v36, v34, 0
	v_mbcnt_hi_u32_b32 v54, v35, v36
	v_cmp_eq_u32_e32 vcc, 0, v54
	v_cmp_ne_u64_e64 s[44:45], 0, v[34:35]
	s_and_b64 s[58:59], s[44:45], vcc
	; wave barrier
	s_and_saveexec_b64 s[44:45], s[58:59]
	s_cbranch_execz .LBB141_44
; %bb.43:                               ;   in Loop: Header=BB141_32 Depth=1
	v_bcnt_u32_b32 v34, v34, 0
	v_bcnt_u32_b32 v34, v35, v34
	s_waitcnt lgkmcnt(0)
	v_add_u32_e32 v34, v52, v34
	ds_write_b32 v53, v34
.LBB141_44:                             ;   in Loop: Header=BB141_32 Depth=1
	s_or_b64 exec, exec, s[44:45]
	v_lshrrev_b64 v[34:35], s52, v[90:91]
	v_and_b32_e32 v34, s57, v34
	v_lshlrev_b32_e32 v35, 2, v34
	v_add_lshl_u32 v35, v35, v127, 2
	; wave barrier
	v_add_u32_e32 v56, 16, v35
	ds_read_b32 v55, v35 offset:16
	v_and_b32_e32 v35, 1, v34
	v_add_co_u32_e32 v36, vcc, -1, v35
	v_addc_co_u32_e64 v37, s[44:45], 0, -1, vcc
	v_cmp_ne_u32_e32 vcc, 0, v35
	v_lshlrev_b32_e32 v87, 30, v34
	v_xor_b32_e32 v35, vcc_hi, v37
	v_not_b32_e32 v37, v87
	v_xor_b32_e32 v36, vcc_lo, v36
	v_cmp_gt_i64_e32 vcc, 0, v[86:87]
	v_ashrrev_i32_e32 v37, 31, v37
	v_and_b32_e32 v36, exec_lo, v36
	v_xor_b32_e32 v57, vcc_hi, v37
	v_xor_b32_e32 v37, vcc_lo, v37
	v_lshlrev_b32_e32 v87, 29, v34
	v_and_b32_e32 v36, v36, v37
	v_not_b32_e32 v37, v87
	v_and_b32_e32 v35, exec_hi, v35
	v_cmp_gt_i64_e32 vcc, 0, v[86:87]
	v_ashrrev_i32_e32 v37, 31, v37
	v_and_b32_e32 v35, v35, v57
	v_xor_b32_e32 v57, vcc_hi, v37
	v_xor_b32_e32 v37, vcc_lo, v37
	v_lshlrev_b32_e32 v87, 28, v34
	v_and_b32_e32 v36, v36, v37
	v_not_b32_e32 v37, v87
	v_cmp_gt_i64_e32 vcc, 0, v[86:87]
	v_ashrrev_i32_e32 v37, 31, v37
	v_and_b32_e32 v35, v35, v57
	v_xor_b32_e32 v57, vcc_hi, v37
	v_xor_b32_e32 v37, vcc_lo, v37
	v_lshlrev_b32_e32 v87, 27, v34
	v_and_b32_e32 v36, v36, v37
	v_not_b32_e32 v37, v87
	;; [unrolled: 8-line block ×3, first 2 shown]
	v_cmp_gt_i64_e32 vcc, 0, v[86:87]
	v_ashrrev_i32_e32 v37, 31, v37
	v_and_b32_e32 v35, v35, v57
	v_xor_b32_e32 v57, vcc_hi, v37
	v_xor_b32_e32 v37, vcc_lo, v37
	v_lshlrev_b32_e32 v87, 25, v34
	v_and_b32_e32 v36, v36, v37
	v_cmp_gt_i64_e32 vcc, 0, v[86:87]
	v_not_b32_e32 v37, v87
	v_lshlrev_b32_e32 v87, 24, v34
	v_ashrrev_i32_e32 v37, 31, v37
	v_not_b32_e32 v34, v87
	v_and_b32_e32 v35, v35, v57
	v_xor_b32_e32 v57, vcc_hi, v37
	v_xor_b32_e32 v37, vcc_lo, v37
	v_cmp_gt_i64_e32 vcc, 0, v[86:87]
	v_ashrrev_i32_e32 v34, 31, v34
	v_and_b32_e32 v36, v36, v37
	v_xor_b32_e32 v37, vcc_hi, v34
	v_xor_b32_e32 v34, vcc_lo, v34
	v_and_b32_e32 v35, v35, v57
	v_and_b32_e32 v34, v36, v34
	;; [unrolled: 1-line block ×3, first 2 shown]
	v_mbcnt_lo_u32_b32 v36, v34, 0
	v_mbcnt_hi_u32_b32 v57, v35, v36
	v_cmp_eq_u32_e32 vcc, 0, v57
	v_cmp_ne_u64_e64 s[44:45], 0, v[34:35]
	s_and_b64 s[58:59], s[44:45], vcc
	; wave barrier
	s_and_saveexec_b64 s[44:45], s[58:59]
	s_cbranch_execz .LBB141_46
; %bb.45:                               ;   in Loop: Header=BB141_32 Depth=1
	v_bcnt_u32_b32 v34, v34, 0
	v_bcnt_u32_b32 v34, v35, v34
	s_waitcnt lgkmcnt(0)
	v_add_u32_e32 v34, v55, v34
	ds_write_b32 v56, v34
.LBB141_46:                             ;   in Loop: Header=BB141_32 Depth=1
	s_or_b64 exec, exec, s[44:45]
	v_lshrrev_b64 v[34:35], s52, v[88:89]
	v_and_b32_e32 v34, s57, v34
	v_lshlrev_b32_e32 v35, 2, v34
	v_add_lshl_u32 v35, v35, v127, 2
	; wave barrier
	v_add_u32_e32 v59, 16, v35
	ds_read_b32 v58, v35 offset:16
	v_and_b32_e32 v35, 1, v34
	v_add_co_u32_e32 v36, vcc, -1, v35
	v_addc_co_u32_e64 v37, s[44:45], 0, -1, vcc
	v_cmp_ne_u32_e32 vcc, 0, v35
	v_lshlrev_b32_e32 v87, 30, v34
	v_xor_b32_e32 v35, vcc_hi, v37
	v_not_b32_e32 v37, v87
	v_xor_b32_e32 v36, vcc_lo, v36
	v_cmp_gt_i64_e32 vcc, 0, v[86:87]
	v_ashrrev_i32_e32 v37, 31, v37
	v_and_b32_e32 v36, exec_lo, v36
	v_xor_b32_e32 v60, vcc_hi, v37
	v_xor_b32_e32 v37, vcc_lo, v37
	v_lshlrev_b32_e32 v87, 29, v34
	v_and_b32_e32 v36, v36, v37
	v_not_b32_e32 v37, v87
	v_and_b32_e32 v35, exec_hi, v35
	v_cmp_gt_i64_e32 vcc, 0, v[86:87]
	v_ashrrev_i32_e32 v37, 31, v37
	v_and_b32_e32 v35, v35, v60
	v_xor_b32_e32 v60, vcc_hi, v37
	v_xor_b32_e32 v37, vcc_lo, v37
	v_lshlrev_b32_e32 v87, 28, v34
	v_and_b32_e32 v36, v36, v37
	v_not_b32_e32 v37, v87
	v_cmp_gt_i64_e32 vcc, 0, v[86:87]
	v_ashrrev_i32_e32 v37, 31, v37
	v_and_b32_e32 v35, v35, v60
	v_xor_b32_e32 v60, vcc_hi, v37
	v_xor_b32_e32 v37, vcc_lo, v37
	v_lshlrev_b32_e32 v87, 27, v34
	v_and_b32_e32 v36, v36, v37
	v_not_b32_e32 v37, v87
	;; [unrolled: 8-line block ×3, first 2 shown]
	v_cmp_gt_i64_e32 vcc, 0, v[86:87]
	v_ashrrev_i32_e32 v37, 31, v37
	v_and_b32_e32 v35, v35, v60
	v_xor_b32_e32 v60, vcc_hi, v37
	v_xor_b32_e32 v37, vcc_lo, v37
	v_lshlrev_b32_e32 v87, 25, v34
	v_and_b32_e32 v36, v36, v37
	v_cmp_gt_i64_e32 vcc, 0, v[86:87]
	v_not_b32_e32 v37, v87
	v_lshlrev_b32_e32 v87, 24, v34
	v_ashrrev_i32_e32 v37, 31, v37
	v_not_b32_e32 v34, v87
	v_and_b32_e32 v35, v35, v60
	v_xor_b32_e32 v60, vcc_hi, v37
	v_xor_b32_e32 v37, vcc_lo, v37
	v_cmp_gt_i64_e32 vcc, 0, v[86:87]
	v_ashrrev_i32_e32 v34, 31, v34
	v_and_b32_e32 v36, v36, v37
	v_xor_b32_e32 v37, vcc_hi, v34
	v_xor_b32_e32 v34, vcc_lo, v34
	v_and_b32_e32 v35, v35, v60
	v_and_b32_e32 v34, v36, v34
	;; [unrolled: 1-line block ×3, first 2 shown]
	v_mbcnt_lo_u32_b32 v36, v34, 0
	v_mbcnt_hi_u32_b32 v60, v35, v36
	v_cmp_eq_u32_e32 vcc, 0, v60
	v_cmp_ne_u64_e64 s[44:45], 0, v[34:35]
	s_and_b64 s[58:59], s[44:45], vcc
	; wave barrier
	s_and_saveexec_b64 s[44:45], s[58:59]
	s_cbranch_execz .LBB141_48
; %bb.47:                               ;   in Loop: Header=BB141_32 Depth=1
	v_bcnt_u32_b32 v34, v34, 0
	v_bcnt_u32_b32 v34, v35, v34
	s_waitcnt lgkmcnt(0)
	v_add_u32_e32 v34, v58, v34
	ds_write_b32 v59, v34
.LBB141_48:                             ;   in Loop: Header=BB141_32 Depth=1
	s_or_b64 exec, exec, s[44:45]
	; wave barrier
	s_waitcnt lgkmcnt(0)
	s_barrier
	ds_read2_b32 v[36:37], v112 offset0:4 offset1:5
	ds_read2_b32 v[34:35], v126 offset0:2 offset1:3
	s_waitcnt lgkmcnt(1)
	v_add_u32_e32 v61, v37, v36
	s_waitcnt lgkmcnt(0)
	v_add3_u32 v35, v61, v34, v35
	s_nop 1
	v_mov_b32_dpp v61, v35 row_shr:1 row_mask:0xf bank_mask:0xf
	v_cndmask_b32_e64 v61, v61, 0, s[26:27]
	v_add_u32_e32 v35, v61, v35
	s_nop 1
	v_mov_b32_dpp v61, v35 row_shr:2 row_mask:0xf bank_mask:0xf
	v_cndmask_b32_e64 v61, 0, v61, s[28:29]
	v_add_u32_e32 v35, v35, v61
	;; [unrolled: 4-line block ×4, first 2 shown]
	s_nop 1
	v_mov_b32_dpp v61, v35 row_bcast:15 row_mask:0xf bank_mask:0xf
	v_cndmask_b32_e64 v61, v61, 0, s[36:37]
	v_add_u32_e32 v35, v35, v61
	s_nop 1
	v_mov_b32_dpp v61, v35 row_bcast:31 row_mask:0xf bank_mask:0xf
	v_cndmask_b32_e64 v61, 0, v61, s[16:17]
	v_add_u32_e32 v35, v35, v61
	s_and_saveexec_b64 s[44:45], s[38:39]
	s_cbranch_execz .LBB141_50
; %bb.49:                               ;   in Loop: Header=BB141_32 Depth=1
	ds_write_b32 v129, v35
.LBB141_50:                             ;   in Loop: Header=BB141_32 Depth=1
	s_or_b64 exec, exec, s[44:45]
	s_waitcnt lgkmcnt(0)
	s_barrier
	s_and_saveexec_b64 s[44:45], s[18:19]
	s_cbranch_execz .LBB141_52
; %bb.51:                               ;   in Loop: Header=BB141_32 Depth=1
	ds_read_b32 v61, v69
	s_waitcnt lgkmcnt(0)
	s_nop 0
	v_mov_b32_dpp v62, v61 row_shr:1 row_mask:0xf bank_mask:0xf
	v_cndmask_b32_e64 v62, v62, 0, s[40:41]
	v_add_u32_e32 v61, v62, v61
	s_nop 1
	v_mov_b32_dpp v62, v61 row_shr:2 row_mask:0xf bank_mask:0xf
	v_cndmask_b32_e64 v62, 0, v62, s[42:43]
	v_add_u32_e32 v61, v61, v62
	ds_write_b32 v69, v61
.LBB141_52:                             ;   in Loop: Header=BB141_32 Depth=1
	s_or_b64 exec, exec, s[44:45]
	v_mov_b32_e32 v61, 0
	s_waitcnt lgkmcnt(0)
	s_barrier
	s_and_saveexec_b64 s[44:45], s[20:21]
	s_cbranch_execz .LBB141_54
; %bb.53:                               ;   in Loop: Header=BB141_32 Depth=1
	ds_read_b32 v61, v130
.LBB141_54:                             ;   in Loop: Header=BB141_32 Depth=1
	s_or_b64 exec, exec, s[44:45]
	s_waitcnt lgkmcnt(0)
	v_add_u32_e32 v35, v61, v35
	ds_bpermute_b32 v35, v128, v35
	s_cmp_gt_u32 s52, 55
	s_waitcnt lgkmcnt(0)
	v_cndmask_b32_e64 v35, v35, v61, s[22:23]
	v_cndmask_b32_e64 v35, v35, 0, s[24:25]
	v_add_u32_e32 v36, v35, v36
	v_add_u32_e32 v37, v36, v37
	;; [unrolled: 1-line block ×3, first 2 shown]
	ds_write2_b32 v112, v35, v36 offset0:4 offset1:5
	ds_write2_b32 v126, v37, v34 offset0:2 offset1:3
	s_waitcnt lgkmcnt(0)
	s_barrier
	ds_read_b32 v34, v38
	ds_read_b32 v35, v41
	;; [unrolled: 1-line block ×8, first 2 shown]
	s_waitcnt lgkmcnt(7)
	v_add_u32_e32 v138, v34, v39
	s_waitcnt lgkmcnt(6)
	v_add3_u32 v137, v42, v40, v35
	s_waitcnt lgkmcnt(5)
	v_add3_u32 v136, v45, v43, v36
	;; [unrolled: 2-line block ×7, first 2 shown]
	s_cbranch_scc0 .LBB141_31
; %bb.55:
                                        ; implicit-def: $vgpr48_vgpr49
                                        ; implicit-def: $vgpr44_vgpr45
                                        ; implicit-def: $vgpr40_vgpr41
                                        ; implicit-def: $vgpr36_vgpr37
                                        ; implicit-def: $vgpr64_vgpr65
                                        ; implicit-def: $vgpr60_vgpr61
                                        ; implicit-def: $vgpr56_vgpr57
                                        ; implicit-def: $vgpr52_vgpr53
                                        ; implicit-def: $sgpr52_sgpr53
                                        ; implicit-def: $sgpr56
.LBB141_56:
	v_lshlrev_b32_e32 v34, 3, v138
	v_lshlrev_b32_e32 v35, 3, v137
	;; [unrolled: 1-line block ×9, first 2 shown]
	s_barrier
	ds_write_b64 v34, v[102:103]
	ds_write_b64 v35, v[100:101]
	;; [unrolled: 1-line block ×8, first 2 shown]
	s_waitcnt lgkmcnt(0)
	s_barrier
	ds_read2_b64 v[50:53], v46 offset1:1
	ds_read2_b64 v[54:57], v46 offset0:2 offset1:3
	ds_read2_b64 v[58:61], v46 offset0:4 offset1:5
	;; [unrolled: 1-line block ×3, first 2 shown]
	s_waitcnt lgkmcnt(0)
	s_barrier
	ds_write_b64 v34, v[84:85]
	ds_write_b64 v35, v[82:83]
	;; [unrolled: 1-line block ×8, first 2 shown]
	s_waitcnt lgkmcnt(0)
	s_barrier
	ds_read2_b64 v[34:37], v46 offset1:1
	ds_read2_b64 v[38:41], v46 offset0:2 offset1:3
	ds_read2_b64 v[42:45], v46 offset0:4 offset1:5
	;; [unrolled: 1-line block ×3, first 2 shown]
	v_xor_b32_e32 v51, 0x80000000, v51
	v_xor_b32_e32 v53, 0x80000000, v53
	v_xor_b32_e32 v55, 0x80000000, v55
	v_xor_b32_e32 v57, 0x80000000, v57
	v_xor_b32_e32 v59, 0x80000000, v59
	v_xor_b32_e32 v61, 0x80000000, v61
	v_xor_b32_e32 v63, 0x80000000, v63
	v_xor_b32_e32 v65, 0x80000000, v65
	s_branch .LBB141_92
.LBB141_57:
	v_mov_b32_e32 v69, 0
	v_lshlrev_b64 v[2:3], 3, v[68:69]
	v_mov_b32_e32 v4, s54
	v_add_co_u32_e32 v2, vcc, s49, v2
	v_addc_co_u32_e32 v3, vcc, v4, v3, vcc
	global_load_dwordx2 v[2:3], v[2:3], off
	v_mov_b32_e32 v4, v69
	v_mov_b32_e32 v5, v69
	;; [unrolled: 1-line block ×14, first 2 shown]
	s_or_b64 exec, exec, s[16:17]
	s_and_saveexec_b64 s[16:17], s[2:3]
	s_cbranch_execz .LBB141_22
.LBB141_58:
	v_mul_lo_u32 v4, v1, s48
	v_mov_b32_e32 v5, 0
	v_lshlrev_b64 v[4:5], 3, v[4:5]
	v_mov_b32_e32 v1, s54
	v_add_co_u32_e32 v4, vcc, s49, v4
	v_addc_co_u32_e32 v5, vcc, v1, v5, vcc
	global_load_dwordx2 v[4:5], v[4:5], off
	s_or_b64 exec, exec, s[16:17]
	s_and_saveexec_b64 s[16:17], s[4:5]
	s_cbranch_execz .LBB141_23
.LBB141_59:
	v_mul_lo_u32 v6, v34, s48
	v_mov_b32_e32 v7, 0
	v_lshlrev_b64 v[6:7], 3, v[6:7]
	v_mov_b32_e32 v1, s54
	v_add_co_u32_e32 v6, vcc, s49, v6
	v_addc_co_u32_e32 v7, vcc, v1, v7, vcc
	global_load_dwordx2 v[6:7], v[6:7], off
	s_or_b64 exec, exec, s[16:17]
	s_and_saveexec_b64 s[16:17], s[6:7]
	s_cbranch_execz .LBB141_24
.LBB141_60:
	v_mul_lo_u32 v8, v35, s48
	v_mov_b32_e32 v9, 0
	v_lshlrev_b64 v[8:9], 3, v[8:9]
	v_mov_b32_e32 v1, s54
	v_add_co_u32_e32 v8, vcc, s49, v8
	v_addc_co_u32_e32 v9, vcc, v1, v9, vcc
	global_load_dwordx2 v[8:9], v[8:9], off
	s_or_b64 exec, exec, s[16:17]
	s_and_saveexec_b64 s[16:17], s[8:9]
	s_cbranch_execz .LBB141_25
.LBB141_61:
	v_mul_lo_u32 v10, v36, s48
	v_mov_b32_e32 v11, 0
	v_lshlrev_b64 v[10:11], 3, v[10:11]
	v_mov_b32_e32 v1, s54
	v_add_co_u32_e32 v10, vcc, s49, v10
	v_addc_co_u32_e32 v11, vcc, v1, v11, vcc
	global_load_dwordx2 v[10:11], v[10:11], off
	s_or_b64 exec, exec, s[16:17]
	s_and_saveexec_b64 s[16:17], s[10:11]
	s_cbranch_execz .LBB141_26
.LBB141_62:
	v_mul_lo_u32 v12, v37, s48
	v_mov_b32_e32 v13, 0
	v_lshlrev_b64 v[12:13], 3, v[12:13]
	v_mov_b32_e32 v1, s54
	v_add_co_u32_e32 v12, vcc, s49, v12
	v_addc_co_u32_e32 v13, vcc, v1, v13, vcc
	global_load_dwordx2 v[12:13], v[12:13], off
	s_or_b64 exec, exec, s[16:17]
	s_and_saveexec_b64 s[16:17], s[12:13]
	s_cbranch_execz .LBB141_27
.LBB141_63:
	v_mul_lo_u32 v14, v38, s48
	v_mov_b32_e32 v15, 0
	v_lshlrev_b64 v[14:15], 3, v[14:15]
	v_mov_b32_e32 v1, s54
	v_add_co_u32_e32 v14, vcc, s49, v14
	v_addc_co_u32_e32 v15, vcc, v1, v15, vcc
	global_load_dwordx2 v[14:15], v[14:15], off
	s_or_b64 exec, exec, s[16:17]
	s_xor_b64 s[16:17], s[34:35], -1
	s_and_saveexec_b64 s[18:19], s[14:15]
	s_cbranch_execnz .LBB141_28
	s_branch .LBB141_29
.LBB141_64:
                                        ; implicit-def: $vgpr64_vgpr65
                                        ; implicit-def: $vgpr60_vgpr61
                                        ; implicit-def: $vgpr56_vgpr57
                                        ; implicit-def: $vgpr52_vgpr53
                                        ; implicit-def: $vgpr48_vgpr49
                                        ; implicit-def: $vgpr44_vgpr45
                                        ; implicit-def: $vgpr40_vgpr41
                                        ; implicit-def: $vgpr36_vgpr37
	s_cbranch_execz .LBB141_92
; %bb.65:
	v_xor_b32_e32 v1, 0x7fffffff, v31
	v_xor_b32_e32 v0, -1, v30
	v_xor_b32_e32 v31, 0x7fffffff, v33
	v_xor_b32_e32 v30, -1, v32
	;; [unrolled: 2-line block ×8, first 2 shown]
	ds_write2_b64 v125, v[0:1], v[30:31] offset1:1
	ds_write2_b64 v125, v[26:27], v[28:29] offset0:2 offset1:3
	ds_write2_b64 v125, v[22:23], v[24:25] offset0:4 offset1:5
	;; [unrolled: 1-line block ×3, first 2 shown]
	; wave barrier
	ds_read2st64_b64 v[18:21], v124 offset1:1
	ds_read2st64_b64 v[22:25], v124 offset0:2 offset1:3
	ds_read2st64_b64 v[26:29], v124 offset0:4 offset1:5
	;; [unrolled: 1-line block ×3, first 2 shown]
	; wave barrier
	ds_write2_b64 v125, v[14:15], v[16:17] offset1:1
	ds_write2_b64 v125, v[10:11], v[12:13] offset0:2 offset1:3
	ds_write2_b64 v125, v[6:7], v[8:9] offset0:4 offset1:5
	;; [unrolled: 1-line block ×3, first 2 shown]
	; wave barrier
	ds_read2st64_b64 v[0:3], v124 offset1:1
	ds_read2st64_b64 v[4:7], v124 offset0:2 offset1:3
	ds_read2st64_b64 v[8:11], v124 offset0:4 offset1:5
	;; [unrolled: 1-line block ×3, first 2 shown]
	s_waitcnt lgkmcnt(0)
	s_barrier
	s_load_dword s18, s[50:51], 0xc
	s_getpc_b64 s[16:17]
	s_add_u32 s16, s16, _ZN7rocprim17ROCPRIM_400000_NS16block_radix_sortIlLj256ELj8ElLj1ELj1ELj0ELNS0_26block_radix_rank_algorithmE1ELNS0_18block_padding_hintE2ELNS0_4arch9wavefront6targetE1EE19radix_bits_per_passE@rel32@lo+4
	s_addc_u32 s17, s17, _ZN7rocprim17ROCPRIM_400000_NS16block_radix_sortIlLj256ELj8ElLj1ELj1ELj0ELNS0_26block_radix_rank_algorithmE1ELNS0_18block_padding_hintE2ELNS0_4arch9wavefront6targetE1EE19radix_bits_per_passE@rel32@hi+12
	s_load_dword s52, s[16:17], 0x0
	v_cmp_lt_i32_e32 vcc, v117, v119
	v_cmp_gt_u32_e64 s[30:31], 4, v70
	s_waitcnt lgkmcnt(0)
	s_lshr_b32 s16, s18, 16
	s_and_b32 s17, s18, 0xffff
	v_mad_u32_u24 v16, v123, s16, v122
	v_mad_u64_u32 v[16:17], s[16:17], v16, s17, v[70:71]
	v_lshrrev_b32_e32 v73, 6, v16
	v_min_u32_e32 v16, 0xc0, v114
	v_or_b32_e32 v16, 63, v16
	v_cmp_eq_u32_e64 s[28:29], v16, v70
	v_cmp_lt_u32_e64 s[34:35], 63, v70
	v_cndmask_b32_e32 v16, v117, v113, vcc
	v_cmp_eq_u32_e64 s[38:39], 0, v70
	v_and_b32_e32 v70, 60, v118
	v_add_u32_e32 v72, 16, v112
	v_cmp_eq_u32_e64 s[16:17], 0, v120
	v_cmp_lt_u32_e64 s[18:19], 1, v120
	v_cmp_lt_u32_e64 s[20:21], 3, v120
	;; [unrolled: 1-line block ×3, first 2 shown]
	v_cmp_eq_u32_e64 s[24:25], 0, v121
	v_cmp_lt_u32_e64 s[26:27], 31, v113
	s_mov_b32 s53, 64
	v_lshlrev_b32_e32 v74, 2, v16
	v_cmp_eq_u32_e64 s[36:37], 0, v113
	v_cmp_eq_u32_e64 s[40:41], 0, v116
	v_cmp_lt_u32_e64 s[42:43], 1, v116
	v_add_u32_e32 v75, -4, v70
	v_lshlrev_b32_e32 v76, 3, v115
	s_mov_b64 s[50:51], 0
	v_mov_b32_e32 v42, 0
	s_branch .LBB141_67
.LBB141_66:                             ;   in Loop: Header=BB141_67 Depth=1
	v_lshlrev_b32_e32 v0, 3, v83
	v_lshlrev_b32_e32 v1, 3, v82
	;; [unrolled: 1-line block ×8, first 2 shown]
	s_barrier
	ds_write_b64 v0, v[64:65]
	ds_write_b64 v1, v[62:63]
	;; [unrolled: 1-line block ×8, first 2 shown]
	s_waitcnt lgkmcnt(0)
	s_barrier
	ds_read2st64_b64 v[18:21], v76 offset1:1
	ds_read2st64_b64 v[22:25], v76 offset0:2 offset1:3
	ds_read2st64_b64 v[26:29], v76 offset0:4 offset1:5
	;; [unrolled: 1-line block ×3, first 2 shown]
	s_waitcnt lgkmcnt(0)
	s_barrier
	ds_write_b64 v0, v[50:51]
	ds_write_b64 v1, v[48:49]
	;; [unrolled: 1-line block ×8, first 2 shown]
	s_waitcnt lgkmcnt(0)
	s_barrier
	ds_read2st64_b64 v[0:3], v76 offset1:1
	ds_read2st64_b64 v[4:7], v76 offset0:2 offset1:3
	ds_read2st64_b64 v[8:11], v76 offset0:4 offset1:5
	ds_read2st64_b64 v[12:15], v76 offset0:6 offset1:7
	s_add_u32 s50, s50, 8
	s_addc_u32 s51, s51, 0
	s_add_i32 s53, s53, -8
	s_waitcnt lgkmcnt(0)
	s_barrier
	s_cbranch_execz .LBB141_91
.LBB141_67:                             ; =>This Inner Loop Header: Depth=1
	s_min_u32 s44, s52, s53
	v_pk_mov_b32 v[64:65], v[18:19], v[18:19] op_sel:[0,1]
	s_lshl_b32 s44, -1, s44
	v_pk_mov_b32 v[50:51], v[0:1], v[0:1] op_sel:[0,1]
	s_not_b32 s55, s44
	v_lshrrev_b64 v[0:1], s50, v[64:65]
	v_and_b32_e32 v0, s55, v0
	v_lshl_add_u32 v1, v0, 2, v73
	v_pk_mov_b32 v[44:45], v[4:5], v[4:5] op_sel:[0,1]
	v_lshl_add_u32 v4, v1, 2, 16
	v_and_b32_e32 v1, 1, v0
	v_pk_mov_b32 v[48:49], v[2:3], v[2:3] op_sel:[0,1]
	v_add_co_u32_e32 v2, vcc, -1, v1
	v_addc_co_u32_e64 v3, s[44:45], 0, -1, vcc
	v_cmp_ne_u32_e32 vcc, 0, v1
	v_lshlrev_b32_e32 v43, 30, v0
	v_xor_b32_e32 v1, vcc_hi, v3
	v_not_b32_e32 v3, v43
	v_xor_b32_e32 v2, vcc_lo, v2
	v_cmp_gt_i64_e32 vcc, 0, v[42:43]
	v_ashrrev_i32_e32 v3, 31, v3
	v_and_b32_e32 v2, exec_lo, v2
	v_xor_b32_e32 v5, vcc_hi, v3
	v_xor_b32_e32 v3, vcc_lo, v3
	v_lshlrev_b32_e32 v43, 29, v0
	v_and_b32_e32 v2, v2, v3
	v_not_b32_e32 v3, v43
	v_and_b32_e32 v1, exec_hi, v1
	v_cmp_gt_i64_e32 vcc, 0, v[42:43]
	v_ashrrev_i32_e32 v3, 31, v3
	v_and_b32_e32 v1, v1, v5
	v_xor_b32_e32 v5, vcc_hi, v3
	v_xor_b32_e32 v3, vcc_lo, v3
	v_lshlrev_b32_e32 v43, 28, v0
	v_and_b32_e32 v2, v2, v3
	v_not_b32_e32 v3, v43
	v_cmp_gt_i64_e32 vcc, 0, v[42:43]
	v_ashrrev_i32_e32 v3, 31, v3
	v_and_b32_e32 v1, v1, v5
	v_xor_b32_e32 v5, vcc_hi, v3
	v_xor_b32_e32 v3, vcc_lo, v3
	v_lshlrev_b32_e32 v43, 27, v0
	v_and_b32_e32 v2, v2, v3
	v_not_b32_e32 v3, v43
	;; [unrolled: 8-line block ×3, first 2 shown]
	v_cmp_gt_i64_e32 vcc, 0, v[42:43]
	v_ashrrev_i32_e32 v3, 31, v3
	v_and_b32_e32 v1, v1, v5
	v_xor_b32_e32 v5, vcc_hi, v3
	v_xor_b32_e32 v3, vcc_lo, v3
	v_lshlrev_b32_e32 v43, 25, v0
	v_and_b32_e32 v2, v2, v3
	v_cmp_gt_i64_e32 vcc, 0, v[42:43]
	v_not_b32_e32 v3, v43
	v_lshlrev_b32_e32 v43, 24, v0
	v_ashrrev_i32_e32 v3, 31, v3
	v_not_b32_e32 v0, v43
	v_and_b32_e32 v1, v1, v5
	v_xor_b32_e32 v5, vcc_hi, v3
	v_xor_b32_e32 v3, vcc_lo, v3
	v_cmp_gt_i64_e32 vcc, 0, v[42:43]
	v_ashrrev_i32_e32 v0, 31, v0
	v_and_b32_e32 v2, v2, v3
	v_xor_b32_e32 v3, vcc_hi, v0
	v_xor_b32_e32 v0, vcc_lo, v0
	v_and_b32_e32 v1, v1, v5
	v_and_b32_e32 v0, v2, v0
	;; [unrolled: 1-line block ×3, first 2 shown]
	v_mbcnt_lo_u32_b32 v2, v0, 0
	v_mbcnt_hi_u32_b32 v5, v1, v2
	v_cmp_eq_u32_e32 vcc, 0, v5
	v_cmp_ne_u64_e64 s[44:45], 0, v[0:1]
	v_pk_mov_b32 v[46:47], v[32:33], v[32:33] op_sel:[0,1]
	v_pk_mov_b32 v[52:53], v[30:31], v[30:31] op_sel:[0,1]
	;; [unrolled: 1-line block ×12, first 2 shown]
	s_and_b64 s[56:57], s[44:45], vcc
	ds_write2_b32 v112, v42, v42 offset0:4 offset1:5
	ds_write2_b32 v72, v42, v42 offset0:2 offset1:3
	s_waitcnt lgkmcnt(0)
	s_barrier
	s_waitcnt lgkmcnt(0)
	; wave barrier
	s_and_saveexec_b64 s[44:45], s[56:57]
	s_cbranch_execz .LBB141_69
; %bb.68:                               ;   in Loop: Header=BB141_67 Depth=1
	v_bcnt_u32_b32 v0, v0, 0
	v_bcnt_u32_b32 v0, v1, v0
	ds_write_b32 v4, v0
.LBB141_69:                             ;   in Loop: Header=BB141_67 Depth=1
	s_or_b64 exec, exec, s[44:45]
	v_lshrrev_b64 v[0:1], s50, v[62:63]
	v_and_b32_e32 v0, s55, v0
	v_lshlrev_b32_e32 v1, 2, v0
	v_add_lshl_u32 v1, v1, v73, 2
	; wave barrier
	v_add_u32_e32 v7, 16, v1
	ds_read_b32 v6, v1 offset:16
	v_and_b32_e32 v1, 1, v0
	v_add_co_u32_e32 v2, vcc, -1, v1
	v_addc_co_u32_e64 v3, s[44:45], 0, -1, vcc
	v_cmp_ne_u32_e32 vcc, 0, v1
	v_lshlrev_b32_e32 v43, 30, v0
	v_xor_b32_e32 v1, vcc_hi, v3
	v_not_b32_e32 v3, v43
	v_xor_b32_e32 v2, vcc_lo, v2
	v_cmp_gt_i64_e32 vcc, 0, v[42:43]
	v_ashrrev_i32_e32 v3, 31, v3
	v_and_b32_e32 v2, exec_lo, v2
	v_xor_b32_e32 v8, vcc_hi, v3
	v_xor_b32_e32 v3, vcc_lo, v3
	v_lshlrev_b32_e32 v43, 29, v0
	v_and_b32_e32 v2, v2, v3
	v_not_b32_e32 v3, v43
	v_and_b32_e32 v1, exec_hi, v1
	v_cmp_gt_i64_e32 vcc, 0, v[42:43]
	v_ashrrev_i32_e32 v3, 31, v3
	v_and_b32_e32 v1, v1, v8
	v_xor_b32_e32 v8, vcc_hi, v3
	v_xor_b32_e32 v3, vcc_lo, v3
	v_lshlrev_b32_e32 v43, 28, v0
	v_and_b32_e32 v2, v2, v3
	v_not_b32_e32 v3, v43
	v_cmp_gt_i64_e32 vcc, 0, v[42:43]
	v_ashrrev_i32_e32 v3, 31, v3
	v_and_b32_e32 v1, v1, v8
	v_xor_b32_e32 v8, vcc_hi, v3
	v_xor_b32_e32 v3, vcc_lo, v3
	v_lshlrev_b32_e32 v43, 27, v0
	v_and_b32_e32 v2, v2, v3
	v_not_b32_e32 v3, v43
	;; [unrolled: 8-line block ×3, first 2 shown]
	v_cmp_gt_i64_e32 vcc, 0, v[42:43]
	v_ashrrev_i32_e32 v3, 31, v3
	v_and_b32_e32 v1, v1, v8
	v_xor_b32_e32 v8, vcc_hi, v3
	v_xor_b32_e32 v3, vcc_lo, v3
	v_lshlrev_b32_e32 v43, 25, v0
	v_and_b32_e32 v2, v2, v3
	v_cmp_gt_i64_e32 vcc, 0, v[42:43]
	v_not_b32_e32 v3, v43
	v_lshlrev_b32_e32 v43, 24, v0
	v_ashrrev_i32_e32 v3, 31, v3
	v_not_b32_e32 v0, v43
	v_and_b32_e32 v1, v1, v8
	v_xor_b32_e32 v8, vcc_hi, v3
	v_xor_b32_e32 v3, vcc_lo, v3
	v_cmp_gt_i64_e32 vcc, 0, v[42:43]
	v_ashrrev_i32_e32 v0, 31, v0
	v_and_b32_e32 v2, v2, v3
	v_xor_b32_e32 v3, vcc_hi, v0
	v_xor_b32_e32 v0, vcc_lo, v0
	v_and_b32_e32 v1, v1, v8
	v_and_b32_e32 v0, v2, v0
	v_and_b32_e32 v1, v1, v3
	v_mbcnt_lo_u32_b32 v2, v0, 0
	v_mbcnt_hi_u32_b32 v8, v1, v2
	v_cmp_eq_u32_e32 vcc, 0, v8
	v_cmp_ne_u64_e64 s[44:45], 0, v[0:1]
	s_and_b64 s[56:57], s[44:45], vcc
	; wave barrier
	s_and_saveexec_b64 s[44:45], s[56:57]
	s_cbranch_execz .LBB141_71
; %bb.70:                               ;   in Loop: Header=BB141_67 Depth=1
	v_bcnt_u32_b32 v0, v0, 0
	v_bcnt_u32_b32 v0, v1, v0
	s_waitcnt lgkmcnt(0)
	v_add_u32_e32 v0, v6, v0
	ds_write_b32 v7, v0
.LBB141_71:                             ;   in Loop: Header=BB141_67 Depth=1
	s_or_b64 exec, exec, s[44:45]
	v_lshrrev_b64 v[0:1], s50, v[60:61]
	v_and_b32_e32 v0, s55, v0
	v_lshlrev_b32_e32 v1, 2, v0
	v_add_lshl_u32 v1, v1, v73, 2
	; wave barrier
	v_add_u32_e32 v10, 16, v1
	ds_read_b32 v9, v1 offset:16
	v_and_b32_e32 v1, 1, v0
	v_add_co_u32_e32 v2, vcc, -1, v1
	v_addc_co_u32_e64 v3, s[44:45], 0, -1, vcc
	v_cmp_ne_u32_e32 vcc, 0, v1
	v_lshlrev_b32_e32 v43, 30, v0
	v_xor_b32_e32 v1, vcc_hi, v3
	v_not_b32_e32 v3, v43
	v_xor_b32_e32 v2, vcc_lo, v2
	v_cmp_gt_i64_e32 vcc, 0, v[42:43]
	v_ashrrev_i32_e32 v3, 31, v3
	v_and_b32_e32 v2, exec_lo, v2
	v_xor_b32_e32 v11, vcc_hi, v3
	v_xor_b32_e32 v3, vcc_lo, v3
	v_lshlrev_b32_e32 v43, 29, v0
	v_and_b32_e32 v2, v2, v3
	v_not_b32_e32 v3, v43
	v_and_b32_e32 v1, exec_hi, v1
	v_cmp_gt_i64_e32 vcc, 0, v[42:43]
	v_ashrrev_i32_e32 v3, 31, v3
	v_and_b32_e32 v1, v1, v11
	v_xor_b32_e32 v11, vcc_hi, v3
	v_xor_b32_e32 v3, vcc_lo, v3
	v_lshlrev_b32_e32 v43, 28, v0
	v_and_b32_e32 v2, v2, v3
	v_not_b32_e32 v3, v43
	v_cmp_gt_i64_e32 vcc, 0, v[42:43]
	v_ashrrev_i32_e32 v3, 31, v3
	v_and_b32_e32 v1, v1, v11
	v_xor_b32_e32 v11, vcc_hi, v3
	v_xor_b32_e32 v3, vcc_lo, v3
	v_lshlrev_b32_e32 v43, 27, v0
	v_and_b32_e32 v2, v2, v3
	v_not_b32_e32 v3, v43
	;; [unrolled: 8-line block ×3, first 2 shown]
	v_cmp_gt_i64_e32 vcc, 0, v[42:43]
	v_ashrrev_i32_e32 v3, 31, v3
	v_and_b32_e32 v1, v1, v11
	v_xor_b32_e32 v11, vcc_hi, v3
	v_xor_b32_e32 v3, vcc_lo, v3
	v_lshlrev_b32_e32 v43, 25, v0
	v_and_b32_e32 v2, v2, v3
	v_cmp_gt_i64_e32 vcc, 0, v[42:43]
	v_not_b32_e32 v3, v43
	v_lshlrev_b32_e32 v43, 24, v0
	v_ashrrev_i32_e32 v3, 31, v3
	v_not_b32_e32 v0, v43
	v_and_b32_e32 v1, v1, v11
	v_xor_b32_e32 v11, vcc_hi, v3
	v_xor_b32_e32 v3, vcc_lo, v3
	v_cmp_gt_i64_e32 vcc, 0, v[42:43]
	v_ashrrev_i32_e32 v0, 31, v0
	v_and_b32_e32 v2, v2, v3
	v_xor_b32_e32 v3, vcc_hi, v0
	v_xor_b32_e32 v0, vcc_lo, v0
	v_and_b32_e32 v1, v1, v11
	v_and_b32_e32 v0, v2, v0
	;; [unrolled: 1-line block ×3, first 2 shown]
	v_mbcnt_lo_u32_b32 v2, v0, 0
	v_mbcnt_hi_u32_b32 v11, v1, v2
	v_cmp_eq_u32_e32 vcc, 0, v11
	v_cmp_ne_u64_e64 s[44:45], 0, v[0:1]
	s_and_b64 s[56:57], s[44:45], vcc
	; wave barrier
	s_and_saveexec_b64 s[44:45], s[56:57]
	s_cbranch_execz .LBB141_73
; %bb.72:                               ;   in Loop: Header=BB141_67 Depth=1
	v_bcnt_u32_b32 v0, v0, 0
	v_bcnt_u32_b32 v0, v1, v0
	s_waitcnt lgkmcnt(0)
	v_add_u32_e32 v0, v9, v0
	ds_write_b32 v10, v0
.LBB141_73:                             ;   in Loop: Header=BB141_67 Depth=1
	s_or_b64 exec, exec, s[44:45]
	v_lshrrev_b64 v[0:1], s50, v[58:59]
	v_and_b32_e32 v0, s55, v0
	v_lshlrev_b32_e32 v1, 2, v0
	v_add_lshl_u32 v1, v1, v73, 2
	; wave barrier
	v_add_u32_e32 v13, 16, v1
	ds_read_b32 v12, v1 offset:16
	v_and_b32_e32 v1, 1, v0
	v_add_co_u32_e32 v2, vcc, -1, v1
	v_addc_co_u32_e64 v3, s[44:45], 0, -1, vcc
	v_cmp_ne_u32_e32 vcc, 0, v1
	v_lshlrev_b32_e32 v43, 30, v0
	v_xor_b32_e32 v1, vcc_hi, v3
	v_not_b32_e32 v3, v43
	v_xor_b32_e32 v2, vcc_lo, v2
	v_cmp_gt_i64_e32 vcc, 0, v[42:43]
	v_ashrrev_i32_e32 v3, 31, v3
	v_and_b32_e32 v2, exec_lo, v2
	v_xor_b32_e32 v14, vcc_hi, v3
	v_xor_b32_e32 v3, vcc_lo, v3
	v_lshlrev_b32_e32 v43, 29, v0
	v_and_b32_e32 v2, v2, v3
	v_not_b32_e32 v3, v43
	v_and_b32_e32 v1, exec_hi, v1
	v_cmp_gt_i64_e32 vcc, 0, v[42:43]
	v_ashrrev_i32_e32 v3, 31, v3
	v_and_b32_e32 v1, v1, v14
	v_xor_b32_e32 v14, vcc_hi, v3
	v_xor_b32_e32 v3, vcc_lo, v3
	v_lshlrev_b32_e32 v43, 28, v0
	v_and_b32_e32 v2, v2, v3
	v_not_b32_e32 v3, v43
	v_cmp_gt_i64_e32 vcc, 0, v[42:43]
	v_ashrrev_i32_e32 v3, 31, v3
	v_and_b32_e32 v1, v1, v14
	v_xor_b32_e32 v14, vcc_hi, v3
	v_xor_b32_e32 v3, vcc_lo, v3
	v_lshlrev_b32_e32 v43, 27, v0
	v_and_b32_e32 v2, v2, v3
	v_not_b32_e32 v3, v43
	;; [unrolled: 8-line block ×3, first 2 shown]
	v_cmp_gt_i64_e32 vcc, 0, v[42:43]
	v_ashrrev_i32_e32 v3, 31, v3
	v_and_b32_e32 v1, v1, v14
	v_xor_b32_e32 v14, vcc_hi, v3
	v_xor_b32_e32 v3, vcc_lo, v3
	v_lshlrev_b32_e32 v43, 25, v0
	v_and_b32_e32 v2, v2, v3
	v_cmp_gt_i64_e32 vcc, 0, v[42:43]
	v_not_b32_e32 v3, v43
	v_lshlrev_b32_e32 v43, 24, v0
	v_ashrrev_i32_e32 v3, 31, v3
	v_not_b32_e32 v0, v43
	v_and_b32_e32 v1, v1, v14
	v_xor_b32_e32 v14, vcc_hi, v3
	v_xor_b32_e32 v3, vcc_lo, v3
	v_cmp_gt_i64_e32 vcc, 0, v[42:43]
	v_ashrrev_i32_e32 v0, 31, v0
	v_and_b32_e32 v2, v2, v3
	v_xor_b32_e32 v3, vcc_hi, v0
	v_xor_b32_e32 v0, vcc_lo, v0
	v_and_b32_e32 v1, v1, v14
	v_and_b32_e32 v0, v2, v0
	;; [unrolled: 1-line block ×3, first 2 shown]
	v_mbcnt_lo_u32_b32 v2, v0, 0
	v_mbcnt_hi_u32_b32 v14, v1, v2
	v_cmp_eq_u32_e32 vcc, 0, v14
	v_cmp_ne_u64_e64 s[44:45], 0, v[0:1]
	s_and_b64 s[56:57], s[44:45], vcc
	; wave barrier
	s_and_saveexec_b64 s[44:45], s[56:57]
	s_cbranch_execz .LBB141_75
; %bb.74:                               ;   in Loop: Header=BB141_67 Depth=1
	v_bcnt_u32_b32 v0, v0, 0
	v_bcnt_u32_b32 v0, v1, v0
	s_waitcnt lgkmcnt(0)
	v_add_u32_e32 v0, v12, v0
	ds_write_b32 v13, v0
.LBB141_75:                             ;   in Loop: Header=BB141_67 Depth=1
	s_or_b64 exec, exec, s[44:45]
	v_lshrrev_b64 v[0:1], s50, v[56:57]
	v_and_b32_e32 v0, s55, v0
	v_lshlrev_b32_e32 v1, 2, v0
	v_add_lshl_u32 v1, v1, v73, 2
	; wave barrier
	v_add_u32_e32 v18, 16, v1
	ds_read_b32 v15, v1 offset:16
	v_and_b32_e32 v1, 1, v0
	v_add_co_u32_e32 v2, vcc, -1, v1
	v_addc_co_u32_e64 v3, s[44:45], 0, -1, vcc
	v_cmp_ne_u32_e32 vcc, 0, v1
	v_lshlrev_b32_e32 v43, 30, v0
	v_xor_b32_e32 v1, vcc_hi, v3
	v_not_b32_e32 v3, v43
	v_xor_b32_e32 v2, vcc_lo, v2
	v_cmp_gt_i64_e32 vcc, 0, v[42:43]
	v_ashrrev_i32_e32 v3, 31, v3
	v_and_b32_e32 v2, exec_lo, v2
	v_xor_b32_e32 v19, vcc_hi, v3
	v_xor_b32_e32 v3, vcc_lo, v3
	v_lshlrev_b32_e32 v43, 29, v0
	v_and_b32_e32 v2, v2, v3
	v_not_b32_e32 v3, v43
	v_and_b32_e32 v1, exec_hi, v1
	v_cmp_gt_i64_e32 vcc, 0, v[42:43]
	v_ashrrev_i32_e32 v3, 31, v3
	v_and_b32_e32 v1, v1, v19
	v_xor_b32_e32 v19, vcc_hi, v3
	v_xor_b32_e32 v3, vcc_lo, v3
	v_lshlrev_b32_e32 v43, 28, v0
	v_and_b32_e32 v2, v2, v3
	v_not_b32_e32 v3, v43
	v_cmp_gt_i64_e32 vcc, 0, v[42:43]
	v_ashrrev_i32_e32 v3, 31, v3
	v_and_b32_e32 v1, v1, v19
	v_xor_b32_e32 v19, vcc_hi, v3
	v_xor_b32_e32 v3, vcc_lo, v3
	v_lshlrev_b32_e32 v43, 27, v0
	v_and_b32_e32 v2, v2, v3
	v_not_b32_e32 v3, v43
	;; [unrolled: 8-line block ×3, first 2 shown]
	v_cmp_gt_i64_e32 vcc, 0, v[42:43]
	v_ashrrev_i32_e32 v3, 31, v3
	v_and_b32_e32 v1, v1, v19
	v_xor_b32_e32 v19, vcc_hi, v3
	v_xor_b32_e32 v3, vcc_lo, v3
	v_lshlrev_b32_e32 v43, 25, v0
	v_and_b32_e32 v2, v2, v3
	v_cmp_gt_i64_e32 vcc, 0, v[42:43]
	v_not_b32_e32 v3, v43
	v_lshlrev_b32_e32 v43, 24, v0
	v_ashrrev_i32_e32 v3, 31, v3
	v_not_b32_e32 v0, v43
	v_and_b32_e32 v1, v1, v19
	v_xor_b32_e32 v19, vcc_hi, v3
	v_xor_b32_e32 v3, vcc_lo, v3
	v_cmp_gt_i64_e32 vcc, 0, v[42:43]
	v_ashrrev_i32_e32 v0, 31, v0
	v_and_b32_e32 v2, v2, v3
	v_xor_b32_e32 v3, vcc_hi, v0
	v_xor_b32_e32 v0, vcc_lo, v0
	v_and_b32_e32 v1, v1, v19
	v_and_b32_e32 v0, v2, v0
	;; [unrolled: 1-line block ×3, first 2 shown]
	v_mbcnt_lo_u32_b32 v2, v0, 0
	v_mbcnt_hi_u32_b32 v19, v1, v2
	v_cmp_eq_u32_e32 vcc, 0, v19
	v_cmp_ne_u64_e64 s[44:45], 0, v[0:1]
	s_and_b64 s[56:57], s[44:45], vcc
	; wave barrier
	s_and_saveexec_b64 s[44:45], s[56:57]
	s_cbranch_execz .LBB141_77
; %bb.76:                               ;   in Loop: Header=BB141_67 Depth=1
	v_bcnt_u32_b32 v0, v0, 0
	v_bcnt_u32_b32 v0, v1, v0
	s_waitcnt lgkmcnt(0)
	v_add_u32_e32 v0, v15, v0
	ds_write_b32 v18, v0
.LBB141_77:                             ;   in Loop: Header=BB141_67 Depth=1
	s_or_b64 exec, exec, s[44:45]
	v_lshrrev_b64 v[0:1], s50, v[54:55]
	v_and_b32_e32 v0, s55, v0
	v_lshlrev_b32_e32 v1, 2, v0
	v_add_lshl_u32 v1, v1, v73, 2
	; wave barrier
	v_add_u32_e32 v21, 16, v1
	ds_read_b32 v20, v1 offset:16
	v_and_b32_e32 v1, 1, v0
	v_add_co_u32_e32 v2, vcc, -1, v1
	v_addc_co_u32_e64 v3, s[44:45], 0, -1, vcc
	v_cmp_ne_u32_e32 vcc, 0, v1
	v_lshlrev_b32_e32 v43, 30, v0
	v_xor_b32_e32 v1, vcc_hi, v3
	v_not_b32_e32 v3, v43
	v_xor_b32_e32 v2, vcc_lo, v2
	v_cmp_gt_i64_e32 vcc, 0, v[42:43]
	v_ashrrev_i32_e32 v3, 31, v3
	v_and_b32_e32 v2, exec_lo, v2
	v_xor_b32_e32 v22, vcc_hi, v3
	v_xor_b32_e32 v3, vcc_lo, v3
	v_lshlrev_b32_e32 v43, 29, v0
	v_and_b32_e32 v2, v2, v3
	v_not_b32_e32 v3, v43
	v_and_b32_e32 v1, exec_hi, v1
	v_cmp_gt_i64_e32 vcc, 0, v[42:43]
	v_ashrrev_i32_e32 v3, 31, v3
	v_and_b32_e32 v1, v1, v22
	v_xor_b32_e32 v22, vcc_hi, v3
	v_xor_b32_e32 v3, vcc_lo, v3
	v_lshlrev_b32_e32 v43, 28, v0
	v_and_b32_e32 v2, v2, v3
	v_not_b32_e32 v3, v43
	v_cmp_gt_i64_e32 vcc, 0, v[42:43]
	v_ashrrev_i32_e32 v3, 31, v3
	v_and_b32_e32 v1, v1, v22
	v_xor_b32_e32 v22, vcc_hi, v3
	v_xor_b32_e32 v3, vcc_lo, v3
	v_lshlrev_b32_e32 v43, 27, v0
	v_and_b32_e32 v2, v2, v3
	v_not_b32_e32 v3, v43
	;; [unrolled: 8-line block ×3, first 2 shown]
	v_cmp_gt_i64_e32 vcc, 0, v[42:43]
	v_ashrrev_i32_e32 v3, 31, v3
	v_and_b32_e32 v1, v1, v22
	v_xor_b32_e32 v22, vcc_hi, v3
	v_xor_b32_e32 v3, vcc_lo, v3
	v_lshlrev_b32_e32 v43, 25, v0
	v_and_b32_e32 v2, v2, v3
	v_cmp_gt_i64_e32 vcc, 0, v[42:43]
	v_not_b32_e32 v3, v43
	v_lshlrev_b32_e32 v43, 24, v0
	v_ashrrev_i32_e32 v3, 31, v3
	v_not_b32_e32 v0, v43
	v_and_b32_e32 v1, v1, v22
	v_xor_b32_e32 v22, vcc_hi, v3
	v_xor_b32_e32 v3, vcc_lo, v3
	v_cmp_gt_i64_e32 vcc, 0, v[42:43]
	v_ashrrev_i32_e32 v0, 31, v0
	v_and_b32_e32 v2, v2, v3
	v_xor_b32_e32 v3, vcc_hi, v0
	v_xor_b32_e32 v0, vcc_lo, v0
	v_and_b32_e32 v1, v1, v22
	v_and_b32_e32 v0, v2, v0
	;; [unrolled: 1-line block ×3, first 2 shown]
	v_mbcnt_lo_u32_b32 v2, v0, 0
	v_mbcnt_hi_u32_b32 v22, v1, v2
	v_cmp_eq_u32_e32 vcc, 0, v22
	v_cmp_ne_u64_e64 s[44:45], 0, v[0:1]
	s_and_b64 s[56:57], s[44:45], vcc
	; wave barrier
	s_and_saveexec_b64 s[44:45], s[56:57]
	s_cbranch_execz .LBB141_79
; %bb.78:                               ;   in Loop: Header=BB141_67 Depth=1
	v_bcnt_u32_b32 v0, v0, 0
	v_bcnt_u32_b32 v0, v1, v0
	s_waitcnt lgkmcnt(0)
	v_add_u32_e32 v0, v20, v0
	ds_write_b32 v21, v0
.LBB141_79:                             ;   in Loop: Header=BB141_67 Depth=1
	s_or_b64 exec, exec, s[44:45]
	v_lshrrev_b64 v[0:1], s50, v[52:53]
	v_and_b32_e32 v0, s55, v0
	v_lshlrev_b32_e32 v1, 2, v0
	v_add_lshl_u32 v1, v1, v73, 2
	; wave barrier
	v_add_u32_e32 v24, 16, v1
	ds_read_b32 v23, v1 offset:16
	v_and_b32_e32 v1, 1, v0
	v_add_co_u32_e32 v2, vcc, -1, v1
	v_addc_co_u32_e64 v3, s[44:45], 0, -1, vcc
	v_cmp_ne_u32_e32 vcc, 0, v1
	v_lshlrev_b32_e32 v43, 30, v0
	v_xor_b32_e32 v1, vcc_hi, v3
	v_not_b32_e32 v3, v43
	v_xor_b32_e32 v2, vcc_lo, v2
	v_cmp_gt_i64_e32 vcc, 0, v[42:43]
	v_ashrrev_i32_e32 v3, 31, v3
	v_and_b32_e32 v2, exec_lo, v2
	v_xor_b32_e32 v25, vcc_hi, v3
	v_xor_b32_e32 v3, vcc_lo, v3
	v_lshlrev_b32_e32 v43, 29, v0
	v_and_b32_e32 v2, v2, v3
	v_not_b32_e32 v3, v43
	v_and_b32_e32 v1, exec_hi, v1
	v_cmp_gt_i64_e32 vcc, 0, v[42:43]
	v_ashrrev_i32_e32 v3, 31, v3
	v_and_b32_e32 v1, v1, v25
	v_xor_b32_e32 v25, vcc_hi, v3
	v_xor_b32_e32 v3, vcc_lo, v3
	v_lshlrev_b32_e32 v43, 28, v0
	v_and_b32_e32 v2, v2, v3
	v_not_b32_e32 v3, v43
	v_cmp_gt_i64_e32 vcc, 0, v[42:43]
	v_ashrrev_i32_e32 v3, 31, v3
	v_and_b32_e32 v1, v1, v25
	v_xor_b32_e32 v25, vcc_hi, v3
	v_xor_b32_e32 v3, vcc_lo, v3
	v_lshlrev_b32_e32 v43, 27, v0
	v_and_b32_e32 v2, v2, v3
	v_not_b32_e32 v3, v43
	;; [unrolled: 8-line block ×3, first 2 shown]
	v_cmp_gt_i64_e32 vcc, 0, v[42:43]
	v_ashrrev_i32_e32 v3, 31, v3
	v_and_b32_e32 v1, v1, v25
	v_xor_b32_e32 v25, vcc_hi, v3
	v_xor_b32_e32 v3, vcc_lo, v3
	v_lshlrev_b32_e32 v43, 25, v0
	v_and_b32_e32 v2, v2, v3
	v_cmp_gt_i64_e32 vcc, 0, v[42:43]
	v_not_b32_e32 v3, v43
	v_lshlrev_b32_e32 v43, 24, v0
	v_ashrrev_i32_e32 v3, 31, v3
	v_not_b32_e32 v0, v43
	v_and_b32_e32 v1, v1, v25
	v_xor_b32_e32 v25, vcc_hi, v3
	v_xor_b32_e32 v3, vcc_lo, v3
	v_cmp_gt_i64_e32 vcc, 0, v[42:43]
	v_ashrrev_i32_e32 v0, 31, v0
	v_and_b32_e32 v2, v2, v3
	v_xor_b32_e32 v3, vcc_hi, v0
	v_xor_b32_e32 v0, vcc_lo, v0
	v_and_b32_e32 v1, v1, v25
	v_and_b32_e32 v0, v2, v0
	v_and_b32_e32 v1, v1, v3
	v_mbcnt_lo_u32_b32 v2, v0, 0
	v_mbcnt_hi_u32_b32 v25, v1, v2
	v_cmp_eq_u32_e32 vcc, 0, v25
	v_cmp_ne_u64_e64 s[44:45], 0, v[0:1]
	s_and_b64 s[56:57], s[44:45], vcc
	; wave barrier
	s_and_saveexec_b64 s[44:45], s[56:57]
	s_cbranch_execz .LBB141_81
; %bb.80:                               ;   in Loop: Header=BB141_67 Depth=1
	v_bcnt_u32_b32 v0, v0, 0
	v_bcnt_u32_b32 v0, v1, v0
	s_waitcnt lgkmcnt(0)
	v_add_u32_e32 v0, v23, v0
	ds_write_b32 v24, v0
.LBB141_81:                             ;   in Loop: Header=BB141_67 Depth=1
	s_or_b64 exec, exec, s[44:45]
	v_lshrrev_b64 v[0:1], s50, v[46:47]
	v_and_b32_e32 v0, s55, v0
	v_lshlrev_b32_e32 v1, 2, v0
	v_add_lshl_u32 v1, v1, v73, 2
	; wave barrier
	v_add_u32_e32 v27, 16, v1
	ds_read_b32 v26, v1 offset:16
	v_and_b32_e32 v1, 1, v0
	v_add_co_u32_e32 v2, vcc, -1, v1
	v_addc_co_u32_e64 v3, s[44:45], 0, -1, vcc
	v_cmp_ne_u32_e32 vcc, 0, v1
	v_lshlrev_b32_e32 v43, 30, v0
	v_xor_b32_e32 v1, vcc_hi, v3
	v_not_b32_e32 v3, v43
	v_xor_b32_e32 v2, vcc_lo, v2
	v_cmp_gt_i64_e32 vcc, 0, v[42:43]
	v_ashrrev_i32_e32 v3, 31, v3
	v_and_b32_e32 v2, exec_lo, v2
	v_xor_b32_e32 v28, vcc_hi, v3
	v_xor_b32_e32 v3, vcc_lo, v3
	v_lshlrev_b32_e32 v43, 29, v0
	v_and_b32_e32 v2, v2, v3
	v_not_b32_e32 v3, v43
	v_and_b32_e32 v1, exec_hi, v1
	v_cmp_gt_i64_e32 vcc, 0, v[42:43]
	v_ashrrev_i32_e32 v3, 31, v3
	v_and_b32_e32 v1, v1, v28
	v_xor_b32_e32 v28, vcc_hi, v3
	v_xor_b32_e32 v3, vcc_lo, v3
	v_lshlrev_b32_e32 v43, 28, v0
	v_and_b32_e32 v2, v2, v3
	v_not_b32_e32 v3, v43
	v_cmp_gt_i64_e32 vcc, 0, v[42:43]
	v_ashrrev_i32_e32 v3, 31, v3
	v_and_b32_e32 v1, v1, v28
	v_xor_b32_e32 v28, vcc_hi, v3
	v_xor_b32_e32 v3, vcc_lo, v3
	v_lshlrev_b32_e32 v43, 27, v0
	v_and_b32_e32 v2, v2, v3
	v_not_b32_e32 v3, v43
	;; [unrolled: 8-line block ×3, first 2 shown]
	v_cmp_gt_i64_e32 vcc, 0, v[42:43]
	v_ashrrev_i32_e32 v3, 31, v3
	v_and_b32_e32 v1, v1, v28
	v_xor_b32_e32 v28, vcc_hi, v3
	v_xor_b32_e32 v3, vcc_lo, v3
	v_lshlrev_b32_e32 v43, 25, v0
	v_and_b32_e32 v2, v2, v3
	v_cmp_gt_i64_e32 vcc, 0, v[42:43]
	v_not_b32_e32 v3, v43
	v_lshlrev_b32_e32 v43, 24, v0
	v_ashrrev_i32_e32 v3, 31, v3
	v_not_b32_e32 v0, v43
	v_and_b32_e32 v1, v1, v28
	v_xor_b32_e32 v28, vcc_hi, v3
	v_xor_b32_e32 v3, vcc_lo, v3
	v_cmp_gt_i64_e32 vcc, 0, v[42:43]
	v_ashrrev_i32_e32 v0, 31, v0
	v_and_b32_e32 v2, v2, v3
	v_xor_b32_e32 v3, vcc_hi, v0
	v_xor_b32_e32 v0, vcc_lo, v0
	v_and_b32_e32 v1, v1, v28
	v_and_b32_e32 v0, v2, v0
	;; [unrolled: 1-line block ×3, first 2 shown]
	v_mbcnt_lo_u32_b32 v2, v0, 0
	v_mbcnt_hi_u32_b32 v28, v1, v2
	v_cmp_eq_u32_e32 vcc, 0, v28
	v_cmp_ne_u64_e64 s[44:45], 0, v[0:1]
	s_and_b64 s[56:57], s[44:45], vcc
	; wave barrier
	s_and_saveexec_b64 s[44:45], s[56:57]
	s_cbranch_execz .LBB141_83
; %bb.82:                               ;   in Loop: Header=BB141_67 Depth=1
	v_bcnt_u32_b32 v0, v0, 0
	v_bcnt_u32_b32 v0, v1, v0
	s_waitcnt lgkmcnt(0)
	v_add_u32_e32 v0, v26, v0
	ds_write_b32 v27, v0
.LBB141_83:                             ;   in Loop: Header=BB141_67 Depth=1
	s_or_b64 exec, exec, s[44:45]
	; wave barrier
	s_waitcnt lgkmcnt(0)
	s_barrier
	ds_read2_b32 v[2:3], v112 offset0:4 offset1:5
	ds_read2_b32 v[0:1], v72 offset0:2 offset1:3
	s_waitcnt lgkmcnt(1)
	v_add_u32_e32 v29, v3, v2
	s_waitcnt lgkmcnt(0)
	v_add3_u32 v1, v29, v0, v1
	s_nop 1
	v_mov_b32_dpp v29, v1 row_shr:1 row_mask:0xf bank_mask:0xf
	v_cndmask_b32_e64 v29, v29, 0, s[16:17]
	v_add_u32_e32 v1, v29, v1
	s_nop 1
	v_mov_b32_dpp v29, v1 row_shr:2 row_mask:0xf bank_mask:0xf
	v_cndmask_b32_e64 v29, 0, v29, s[18:19]
	v_add_u32_e32 v1, v1, v29
	;; [unrolled: 4-line block ×4, first 2 shown]
	s_nop 1
	v_mov_b32_dpp v29, v1 row_bcast:15 row_mask:0xf bank_mask:0xf
	v_cndmask_b32_e64 v29, v29, 0, s[24:25]
	v_add_u32_e32 v1, v1, v29
	s_nop 1
	v_mov_b32_dpp v29, v1 row_bcast:31 row_mask:0xf bank_mask:0xf
	v_cndmask_b32_e64 v29, 0, v29, s[26:27]
	v_add_u32_e32 v1, v1, v29
	s_and_saveexec_b64 s[44:45], s[28:29]
	s_cbranch_execz .LBB141_85
; %bb.84:                               ;   in Loop: Header=BB141_67 Depth=1
	ds_write_b32 v70, v1
.LBB141_85:                             ;   in Loop: Header=BB141_67 Depth=1
	s_or_b64 exec, exec, s[44:45]
	s_waitcnt lgkmcnt(0)
	s_barrier
	s_and_saveexec_b64 s[44:45], s[30:31]
	s_cbranch_execz .LBB141_87
; %bb.86:                               ;   in Loop: Header=BB141_67 Depth=1
	ds_read_b32 v29, v69
	s_waitcnt lgkmcnt(0)
	s_nop 0
	v_mov_b32_dpp v30, v29 row_shr:1 row_mask:0xf bank_mask:0xf
	v_cndmask_b32_e64 v30, v30, 0, s[40:41]
	v_add_u32_e32 v29, v30, v29
	s_nop 1
	v_mov_b32_dpp v30, v29 row_shr:2 row_mask:0xf bank_mask:0xf
	v_cndmask_b32_e64 v30, 0, v30, s[42:43]
	v_add_u32_e32 v29, v29, v30
	ds_write_b32 v69, v29
.LBB141_87:                             ;   in Loop: Header=BB141_67 Depth=1
	s_or_b64 exec, exec, s[44:45]
	v_mov_b32_e32 v29, 0
	s_waitcnt lgkmcnt(0)
	s_barrier
	s_and_saveexec_b64 s[44:45], s[34:35]
	s_cbranch_execz .LBB141_89
; %bb.88:                               ;   in Loop: Header=BB141_67 Depth=1
	ds_read_b32 v29, v75
.LBB141_89:                             ;   in Loop: Header=BB141_67 Depth=1
	s_or_b64 exec, exec, s[44:45]
	s_waitcnt lgkmcnt(0)
	v_add_u32_e32 v1, v29, v1
	ds_bpermute_b32 v1, v74, v1
	s_cmp_gt_u32 s50, 55
	s_waitcnt lgkmcnt(0)
	v_cndmask_b32_e64 v1, v1, v29, s[36:37]
	v_cndmask_b32_e64 v1, v1, 0, s[38:39]
	v_add_u32_e32 v2, v1, v2
	v_add_u32_e32 v3, v2, v3
	v_add_u32_e32 v0, v3, v0
	ds_write2_b32 v112, v1, v2 offset0:4 offset1:5
	ds_write2_b32 v72, v3, v0 offset0:2 offset1:3
	s_waitcnt lgkmcnt(0)
	s_barrier
	ds_read_b32 v0, v4
	ds_read_b32 v1, v7
	ds_read_b32 v2, v10
	ds_read_b32 v3, v13
	ds_read_b32 v4, v18
	ds_read_b32 v7, v21
	ds_read_b32 v10, v24
	ds_read_b32 v13, v27
	s_waitcnt lgkmcnt(7)
	v_add_u32_e32 v83, v0, v5
	s_waitcnt lgkmcnt(6)
	v_add3_u32 v82, v8, v6, v1
	s_waitcnt lgkmcnt(5)
	v_add3_u32 v81, v11, v9, v2
	;; [unrolled: 2-line block ×7, first 2 shown]
	s_cbranch_scc0 .LBB141_66
; %bb.90:
                                        ; implicit-def: $vgpr32_vgpr33
                                        ; implicit-def: $vgpr28_vgpr29
                                        ; implicit-def: $vgpr24_vgpr25
                                        ; implicit-def: $vgpr20_vgpr21
                                        ; implicit-def: $vgpr14_vgpr15
                                        ; implicit-def: $vgpr10_vgpr11
                                        ; implicit-def: $vgpr6_vgpr7
                                        ; implicit-def: $vgpr2_vgpr3
                                        ; implicit-def: $sgpr50_sgpr51
                                        ; implicit-def: $sgpr53
.LBB141_91:
	v_lshlrev_b32_e32 v18, 3, v83
	v_lshlrev_b32_e32 v19, 3, v82
	;; [unrolled: 1-line block ×9, first 2 shown]
	s_barrier
	ds_write_b64 v18, v[64:65]
	ds_write_b64 v19, v[62:63]
	;; [unrolled: 1-line block ×8, first 2 shown]
	s_waitcnt lgkmcnt(0)
	s_barrier
	ds_read2_b64 v[0:3], v26 offset1:1
	ds_read2_b64 v[4:7], v26 offset0:2 offset1:3
	ds_read2_b64 v[8:11], v26 offset0:4 offset1:5
	;; [unrolled: 1-line block ×3, first 2 shown]
	s_waitcnt lgkmcnt(0)
	s_barrier
	ds_write_b64 v18, v[50:51]
	ds_write_b64 v19, v[48:49]
	;; [unrolled: 1-line block ×8, first 2 shown]
	s_waitcnt lgkmcnt(0)
	s_barrier
	ds_read2_b64 v[34:37], v26 offset1:1
	ds_read2_b64 v[38:41], v26 offset0:2 offset1:3
	ds_read2_b64 v[42:45], v26 offset0:4 offset1:5
	;; [unrolled: 1-line block ×3, first 2 shown]
	v_xor_b32_e32 v51, 0x7fffffff, v1
	v_xor_b32_e32 v50, -1, v0
	v_xor_b32_e32 v53, 0x7fffffff, v3
	v_xor_b32_e32 v52, -1, v2
	;; [unrolled: 2-line block ×8, first 2 shown]
.LBB141_92:
	s_waitcnt lgkmcnt(0)
	s_barrier
	ds_write2_b64 v111, v[50:51], v[52:53] offset1:1
	ds_write2_b64 v111, v[54:55], v[56:57] offset0:2 offset1:3
	ds_write2_b64 v111, v[58:59], v[60:61] offset0:4 offset1:5
	;; [unrolled: 1-line block ×3, first 2 shown]
	s_waitcnt lgkmcnt(0)
	s_barrier
	ds_read_b64 v[14:15], v104 offset:2048
	ds_read_b64 v[12:13], v105 offset:4096
	;; [unrolled: 1-line block ×7, first 2 shown]
	v_mov_b32_e32 v67, 0
	v_lshlrev_b64 v[2:3], 3, v[66:67]
	v_mov_b32_e32 v16, s47
	v_add_co_u32_e32 v2, vcc, s33, v2
	v_addc_co_u32_e32 v3, vcc, v16, v3, vcc
	s_and_saveexec_b64 s[16:17], s[0:1]
	s_cbranch_execnz .LBB141_111
; %bb.93:
	s_or_b64 exec, exec, s[16:17]
	s_and_saveexec_b64 s[16:17], s[2:3]
	s_cbranch_execnz .LBB141_112
.LBB141_94:
	s_or_b64 exec, exec, s[16:17]
	s_and_saveexec_b64 s[16:17], s[4:5]
	s_cbranch_execnz .LBB141_113
.LBB141_95:
	s_or_b64 exec, exec, s[16:17]
	s_and_saveexec_b64 s[16:17], s[6:7]
	s_cbranch_execnz .LBB141_114
.LBB141_96:
	s_or_b64 exec, exec, s[16:17]
	s_and_saveexec_b64 s[16:17], s[8:9]
	s_cbranch_execnz .LBB141_115
.LBB141_97:
	s_or_b64 exec, exec, s[16:17]
	s_and_saveexec_b64 s[16:17], s[10:11]
	s_cbranch_execnz .LBB141_116
.LBB141_98:
	s_or_b64 exec, exec, s[16:17]
	s_and_saveexec_b64 s[16:17], s[12:13]
	s_cbranch_execnz .LBB141_117
.LBB141_99:
	s_or_b64 exec, exec, s[16:17]
	s_and_saveexec_b64 s[16:17], s[14:15]
	s_cbranch_execz .LBB141_101
.LBB141_100:
	s_mul_i32 s18, s46, 0x700
	s_mov_b32 s19, 0
	s_lshl_b64 s[18:19], s[18:19], 3
	s_waitcnt lgkmcnt(1)
	v_mov_b32_e32 v4, s19
	v_add_co_u32_e32 v2, vcc, s18, v2
	v_addc_co_u32_e32 v3, vcc, v3, v4, vcc
	s_waitcnt lgkmcnt(0)
	global_store_dwordx2 v[2:3], v[0:1], off
.LBB141_101:
	s_or_b64 exec, exec, s[16:17]
	s_waitcnt lgkmcnt(0)
	s_barrier
	ds_write2_b64 v111, v[34:35], v[36:37] offset1:1
	ds_write2_b64 v111, v[38:39], v[40:41] offset0:2 offset1:3
	ds_write2_b64 v111, v[42:43], v[44:45] offset0:4 offset1:5
	;; [unrolled: 1-line block ×3, first 2 shown]
	s_waitcnt lgkmcnt(0)
	s_barrier
	ds_read_b64 v[14:15], v104 offset:2048
	ds_read_b64 v[12:13], v105 offset:4096
	ds_read_b64 v[10:11], v106 offset:6144
	ds_read_b64 v[8:9], v107 offset:8192
	ds_read_b64 v[6:7], v108 offset:10240
	ds_read_b64 v[4:5], v109 offset:12288
	ds_read_b64 v[0:1], v110 offset:14336
	v_mov_b32_e32 v69, 0
	v_lshlrev_b64 v[2:3], 3, v[68:69]
	v_mov_b32_e32 v16, s54
	v_add_co_u32_e32 v2, vcc, s49, v2
	v_addc_co_u32_e32 v3, vcc, v16, v3, vcc
	s_and_saveexec_b64 s[16:17], s[0:1]
	s_cbranch_execnz .LBB141_118
; %bb.102:
	s_or_b64 exec, exec, s[16:17]
	s_and_saveexec_b64 s[0:1], s[2:3]
	s_cbranch_execnz .LBB141_119
.LBB141_103:
	s_or_b64 exec, exec, s[0:1]
	s_and_saveexec_b64 s[0:1], s[4:5]
	s_cbranch_execnz .LBB141_120
.LBB141_104:
	s_or_b64 exec, exec, s[0:1]
	s_and_saveexec_b64 s[0:1], s[6:7]
	s_cbranch_execnz .LBB141_121
.LBB141_105:
	s_or_b64 exec, exec, s[0:1]
	s_and_saveexec_b64 s[0:1], s[8:9]
	s_cbranch_execnz .LBB141_122
.LBB141_106:
	s_or_b64 exec, exec, s[0:1]
	s_and_saveexec_b64 s[0:1], s[10:11]
	s_cbranch_execnz .LBB141_123
.LBB141_107:
	s_or_b64 exec, exec, s[0:1]
	s_and_saveexec_b64 s[0:1], s[12:13]
	s_cbranch_execnz .LBB141_124
.LBB141_108:
	s_or_b64 exec, exec, s[0:1]
	s_and_saveexec_b64 s[0:1], s[14:15]
	s_cbranch_execz .LBB141_110
.LBB141_109:
	s_mul_i32 s0, s48, 0x700
	s_mov_b32 s1, 0
	s_lshl_b64 s[0:1], s[0:1], 3
	s_waitcnt lgkmcnt(1)
	v_mov_b32_e32 v4, s1
	v_add_co_u32_e32 v2, vcc, s0, v2
	v_addc_co_u32_e32 v3, vcc, v3, v4, vcc
	s_waitcnt lgkmcnt(0)
	global_store_dwordx2 v[2:3], v[0:1], off
.LBB141_110:
	s_endpgm
.LBB141_111:
	ds_read_b64 v[16:17], v71
	s_waitcnt lgkmcnt(0)
	global_store_dwordx2 v[2:3], v[16:17], off
	s_or_b64 exec, exec, s[16:17]
	s_and_saveexec_b64 s[16:17], s[2:3]
	s_cbranch_execz .LBB141_94
.LBB141_112:
	s_lshl_b32 s18, s46, 8
	s_mov_b32 s19, 0
	s_lshl_b64 s[18:19], s[18:19], 3
	v_mov_b32_e32 v17, s19
	v_add_co_u32_e32 v16, vcc, s18, v2
	v_addc_co_u32_e32 v17, vcc, v3, v17, vcc
	s_waitcnt lgkmcnt(6)
	global_store_dwordx2 v[16:17], v[14:15], off
	s_or_b64 exec, exec, s[16:17]
	s_and_saveexec_b64 s[16:17], s[4:5]
	s_cbranch_execz .LBB141_95
.LBB141_113:
	s_lshl_b32 s18, s46, 9
	s_mov_b32 s19, 0
	s_lshl_b64 s[18:19], s[18:19], 3
	s_waitcnt lgkmcnt(6)
	v_mov_b32_e32 v15, s19
	v_add_co_u32_e32 v14, vcc, s18, v2
	v_addc_co_u32_e32 v15, vcc, v3, v15, vcc
	s_waitcnt lgkmcnt(5)
	global_store_dwordx2 v[14:15], v[12:13], off
	s_or_b64 exec, exec, s[16:17]
	s_and_saveexec_b64 s[16:17], s[6:7]
	s_cbranch_execz .LBB141_96
.LBB141_114:
	s_mul_i32 s18, s46, 0x300
	s_mov_b32 s19, 0
	s_lshl_b64 s[18:19], s[18:19], 3
	s_waitcnt lgkmcnt(5)
	v_mov_b32_e32 v13, s19
	v_add_co_u32_e32 v12, vcc, s18, v2
	v_addc_co_u32_e32 v13, vcc, v3, v13, vcc
	s_waitcnt lgkmcnt(4)
	global_store_dwordx2 v[12:13], v[10:11], off
	s_or_b64 exec, exec, s[16:17]
	s_and_saveexec_b64 s[16:17], s[8:9]
	s_cbranch_execz .LBB141_97
.LBB141_115:
	s_lshl_b32 s18, s46, 10
	s_mov_b32 s19, 0
	s_lshl_b64 s[18:19], s[18:19], 3
	s_waitcnt lgkmcnt(4)
	v_mov_b32_e32 v11, s19
	v_add_co_u32_e32 v10, vcc, s18, v2
	v_addc_co_u32_e32 v11, vcc, v3, v11, vcc
	s_waitcnt lgkmcnt(3)
	global_store_dwordx2 v[10:11], v[8:9], off
	s_or_b64 exec, exec, s[16:17]
	s_and_saveexec_b64 s[16:17], s[10:11]
	s_cbranch_execz .LBB141_98
.LBB141_116:
	s_mul_i32 s18, s46, 0x500
	s_mov_b32 s19, 0
	s_lshl_b64 s[18:19], s[18:19], 3
	s_waitcnt lgkmcnt(3)
	v_mov_b32_e32 v9, s19
	v_add_co_u32_e32 v8, vcc, s18, v2
	v_addc_co_u32_e32 v9, vcc, v3, v9, vcc
	s_waitcnt lgkmcnt(2)
	global_store_dwordx2 v[8:9], v[6:7], off
	s_or_b64 exec, exec, s[16:17]
	s_and_saveexec_b64 s[16:17], s[12:13]
	s_cbranch_execz .LBB141_99
.LBB141_117:
	s_mul_i32 s18, s46, 0x600
	s_mov_b32 s19, 0
	s_lshl_b64 s[18:19], s[18:19], 3
	s_waitcnt lgkmcnt(2)
	v_mov_b32_e32 v7, s19
	v_add_co_u32_e32 v6, vcc, s18, v2
	v_addc_co_u32_e32 v7, vcc, v3, v7, vcc
	s_waitcnt lgkmcnt(1)
	global_store_dwordx2 v[6:7], v[4:5], off
	s_or_b64 exec, exec, s[16:17]
	s_and_saveexec_b64 s[16:17], s[14:15]
	s_cbranch_execnz .LBB141_100
	s_branch .LBB141_101
.LBB141_118:
	ds_read_b64 v[16:17], v71
	s_waitcnt lgkmcnt(0)
	global_store_dwordx2 v[2:3], v[16:17], off
	s_or_b64 exec, exec, s[16:17]
	s_and_saveexec_b64 s[0:1], s[2:3]
	s_cbranch_execz .LBB141_103
.LBB141_119:
	s_lshl_b32 s2, s48, 8
	s_mov_b32 s3, 0
	s_lshl_b64 s[2:3], s[2:3], 3
	v_mov_b32_e32 v17, s3
	v_add_co_u32_e32 v16, vcc, s2, v2
	v_addc_co_u32_e32 v17, vcc, v3, v17, vcc
	s_waitcnt lgkmcnt(6)
	global_store_dwordx2 v[16:17], v[14:15], off
	s_or_b64 exec, exec, s[0:1]
	s_and_saveexec_b64 s[0:1], s[4:5]
	s_cbranch_execz .LBB141_104
.LBB141_120:
	s_lshl_b32 s2, s48, 9
	s_mov_b32 s3, 0
	s_lshl_b64 s[2:3], s[2:3], 3
	s_waitcnt lgkmcnt(6)
	v_mov_b32_e32 v15, s3
	v_add_co_u32_e32 v14, vcc, s2, v2
	v_addc_co_u32_e32 v15, vcc, v3, v15, vcc
	s_waitcnt lgkmcnt(5)
	global_store_dwordx2 v[14:15], v[12:13], off
	s_or_b64 exec, exec, s[0:1]
	s_and_saveexec_b64 s[0:1], s[6:7]
	s_cbranch_execz .LBB141_105
.LBB141_121:
	s_mul_i32 s2, s48, 0x300
	s_mov_b32 s3, 0
	s_lshl_b64 s[2:3], s[2:3], 3
	s_waitcnt lgkmcnt(5)
	v_mov_b32_e32 v13, s3
	v_add_co_u32_e32 v12, vcc, s2, v2
	v_addc_co_u32_e32 v13, vcc, v3, v13, vcc
	s_waitcnt lgkmcnt(4)
	global_store_dwordx2 v[12:13], v[10:11], off
	s_or_b64 exec, exec, s[0:1]
	s_and_saveexec_b64 s[0:1], s[8:9]
	s_cbranch_execz .LBB141_106
.LBB141_122:
	s_lshl_b32 s2, s48, 10
	s_mov_b32 s3, 0
	s_lshl_b64 s[2:3], s[2:3], 3
	s_waitcnt lgkmcnt(4)
	v_mov_b32_e32 v11, s3
	v_add_co_u32_e32 v10, vcc, s2, v2
	v_addc_co_u32_e32 v11, vcc, v3, v11, vcc
	s_waitcnt lgkmcnt(3)
	global_store_dwordx2 v[10:11], v[8:9], off
	s_or_b64 exec, exec, s[0:1]
	s_and_saveexec_b64 s[0:1], s[10:11]
	s_cbranch_execz .LBB141_107
.LBB141_123:
	s_mul_i32 s2, s48, 0x500
	s_mov_b32 s3, 0
	s_lshl_b64 s[2:3], s[2:3], 3
	s_waitcnt lgkmcnt(3)
	v_mov_b32_e32 v9, s3
	v_add_co_u32_e32 v8, vcc, s2, v2
	v_addc_co_u32_e32 v9, vcc, v3, v9, vcc
	s_waitcnt lgkmcnt(2)
	global_store_dwordx2 v[8:9], v[6:7], off
	s_or_b64 exec, exec, s[0:1]
	s_and_saveexec_b64 s[0:1], s[12:13]
	s_cbranch_execz .LBB141_108
.LBB141_124:
	s_mul_i32 s2, s48, 0x600
	s_mov_b32 s3, 0
	s_lshl_b64 s[2:3], s[2:3], 3
	s_waitcnt lgkmcnt(2)
	v_mov_b32_e32 v7, s3
	v_add_co_u32_e32 v6, vcc, s2, v2
	v_addc_co_u32_e32 v7, vcc, v3, v7, vcc
	s_waitcnt lgkmcnt(1)
	global_store_dwordx2 v[6:7], v[4:5], off
	s_or_b64 exec, exec, s[0:1]
	s_and_saveexec_b64 s[0:1], s[14:15]
	s_cbranch_execnz .LBB141_109
	s_branch .LBB141_110
	.section	.rodata,"a",@progbits
	.p2align	6, 0x0
	.amdhsa_kernel _ZN2at6native18radixSortKVInPlaceILin2ELin1ELi256ELi8ElljEEvNS_4cuda6detail10TensorInfoIT3_T5_EES6_S6_S6_NS4_IT4_S6_EES6_b
		.amdhsa_group_segment_fixed_size 16896
		.amdhsa_private_segment_fixed_size 0
		.amdhsa_kernarg_size 712
		.amdhsa_user_sgpr_count 6
		.amdhsa_user_sgpr_private_segment_buffer 1
		.amdhsa_user_sgpr_dispatch_ptr 0
		.amdhsa_user_sgpr_queue_ptr 0
		.amdhsa_user_sgpr_kernarg_segment_ptr 1
		.amdhsa_user_sgpr_dispatch_id 0
		.amdhsa_user_sgpr_flat_scratch_init 0
		.amdhsa_user_sgpr_kernarg_preload_length 0
		.amdhsa_user_sgpr_kernarg_preload_offset 0
		.amdhsa_user_sgpr_private_segment_size 0
		.amdhsa_uses_dynamic_stack 0
		.amdhsa_system_sgpr_private_segment_wavefront_offset 0
		.amdhsa_system_sgpr_workgroup_id_x 1
		.amdhsa_system_sgpr_workgroup_id_y 1
		.amdhsa_system_sgpr_workgroup_id_z 1
		.amdhsa_system_sgpr_workgroup_info 0
		.amdhsa_system_vgpr_workitem_id 2
		.amdhsa_next_free_vgpr 139
		.amdhsa_next_free_sgpr 60
		.amdhsa_accum_offset 140
		.amdhsa_reserve_vcc 1
		.amdhsa_reserve_flat_scratch 0
		.amdhsa_float_round_mode_32 0
		.amdhsa_float_round_mode_16_64 0
		.amdhsa_float_denorm_mode_32 3
		.amdhsa_float_denorm_mode_16_64 3
		.amdhsa_dx10_clamp 1
		.amdhsa_ieee_mode 1
		.amdhsa_fp16_overflow 0
		.amdhsa_tg_split 0
		.amdhsa_exception_fp_ieee_invalid_op 0
		.amdhsa_exception_fp_denorm_src 0
		.amdhsa_exception_fp_ieee_div_zero 0
		.amdhsa_exception_fp_ieee_overflow 0
		.amdhsa_exception_fp_ieee_underflow 0
		.amdhsa_exception_fp_ieee_inexact 0
		.amdhsa_exception_int_div_zero 0
	.end_amdhsa_kernel
	.section	.text._ZN2at6native18radixSortKVInPlaceILin2ELin1ELi256ELi8ElljEEvNS_4cuda6detail10TensorInfoIT3_T5_EES6_S6_S6_NS4_IT4_S6_EES6_b,"axG",@progbits,_ZN2at6native18radixSortKVInPlaceILin2ELin1ELi256ELi8ElljEEvNS_4cuda6detail10TensorInfoIT3_T5_EES6_S6_S6_NS4_IT4_S6_EES6_b,comdat
.Lfunc_end141:
	.size	_ZN2at6native18radixSortKVInPlaceILin2ELin1ELi256ELi8ElljEEvNS_4cuda6detail10TensorInfoIT3_T5_EES6_S6_S6_NS4_IT4_S6_EES6_b, .Lfunc_end141-_ZN2at6native18radixSortKVInPlaceILin2ELin1ELi256ELi8ElljEEvNS_4cuda6detail10TensorInfoIT3_T5_EES6_S6_S6_NS4_IT4_S6_EES6_b
                                        ; -- End function
	.section	.AMDGPU.csdata,"",@progbits
; Kernel info:
; codeLenInByte = 13072
; NumSgprs: 64
; NumVgprs: 139
; NumAgprs: 0
; TotalNumVgprs: 139
; ScratchSize: 0
; MemoryBound: 0
; FloatMode: 240
; IeeeMode: 1
; LDSByteSize: 16896 bytes/workgroup (compile time only)
; SGPRBlocks: 7
; VGPRBlocks: 17
; NumSGPRsForWavesPerEU: 64
; NumVGPRsForWavesPerEU: 139
; AccumOffset: 140
; Occupancy: 3
; WaveLimiterHint : 1
; COMPUTE_PGM_RSRC2:SCRATCH_EN: 0
; COMPUTE_PGM_RSRC2:USER_SGPR: 6
; COMPUTE_PGM_RSRC2:TRAP_HANDLER: 0
; COMPUTE_PGM_RSRC2:TGID_X_EN: 1
; COMPUTE_PGM_RSRC2:TGID_Y_EN: 1
; COMPUTE_PGM_RSRC2:TGID_Z_EN: 1
; COMPUTE_PGM_RSRC2:TIDIG_COMP_CNT: 2
; COMPUTE_PGM_RSRC3_GFX90A:ACCUM_OFFSET: 34
; COMPUTE_PGM_RSRC3_GFX90A:TG_SPLIT: 0
	.section	.text._ZN2at6native18radixSortKVInPlaceILin2ELin1ELi128ELi8ElljEEvNS_4cuda6detail10TensorInfoIT3_T5_EES6_S6_S6_NS4_IT4_S6_EES6_b,"axG",@progbits,_ZN2at6native18radixSortKVInPlaceILin2ELin1ELi128ELi8ElljEEvNS_4cuda6detail10TensorInfoIT3_T5_EES6_S6_S6_NS4_IT4_S6_EES6_b,comdat
	.protected	_ZN2at6native18radixSortKVInPlaceILin2ELin1ELi128ELi8ElljEEvNS_4cuda6detail10TensorInfoIT3_T5_EES6_S6_S6_NS4_IT4_S6_EES6_b ; -- Begin function _ZN2at6native18radixSortKVInPlaceILin2ELin1ELi128ELi8ElljEEvNS_4cuda6detail10TensorInfoIT3_T5_EES6_S6_S6_NS4_IT4_S6_EES6_b
	.globl	_ZN2at6native18radixSortKVInPlaceILin2ELin1ELi128ELi8ElljEEvNS_4cuda6detail10TensorInfoIT3_T5_EES6_S6_S6_NS4_IT4_S6_EES6_b
	.p2align	8
	.type	_ZN2at6native18radixSortKVInPlaceILin2ELin1ELi128ELi8ElljEEvNS_4cuda6detail10TensorInfoIT3_T5_EES6_S6_S6_NS4_IT4_S6_EES6_b,@function
_ZN2at6native18radixSortKVInPlaceILin2ELin1ELi128ELi8ElljEEvNS_4cuda6detail10TensorInfoIT3_T5_EES6_S6_S6_NS4_IT4_S6_EES6_b: ; @_ZN2at6native18radixSortKVInPlaceILin2ELin1ELi128ELi8ElljEEvNS_4cuda6detail10TensorInfoIT3_T5_EES6_S6_S6_NS4_IT4_S6_EES6_b
; %bb.0:
	s_load_dwordx2 s[0:1], s[4:5], 0x1c8
	s_load_dwordx4 s[44:47], s[4:5], 0xd8
	s_add_u32 s50, s4, 0x1c8
	s_addc_u32 s51, s5, 0
	s_waitcnt lgkmcnt(0)
	s_mul_i32 s1, s1, s8
	s_add_i32 s1, s1, s7
	s_mul_i32 s0, s1, s0
	s_add_i32 s6, s0, s6
	s_cmp_ge_u32 s6, s44
	s_cbranch_scc1 .LBB142_110
; %bb.1:
	s_load_dword s2, s[4:5], 0x1b8
	s_load_dwordx2 s[0:1], s[4:5], 0x0
	s_add_u32 s22, s4, 0xe8
	s_addc_u32 s23, s5, 0
	s_mov_b32 s21, 0
	s_waitcnt lgkmcnt(0)
	s_cmp_lt_i32 s2, 2
	s_mov_b32 s20, s6
	s_cbranch_scc1 .LBB142_4
; %bb.2:
	s_add_i32 s20, s2, -1
	s_add_i32 s7, s2, 1
	s_lshl_b64 s[2:3], s[20:21], 2
	s_add_u32 s2, s2, s22
	s_addc_u32 s3, s3, s23
	s_add_u32 s2, s2, 8
	s_addc_u32 s3, s3, 0
	s_mov_b32 s20, s6
.LBB142_3:                              ; =>This Inner Loop Header: Depth=1
	s_load_dword s8, s[2:3], 0x0
	s_load_dword s10, s[2:3], 0x64
	s_mov_b32 s9, s20
	s_waitcnt lgkmcnt(0)
	v_cvt_f32_u32_e32 v1, s8
	s_sub_i32 s11, 0, s8
	v_rcp_iflag_f32_e32 v1, v1
	v_mul_f32_e32 v1, 0x4f7ffffe, v1
	v_cvt_u32_f32_e32 v1, v1
	v_readfirstlane_b32 s12, v1
	s_mul_i32 s11, s11, s12
	s_mul_hi_u32 s11, s12, s11
	s_add_i32 s12, s12, s11
	s_mul_hi_u32 s11, s20, s12
	s_mul_i32 s12, s11, s8
	s_sub_i32 s12, s20, s12
	s_add_i32 s13, s11, 1
	s_sub_i32 s14, s12, s8
	s_cmp_ge_u32 s12, s8
	s_cselect_b32 s11, s13, s11
	s_cselect_b32 s12, s14, s12
	s_add_i32 s13, s11, 1
	s_cmp_ge_u32 s12, s8
	s_cselect_b32 s20, s13, s11
	s_mul_i32 s8, s20, s8
	s_sub_i32 s8, s9, s8
	s_mul_i32 s8, s10, s8
	s_add_i32 s7, s7, -1
	s_add_i32 s21, s8, s21
	s_add_u32 s2, s2, -4
	s_addc_u32 s3, s3, -1
	s_cmp_gt_u32 s7, 2
	s_cbranch_scc1 .LBB142_3
.LBB142_4:
	s_load_dword s2, s[4:5], 0x6c
	s_load_dwordx2 s[48:49], s[4:5], 0x1c0
	s_mov_b32 s3, 0
	v_and_b32_e32 v70, 0x3ff, v0
	v_mul_lo_u32 v66, v70, s46
	s_waitcnt lgkmcnt(0)
	s_mul_i32 s2, s2, s6
	s_bitcmp1_b32 s49, 0
	s_cselect_b64 s[34:35], -1, 0
	s_brev_b32 s6, 1
	s_and_b64 s[4:5], s[34:35], exec
	s_cselect_b32 s4, 0, -1
	s_cselect_b32 s5, s6, 0x7fffffff
	s_lshl_b64 s[2:3], s[2:3], 3
	s_add_u32 s33, s0, s2
	s_mov_b32 s6, s4
	s_mov_b32 s7, s5
	;; [unrolled: 1-line block ×14, first 2 shown]
	v_pk_mov_b32 v[2:3], s[4:5], s[4:5] op_sel:[0,1]
	s_addc_u32 s47, s1, s3
	v_cmp_gt_u32_e64 s[0:1], s45, v70
	v_pk_mov_b32 v[4:5], s[6:7], s[6:7] op_sel:[0,1]
	v_pk_mov_b32 v[6:7], s[8:9], s[8:9] op_sel:[0,1]
	;; [unrolled: 1-line block ×8, first 2 shown]
	s_and_saveexec_b64 s[2:3], s[0:1]
	s_cbranch_execz .LBB142_6
; %bb.5:
	v_mov_b32_e32 v67, 0
	v_lshlrev_b64 v[2:3], 3, v[66:67]
	v_mov_b32_e32 v1, s47
	v_add_co_u32_e32 v2, vcc, s33, v2
	v_addc_co_u32_e32 v3, vcc, v1, v3, vcc
	global_load_dwordx2 v[18:19], v[2:3], off
	v_pk_mov_b32 v[2:3], s[4:5], s[4:5] op_sel:[0,1]
	v_pk_mov_b32 v[4:5], s[6:7], s[6:7] op_sel:[0,1]
	;; [unrolled: 1-line block ×8, first 2 shown]
.LBB142_6:
	s_or_b64 exec, exec, s[2:3]
	v_add_u32_e32 v1, 0x80, v70
	v_cmp_gt_u32_e64 s[2:3], s45, v1
	s_and_saveexec_b64 s[4:5], s[2:3]
	s_cbranch_execz .LBB142_8
; %bb.7:
	v_mul_lo_u32 v2, v1, s46
	v_mov_b32_e32 v3, 0
	v_lshlrev_b64 v[2:3], 3, v[2:3]
	v_mov_b32_e32 v4, s47
	v_add_co_u32_e32 v2, vcc, s33, v2
	v_addc_co_u32_e32 v3, vcc, v4, v3, vcc
	global_load_dwordx2 v[4:5], v[2:3], off
.LBB142_8:
	s_or_b64 exec, exec, s[4:5]
	v_add_u32_e32 v34, 0x100, v70
	v_cmp_gt_u32_e64 s[4:5], s45, v34
	s_and_saveexec_b64 s[6:7], s[4:5]
	s_cbranch_execz .LBB142_10
; %bb.9:
	v_mul_lo_u32 v2, v34, s46
	v_mov_b32_e32 v3, 0
	v_lshlrev_b64 v[2:3], 3, v[2:3]
	v_mov_b32_e32 v6, s47
	v_add_co_u32_e32 v2, vcc, s33, v2
	v_addc_co_u32_e32 v3, vcc, v6, v3, vcc
	global_load_dwordx2 v[6:7], v[2:3], off
.LBB142_10:
	s_or_b64 exec, exec, s[6:7]
	v_add_u32_e32 v35, 0x180, v70
	v_cmp_gt_u32_e64 s[6:7], s45, v35
	s_and_saveexec_b64 s[8:9], s[6:7]
	s_cbranch_execz .LBB142_12
; %bb.11:
	v_mul_lo_u32 v2, v35, s46
	v_mov_b32_e32 v3, 0
	v_lshlrev_b64 v[2:3], 3, v[2:3]
	v_mov_b32_e32 v8, s47
	v_add_co_u32_e32 v2, vcc, s33, v2
	v_addc_co_u32_e32 v3, vcc, v8, v3, vcc
	global_load_dwordx2 v[8:9], v[2:3], off
.LBB142_12:
	s_or_b64 exec, exec, s[8:9]
	v_add_u32_e32 v36, 0x200, v70
	v_cmp_gt_u32_e64 s[8:9], s45, v36
	s_and_saveexec_b64 s[10:11], s[8:9]
	s_cbranch_execz .LBB142_14
; %bb.13:
	v_mul_lo_u32 v2, v36, s46
	v_mov_b32_e32 v3, 0
	v_lshlrev_b64 v[2:3], 3, v[2:3]
	v_mov_b32_e32 v10, s47
	v_add_co_u32_e32 v2, vcc, s33, v2
	v_addc_co_u32_e32 v3, vcc, v10, v3, vcc
	global_load_dwordx2 v[10:11], v[2:3], off
.LBB142_14:
	s_or_b64 exec, exec, s[10:11]
	v_add_u32_e32 v37, 0x280, v70
	v_cmp_gt_u32_e64 s[10:11], s45, v37
	s_and_saveexec_b64 s[12:13], s[10:11]
	s_cbranch_execz .LBB142_16
; %bb.15:
	v_mul_lo_u32 v2, v37, s46
	v_mov_b32_e32 v3, 0
	v_lshlrev_b64 v[2:3], 3, v[2:3]
	v_mov_b32_e32 v12, s47
	v_add_co_u32_e32 v2, vcc, s33, v2
	v_addc_co_u32_e32 v3, vcc, v12, v3, vcc
	global_load_dwordx2 v[12:13], v[2:3], off
.LBB142_16:
	s_or_b64 exec, exec, s[12:13]
	s_load_dwordx2 s[18:19], s[22:23], 0x0
	v_add_u32_e32 v38, 0x300, v70
	v_cmp_gt_u32_e64 s[12:13], s45, v38
	s_and_saveexec_b64 s[14:15], s[12:13]
	s_cbranch_execz .LBB142_18
; %bb.17:
	v_mul_lo_u32 v2, v38, s46
	v_mov_b32_e32 v3, 0
	v_lshlrev_b64 v[2:3], 3, v[2:3]
	v_mov_b32_e32 v14, s47
	v_add_co_u32_e32 v2, vcc, s33, v2
	v_addc_co_u32_e32 v3, vcc, v14, v3, vcc
	global_load_dwordx2 v[14:15], v[2:3], off
.LBB142_18:
	s_or_b64 exec, exec, s[14:15]
	s_load_dword s22, s[22:23], 0x6c
	v_add_u32_e32 v39, 0x380, v70
	v_cmp_gt_u32_e64 s[14:15], s45, v39
	s_and_saveexec_b64 s[16:17], s[14:15]
	s_cbranch_execz .LBB142_20
; %bb.19:
	v_mul_lo_u32 v2, v39, s46
	v_mov_b32_e32 v3, 0
	v_lshlrev_b64 v[2:3], 3, v[2:3]
	v_mov_b32_e32 v16, s47
	v_add_co_u32_e32 v2, vcc, s33, v2
	v_addc_co_u32_e32 v3, vcc, v16, v3, vcc
	global_load_dwordx2 v[16:17], v[2:3], off
.LBB142_20:
	s_or_b64 exec, exec, s[16:17]
	v_lshrrev_b32_e32 v2, 5, v70
	v_add_lshl_u32 v71, v2, v70, 3
	v_lshrrev_b32_e32 v2, 5, v1
	v_add_lshl_u32 v104, v2, v70, 3
	;; [unrolled: 2-line block ×8, first 2 shown]
	v_lshlrev_b32_e32 v67, 3, v70
	v_lshrrev_b32_e32 v2, 2, v70
	v_add_lshl_u32 v111, v2, v67, 3
	s_waitcnt vmcnt(0)
	ds_write_b64 v71, v[18:19]
	ds_write_b64 v104, v[4:5] offset:1024
	ds_write_b64 v105, v[6:7] offset:2048
	;; [unrolled: 1-line block ×7, first 2 shown]
	s_waitcnt lgkmcnt(0)
	s_barrier
	ds_read2_b64 v[30:33], v111 offset1:1
	ds_read2_b64 v[26:29], v111 offset0:2 offset1:3
	ds_read2_b64 v[22:25], v111 offset0:4 offset1:5
	;; [unrolled: 1-line block ×3, first 2 shown]
	s_mul_i32 s16, s22, s20
	s_add_i32 s16, s16, s21
	s_mov_b32 s17, 0
	s_lshl_b64 s[20:21], s[16:17], 3
	s_add_u32 s49, s18, s20
	s_mov_b32 s16, s17
	s_addc_u32 s52, s19, s21
	s_mov_b32 s18, s17
	s_mov_b32 s19, s17
	;; [unrolled: 1-line block ×14, first 2 shown]
	v_pk_mov_b32 v[2:3], s[16:17], s[16:17] op_sel:[0,1]
	v_pk_mov_b32 v[4:5], s[18:19], s[18:19] op_sel:[0,1]
	;; [unrolled: 1-line block ×8, first 2 shown]
	v_pk_mov_b32 v[2:3], 0, 0
	v_mul_lo_u32 v68, v70, s48
	s_waitcnt lgkmcnt(0)
	s_barrier
	s_and_saveexec_b64 s[16:17], s[0:1]
	s_cbranch_execnz .LBB142_57
; %bb.21:
	s_or_b64 exec, exec, s[16:17]
	s_and_saveexec_b64 s[16:17], s[2:3]
	s_cbranch_execnz .LBB142_58
.LBB142_22:
	s_or_b64 exec, exec, s[16:17]
	s_and_saveexec_b64 s[16:17], s[4:5]
	s_cbranch_execnz .LBB142_59
.LBB142_23:
	s_or_b64 exec, exec, s[16:17]
	s_and_saveexec_b64 s[16:17], s[6:7]
	s_cbranch_execnz .LBB142_60
.LBB142_24:
	s_or_b64 exec, exec, s[16:17]
	s_and_saveexec_b64 s[16:17], s[8:9]
	s_cbranch_execnz .LBB142_61
.LBB142_25:
	s_or_b64 exec, exec, s[16:17]
	s_and_saveexec_b64 s[16:17], s[10:11]
	s_cbranch_execnz .LBB142_62
.LBB142_26:
	s_or_b64 exec, exec, s[16:17]
	s_and_saveexec_b64 s[16:17], s[12:13]
	s_cbranch_execnz .LBB142_63
.LBB142_27:
	s_or_b64 exec, exec, s[16:17]
	s_xor_b64 s[16:17], s[34:35], -1
	s_and_saveexec_b64 s[18:19], s[14:15]
	s_cbranch_execz .LBB142_29
.LBB142_28:
	v_mul_lo_u32 v16, v39, s48
	v_mov_b32_e32 v17, 0
	v_lshlrev_b64 v[16:17], 3, v[16:17]
	v_mov_b32_e32 v1, s52
	v_add_co_u32_e32 v16, vcc, s49, v16
	v_addc_co_u32_e32 v17, vcc, v1, v17, vcc
	global_load_dwordx2 v[16:17], v[16:17], off
.LBB142_29:
	s_or_b64 exec, exec, s[18:19]
	s_waitcnt vmcnt(0)
	ds_write_b64 v71, v[2:3]
	ds_write_b64 v104, v[4:5] offset:1024
	ds_write_b64 v105, v[6:7] offset:2048
	;; [unrolled: 1-line block ×7, first 2 shown]
	s_waitcnt lgkmcnt(0)
	s_barrier
	ds_read2_b64 v[14:17], v111 offset1:1
	ds_read2_b64 v[10:13], v111 offset0:2 offset1:3
	ds_read2_b64 v[6:9], v111 offset0:4 offset1:5
	;; [unrolled: 1-line block ×3, first 2 shown]
	v_mbcnt_lo_u32_b32 v1, -1, 0
	v_mbcnt_hi_u32_b32 v113, -1, v1
	v_and_b32_e32 v34, 0x1e00, v67
	v_and_b32_e32 v1, 0x3c0, v70
	v_or_b32_e32 v35, v113, v34
	v_add_lshl_u32 v125, v113, v1, 6
	v_lshlrev_b32_e32 v124, 3, v35
	s_and_b64 vcc, exec, s[16:17]
	v_bfe_u32 v122, v0, 10, 10
	v_bfe_u32 v123, v0, 20, 10
	v_lshlrev_b32_e32 v69, 2, v70
	v_lshlrev_b32_e32 v112, 4, v70
	v_and_b32_e32 v120, 15, v113
	v_and_b32_e32 v121, 16, v113
	v_cmp_lt_u32_e64 s[16:17], 31, v113
	v_min_u32_e32 v118, 64, v1
	v_cmp_gt_u32_e64 s[18:19], 2, v70
	v_cmp_lt_u32_e64 s[20:21], 63, v70
	v_add_u32_e32 v115, -1, v113
	v_and_b32_e32 v119, 64, v113
	v_cmp_eq_u32_e64 s[22:23], 0, v113
	v_cmp_eq_u32_e64 s[24:25], 0, v70
	v_lshrrev_b32_e32 v116, 4, v70
	v_and_b32_e32 v117, 1, v113
	v_and_or_b32 v114, v113, 63, v34
	s_waitcnt lgkmcnt(0)
	s_barrier
	s_cbranch_vccz .LBB142_64
; %bb.30:
	v_xor_b32_e32 v1, 0x80000000, v31
	v_xor_b32_e32 v35, 0x80000000, v33
	;; [unrolled: 1-line block ×8, first 2 shown]
	v_mov_b32_e32 v0, v30
	v_mov_b32_e32 v34, v32
	;; [unrolled: 1-line block ×8, first 2 shown]
	ds_write2_b64 v125, v[0:1], v[34:35] offset1:1
	ds_write2_b64 v125, v[36:37], v[38:39] offset0:2 offset1:3
	ds_write2_b64 v125, v[40:41], v[42:43] offset0:4 offset1:5
	;; [unrolled: 1-line block ×3, first 2 shown]
	; wave barrier
	ds_read2st64_b64 v[34:37], v124 offset1:1
	ds_read2st64_b64 v[38:41], v124 offset0:2 offset1:3
	ds_read2st64_b64 v[42:45], v124 offset0:4 offset1:5
	;; [unrolled: 1-line block ×3, first 2 shown]
	; wave barrier
	ds_write2_b64 v125, v[14:15], v[16:17] offset1:1
	ds_write2_b64 v125, v[10:11], v[12:13] offset0:2 offset1:3
	ds_write2_b64 v125, v[6:7], v[8:9] offset0:4 offset1:5
	ds_write2_b64 v125, v[2:3], v[4:5] offset0:6 offset1:7
	; wave barrier
	ds_read2st64_b64 v[50:53], v124 offset1:1
	ds_read2st64_b64 v[54:57], v124 offset0:2 offset1:3
	ds_read2st64_b64 v[58:61], v124 offset0:4 offset1:5
	;; [unrolled: 1-line block ×3, first 2 shown]
	s_waitcnt lgkmcnt(0)
	s_barrier
	s_load_dword s28, s[50:51], 0xc
	s_getpc_b64 s[26:27]
	s_add_u32 s26, s26, _ZN7rocprim17ROCPRIM_400000_NS16block_radix_sortIlLj128ELj8ElLj1ELj1ELj0ELNS0_26block_radix_rank_algorithmE1ELNS0_18block_padding_hintE2ELNS0_4arch9wavefront6targetE1EE19radix_bits_per_passE@rel32@lo+4
	s_addc_u32 s27, s27, _ZN7rocprim17ROCPRIM_400000_NS16block_radix_sortIlLj128ELj8ElLj1ELj1ELj0ELNS0_26block_radix_rank_algorithmE1ELNS0_18block_padding_hintE2ELNS0_4arch9wavefront6targetE1EE19radix_bits_per_passE@rel32@hi+12
	s_load_dword s53, s[26:27], 0x0
	v_cmp_lt_i32_e32 vcc, v115, v119
	v_and_b32_e32 v129, 60, v116
	s_waitcnt lgkmcnt(0)
	s_lshr_b32 s26, s28, 16
	s_and_b32 s27, s28, 0xffff
	v_mad_u32_u24 v0, v123, s26, v122
	v_mad_u64_u32 v[0:1], s[26:27], v0, s27, v[70:71]
	v_lshrrev_b32_e32 v127, 6, v0
	v_or_b32_e32 v0, 63, v118
	v_cmp_eq_u32_e64 s[38:39], v0, v70
	v_cndmask_b32_e32 v0, v115, v113, vcc
	v_or_b32_e32 v126, 8, v112
	v_cmp_eq_u32_e64 s[26:27], 0, v120
	v_cmp_lt_u32_e64 s[28:29], 1, v120
	v_cmp_lt_u32_e64 s[30:31], 3, v120
	;; [unrolled: 1-line block ×3, first 2 shown]
	v_cmp_eq_u32_e64 s[36:37], 0, v121
	s_mov_b32 s54, 64
	v_lshlrev_b32_e32 v128, 2, v0
	v_cmp_eq_u32_e64 s[40:41], 0, v117
	v_add_u32_e32 v130, -4, v129
	v_lshlrev_b32_e32 v131, 3, v114
	s_mov_b64 s[44:45], 0
	v_mov_b32_e32 v86, 0
	s_branch .LBB142_32
.LBB142_31:                             ;   in Loop: Header=BB142_32 Depth=1
	v_lshlrev_b32_e32 v50, 3, v138
	v_lshlrev_b32_e32 v51, 3, v137
	;; [unrolled: 1-line block ×8, first 2 shown]
	s_barrier
	ds_write_b64 v50, v[102:103]
	ds_write_b64 v51, v[100:101]
	;; [unrolled: 1-line block ×8, first 2 shown]
	s_waitcnt lgkmcnt(0)
	s_barrier
	ds_read2st64_b64 v[34:37], v131 offset1:1
	ds_read2st64_b64 v[38:41], v131 offset0:2 offset1:3
	ds_read2st64_b64 v[42:45], v131 offset0:4 offset1:5
	ds_read2st64_b64 v[46:49], v131 offset0:6 offset1:7
	s_waitcnt lgkmcnt(0)
	s_barrier
	ds_write_b64 v50, v[84:85]
	ds_write_b64 v51, v[82:83]
	ds_write_b64 v52, v[80:81]
	ds_write_b64 v53, v[78:79]
	ds_write_b64 v54, v[76:77]
	ds_write_b64 v55, v[74:75]
	ds_write_b64 v56, v[72:73]
	ds_write_b64 v57, v[0:1]
	s_waitcnt lgkmcnt(0)
	s_barrier
	ds_read2st64_b64 v[50:53], v131 offset1:1
	ds_read2st64_b64 v[54:57], v131 offset0:2 offset1:3
	ds_read2st64_b64 v[58:61], v131 offset0:4 offset1:5
	;; [unrolled: 1-line block ×3, first 2 shown]
	s_add_u32 s44, s44, 8
	s_addc_u32 s45, s45, 0
	s_add_i32 s54, s54, -8
	s_waitcnt lgkmcnt(0)
	s_barrier
	s_cbranch_execz .LBB142_56
.LBB142_32:                             ; =>This Inner Loop Header: Depth=1
	s_min_u32 s42, s53, s54
	v_pk_mov_b32 v[102:103], v[34:35], v[34:35] op_sel:[0,1]
	s_lshl_b32 s42, -1, s42
	s_not_b32 s55, s42
	v_lshrrev_b64 v[34:35], s44, v[102:103]
	v_and_b32_e32 v34, s55, v34
	v_lshl_add_u32 v35, v34, 1, v127
	v_pk_mov_b32 v[98:99], v[38:39], v[38:39] op_sel:[0,1]
	v_lshl_add_u32 v38, v35, 2, 8
	v_and_b32_e32 v35, 1, v34
	v_pk_mov_b32 v[100:101], v[36:37], v[36:37] op_sel:[0,1]
	v_add_co_u32_e32 v36, vcc, -1, v35
	v_addc_co_u32_e64 v37, s[42:43], 0, -1, vcc
	v_cmp_ne_u32_e32 vcc, 0, v35
	v_lshlrev_b32_e32 v87, 30, v34
	v_xor_b32_e32 v35, vcc_hi, v37
	v_not_b32_e32 v37, v87
	v_xor_b32_e32 v36, vcc_lo, v36
	v_cmp_gt_i64_e32 vcc, 0, v[86:87]
	v_ashrrev_i32_e32 v37, 31, v37
	v_and_b32_e32 v36, exec_lo, v36
	v_xor_b32_e32 v39, vcc_hi, v37
	v_xor_b32_e32 v37, vcc_lo, v37
	v_lshlrev_b32_e32 v87, 29, v34
	v_and_b32_e32 v36, v36, v37
	v_not_b32_e32 v37, v87
	v_and_b32_e32 v35, exec_hi, v35
	v_cmp_gt_i64_e32 vcc, 0, v[86:87]
	v_ashrrev_i32_e32 v37, 31, v37
	v_and_b32_e32 v35, v35, v39
	v_xor_b32_e32 v39, vcc_hi, v37
	v_xor_b32_e32 v37, vcc_lo, v37
	v_lshlrev_b32_e32 v87, 28, v34
	v_and_b32_e32 v36, v36, v37
	v_not_b32_e32 v37, v87
	v_cmp_gt_i64_e32 vcc, 0, v[86:87]
	v_ashrrev_i32_e32 v37, 31, v37
	v_and_b32_e32 v35, v35, v39
	v_xor_b32_e32 v39, vcc_hi, v37
	v_xor_b32_e32 v37, vcc_lo, v37
	v_lshlrev_b32_e32 v87, 27, v34
	v_and_b32_e32 v36, v36, v37
	v_not_b32_e32 v37, v87
	;; [unrolled: 8-line block ×3, first 2 shown]
	v_cmp_gt_i64_e32 vcc, 0, v[86:87]
	v_ashrrev_i32_e32 v37, 31, v37
	v_and_b32_e32 v35, v35, v39
	v_xor_b32_e32 v39, vcc_hi, v37
	v_xor_b32_e32 v37, vcc_lo, v37
	v_lshlrev_b32_e32 v87, 25, v34
	v_and_b32_e32 v36, v36, v37
	v_cmp_gt_i64_e32 vcc, 0, v[86:87]
	v_not_b32_e32 v37, v87
	v_lshlrev_b32_e32 v87, 24, v34
	v_ashrrev_i32_e32 v37, 31, v37
	v_not_b32_e32 v34, v87
	v_and_b32_e32 v35, v35, v39
	v_xor_b32_e32 v39, vcc_hi, v37
	v_xor_b32_e32 v37, vcc_lo, v37
	v_cmp_gt_i64_e32 vcc, 0, v[86:87]
	v_ashrrev_i32_e32 v34, 31, v34
	v_and_b32_e32 v36, v36, v37
	v_xor_b32_e32 v37, vcc_hi, v34
	v_xor_b32_e32 v34, vcc_lo, v34
	v_and_b32_e32 v35, v35, v39
	v_and_b32_e32 v34, v36, v34
	;; [unrolled: 1-line block ×3, first 2 shown]
	v_mbcnt_lo_u32_b32 v36, v34, 0
	v_mbcnt_hi_u32_b32 v39, v35, v36
	v_cmp_eq_u32_e32 vcc, 0, v39
	v_cmp_ne_u64_e64 s[42:43], 0, v[34:35]
	v_pk_mov_b32 v[88:89], v[48:49], v[48:49] op_sel:[0,1]
	v_pk_mov_b32 v[90:91], v[46:47], v[46:47] op_sel:[0,1]
	;; [unrolled: 1-line block ×13, first 2 shown]
	s_and_b64 s[56:57], s[42:43], vcc
	ds_write2_b32 v112, v86, v86 offset0:2 offset1:3
	ds_write2_b32 v126, v86, v86 offset0:2 offset1:3
	s_waitcnt lgkmcnt(0)
	s_barrier
	s_waitcnt lgkmcnt(0)
	; wave barrier
	s_and_saveexec_b64 s[42:43], s[56:57]
	s_cbranch_execz .LBB142_34
; %bb.33:                               ;   in Loop: Header=BB142_32 Depth=1
	v_bcnt_u32_b32 v34, v34, 0
	v_bcnt_u32_b32 v34, v35, v34
	ds_write_b32 v38, v34
.LBB142_34:                             ;   in Loop: Header=BB142_32 Depth=1
	s_or_b64 exec, exec, s[42:43]
	v_lshrrev_b64 v[34:35], s44, v[100:101]
	v_and_b32_e32 v34, s55, v34
	v_lshlrev_b32_e32 v35, 1, v34
	v_add_lshl_u32 v35, v35, v127, 2
	; wave barrier
	v_add_u32_e32 v41, 8, v35
	ds_read_b32 v40, v35 offset:8
	v_and_b32_e32 v35, 1, v34
	v_add_co_u32_e32 v36, vcc, -1, v35
	v_addc_co_u32_e64 v37, s[42:43], 0, -1, vcc
	v_cmp_ne_u32_e32 vcc, 0, v35
	v_lshlrev_b32_e32 v87, 30, v34
	v_xor_b32_e32 v35, vcc_hi, v37
	v_not_b32_e32 v37, v87
	v_xor_b32_e32 v36, vcc_lo, v36
	v_cmp_gt_i64_e32 vcc, 0, v[86:87]
	v_ashrrev_i32_e32 v37, 31, v37
	v_and_b32_e32 v36, exec_lo, v36
	v_xor_b32_e32 v42, vcc_hi, v37
	v_xor_b32_e32 v37, vcc_lo, v37
	v_lshlrev_b32_e32 v87, 29, v34
	v_and_b32_e32 v36, v36, v37
	v_not_b32_e32 v37, v87
	v_and_b32_e32 v35, exec_hi, v35
	v_cmp_gt_i64_e32 vcc, 0, v[86:87]
	v_ashrrev_i32_e32 v37, 31, v37
	v_and_b32_e32 v35, v35, v42
	v_xor_b32_e32 v42, vcc_hi, v37
	v_xor_b32_e32 v37, vcc_lo, v37
	v_lshlrev_b32_e32 v87, 28, v34
	v_and_b32_e32 v36, v36, v37
	v_not_b32_e32 v37, v87
	v_cmp_gt_i64_e32 vcc, 0, v[86:87]
	v_ashrrev_i32_e32 v37, 31, v37
	v_and_b32_e32 v35, v35, v42
	v_xor_b32_e32 v42, vcc_hi, v37
	v_xor_b32_e32 v37, vcc_lo, v37
	v_lshlrev_b32_e32 v87, 27, v34
	v_and_b32_e32 v36, v36, v37
	v_not_b32_e32 v37, v87
	;; [unrolled: 8-line block ×3, first 2 shown]
	v_cmp_gt_i64_e32 vcc, 0, v[86:87]
	v_ashrrev_i32_e32 v37, 31, v37
	v_and_b32_e32 v35, v35, v42
	v_xor_b32_e32 v42, vcc_hi, v37
	v_xor_b32_e32 v37, vcc_lo, v37
	v_lshlrev_b32_e32 v87, 25, v34
	v_and_b32_e32 v36, v36, v37
	v_cmp_gt_i64_e32 vcc, 0, v[86:87]
	v_not_b32_e32 v37, v87
	v_lshlrev_b32_e32 v87, 24, v34
	v_ashrrev_i32_e32 v37, 31, v37
	v_not_b32_e32 v34, v87
	v_and_b32_e32 v35, v35, v42
	v_xor_b32_e32 v42, vcc_hi, v37
	v_xor_b32_e32 v37, vcc_lo, v37
	v_cmp_gt_i64_e32 vcc, 0, v[86:87]
	v_ashrrev_i32_e32 v34, 31, v34
	v_and_b32_e32 v36, v36, v37
	v_xor_b32_e32 v37, vcc_hi, v34
	v_xor_b32_e32 v34, vcc_lo, v34
	v_and_b32_e32 v35, v35, v42
	v_and_b32_e32 v34, v36, v34
	;; [unrolled: 1-line block ×3, first 2 shown]
	v_mbcnt_lo_u32_b32 v36, v34, 0
	v_mbcnt_hi_u32_b32 v42, v35, v36
	v_cmp_eq_u32_e32 vcc, 0, v42
	v_cmp_ne_u64_e64 s[42:43], 0, v[34:35]
	s_and_b64 s[56:57], s[42:43], vcc
	; wave barrier
	s_and_saveexec_b64 s[42:43], s[56:57]
	s_cbranch_execz .LBB142_36
; %bb.35:                               ;   in Loop: Header=BB142_32 Depth=1
	v_bcnt_u32_b32 v34, v34, 0
	v_bcnt_u32_b32 v34, v35, v34
	s_waitcnt lgkmcnt(0)
	v_add_u32_e32 v34, v40, v34
	ds_write_b32 v41, v34
.LBB142_36:                             ;   in Loop: Header=BB142_32 Depth=1
	s_or_b64 exec, exec, s[42:43]
	v_lshrrev_b64 v[34:35], s44, v[98:99]
	v_and_b32_e32 v34, s55, v34
	v_lshlrev_b32_e32 v35, 1, v34
	v_add_lshl_u32 v35, v35, v127, 2
	; wave barrier
	v_add_u32_e32 v44, 8, v35
	ds_read_b32 v43, v35 offset:8
	v_and_b32_e32 v35, 1, v34
	v_add_co_u32_e32 v36, vcc, -1, v35
	v_addc_co_u32_e64 v37, s[42:43], 0, -1, vcc
	v_cmp_ne_u32_e32 vcc, 0, v35
	v_lshlrev_b32_e32 v87, 30, v34
	v_xor_b32_e32 v35, vcc_hi, v37
	v_not_b32_e32 v37, v87
	v_xor_b32_e32 v36, vcc_lo, v36
	v_cmp_gt_i64_e32 vcc, 0, v[86:87]
	v_ashrrev_i32_e32 v37, 31, v37
	v_and_b32_e32 v36, exec_lo, v36
	v_xor_b32_e32 v45, vcc_hi, v37
	v_xor_b32_e32 v37, vcc_lo, v37
	v_lshlrev_b32_e32 v87, 29, v34
	v_and_b32_e32 v36, v36, v37
	v_not_b32_e32 v37, v87
	v_and_b32_e32 v35, exec_hi, v35
	v_cmp_gt_i64_e32 vcc, 0, v[86:87]
	v_ashrrev_i32_e32 v37, 31, v37
	v_and_b32_e32 v35, v35, v45
	v_xor_b32_e32 v45, vcc_hi, v37
	v_xor_b32_e32 v37, vcc_lo, v37
	v_lshlrev_b32_e32 v87, 28, v34
	v_and_b32_e32 v36, v36, v37
	v_not_b32_e32 v37, v87
	v_cmp_gt_i64_e32 vcc, 0, v[86:87]
	v_ashrrev_i32_e32 v37, 31, v37
	v_and_b32_e32 v35, v35, v45
	v_xor_b32_e32 v45, vcc_hi, v37
	v_xor_b32_e32 v37, vcc_lo, v37
	v_lshlrev_b32_e32 v87, 27, v34
	v_and_b32_e32 v36, v36, v37
	v_not_b32_e32 v37, v87
	;; [unrolled: 8-line block ×3, first 2 shown]
	v_cmp_gt_i64_e32 vcc, 0, v[86:87]
	v_ashrrev_i32_e32 v37, 31, v37
	v_and_b32_e32 v35, v35, v45
	v_xor_b32_e32 v45, vcc_hi, v37
	v_xor_b32_e32 v37, vcc_lo, v37
	v_lshlrev_b32_e32 v87, 25, v34
	v_and_b32_e32 v36, v36, v37
	v_cmp_gt_i64_e32 vcc, 0, v[86:87]
	v_not_b32_e32 v37, v87
	v_lshlrev_b32_e32 v87, 24, v34
	v_ashrrev_i32_e32 v37, 31, v37
	v_not_b32_e32 v34, v87
	v_and_b32_e32 v35, v35, v45
	v_xor_b32_e32 v45, vcc_hi, v37
	v_xor_b32_e32 v37, vcc_lo, v37
	v_cmp_gt_i64_e32 vcc, 0, v[86:87]
	v_ashrrev_i32_e32 v34, 31, v34
	v_and_b32_e32 v36, v36, v37
	v_xor_b32_e32 v37, vcc_hi, v34
	v_xor_b32_e32 v34, vcc_lo, v34
	v_and_b32_e32 v35, v35, v45
	v_and_b32_e32 v34, v36, v34
	;; [unrolled: 1-line block ×3, first 2 shown]
	v_mbcnt_lo_u32_b32 v36, v34, 0
	v_mbcnt_hi_u32_b32 v45, v35, v36
	v_cmp_eq_u32_e32 vcc, 0, v45
	v_cmp_ne_u64_e64 s[42:43], 0, v[34:35]
	s_and_b64 s[56:57], s[42:43], vcc
	; wave barrier
	s_and_saveexec_b64 s[42:43], s[56:57]
	s_cbranch_execz .LBB142_38
; %bb.37:                               ;   in Loop: Header=BB142_32 Depth=1
	v_bcnt_u32_b32 v34, v34, 0
	v_bcnt_u32_b32 v34, v35, v34
	s_waitcnt lgkmcnt(0)
	v_add_u32_e32 v34, v43, v34
	ds_write_b32 v44, v34
.LBB142_38:                             ;   in Loop: Header=BB142_32 Depth=1
	s_or_b64 exec, exec, s[42:43]
	v_lshrrev_b64 v[34:35], s44, v[96:97]
	v_and_b32_e32 v34, s55, v34
	v_lshlrev_b32_e32 v35, 1, v34
	v_add_lshl_u32 v35, v35, v127, 2
	; wave barrier
	v_add_u32_e32 v47, 8, v35
	ds_read_b32 v46, v35 offset:8
	v_and_b32_e32 v35, 1, v34
	v_add_co_u32_e32 v36, vcc, -1, v35
	v_addc_co_u32_e64 v37, s[42:43], 0, -1, vcc
	v_cmp_ne_u32_e32 vcc, 0, v35
	v_lshlrev_b32_e32 v87, 30, v34
	v_xor_b32_e32 v35, vcc_hi, v37
	v_not_b32_e32 v37, v87
	v_xor_b32_e32 v36, vcc_lo, v36
	v_cmp_gt_i64_e32 vcc, 0, v[86:87]
	v_ashrrev_i32_e32 v37, 31, v37
	v_and_b32_e32 v36, exec_lo, v36
	v_xor_b32_e32 v48, vcc_hi, v37
	v_xor_b32_e32 v37, vcc_lo, v37
	v_lshlrev_b32_e32 v87, 29, v34
	v_and_b32_e32 v36, v36, v37
	v_not_b32_e32 v37, v87
	v_and_b32_e32 v35, exec_hi, v35
	v_cmp_gt_i64_e32 vcc, 0, v[86:87]
	v_ashrrev_i32_e32 v37, 31, v37
	v_and_b32_e32 v35, v35, v48
	v_xor_b32_e32 v48, vcc_hi, v37
	v_xor_b32_e32 v37, vcc_lo, v37
	v_lshlrev_b32_e32 v87, 28, v34
	v_and_b32_e32 v36, v36, v37
	v_not_b32_e32 v37, v87
	v_cmp_gt_i64_e32 vcc, 0, v[86:87]
	v_ashrrev_i32_e32 v37, 31, v37
	v_and_b32_e32 v35, v35, v48
	v_xor_b32_e32 v48, vcc_hi, v37
	v_xor_b32_e32 v37, vcc_lo, v37
	v_lshlrev_b32_e32 v87, 27, v34
	v_and_b32_e32 v36, v36, v37
	v_not_b32_e32 v37, v87
	;; [unrolled: 8-line block ×3, first 2 shown]
	v_cmp_gt_i64_e32 vcc, 0, v[86:87]
	v_ashrrev_i32_e32 v37, 31, v37
	v_and_b32_e32 v35, v35, v48
	v_xor_b32_e32 v48, vcc_hi, v37
	v_xor_b32_e32 v37, vcc_lo, v37
	v_lshlrev_b32_e32 v87, 25, v34
	v_and_b32_e32 v36, v36, v37
	v_cmp_gt_i64_e32 vcc, 0, v[86:87]
	v_not_b32_e32 v37, v87
	v_lshlrev_b32_e32 v87, 24, v34
	v_ashrrev_i32_e32 v37, 31, v37
	v_not_b32_e32 v34, v87
	v_and_b32_e32 v35, v35, v48
	v_xor_b32_e32 v48, vcc_hi, v37
	v_xor_b32_e32 v37, vcc_lo, v37
	v_cmp_gt_i64_e32 vcc, 0, v[86:87]
	v_ashrrev_i32_e32 v34, 31, v34
	v_and_b32_e32 v36, v36, v37
	v_xor_b32_e32 v37, vcc_hi, v34
	v_xor_b32_e32 v34, vcc_lo, v34
	v_and_b32_e32 v35, v35, v48
	v_and_b32_e32 v34, v36, v34
	;; [unrolled: 1-line block ×3, first 2 shown]
	v_mbcnt_lo_u32_b32 v36, v34, 0
	v_mbcnt_hi_u32_b32 v48, v35, v36
	v_cmp_eq_u32_e32 vcc, 0, v48
	v_cmp_ne_u64_e64 s[42:43], 0, v[34:35]
	s_and_b64 s[56:57], s[42:43], vcc
	; wave barrier
	s_and_saveexec_b64 s[42:43], s[56:57]
	s_cbranch_execz .LBB142_40
; %bb.39:                               ;   in Loop: Header=BB142_32 Depth=1
	v_bcnt_u32_b32 v34, v34, 0
	v_bcnt_u32_b32 v34, v35, v34
	s_waitcnt lgkmcnt(0)
	v_add_u32_e32 v34, v46, v34
	ds_write_b32 v47, v34
.LBB142_40:                             ;   in Loop: Header=BB142_32 Depth=1
	s_or_b64 exec, exec, s[42:43]
	v_lshrrev_b64 v[34:35], s44, v[94:95]
	v_and_b32_e32 v34, s55, v34
	v_lshlrev_b32_e32 v35, 1, v34
	v_add_lshl_u32 v35, v35, v127, 2
	; wave barrier
	v_add_u32_e32 v50, 8, v35
	ds_read_b32 v49, v35 offset:8
	v_and_b32_e32 v35, 1, v34
	v_add_co_u32_e32 v36, vcc, -1, v35
	v_addc_co_u32_e64 v37, s[42:43], 0, -1, vcc
	v_cmp_ne_u32_e32 vcc, 0, v35
	v_lshlrev_b32_e32 v87, 30, v34
	v_xor_b32_e32 v35, vcc_hi, v37
	v_not_b32_e32 v37, v87
	v_xor_b32_e32 v36, vcc_lo, v36
	v_cmp_gt_i64_e32 vcc, 0, v[86:87]
	v_ashrrev_i32_e32 v37, 31, v37
	v_and_b32_e32 v36, exec_lo, v36
	v_xor_b32_e32 v51, vcc_hi, v37
	v_xor_b32_e32 v37, vcc_lo, v37
	v_lshlrev_b32_e32 v87, 29, v34
	v_and_b32_e32 v36, v36, v37
	v_not_b32_e32 v37, v87
	v_and_b32_e32 v35, exec_hi, v35
	v_cmp_gt_i64_e32 vcc, 0, v[86:87]
	v_ashrrev_i32_e32 v37, 31, v37
	v_and_b32_e32 v35, v35, v51
	v_xor_b32_e32 v51, vcc_hi, v37
	v_xor_b32_e32 v37, vcc_lo, v37
	v_lshlrev_b32_e32 v87, 28, v34
	v_and_b32_e32 v36, v36, v37
	v_not_b32_e32 v37, v87
	v_cmp_gt_i64_e32 vcc, 0, v[86:87]
	v_ashrrev_i32_e32 v37, 31, v37
	v_and_b32_e32 v35, v35, v51
	v_xor_b32_e32 v51, vcc_hi, v37
	v_xor_b32_e32 v37, vcc_lo, v37
	v_lshlrev_b32_e32 v87, 27, v34
	v_and_b32_e32 v36, v36, v37
	v_not_b32_e32 v37, v87
	;; [unrolled: 8-line block ×3, first 2 shown]
	v_cmp_gt_i64_e32 vcc, 0, v[86:87]
	v_ashrrev_i32_e32 v37, 31, v37
	v_and_b32_e32 v35, v35, v51
	v_xor_b32_e32 v51, vcc_hi, v37
	v_xor_b32_e32 v37, vcc_lo, v37
	v_lshlrev_b32_e32 v87, 25, v34
	v_and_b32_e32 v36, v36, v37
	v_cmp_gt_i64_e32 vcc, 0, v[86:87]
	v_not_b32_e32 v37, v87
	v_lshlrev_b32_e32 v87, 24, v34
	v_ashrrev_i32_e32 v37, 31, v37
	v_not_b32_e32 v34, v87
	v_and_b32_e32 v35, v35, v51
	v_xor_b32_e32 v51, vcc_hi, v37
	v_xor_b32_e32 v37, vcc_lo, v37
	v_cmp_gt_i64_e32 vcc, 0, v[86:87]
	v_ashrrev_i32_e32 v34, 31, v34
	v_and_b32_e32 v36, v36, v37
	v_xor_b32_e32 v37, vcc_hi, v34
	v_xor_b32_e32 v34, vcc_lo, v34
	v_and_b32_e32 v35, v35, v51
	v_and_b32_e32 v34, v36, v34
	;; [unrolled: 1-line block ×3, first 2 shown]
	v_mbcnt_lo_u32_b32 v36, v34, 0
	v_mbcnt_hi_u32_b32 v51, v35, v36
	v_cmp_eq_u32_e32 vcc, 0, v51
	v_cmp_ne_u64_e64 s[42:43], 0, v[34:35]
	s_and_b64 s[56:57], s[42:43], vcc
	; wave barrier
	s_and_saveexec_b64 s[42:43], s[56:57]
	s_cbranch_execz .LBB142_42
; %bb.41:                               ;   in Loop: Header=BB142_32 Depth=1
	v_bcnt_u32_b32 v34, v34, 0
	v_bcnt_u32_b32 v34, v35, v34
	s_waitcnt lgkmcnt(0)
	v_add_u32_e32 v34, v49, v34
	ds_write_b32 v50, v34
.LBB142_42:                             ;   in Loop: Header=BB142_32 Depth=1
	s_or_b64 exec, exec, s[42:43]
	v_lshrrev_b64 v[34:35], s44, v[92:93]
	v_and_b32_e32 v34, s55, v34
	v_lshlrev_b32_e32 v35, 1, v34
	v_add_lshl_u32 v35, v35, v127, 2
	; wave barrier
	v_add_u32_e32 v53, 8, v35
	ds_read_b32 v52, v35 offset:8
	v_and_b32_e32 v35, 1, v34
	v_add_co_u32_e32 v36, vcc, -1, v35
	v_addc_co_u32_e64 v37, s[42:43], 0, -1, vcc
	v_cmp_ne_u32_e32 vcc, 0, v35
	v_lshlrev_b32_e32 v87, 30, v34
	v_xor_b32_e32 v35, vcc_hi, v37
	v_not_b32_e32 v37, v87
	v_xor_b32_e32 v36, vcc_lo, v36
	v_cmp_gt_i64_e32 vcc, 0, v[86:87]
	v_ashrrev_i32_e32 v37, 31, v37
	v_and_b32_e32 v36, exec_lo, v36
	v_xor_b32_e32 v54, vcc_hi, v37
	v_xor_b32_e32 v37, vcc_lo, v37
	v_lshlrev_b32_e32 v87, 29, v34
	v_and_b32_e32 v36, v36, v37
	v_not_b32_e32 v37, v87
	v_and_b32_e32 v35, exec_hi, v35
	v_cmp_gt_i64_e32 vcc, 0, v[86:87]
	v_ashrrev_i32_e32 v37, 31, v37
	v_and_b32_e32 v35, v35, v54
	v_xor_b32_e32 v54, vcc_hi, v37
	v_xor_b32_e32 v37, vcc_lo, v37
	v_lshlrev_b32_e32 v87, 28, v34
	v_and_b32_e32 v36, v36, v37
	v_not_b32_e32 v37, v87
	v_cmp_gt_i64_e32 vcc, 0, v[86:87]
	v_ashrrev_i32_e32 v37, 31, v37
	v_and_b32_e32 v35, v35, v54
	v_xor_b32_e32 v54, vcc_hi, v37
	v_xor_b32_e32 v37, vcc_lo, v37
	v_lshlrev_b32_e32 v87, 27, v34
	v_and_b32_e32 v36, v36, v37
	v_not_b32_e32 v37, v87
	v_cmp_gt_i64_e32 vcc, 0, v[86:87]
	v_ashrrev_i32_e32 v37, 31, v37
	v_and_b32_e32 v35, v35, v54
	v_xor_b32_e32 v54, vcc_hi, v37
	v_xor_b32_e32 v37, vcc_lo, v37
	v_lshlrev_b32_e32 v87, 26, v34
	v_and_b32_e32 v36, v36, v37
	v_not_b32_e32 v37, v87
	v_cmp_gt_i64_e32 vcc, 0, v[86:87]
	v_ashrrev_i32_e32 v37, 31, v37
	v_and_b32_e32 v35, v35, v54
	v_xor_b32_e32 v54, vcc_hi, v37
	v_xor_b32_e32 v37, vcc_lo, v37
	v_lshlrev_b32_e32 v87, 25, v34
	v_and_b32_e32 v36, v36, v37
	v_cmp_gt_i64_e32 vcc, 0, v[86:87]
	v_not_b32_e32 v37, v87
	v_lshlrev_b32_e32 v87, 24, v34
	v_ashrrev_i32_e32 v37, 31, v37
	v_not_b32_e32 v34, v87
	v_and_b32_e32 v35, v35, v54
	v_xor_b32_e32 v54, vcc_hi, v37
	v_xor_b32_e32 v37, vcc_lo, v37
	v_cmp_gt_i64_e32 vcc, 0, v[86:87]
	v_ashrrev_i32_e32 v34, 31, v34
	v_and_b32_e32 v36, v36, v37
	v_xor_b32_e32 v37, vcc_hi, v34
	v_xor_b32_e32 v34, vcc_lo, v34
	v_and_b32_e32 v35, v35, v54
	v_and_b32_e32 v34, v36, v34
	;; [unrolled: 1-line block ×3, first 2 shown]
	v_mbcnt_lo_u32_b32 v36, v34, 0
	v_mbcnt_hi_u32_b32 v54, v35, v36
	v_cmp_eq_u32_e32 vcc, 0, v54
	v_cmp_ne_u64_e64 s[42:43], 0, v[34:35]
	s_and_b64 s[56:57], s[42:43], vcc
	; wave barrier
	s_and_saveexec_b64 s[42:43], s[56:57]
	s_cbranch_execz .LBB142_44
; %bb.43:                               ;   in Loop: Header=BB142_32 Depth=1
	v_bcnt_u32_b32 v34, v34, 0
	v_bcnt_u32_b32 v34, v35, v34
	s_waitcnt lgkmcnt(0)
	v_add_u32_e32 v34, v52, v34
	ds_write_b32 v53, v34
.LBB142_44:                             ;   in Loop: Header=BB142_32 Depth=1
	s_or_b64 exec, exec, s[42:43]
	v_lshrrev_b64 v[34:35], s44, v[90:91]
	v_and_b32_e32 v34, s55, v34
	v_lshlrev_b32_e32 v35, 1, v34
	v_add_lshl_u32 v35, v35, v127, 2
	; wave barrier
	v_add_u32_e32 v56, 8, v35
	ds_read_b32 v55, v35 offset:8
	v_and_b32_e32 v35, 1, v34
	v_add_co_u32_e32 v36, vcc, -1, v35
	v_addc_co_u32_e64 v37, s[42:43], 0, -1, vcc
	v_cmp_ne_u32_e32 vcc, 0, v35
	v_lshlrev_b32_e32 v87, 30, v34
	v_xor_b32_e32 v35, vcc_hi, v37
	v_not_b32_e32 v37, v87
	v_xor_b32_e32 v36, vcc_lo, v36
	v_cmp_gt_i64_e32 vcc, 0, v[86:87]
	v_ashrrev_i32_e32 v37, 31, v37
	v_and_b32_e32 v36, exec_lo, v36
	v_xor_b32_e32 v57, vcc_hi, v37
	v_xor_b32_e32 v37, vcc_lo, v37
	v_lshlrev_b32_e32 v87, 29, v34
	v_and_b32_e32 v36, v36, v37
	v_not_b32_e32 v37, v87
	v_and_b32_e32 v35, exec_hi, v35
	v_cmp_gt_i64_e32 vcc, 0, v[86:87]
	v_ashrrev_i32_e32 v37, 31, v37
	v_and_b32_e32 v35, v35, v57
	v_xor_b32_e32 v57, vcc_hi, v37
	v_xor_b32_e32 v37, vcc_lo, v37
	v_lshlrev_b32_e32 v87, 28, v34
	v_and_b32_e32 v36, v36, v37
	v_not_b32_e32 v37, v87
	v_cmp_gt_i64_e32 vcc, 0, v[86:87]
	v_ashrrev_i32_e32 v37, 31, v37
	v_and_b32_e32 v35, v35, v57
	v_xor_b32_e32 v57, vcc_hi, v37
	v_xor_b32_e32 v37, vcc_lo, v37
	v_lshlrev_b32_e32 v87, 27, v34
	v_and_b32_e32 v36, v36, v37
	v_not_b32_e32 v37, v87
	;; [unrolled: 8-line block ×3, first 2 shown]
	v_cmp_gt_i64_e32 vcc, 0, v[86:87]
	v_ashrrev_i32_e32 v37, 31, v37
	v_and_b32_e32 v35, v35, v57
	v_xor_b32_e32 v57, vcc_hi, v37
	v_xor_b32_e32 v37, vcc_lo, v37
	v_lshlrev_b32_e32 v87, 25, v34
	v_and_b32_e32 v36, v36, v37
	v_cmp_gt_i64_e32 vcc, 0, v[86:87]
	v_not_b32_e32 v37, v87
	v_lshlrev_b32_e32 v87, 24, v34
	v_ashrrev_i32_e32 v37, 31, v37
	v_not_b32_e32 v34, v87
	v_and_b32_e32 v35, v35, v57
	v_xor_b32_e32 v57, vcc_hi, v37
	v_xor_b32_e32 v37, vcc_lo, v37
	v_cmp_gt_i64_e32 vcc, 0, v[86:87]
	v_ashrrev_i32_e32 v34, 31, v34
	v_and_b32_e32 v36, v36, v37
	v_xor_b32_e32 v37, vcc_hi, v34
	v_xor_b32_e32 v34, vcc_lo, v34
	v_and_b32_e32 v35, v35, v57
	v_and_b32_e32 v34, v36, v34
	v_and_b32_e32 v35, v35, v37
	v_mbcnt_lo_u32_b32 v36, v34, 0
	v_mbcnt_hi_u32_b32 v57, v35, v36
	v_cmp_eq_u32_e32 vcc, 0, v57
	v_cmp_ne_u64_e64 s[42:43], 0, v[34:35]
	s_and_b64 s[56:57], s[42:43], vcc
	; wave barrier
	s_and_saveexec_b64 s[42:43], s[56:57]
	s_cbranch_execz .LBB142_46
; %bb.45:                               ;   in Loop: Header=BB142_32 Depth=1
	v_bcnt_u32_b32 v34, v34, 0
	v_bcnt_u32_b32 v34, v35, v34
	s_waitcnt lgkmcnt(0)
	v_add_u32_e32 v34, v55, v34
	ds_write_b32 v56, v34
.LBB142_46:                             ;   in Loop: Header=BB142_32 Depth=1
	s_or_b64 exec, exec, s[42:43]
	v_lshrrev_b64 v[34:35], s44, v[88:89]
	v_and_b32_e32 v34, s55, v34
	v_lshlrev_b32_e32 v35, 1, v34
	v_add_lshl_u32 v35, v35, v127, 2
	; wave barrier
	v_add_u32_e32 v59, 8, v35
	ds_read_b32 v58, v35 offset:8
	v_and_b32_e32 v35, 1, v34
	v_add_co_u32_e32 v36, vcc, -1, v35
	v_addc_co_u32_e64 v37, s[42:43], 0, -1, vcc
	v_cmp_ne_u32_e32 vcc, 0, v35
	v_lshlrev_b32_e32 v87, 30, v34
	v_xor_b32_e32 v35, vcc_hi, v37
	v_not_b32_e32 v37, v87
	v_xor_b32_e32 v36, vcc_lo, v36
	v_cmp_gt_i64_e32 vcc, 0, v[86:87]
	v_ashrrev_i32_e32 v37, 31, v37
	v_and_b32_e32 v36, exec_lo, v36
	v_xor_b32_e32 v60, vcc_hi, v37
	v_xor_b32_e32 v37, vcc_lo, v37
	v_lshlrev_b32_e32 v87, 29, v34
	v_and_b32_e32 v36, v36, v37
	v_not_b32_e32 v37, v87
	v_and_b32_e32 v35, exec_hi, v35
	v_cmp_gt_i64_e32 vcc, 0, v[86:87]
	v_ashrrev_i32_e32 v37, 31, v37
	v_and_b32_e32 v35, v35, v60
	v_xor_b32_e32 v60, vcc_hi, v37
	v_xor_b32_e32 v37, vcc_lo, v37
	v_lshlrev_b32_e32 v87, 28, v34
	v_and_b32_e32 v36, v36, v37
	v_not_b32_e32 v37, v87
	v_cmp_gt_i64_e32 vcc, 0, v[86:87]
	v_ashrrev_i32_e32 v37, 31, v37
	v_and_b32_e32 v35, v35, v60
	v_xor_b32_e32 v60, vcc_hi, v37
	v_xor_b32_e32 v37, vcc_lo, v37
	v_lshlrev_b32_e32 v87, 27, v34
	v_and_b32_e32 v36, v36, v37
	v_not_b32_e32 v37, v87
	;; [unrolled: 8-line block ×3, first 2 shown]
	v_cmp_gt_i64_e32 vcc, 0, v[86:87]
	v_ashrrev_i32_e32 v37, 31, v37
	v_and_b32_e32 v35, v35, v60
	v_xor_b32_e32 v60, vcc_hi, v37
	v_xor_b32_e32 v37, vcc_lo, v37
	v_lshlrev_b32_e32 v87, 25, v34
	v_and_b32_e32 v36, v36, v37
	v_cmp_gt_i64_e32 vcc, 0, v[86:87]
	v_not_b32_e32 v37, v87
	v_lshlrev_b32_e32 v87, 24, v34
	v_ashrrev_i32_e32 v37, 31, v37
	v_not_b32_e32 v34, v87
	v_and_b32_e32 v35, v35, v60
	v_xor_b32_e32 v60, vcc_hi, v37
	v_xor_b32_e32 v37, vcc_lo, v37
	v_cmp_gt_i64_e32 vcc, 0, v[86:87]
	v_ashrrev_i32_e32 v34, 31, v34
	v_and_b32_e32 v36, v36, v37
	v_xor_b32_e32 v37, vcc_hi, v34
	v_xor_b32_e32 v34, vcc_lo, v34
	v_and_b32_e32 v35, v35, v60
	v_and_b32_e32 v34, v36, v34
	;; [unrolled: 1-line block ×3, first 2 shown]
	v_mbcnt_lo_u32_b32 v36, v34, 0
	v_mbcnt_hi_u32_b32 v60, v35, v36
	v_cmp_eq_u32_e32 vcc, 0, v60
	v_cmp_ne_u64_e64 s[42:43], 0, v[34:35]
	s_and_b64 s[56:57], s[42:43], vcc
	; wave barrier
	s_and_saveexec_b64 s[42:43], s[56:57]
	s_cbranch_execz .LBB142_48
; %bb.47:                               ;   in Loop: Header=BB142_32 Depth=1
	v_bcnt_u32_b32 v34, v34, 0
	v_bcnt_u32_b32 v34, v35, v34
	s_waitcnt lgkmcnt(0)
	v_add_u32_e32 v34, v58, v34
	ds_write_b32 v59, v34
.LBB142_48:                             ;   in Loop: Header=BB142_32 Depth=1
	s_or_b64 exec, exec, s[42:43]
	; wave barrier
	s_waitcnt lgkmcnt(0)
	s_barrier
	ds_read2_b32 v[36:37], v112 offset0:2 offset1:3
	ds_read2_b32 v[34:35], v126 offset0:2 offset1:3
	s_waitcnt lgkmcnt(1)
	v_add_u32_e32 v61, v37, v36
	s_waitcnt lgkmcnt(0)
	v_add3_u32 v35, v61, v34, v35
	s_nop 1
	v_mov_b32_dpp v61, v35 row_shr:1 row_mask:0xf bank_mask:0xf
	v_cndmask_b32_e64 v61, v61, 0, s[26:27]
	v_add_u32_e32 v35, v61, v35
	s_nop 1
	v_mov_b32_dpp v61, v35 row_shr:2 row_mask:0xf bank_mask:0xf
	v_cndmask_b32_e64 v61, 0, v61, s[28:29]
	v_add_u32_e32 v35, v35, v61
	;; [unrolled: 4-line block ×4, first 2 shown]
	s_nop 1
	v_mov_b32_dpp v61, v35 row_bcast:15 row_mask:0xf bank_mask:0xf
	v_cndmask_b32_e64 v61, v61, 0, s[36:37]
	v_add_u32_e32 v35, v35, v61
	s_nop 1
	v_mov_b32_dpp v61, v35 row_bcast:31 row_mask:0xf bank_mask:0xf
	v_cndmask_b32_e64 v61, 0, v61, s[16:17]
	v_add_u32_e32 v35, v35, v61
	s_and_saveexec_b64 s[42:43], s[38:39]
	s_cbranch_execz .LBB142_50
; %bb.49:                               ;   in Loop: Header=BB142_32 Depth=1
	ds_write_b32 v129, v35
.LBB142_50:                             ;   in Loop: Header=BB142_32 Depth=1
	s_or_b64 exec, exec, s[42:43]
	s_waitcnt lgkmcnt(0)
	s_barrier
	s_and_saveexec_b64 s[42:43], s[18:19]
	s_cbranch_execz .LBB142_52
; %bb.51:                               ;   in Loop: Header=BB142_32 Depth=1
	ds_read_b32 v61, v69
	s_waitcnt lgkmcnt(0)
	s_nop 0
	v_mov_b32_dpp v62, v61 row_shr:1 row_mask:0xf bank_mask:0xf
	v_cndmask_b32_e64 v62, v62, 0, s[40:41]
	v_add_u32_e32 v61, v62, v61
	ds_write_b32 v69, v61
.LBB142_52:                             ;   in Loop: Header=BB142_32 Depth=1
	s_or_b64 exec, exec, s[42:43]
	v_mov_b32_e32 v61, 0
	s_waitcnt lgkmcnt(0)
	s_barrier
	s_and_saveexec_b64 s[42:43], s[20:21]
	s_cbranch_execz .LBB142_54
; %bb.53:                               ;   in Loop: Header=BB142_32 Depth=1
	ds_read_b32 v61, v130
.LBB142_54:                             ;   in Loop: Header=BB142_32 Depth=1
	s_or_b64 exec, exec, s[42:43]
	s_waitcnt lgkmcnt(0)
	v_add_u32_e32 v35, v61, v35
	ds_bpermute_b32 v35, v128, v35
	s_cmp_gt_u32 s44, 55
	s_waitcnt lgkmcnt(0)
	v_cndmask_b32_e64 v35, v35, v61, s[22:23]
	v_cndmask_b32_e64 v35, v35, 0, s[24:25]
	v_add_u32_e32 v36, v35, v36
	v_add_u32_e32 v37, v36, v37
	;; [unrolled: 1-line block ×3, first 2 shown]
	ds_write2_b32 v112, v35, v36 offset0:2 offset1:3
	ds_write2_b32 v126, v37, v34 offset0:2 offset1:3
	s_waitcnt lgkmcnt(0)
	s_barrier
	ds_read_b32 v34, v38
	ds_read_b32 v35, v41
	;; [unrolled: 1-line block ×8, first 2 shown]
	s_waitcnt lgkmcnt(7)
	v_add_u32_e32 v138, v34, v39
	s_waitcnt lgkmcnt(6)
	v_add3_u32 v137, v42, v40, v35
	s_waitcnt lgkmcnt(5)
	v_add3_u32 v136, v45, v43, v36
	;; [unrolled: 2-line block ×7, first 2 shown]
	s_cbranch_scc0 .LBB142_31
; %bb.55:
                                        ; implicit-def: $vgpr48_vgpr49
                                        ; implicit-def: $vgpr44_vgpr45
                                        ; implicit-def: $vgpr40_vgpr41
                                        ; implicit-def: $vgpr36_vgpr37
                                        ; implicit-def: $vgpr64_vgpr65
                                        ; implicit-def: $vgpr60_vgpr61
                                        ; implicit-def: $vgpr56_vgpr57
                                        ; implicit-def: $vgpr52_vgpr53
                                        ; implicit-def: $sgpr44_sgpr45
                                        ; implicit-def: $sgpr54
.LBB142_56:
	v_lshlrev_b32_e32 v34, 3, v138
	v_lshlrev_b32_e32 v35, 3, v137
	;; [unrolled: 1-line block ×9, first 2 shown]
	s_barrier
	ds_write_b64 v34, v[102:103]
	ds_write_b64 v35, v[100:101]
	;; [unrolled: 1-line block ×8, first 2 shown]
	s_waitcnt lgkmcnt(0)
	s_barrier
	ds_read2_b64 v[50:53], v46 offset1:1
	ds_read2_b64 v[54:57], v46 offset0:2 offset1:3
	ds_read2_b64 v[58:61], v46 offset0:4 offset1:5
	;; [unrolled: 1-line block ×3, first 2 shown]
	s_waitcnt lgkmcnt(0)
	s_barrier
	ds_write_b64 v34, v[84:85]
	ds_write_b64 v35, v[82:83]
	;; [unrolled: 1-line block ×8, first 2 shown]
	s_waitcnt lgkmcnt(0)
	s_barrier
	ds_read2_b64 v[34:37], v46 offset1:1
	ds_read2_b64 v[38:41], v46 offset0:2 offset1:3
	ds_read2_b64 v[42:45], v46 offset0:4 offset1:5
	;; [unrolled: 1-line block ×3, first 2 shown]
	v_xor_b32_e32 v51, 0x80000000, v51
	v_xor_b32_e32 v53, 0x80000000, v53
	;; [unrolled: 1-line block ×8, first 2 shown]
	s_branch .LBB142_92
.LBB142_57:
	v_mov_b32_e32 v69, 0
	v_lshlrev_b64 v[2:3], 3, v[68:69]
	v_mov_b32_e32 v4, s52
	v_add_co_u32_e32 v2, vcc, s49, v2
	v_addc_co_u32_e32 v3, vcc, v4, v3, vcc
	global_load_dwordx2 v[2:3], v[2:3], off
	v_mov_b32_e32 v4, v69
	v_mov_b32_e32 v5, v69
	;; [unrolled: 1-line block ×14, first 2 shown]
	s_or_b64 exec, exec, s[16:17]
	s_and_saveexec_b64 s[16:17], s[2:3]
	s_cbranch_execz .LBB142_22
.LBB142_58:
	v_mul_lo_u32 v4, v1, s48
	v_mov_b32_e32 v5, 0
	v_lshlrev_b64 v[4:5], 3, v[4:5]
	v_mov_b32_e32 v1, s52
	v_add_co_u32_e32 v4, vcc, s49, v4
	v_addc_co_u32_e32 v5, vcc, v1, v5, vcc
	global_load_dwordx2 v[4:5], v[4:5], off
	s_or_b64 exec, exec, s[16:17]
	s_and_saveexec_b64 s[16:17], s[4:5]
	s_cbranch_execz .LBB142_23
.LBB142_59:
	v_mul_lo_u32 v6, v34, s48
	v_mov_b32_e32 v7, 0
	v_lshlrev_b64 v[6:7], 3, v[6:7]
	v_mov_b32_e32 v1, s52
	v_add_co_u32_e32 v6, vcc, s49, v6
	v_addc_co_u32_e32 v7, vcc, v1, v7, vcc
	global_load_dwordx2 v[6:7], v[6:7], off
	s_or_b64 exec, exec, s[16:17]
	s_and_saveexec_b64 s[16:17], s[6:7]
	s_cbranch_execz .LBB142_24
.LBB142_60:
	v_mul_lo_u32 v8, v35, s48
	v_mov_b32_e32 v9, 0
	v_lshlrev_b64 v[8:9], 3, v[8:9]
	v_mov_b32_e32 v1, s52
	v_add_co_u32_e32 v8, vcc, s49, v8
	v_addc_co_u32_e32 v9, vcc, v1, v9, vcc
	global_load_dwordx2 v[8:9], v[8:9], off
	s_or_b64 exec, exec, s[16:17]
	s_and_saveexec_b64 s[16:17], s[8:9]
	s_cbranch_execz .LBB142_25
.LBB142_61:
	v_mul_lo_u32 v10, v36, s48
	v_mov_b32_e32 v11, 0
	v_lshlrev_b64 v[10:11], 3, v[10:11]
	v_mov_b32_e32 v1, s52
	v_add_co_u32_e32 v10, vcc, s49, v10
	v_addc_co_u32_e32 v11, vcc, v1, v11, vcc
	global_load_dwordx2 v[10:11], v[10:11], off
	s_or_b64 exec, exec, s[16:17]
	s_and_saveexec_b64 s[16:17], s[10:11]
	s_cbranch_execz .LBB142_26
.LBB142_62:
	v_mul_lo_u32 v12, v37, s48
	v_mov_b32_e32 v13, 0
	v_lshlrev_b64 v[12:13], 3, v[12:13]
	v_mov_b32_e32 v1, s52
	v_add_co_u32_e32 v12, vcc, s49, v12
	v_addc_co_u32_e32 v13, vcc, v1, v13, vcc
	global_load_dwordx2 v[12:13], v[12:13], off
	s_or_b64 exec, exec, s[16:17]
	s_and_saveexec_b64 s[16:17], s[12:13]
	s_cbranch_execz .LBB142_27
.LBB142_63:
	v_mul_lo_u32 v14, v38, s48
	v_mov_b32_e32 v15, 0
	v_lshlrev_b64 v[14:15], 3, v[14:15]
	v_mov_b32_e32 v1, s52
	v_add_co_u32_e32 v14, vcc, s49, v14
	v_addc_co_u32_e32 v15, vcc, v1, v15, vcc
	global_load_dwordx2 v[14:15], v[14:15], off
	s_or_b64 exec, exec, s[16:17]
	s_xor_b64 s[16:17], s[34:35], -1
	s_and_saveexec_b64 s[18:19], s[14:15]
	s_cbranch_execnz .LBB142_28
	s_branch .LBB142_29
.LBB142_64:
                                        ; implicit-def: $vgpr64_vgpr65
                                        ; implicit-def: $vgpr60_vgpr61
                                        ; implicit-def: $vgpr56_vgpr57
                                        ; implicit-def: $vgpr52_vgpr53
                                        ; implicit-def: $vgpr48_vgpr49
                                        ; implicit-def: $vgpr44_vgpr45
                                        ; implicit-def: $vgpr40_vgpr41
                                        ; implicit-def: $vgpr36_vgpr37
	s_cbranch_execz .LBB142_92
; %bb.65:
	v_xor_b32_e32 v1, 0x7fffffff, v31
	v_xor_b32_e32 v0, -1, v30
	v_xor_b32_e32 v31, 0x7fffffff, v33
	v_xor_b32_e32 v30, -1, v32
	;; [unrolled: 2-line block ×8, first 2 shown]
	ds_write2_b64 v125, v[0:1], v[30:31] offset1:1
	ds_write2_b64 v125, v[26:27], v[28:29] offset0:2 offset1:3
	ds_write2_b64 v125, v[22:23], v[24:25] offset0:4 offset1:5
	;; [unrolled: 1-line block ×3, first 2 shown]
	; wave barrier
	ds_read2st64_b64 v[18:21], v124 offset1:1
	ds_read2st64_b64 v[22:25], v124 offset0:2 offset1:3
	ds_read2st64_b64 v[26:29], v124 offset0:4 offset1:5
	;; [unrolled: 1-line block ×3, first 2 shown]
	; wave barrier
	ds_write2_b64 v125, v[14:15], v[16:17] offset1:1
	ds_write2_b64 v125, v[10:11], v[12:13] offset0:2 offset1:3
	ds_write2_b64 v125, v[6:7], v[8:9] offset0:4 offset1:5
	;; [unrolled: 1-line block ×3, first 2 shown]
	; wave barrier
	ds_read2st64_b64 v[0:3], v124 offset1:1
	ds_read2st64_b64 v[4:7], v124 offset0:2 offset1:3
	ds_read2st64_b64 v[8:11], v124 offset0:4 offset1:5
	ds_read2st64_b64 v[12:15], v124 offset0:6 offset1:7
	s_waitcnt lgkmcnt(0)
	s_barrier
	s_load_dword s18, s[50:51], 0xc
	s_getpc_b64 s[16:17]
	s_add_u32 s16, s16, _ZN7rocprim17ROCPRIM_400000_NS16block_radix_sortIlLj128ELj8ElLj1ELj1ELj0ELNS0_26block_radix_rank_algorithmE1ELNS0_18block_padding_hintE2ELNS0_4arch9wavefront6targetE1EE19radix_bits_per_passE@rel32@lo+4
	s_addc_u32 s17, s17, _ZN7rocprim17ROCPRIM_400000_NS16block_radix_sortIlLj128ELj8ElLj1ELj1ELj0ELNS0_26block_radix_rank_algorithmE1ELNS0_18block_padding_hintE2ELNS0_4arch9wavefront6targetE1EE19radix_bits_per_passE@rel32@hi+12
	s_load_dword s50, s[16:17], 0x0
	v_cmp_lt_i32_e32 vcc, v115, v119
	v_cmp_gt_u32_e64 s[30:31], 2, v70
	s_waitcnt lgkmcnt(0)
	s_lshr_b32 s16, s18, 16
	s_and_b32 s17, s18, 0xffff
	v_mad_u32_u24 v16, v123, s16, v122
	v_mad_u64_u32 v[16:17], s[16:17], v16, s17, v[70:71]
	v_lshrrev_b32_e32 v73, 6, v16
	v_or_b32_e32 v16, 63, v118
	v_cmp_eq_u32_e64 s[28:29], v16, v70
	v_cmp_lt_u32_e64 s[34:35], 63, v70
	v_cndmask_b32_e32 v16, v115, v113, vcc
	v_cmp_eq_u32_e64 s[38:39], 0, v70
	v_and_b32_e32 v70, 60, v116
	v_or_b32_e32 v72, 8, v112
	v_cmp_eq_u32_e64 s[16:17], 0, v120
	v_cmp_lt_u32_e64 s[18:19], 1, v120
	v_cmp_lt_u32_e64 s[20:21], 3, v120
	;; [unrolled: 1-line block ×3, first 2 shown]
	v_cmp_eq_u32_e64 s[24:25], 0, v121
	v_cmp_lt_u32_e64 s[26:27], 31, v113
	s_mov_b32 s51, 64
	v_lshlrev_b32_e32 v74, 2, v16
	v_cmp_eq_u32_e64 s[36:37], 0, v113
	v_cmp_eq_u32_e64 s[40:41], 0, v117
	v_add_u32_e32 v75, -4, v70
	v_lshlrev_b32_e32 v76, 3, v114
	s_mov_b64 s[44:45], 0
	v_mov_b32_e32 v42, 0
	s_branch .LBB142_67
.LBB142_66:                             ;   in Loop: Header=BB142_67 Depth=1
	v_lshlrev_b32_e32 v0, 3, v83
	v_lshlrev_b32_e32 v1, 3, v82
	;; [unrolled: 1-line block ×8, first 2 shown]
	s_barrier
	ds_write_b64 v0, v[64:65]
	ds_write_b64 v1, v[62:63]
	;; [unrolled: 1-line block ×8, first 2 shown]
	s_waitcnt lgkmcnt(0)
	s_barrier
	ds_read2st64_b64 v[18:21], v76 offset1:1
	ds_read2st64_b64 v[22:25], v76 offset0:2 offset1:3
	ds_read2st64_b64 v[26:29], v76 offset0:4 offset1:5
	;; [unrolled: 1-line block ×3, first 2 shown]
	s_waitcnt lgkmcnt(0)
	s_barrier
	ds_write_b64 v0, v[50:51]
	ds_write_b64 v1, v[48:49]
	;; [unrolled: 1-line block ×8, first 2 shown]
	s_waitcnt lgkmcnt(0)
	s_barrier
	ds_read2st64_b64 v[0:3], v76 offset1:1
	ds_read2st64_b64 v[4:7], v76 offset0:2 offset1:3
	ds_read2st64_b64 v[8:11], v76 offset0:4 offset1:5
	;; [unrolled: 1-line block ×3, first 2 shown]
	s_add_u32 s44, s44, 8
	s_addc_u32 s45, s45, 0
	s_add_i32 s51, s51, -8
	s_waitcnt lgkmcnt(0)
	s_barrier
	s_cbranch_execz .LBB142_91
.LBB142_67:                             ; =>This Inner Loop Header: Depth=1
	s_min_u32 s42, s50, s51
	v_pk_mov_b32 v[64:65], v[18:19], v[18:19] op_sel:[0,1]
	s_lshl_b32 s42, -1, s42
	v_pk_mov_b32 v[50:51], v[0:1], v[0:1] op_sel:[0,1]
	s_not_b32 s53, s42
	v_lshrrev_b64 v[0:1], s44, v[64:65]
	v_and_b32_e32 v0, s53, v0
	v_lshl_add_u32 v1, v0, 1, v73
	v_pk_mov_b32 v[44:45], v[4:5], v[4:5] op_sel:[0,1]
	v_lshl_add_u32 v4, v1, 2, 8
	v_and_b32_e32 v1, 1, v0
	v_pk_mov_b32 v[48:49], v[2:3], v[2:3] op_sel:[0,1]
	v_add_co_u32_e32 v2, vcc, -1, v1
	v_addc_co_u32_e64 v3, s[42:43], 0, -1, vcc
	v_cmp_ne_u32_e32 vcc, 0, v1
	v_lshlrev_b32_e32 v43, 30, v0
	v_xor_b32_e32 v1, vcc_hi, v3
	v_not_b32_e32 v3, v43
	v_xor_b32_e32 v2, vcc_lo, v2
	v_cmp_gt_i64_e32 vcc, 0, v[42:43]
	v_ashrrev_i32_e32 v3, 31, v3
	v_and_b32_e32 v2, exec_lo, v2
	v_xor_b32_e32 v5, vcc_hi, v3
	v_xor_b32_e32 v3, vcc_lo, v3
	v_lshlrev_b32_e32 v43, 29, v0
	v_and_b32_e32 v2, v2, v3
	v_not_b32_e32 v3, v43
	v_and_b32_e32 v1, exec_hi, v1
	v_cmp_gt_i64_e32 vcc, 0, v[42:43]
	v_ashrrev_i32_e32 v3, 31, v3
	v_and_b32_e32 v1, v1, v5
	v_xor_b32_e32 v5, vcc_hi, v3
	v_xor_b32_e32 v3, vcc_lo, v3
	v_lshlrev_b32_e32 v43, 28, v0
	v_and_b32_e32 v2, v2, v3
	v_not_b32_e32 v3, v43
	v_cmp_gt_i64_e32 vcc, 0, v[42:43]
	v_ashrrev_i32_e32 v3, 31, v3
	v_and_b32_e32 v1, v1, v5
	v_xor_b32_e32 v5, vcc_hi, v3
	v_xor_b32_e32 v3, vcc_lo, v3
	v_lshlrev_b32_e32 v43, 27, v0
	v_and_b32_e32 v2, v2, v3
	v_not_b32_e32 v3, v43
	;; [unrolled: 8-line block ×3, first 2 shown]
	v_cmp_gt_i64_e32 vcc, 0, v[42:43]
	v_ashrrev_i32_e32 v3, 31, v3
	v_and_b32_e32 v1, v1, v5
	v_xor_b32_e32 v5, vcc_hi, v3
	v_xor_b32_e32 v3, vcc_lo, v3
	v_lshlrev_b32_e32 v43, 25, v0
	v_and_b32_e32 v2, v2, v3
	v_cmp_gt_i64_e32 vcc, 0, v[42:43]
	v_not_b32_e32 v3, v43
	v_lshlrev_b32_e32 v43, 24, v0
	v_ashrrev_i32_e32 v3, 31, v3
	v_not_b32_e32 v0, v43
	v_and_b32_e32 v1, v1, v5
	v_xor_b32_e32 v5, vcc_hi, v3
	v_xor_b32_e32 v3, vcc_lo, v3
	v_cmp_gt_i64_e32 vcc, 0, v[42:43]
	v_ashrrev_i32_e32 v0, 31, v0
	v_and_b32_e32 v2, v2, v3
	v_xor_b32_e32 v3, vcc_hi, v0
	v_xor_b32_e32 v0, vcc_lo, v0
	v_and_b32_e32 v1, v1, v5
	v_and_b32_e32 v0, v2, v0
	;; [unrolled: 1-line block ×3, first 2 shown]
	v_mbcnt_lo_u32_b32 v2, v0, 0
	v_mbcnt_hi_u32_b32 v5, v1, v2
	v_cmp_eq_u32_e32 vcc, 0, v5
	v_cmp_ne_u64_e64 s[42:43], 0, v[0:1]
	v_pk_mov_b32 v[46:47], v[32:33], v[32:33] op_sel:[0,1]
	v_pk_mov_b32 v[52:53], v[30:31], v[30:31] op_sel:[0,1]
	;; [unrolled: 1-line block ×12, first 2 shown]
	s_and_b64 s[54:55], s[42:43], vcc
	ds_write2_b32 v112, v42, v42 offset0:2 offset1:3
	ds_write2_b32 v72, v42, v42 offset0:2 offset1:3
	s_waitcnt lgkmcnt(0)
	s_barrier
	s_waitcnt lgkmcnt(0)
	; wave barrier
	s_and_saveexec_b64 s[42:43], s[54:55]
	s_cbranch_execz .LBB142_69
; %bb.68:                               ;   in Loop: Header=BB142_67 Depth=1
	v_bcnt_u32_b32 v0, v0, 0
	v_bcnt_u32_b32 v0, v1, v0
	ds_write_b32 v4, v0
.LBB142_69:                             ;   in Loop: Header=BB142_67 Depth=1
	s_or_b64 exec, exec, s[42:43]
	v_lshrrev_b64 v[0:1], s44, v[62:63]
	v_and_b32_e32 v0, s53, v0
	v_lshlrev_b32_e32 v1, 1, v0
	v_add_lshl_u32 v1, v1, v73, 2
	; wave barrier
	v_add_u32_e32 v7, 8, v1
	ds_read_b32 v6, v1 offset:8
	v_and_b32_e32 v1, 1, v0
	v_add_co_u32_e32 v2, vcc, -1, v1
	v_addc_co_u32_e64 v3, s[42:43], 0, -1, vcc
	v_cmp_ne_u32_e32 vcc, 0, v1
	v_lshlrev_b32_e32 v43, 30, v0
	v_xor_b32_e32 v1, vcc_hi, v3
	v_not_b32_e32 v3, v43
	v_xor_b32_e32 v2, vcc_lo, v2
	v_cmp_gt_i64_e32 vcc, 0, v[42:43]
	v_ashrrev_i32_e32 v3, 31, v3
	v_and_b32_e32 v2, exec_lo, v2
	v_xor_b32_e32 v8, vcc_hi, v3
	v_xor_b32_e32 v3, vcc_lo, v3
	v_lshlrev_b32_e32 v43, 29, v0
	v_and_b32_e32 v2, v2, v3
	v_not_b32_e32 v3, v43
	v_and_b32_e32 v1, exec_hi, v1
	v_cmp_gt_i64_e32 vcc, 0, v[42:43]
	v_ashrrev_i32_e32 v3, 31, v3
	v_and_b32_e32 v1, v1, v8
	v_xor_b32_e32 v8, vcc_hi, v3
	v_xor_b32_e32 v3, vcc_lo, v3
	v_lshlrev_b32_e32 v43, 28, v0
	v_and_b32_e32 v2, v2, v3
	v_not_b32_e32 v3, v43
	v_cmp_gt_i64_e32 vcc, 0, v[42:43]
	v_ashrrev_i32_e32 v3, 31, v3
	v_and_b32_e32 v1, v1, v8
	v_xor_b32_e32 v8, vcc_hi, v3
	v_xor_b32_e32 v3, vcc_lo, v3
	v_lshlrev_b32_e32 v43, 27, v0
	v_and_b32_e32 v2, v2, v3
	v_not_b32_e32 v3, v43
	;; [unrolled: 8-line block ×3, first 2 shown]
	v_cmp_gt_i64_e32 vcc, 0, v[42:43]
	v_ashrrev_i32_e32 v3, 31, v3
	v_and_b32_e32 v1, v1, v8
	v_xor_b32_e32 v8, vcc_hi, v3
	v_xor_b32_e32 v3, vcc_lo, v3
	v_lshlrev_b32_e32 v43, 25, v0
	v_and_b32_e32 v2, v2, v3
	v_cmp_gt_i64_e32 vcc, 0, v[42:43]
	v_not_b32_e32 v3, v43
	v_lshlrev_b32_e32 v43, 24, v0
	v_ashrrev_i32_e32 v3, 31, v3
	v_not_b32_e32 v0, v43
	v_and_b32_e32 v1, v1, v8
	v_xor_b32_e32 v8, vcc_hi, v3
	v_xor_b32_e32 v3, vcc_lo, v3
	v_cmp_gt_i64_e32 vcc, 0, v[42:43]
	v_ashrrev_i32_e32 v0, 31, v0
	v_and_b32_e32 v2, v2, v3
	v_xor_b32_e32 v3, vcc_hi, v0
	v_xor_b32_e32 v0, vcc_lo, v0
	v_and_b32_e32 v1, v1, v8
	v_and_b32_e32 v0, v2, v0
	;; [unrolled: 1-line block ×3, first 2 shown]
	v_mbcnt_lo_u32_b32 v2, v0, 0
	v_mbcnt_hi_u32_b32 v8, v1, v2
	v_cmp_eq_u32_e32 vcc, 0, v8
	v_cmp_ne_u64_e64 s[42:43], 0, v[0:1]
	s_and_b64 s[54:55], s[42:43], vcc
	; wave barrier
	s_and_saveexec_b64 s[42:43], s[54:55]
	s_cbranch_execz .LBB142_71
; %bb.70:                               ;   in Loop: Header=BB142_67 Depth=1
	v_bcnt_u32_b32 v0, v0, 0
	v_bcnt_u32_b32 v0, v1, v0
	s_waitcnt lgkmcnt(0)
	v_add_u32_e32 v0, v6, v0
	ds_write_b32 v7, v0
.LBB142_71:                             ;   in Loop: Header=BB142_67 Depth=1
	s_or_b64 exec, exec, s[42:43]
	v_lshrrev_b64 v[0:1], s44, v[60:61]
	v_and_b32_e32 v0, s53, v0
	v_lshlrev_b32_e32 v1, 1, v0
	v_add_lshl_u32 v1, v1, v73, 2
	; wave barrier
	v_add_u32_e32 v10, 8, v1
	ds_read_b32 v9, v1 offset:8
	v_and_b32_e32 v1, 1, v0
	v_add_co_u32_e32 v2, vcc, -1, v1
	v_addc_co_u32_e64 v3, s[42:43], 0, -1, vcc
	v_cmp_ne_u32_e32 vcc, 0, v1
	v_lshlrev_b32_e32 v43, 30, v0
	v_xor_b32_e32 v1, vcc_hi, v3
	v_not_b32_e32 v3, v43
	v_xor_b32_e32 v2, vcc_lo, v2
	v_cmp_gt_i64_e32 vcc, 0, v[42:43]
	v_ashrrev_i32_e32 v3, 31, v3
	v_and_b32_e32 v2, exec_lo, v2
	v_xor_b32_e32 v11, vcc_hi, v3
	v_xor_b32_e32 v3, vcc_lo, v3
	v_lshlrev_b32_e32 v43, 29, v0
	v_and_b32_e32 v2, v2, v3
	v_not_b32_e32 v3, v43
	v_and_b32_e32 v1, exec_hi, v1
	v_cmp_gt_i64_e32 vcc, 0, v[42:43]
	v_ashrrev_i32_e32 v3, 31, v3
	v_and_b32_e32 v1, v1, v11
	v_xor_b32_e32 v11, vcc_hi, v3
	v_xor_b32_e32 v3, vcc_lo, v3
	v_lshlrev_b32_e32 v43, 28, v0
	v_and_b32_e32 v2, v2, v3
	v_not_b32_e32 v3, v43
	v_cmp_gt_i64_e32 vcc, 0, v[42:43]
	v_ashrrev_i32_e32 v3, 31, v3
	v_and_b32_e32 v1, v1, v11
	v_xor_b32_e32 v11, vcc_hi, v3
	v_xor_b32_e32 v3, vcc_lo, v3
	v_lshlrev_b32_e32 v43, 27, v0
	v_and_b32_e32 v2, v2, v3
	v_not_b32_e32 v3, v43
	v_cmp_gt_i64_e32 vcc, 0, v[42:43]
	v_ashrrev_i32_e32 v3, 31, v3
	v_and_b32_e32 v1, v1, v11
	v_xor_b32_e32 v11, vcc_hi, v3
	v_xor_b32_e32 v3, vcc_lo, v3
	v_lshlrev_b32_e32 v43, 26, v0
	v_and_b32_e32 v2, v2, v3
	v_not_b32_e32 v3, v43
	v_cmp_gt_i64_e32 vcc, 0, v[42:43]
	v_ashrrev_i32_e32 v3, 31, v3
	v_and_b32_e32 v1, v1, v11
	v_xor_b32_e32 v11, vcc_hi, v3
	v_xor_b32_e32 v3, vcc_lo, v3
	v_lshlrev_b32_e32 v43, 25, v0
	v_and_b32_e32 v2, v2, v3
	v_cmp_gt_i64_e32 vcc, 0, v[42:43]
	v_not_b32_e32 v3, v43
	v_lshlrev_b32_e32 v43, 24, v0
	v_ashrrev_i32_e32 v3, 31, v3
	v_not_b32_e32 v0, v43
	v_and_b32_e32 v1, v1, v11
	v_xor_b32_e32 v11, vcc_hi, v3
	v_xor_b32_e32 v3, vcc_lo, v3
	v_cmp_gt_i64_e32 vcc, 0, v[42:43]
	v_ashrrev_i32_e32 v0, 31, v0
	v_and_b32_e32 v2, v2, v3
	v_xor_b32_e32 v3, vcc_hi, v0
	v_xor_b32_e32 v0, vcc_lo, v0
	v_and_b32_e32 v1, v1, v11
	v_and_b32_e32 v0, v2, v0
	;; [unrolled: 1-line block ×3, first 2 shown]
	v_mbcnt_lo_u32_b32 v2, v0, 0
	v_mbcnt_hi_u32_b32 v11, v1, v2
	v_cmp_eq_u32_e32 vcc, 0, v11
	v_cmp_ne_u64_e64 s[42:43], 0, v[0:1]
	s_and_b64 s[54:55], s[42:43], vcc
	; wave barrier
	s_and_saveexec_b64 s[42:43], s[54:55]
	s_cbranch_execz .LBB142_73
; %bb.72:                               ;   in Loop: Header=BB142_67 Depth=1
	v_bcnt_u32_b32 v0, v0, 0
	v_bcnt_u32_b32 v0, v1, v0
	s_waitcnt lgkmcnt(0)
	v_add_u32_e32 v0, v9, v0
	ds_write_b32 v10, v0
.LBB142_73:                             ;   in Loop: Header=BB142_67 Depth=1
	s_or_b64 exec, exec, s[42:43]
	v_lshrrev_b64 v[0:1], s44, v[58:59]
	v_and_b32_e32 v0, s53, v0
	v_lshlrev_b32_e32 v1, 1, v0
	v_add_lshl_u32 v1, v1, v73, 2
	; wave barrier
	v_add_u32_e32 v13, 8, v1
	ds_read_b32 v12, v1 offset:8
	v_and_b32_e32 v1, 1, v0
	v_add_co_u32_e32 v2, vcc, -1, v1
	v_addc_co_u32_e64 v3, s[42:43], 0, -1, vcc
	v_cmp_ne_u32_e32 vcc, 0, v1
	v_lshlrev_b32_e32 v43, 30, v0
	v_xor_b32_e32 v1, vcc_hi, v3
	v_not_b32_e32 v3, v43
	v_xor_b32_e32 v2, vcc_lo, v2
	v_cmp_gt_i64_e32 vcc, 0, v[42:43]
	v_ashrrev_i32_e32 v3, 31, v3
	v_and_b32_e32 v2, exec_lo, v2
	v_xor_b32_e32 v14, vcc_hi, v3
	v_xor_b32_e32 v3, vcc_lo, v3
	v_lshlrev_b32_e32 v43, 29, v0
	v_and_b32_e32 v2, v2, v3
	v_not_b32_e32 v3, v43
	v_and_b32_e32 v1, exec_hi, v1
	v_cmp_gt_i64_e32 vcc, 0, v[42:43]
	v_ashrrev_i32_e32 v3, 31, v3
	v_and_b32_e32 v1, v1, v14
	v_xor_b32_e32 v14, vcc_hi, v3
	v_xor_b32_e32 v3, vcc_lo, v3
	v_lshlrev_b32_e32 v43, 28, v0
	v_and_b32_e32 v2, v2, v3
	v_not_b32_e32 v3, v43
	v_cmp_gt_i64_e32 vcc, 0, v[42:43]
	v_ashrrev_i32_e32 v3, 31, v3
	v_and_b32_e32 v1, v1, v14
	v_xor_b32_e32 v14, vcc_hi, v3
	v_xor_b32_e32 v3, vcc_lo, v3
	v_lshlrev_b32_e32 v43, 27, v0
	v_and_b32_e32 v2, v2, v3
	v_not_b32_e32 v3, v43
	;; [unrolled: 8-line block ×3, first 2 shown]
	v_cmp_gt_i64_e32 vcc, 0, v[42:43]
	v_ashrrev_i32_e32 v3, 31, v3
	v_and_b32_e32 v1, v1, v14
	v_xor_b32_e32 v14, vcc_hi, v3
	v_xor_b32_e32 v3, vcc_lo, v3
	v_lshlrev_b32_e32 v43, 25, v0
	v_and_b32_e32 v2, v2, v3
	v_cmp_gt_i64_e32 vcc, 0, v[42:43]
	v_not_b32_e32 v3, v43
	v_lshlrev_b32_e32 v43, 24, v0
	v_ashrrev_i32_e32 v3, 31, v3
	v_not_b32_e32 v0, v43
	v_and_b32_e32 v1, v1, v14
	v_xor_b32_e32 v14, vcc_hi, v3
	v_xor_b32_e32 v3, vcc_lo, v3
	v_cmp_gt_i64_e32 vcc, 0, v[42:43]
	v_ashrrev_i32_e32 v0, 31, v0
	v_and_b32_e32 v2, v2, v3
	v_xor_b32_e32 v3, vcc_hi, v0
	v_xor_b32_e32 v0, vcc_lo, v0
	v_and_b32_e32 v1, v1, v14
	v_and_b32_e32 v0, v2, v0
	;; [unrolled: 1-line block ×3, first 2 shown]
	v_mbcnt_lo_u32_b32 v2, v0, 0
	v_mbcnt_hi_u32_b32 v14, v1, v2
	v_cmp_eq_u32_e32 vcc, 0, v14
	v_cmp_ne_u64_e64 s[42:43], 0, v[0:1]
	s_and_b64 s[54:55], s[42:43], vcc
	; wave barrier
	s_and_saveexec_b64 s[42:43], s[54:55]
	s_cbranch_execz .LBB142_75
; %bb.74:                               ;   in Loop: Header=BB142_67 Depth=1
	v_bcnt_u32_b32 v0, v0, 0
	v_bcnt_u32_b32 v0, v1, v0
	s_waitcnt lgkmcnt(0)
	v_add_u32_e32 v0, v12, v0
	ds_write_b32 v13, v0
.LBB142_75:                             ;   in Loop: Header=BB142_67 Depth=1
	s_or_b64 exec, exec, s[42:43]
	v_lshrrev_b64 v[0:1], s44, v[56:57]
	v_and_b32_e32 v0, s53, v0
	v_lshlrev_b32_e32 v1, 1, v0
	v_add_lshl_u32 v1, v1, v73, 2
	; wave barrier
	v_add_u32_e32 v18, 8, v1
	ds_read_b32 v15, v1 offset:8
	v_and_b32_e32 v1, 1, v0
	v_add_co_u32_e32 v2, vcc, -1, v1
	v_addc_co_u32_e64 v3, s[42:43], 0, -1, vcc
	v_cmp_ne_u32_e32 vcc, 0, v1
	v_lshlrev_b32_e32 v43, 30, v0
	v_xor_b32_e32 v1, vcc_hi, v3
	v_not_b32_e32 v3, v43
	v_xor_b32_e32 v2, vcc_lo, v2
	v_cmp_gt_i64_e32 vcc, 0, v[42:43]
	v_ashrrev_i32_e32 v3, 31, v3
	v_and_b32_e32 v2, exec_lo, v2
	v_xor_b32_e32 v19, vcc_hi, v3
	v_xor_b32_e32 v3, vcc_lo, v3
	v_lshlrev_b32_e32 v43, 29, v0
	v_and_b32_e32 v2, v2, v3
	v_not_b32_e32 v3, v43
	v_and_b32_e32 v1, exec_hi, v1
	v_cmp_gt_i64_e32 vcc, 0, v[42:43]
	v_ashrrev_i32_e32 v3, 31, v3
	v_and_b32_e32 v1, v1, v19
	v_xor_b32_e32 v19, vcc_hi, v3
	v_xor_b32_e32 v3, vcc_lo, v3
	v_lshlrev_b32_e32 v43, 28, v0
	v_and_b32_e32 v2, v2, v3
	v_not_b32_e32 v3, v43
	v_cmp_gt_i64_e32 vcc, 0, v[42:43]
	v_ashrrev_i32_e32 v3, 31, v3
	v_and_b32_e32 v1, v1, v19
	v_xor_b32_e32 v19, vcc_hi, v3
	v_xor_b32_e32 v3, vcc_lo, v3
	v_lshlrev_b32_e32 v43, 27, v0
	v_and_b32_e32 v2, v2, v3
	v_not_b32_e32 v3, v43
	;; [unrolled: 8-line block ×3, first 2 shown]
	v_cmp_gt_i64_e32 vcc, 0, v[42:43]
	v_ashrrev_i32_e32 v3, 31, v3
	v_and_b32_e32 v1, v1, v19
	v_xor_b32_e32 v19, vcc_hi, v3
	v_xor_b32_e32 v3, vcc_lo, v3
	v_lshlrev_b32_e32 v43, 25, v0
	v_and_b32_e32 v2, v2, v3
	v_cmp_gt_i64_e32 vcc, 0, v[42:43]
	v_not_b32_e32 v3, v43
	v_lshlrev_b32_e32 v43, 24, v0
	v_ashrrev_i32_e32 v3, 31, v3
	v_not_b32_e32 v0, v43
	v_and_b32_e32 v1, v1, v19
	v_xor_b32_e32 v19, vcc_hi, v3
	v_xor_b32_e32 v3, vcc_lo, v3
	v_cmp_gt_i64_e32 vcc, 0, v[42:43]
	v_ashrrev_i32_e32 v0, 31, v0
	v_and_b32_e32 v2, v2, v3
	v_xor_b32_e32 v3, vcc_hi, v0
	v_xor_b32_e32 v0, vcc_lo, v0
	v_and_b32_e32 v1, v1, v19
	v_and_b32_e32 v0, v2, v0
	;; [unrolled: 1-line block ×3, first 2 shown]
	v_mbcnt_lo_u32_b32 v2, v0, 0
	v_mbcnt_hi_u32_b32 v19, v1, v2
	v_cmp_eq_u32_e32 vcc, 0, v19
	v_cmp_ne_u64_e64 s[42:43], 0, v[0:1]
	s_and_b64 s[54:55], s[42:43], vcc
	; wave barrier
	s_and_saveexec_b64 s[42:43], s[54:55]
	s_cbranch_execz .LBB142_77
; %bb.76:                               ;   in Loop: Header=BB142_67 Depth=1
	v_bcnt_u32_b32 v0, v0, 0
	v_bcnt_u32_b32 v0, v1, v0
	s_waitcnt lgkmcnt(0)
	v_add_u32_e32 v0, v15, v0
	ds_write_b32 v18, v0
.LBB142_77:                             ;   in Loop: Header=BB142_67 Depth=1
	s_or_b64 exec, exec, s[42:43]
	v_lshrrev_b64 v[0:1], s44, v[54:55]
	v_and_b32_e32 v0, s53, v0
	v_lshlrev_b32_e32 v1, 1, v0
	v_add_lshl_u32 v1, v1, v73, 2
	; wave barrier
	v_add_u32_e32 v21, 8, v1
	ds_read_b32 v20, v1 offset:8
	v_and_b32_e32 v1, 1, v0
	v_add_co_u32_e32 v2, vcc, -1, v1
	v_addc_co_u32_e64 v3, s[42:43], 0, -1, vcc
	v_cmp_ne_u32_e32 vcc, 0, v1
	v_lshlrev_b32_e32 v43, 30, v0
	v_xor_b32_e32 v1, vcc_hi, v3
	v_not_b32_e32 v3, v43
	v_xor_b32_e32 v2, vcc_lo, v2
	v_cmp_gt_i64_e32 vcc, 0, v[42:43]
	v_ashrrev_i32_e32 v3, 31, v3
	v_and_b32_e32 v2, exec_lo, v2
	v_xor_b32_e32 v22, vcc_hi, v3
	v_xor_b32_e32 v3, vcc_lo, v3
	v_lshlrev_b32_e32 v43, 29, v0
	v_and_b32_e32 v2, v2, v3
	v_not_b32_e32 v3, v43
	v_and_b32_e32 v1, exec_hi, v1
	v_cmp_gt_i64_e32 vcc, 0, v[42:43]
	v_ashrrev_i32_e32 v3, 31, v3
	v_and_b32_e32 v1, v1, v22
	v_xor_b32_e32 v22, vcc_hi, v3
	v_xor_b32_e32 v3, vcc_lo, v3
	v_lshlrev_b32_e32 v43, 28, v0
	v_and_b32_e32 v2, v2, v3
	v_not_b32_e32 v3, v43
	v_cmp_gt_i64_e32 vcc, 0, v[42:43]
	v_ashrrev_i32_e32 v3, 31, v3
	v_and_b32_e32 v1, v1, v22
	v_xor_b32_e32 v22, vcc_hi, v3
	v_xor_b32_e32 v3, vcc_lo, v3
	v_lshlrev_b32_e32 v43, 27, v0
	v_and_b32_e32 v2, v2, v3
	v_not_b32_e32 v3, v43
	;; [unrolled: 8-line block ×3, first 2 shown]
	v_cmp_gt_i64_e32 vcc, 0, v[42:43]
	v_ashrrev_i32_e32 v3, 31, v3
	v_and_b32_e32 v1, v1, v22
	v_xor_b32_e32 v22, vcc_hi, v3
	v_xor_b32_e32 v3, vcc_lo, v3
	v_lshlrev_b32_e32 v43, 25, v0
	v_and_b32_e32 v2, v2, v3
	v_cmp_gt_i64_e32 vcc, 0, v[42:43]
	v_not_b32_e32 v3, v43
	v_lshlrev_b32_e32 v43, 24, v0
	v_ashrrev_i32_e32 v3, 31, v3
	v_not_b32_e32 v0, v43
	v_and_b32_e32 v1, v1, v22
	v_xor_b32_e32 v22, vcc_hi, v3
	v_xor_b32_e32 v3, vcc_lo, v3
	v_cmp_gt_i64_e32 vcc, 0, v[42:43]
	v_ashrrev_i32_e32 v0, 31, v0
	v_and_b32_e32 v2, v2, v3
	v_xor_b32_e32 v3, vcc_hi, v0
	v_xor_b32_e32 v0, vcc_lo, v0
	v_and_b32_e32 v1, v1, v22
	v_and_b32_e32 v0, v2, v0
	;; [unrolled: 1-line block ×3, first 2 shown]
	v_mbcnt_lo_u32_b32 v2, v0, 0
	v_mbcnt_hi_u32_b32 v22, v1, v2
	v_cmp_eq_u32_e32 vcc, 0, v22
	v_cmp_ne_u64_e64 s[42:43], 0, v[0:1]
	s_and_b64 s[54:55], s[42:43], vcc
	; wave barrier
	s_and_saveexec_b64 s[42:43], s[54:55]
	s_cbranch_execz .LBB142_79
; %bb.78:                               ;   in Loop: Header=BB142_67 Depth=1
	v_bcnt_u32_b32 v0, v0, 0
	v_bcnt_u32_b32 v0, v1, v0
	s_waitcnt lgkmcnt(0)
	v_add_u32_e32 v0, v20, v0
	ds_write_b32 v21, v0
.LBB142_79:                             ;   in Loop: Header=BB142_67 Depth=1
	s_or_b64 exec, exec, s[42:43]
	v_lshrrev_b64 v[0:1], s44, v[52:53]
	v_and_b32_e32 v0, s53, v0
	v_lshlrev_b32_e32 v1, 1, v0
	v_add_lshl_u32 v1, v1, v73, 2
	; wave barrier
	v_add_u32_e32 v24, 8, v1
	ds_read_b32 v23, v1 offset:8
	v_and_b32_e32 v1, 1, v0
	v_add_co_u32_e32 v2, vcc, -1, v1
	v_addc_co_u32_e64 v3, s[42:43], 0, -1, vcc
	v_cmp_ne_u32_e32 vcc, 0, v1
	v_lshlrev_b32_e32 v43, 30, v0
	v_xor_b32_e32 v1, vcc_hi, v3
	v_not_b32_e32 v3, v43
	v_xor_b32_e32 v2, vcc_lo, v2
	v_cmp_gt_i64_e32 vcc, 0, v[42:43]
	v_ashrrev_i32_e32 v3, 31, v3
	v_and_b32_e32 v2, exec_lo, v2
	v_xor_b32_e32 v25, vcc_hi, v3
	v_xor_b32_e32 v3, vcc_lo, v3
	v_lshlrev_b32_e32 v43, 29, v0
	v_and_b32_e32 v2, v2, v3
	v_not_b32_e32 v3, v43
	v_and_b32_e32 v1, exec_hi, v1
	v_cmp_gt_i64_e32 vcc, 0, v[42:43]
	v_ashrrev_i32_e32 v3, 31, v3
	v_and_b32_e32 v1, v1, v25
	v_xor_b32_e32 v25, vcc_hi, v3
	v_xor_b32_e32 v3, vcc_lo, v3
	v_lshlrev_b32_e32 v43, 28, v0
	v_and_b32_e32 v2, v2, v3
	v_not_b32_e32 v3, v43
	v_cmp_gt_i64_e32 vcc, 0, v[42:43]
	v_ashrrev_i32_e32 v3, 31, v3
	v_and_b32_e32 v1, v1, v25
	v_xor_b32_e32 v25, vcc_hi, v3
	v_xor_b32_e32 v3, vcc_lo, v3
	v_lshlrev_b32_e32 v43, 27, v0
	v_and_b32_e32 v2, v2, v3
	v_not_b32_e32 v3, v43
	;; [unrolled: 8-line block ×3, first 2 shown]
	v_cmp_gt_i64_e32 vcc, 0, v[42:43]
	v_ashrrev_i32_e32 v3, 31, v3
	v_and_b32_e32 v1, v1, v25
	v_xor_b32_e32 v25, vcc_hi, v3
	v_xor_b32_e32 v3, vcc_lo, v3
	v_lshlrev_b32_e32 v43, 25, v0
	v_and_b32_e32 v2, v2, v3
	v_cmp_gt_i64_e32 vcc, 0, v[42:43]
	v_not_b32_e32 v3, v43
	v_lshlrev_b32_e32 v43, 24, v0
	v_ashrrev_i32_e32 v3, 31, v3
	v_not_b32_e32 v0, v43
	v_and_b32_e32 v1, v1, v25
	v_xor_b32_e32 v25, vcc_hi, v3
	v_xor_b32_e32 v3, vcc_lo, v3
	v_cmp_gt_i64_e32 vcc, 0, v[42:43]
	v_ashrrev_i32_e32 v0, 31, v0
	v_and_b32_e32 v2, v2, v3
	v_xor_b32_e32 v3, vcc_hi, v0
	v_xor_b32_e32 v0, vcc_lo, v0
	v_and_b32_e32 v1, v1, v25
	v_and_b32_e32 v0, v2, v0
	;; [unrolled: 1-line block ×3, first 2 shown]
	v_mbcnt_lo_u32_b32 v2, v0, 0
	v_mbcnt_hi_u32_b32 v25, v1, v2
	v_cmp_eq_u32_e32 vcc, 0, v25
	v_cmp_ne_u64_e64 s[42:43], 0, v[0:1]
	s_and_b64 s[54:55], s[42:43], vcc
	; wave barrier
	s_and_saveexec_b64 s[42:43], s[54:55]
	s_cbranch_execz .LBB142_81
; %bb.80:                               ;   in Loop: Header=BB142_67 Depth=1
	v_bcnt_u32_b32 v0, v0, 0
	v_bcnt_u32_b32 v0, v1, v0
	s_waitcnt lgkmcnt(0)
	v_add_u32_e32 v0, v23, v0
	ds_write_b32 v24, v0
.LBB142_81:                             ;   in Loop: Header=BB142_67 Depth=1
	s_or_b64 exec, exec, s[42:43]
	v_lshrrev_b64 v[0:1], s44, v[46:47]
	v_and_b32_e32 v0, s53, v0
	v_lshlrev_b32_e32 v1, 1, v0
	v_add_lshl_u32 v1, v1, v73, 2
	; wave barrier
	v_add_u32_e32 v27, 8, v1
	ds_read_b32 v26, v1 offset:8
	v_and_b32_e32 v1, 1, v0
	v_add_co_u32_e32 v2, vcc, -1, v1
	v_addc_co_u32_e64 v3, s[42:43], 0, -1, vcc
	v_cmp_ne_u32_e32 vcc, 0, v1
	v_lshlrev_b32_e32 v43, 30, v0
	v_xor_b32_e32 v1, vcc_hi, v3
	v_not_b32_e32 v3, v43
	v_xor_b32_e32 v2, vcc_lo, v2
	v_cmp_gt_i64_e32 vcc, 0, v[42:43]
	v_ashrrev_i32_e32 v3, 31, v3
	v_and_b32_e32 v2, exec_lo, v2
	v_xor_b32_e32 v28, vcc_hi, v3
	v_xor_b32_e32 v3, vcc_lo, v3
	v_lshlrev_b32_e32 v43, 29, v0
	v_and_b32_e32 v2, v2, v3
	v_not_b32_e32 v3, v43
	v_and_b32_e32 v1, exec_hi, v1
	v_cmp_gt_i64_e32 vcc, 0, v[42:43]
	v_ashrrev_i32_e32 v3, 31, v3
	v_and_b32_e32 v1, v1, v28
	v_xor_b32_e32 v28, vcc_hi, v3
	v_xor_b32_e32 v3, vcc_lo, v3
	v_lshlrev_b32_e32 v43, 28, v0
	v_and_b32_e32 v2, v2, v3
	v_not_b32_e32 v3, v43
	v_cmp_gt_i64_e32 vcc, 0, v[42:43]
	v_ashrrev_i32_e32 v3, 31, v3
	v_and_b32_e32 v1, v1, v28
	v_xor_b32_e32 v28, vcc_hi, v3
	v_xor_b32_e32 v3, vcc_lo, v3
	v_lshlrev_b32_e32 v43, 27, v0
	v_and_b32_e32 v2, v2, v3
	v_not_b32_e32 v3, v43
	;; [unrolled: 8-line block ×3, first 2 shown]
	v_cmp_gt_i64_e32 vcc, 0, v[42:43]
	v_ashrrev_i32_e32 v3, 31, v3
	v_and_b32_e32 v1, v1, v28
	v_xor_b32_e32 v28, vcc_hi, v3
	v_xor_b32_e32 v3, vcc_lo, v3
	v_lshlrev_b32_e32 v43, 25, v0
	v_and_b32_e32 v2, v2, v3
	v_cmp_gt_i64_e32 vcc, 0, v[42:43]
	v_not_b32_e32 v3, v43
	v_lshlrev_b32_e32 v43, 24, v0
	v_ashrrev_i32_e32 v3, 31, v3
	v_not_b32_e32 v0, v43
	v_and_b32_e32 v1, v1, v28
	v_xor_b32_e32 v28, vcc_hi, v3
	v_xor_b32_e32 v3, vcc_lo, v3
	v_cmp_gt_i64_e32 vcc, 0, v[42:43]
	v_ashrrev_i32_e32 v0, 31, v0
	v_and_b32_e32 v2, v2, v3
	v_xor_b32_e32 v3, vcc_hi, v0
	v_xor_b32_e32 v0, vcc_lo, v0
	v_and_b32_e32 v1, v1, v28
	v_and_b32_e32 v0, v2, v0
	;; [unrolled: 1-line block ×3, first 2 shown]
	v_mbcnt_lo_u32_b32 v2, v0, 0
	v_mbcnt_hi_u32_b32 v28, v1, v2
	v_cmp_eq_u32_e32 vcc, 0, v28
	v_cmp_ne_u64_e64 s[42:43], 0, v[0:1]
	s_and_b64 s[54:55], s[42:43], vcc
	; wave barrier
	s_and_saveexec_b64 s[42:43], s[54:55]
	s_cbranch_execz .LBB142_83
; %bb.82:                               ;   in Loop: Header=BB142_67 Depth=1
	v_bcnt_u32_b32 v0, v0, 0
	v_bcnt_u32_b32 v0, v1, v0
	s_waitcnt lgkmcnt(0)
	v_add_u32_e32 v0, v26, v0
	ds_write_b32 v27, v0
.LBB142_83:                             ;   in Loop: Header=BB142_67 Depth=1
	s_or_b64 exec, exec, s[42:43]
	; wave barrier
	s_waitcnt lgkmcnt(0)
	s_barrier
	ds_read2_b32 v[2:3], v112 offset0:2 offset1:3
	ds_read2_b32 v[0:1], v72 offset0:2 offset1:3
	s_waitcnt lgkmcnt(1)
	v_add_u32_e32 v29, v3, v2
	s_waitcnt lgkmcnt(0)
	v_add3_u32 v1, v29, v0, v1
	s_nop 1
	v_mov_b32_dpp v29, v1 row_shr:1 row_mask:0xf bank_mask:0xf
	v_cndmask_b32_e64 v29, v29, 0, s[16:17]
	v_add_u32_e32 v1, v29, v1
	s_nop 1
	v_mov_b32_dpp v29, v1 row_shr:2 row_mask:0xf bank_mask:0xf
	v_cndmask_b32_e64 v29, 0, v29, s[18:19]
	v_add_u32_e32 v1, v1, v29
	;; [unrolled: 4-line block ×4, first 2 shown]
	s_nop 1
	v_mov_b32_dpp v29, v1 row_bcast:15 row_mask:0xf bank_mask:0xf
	v_cndmask_b32_e64 v29, v29, 0, s[24:25]
	v_add_u32_e32 v1, v1, v29
	s_nop 1
	v_mov_b32_dpp v29, v1 row_bcast:31 row_mask:0xf bank_mask:0xf
	v_cndmask_b32_e64 v29, 0, v29, s[26:27]
	v_add_u32_e32 v1, v1, v29
	s_and_saveexec_b64 s[42:43], s[28:29]
	s_cbranch_execz .LBB142_85
; %bb.84:                               ;   in Loop: Header=BB142_67 Depth=1
	ds_write_b32 v70, v1
.LBB142_85:                             ;   in Loop: Header=BB142_67 Depth=1
	s_or_b64 exec, exec, s[42:43]
	s_waitcnt lgkmcnt(0)
	s_barrier
	s_and_saveexec_b64 s[42:43], s[30:31]
	s_cbranch_execz .LBB142_87
; %bb.86:                               ;   in Loop: Header=BB142_67 Depth=1
	ds_read_b32 v29, v69
	s_waitcnt lgkmcnt(0)
	s_nop 0
	v_mov_b32_dpp v30, v29 row_shr:1 row_mask:0xf bank_mask:0xf
	v_cndmask_b32_e64 v30, v30, 0, s[40:41]
	v_add_u32_e32 v29, v30, v29
	ds_write_b32 v69, v29
.LBB142_87:                             ;   in Loop: Header=BB142_67 Depth=1
	s_or_b64 exec, exec, s[42:43]
	v_mov_b32_e32 v29, 0
	s_waitcnt lgkmcnt(0)
	s_barrier
	s_and_saveexec_b64 s[42:43], s[34:35]
	s_cbranch_execz .LBB142_89
; %bb.88:                               ;   in Loop: Header=BB142_67 Depth=1
	ds_read_b32 v29, v75
.LBB142_89:                             ;   in Loop: Header=BB142_67 Depth=1
	s_or_b64 exec, exec, s[42:43]
	s_waitcnt lgkmcnt(0)
	v_add_u32_e32 v1, v29, v1
	ds_bpermute_b32 v1, v74, v1
	s_cmp_gt_u32 s44, 55
	s_waitcnt lgkmcnt(0)
	v_cndmask_b32_e64 v1, v1, v29, s[36:37]
	v_cndmask_b32_e64 v1, v1, 0, s[38:39]
	v_add_u32_e32 v2, v1, v2
	v_add_u32_e32 v3, v2, v3
	;; [unrolled: 1-line block ×3, first 2 shown]
	ds_write2_b32 v112, v1, v2 offset0:2 offset1:3
	ds_write2_b32 v72, v3, v0 offset0:2 offset1:3
	s_waitcnt lgkmcnt(0)
	s_barrier
	ds_read_b32 v0, v4
	ds_read_b32 v1, v7
	;; [unrolled: 1-line block ×8, first 2 shown]
	s_waitcnt lgkmcnt(7)
	v_add_u32_e32 v83, v0, v5
	s_waitcnt lgkmcnt(6)
	v_add3_u32 v82, v8, v6, v1
	s_waitcnt lgkmcnt(5)
	v_add3_u32 v81, v11, v9, v2
	;; [unrolled: 2-line block ×7, first 2 shown]
	s_cbranch_scc0 .LBB142_66
; %bb.90:
                                        ; implicit-def: $vgpr32_vgpr33
                                        ; implicit-def: $vgpr28_vgpr29
                                        ; implicit-def: $vgpr24_vgpr25
                                        ; implicit-def: $vgpr20_vgpr21
                                        ; implicit-def: $vgpr14_vgpr15
                                        ; implicit-def: $vgpr10_vgpr11
                                        ; implicit-def: $vgpr6_vgpr7
                                        ; implicit-def: $vgpr2_vgpr3
                                        ; implicit-def: $sgpr44_sgpr45
                                        ; implicit-def: $sgpr51
.LBB142_91:
	v_lshlrev_b32_e32 v18, 3, v83
	v_lshlrev_b32_e32 v19, 3, v82
	;; [unrolled: 1-line block ×9, first 2 shown]
	s_barrier
	ds_write_b64 v18, v[64:65]
	ds_write_b64 v19, v[62:63]
	;; [unrolled: 1-line block ×8, first 2 shown]
	s_waitcnt lgkmcnt(0)
	s_barrier
	ds_read2_b64 v[0:3], v26 offset1:1
	ds_read2_b64 v[4:7], v26 offset0:2 offset1:3
	ds_read2_b64 v[8:11], v26 offset0:4 offset1:5
	;; [unrolled: 1-line block ×3, first 2 shown]
	s_waitcnt lgkmcnt(0)
	s_barrier
	ds_write_b64 v18, v[50:51]
	ds_write_b64 v19, v[48:49]
	;; [unrolled: 1-line block ×8, first 2 shown]
	s_waitcnt lgkmcnt(0)
	s_barrier
	ds_read2_b64 v[34:37], v26 offset1:1
	ds_read2_b64 v[38:41], v26 offset0:2 offset1:3
	ds_read2_b64 v[42:45], v26 offset0:4 offset1:5
	;; [unrolled: 1-line block ×3, first 2 shown]
	v_xor_b32_e32 v51, 0x7fffffff, v1
	v_xor_b32_e32 v50, -1, v0
	v_xor_b32_e32 v53, 0x7fffffff, v3
	v_xor_b32_e32 v52, -1, v2
	;; [unrolled: 2-line block ×8, first 2 shown]
.LBB142_92:
	s_waitcnt lgkmcnt(0)
	s_barrier
	ds_write2_b64 v111, v[50:51], v[52:53] offset1:1
	ds_write2_b64 v111, v[54:55], v[56:57] offset0:2 offset1:3
	ds_write2_b64 v111, v[58:59], v[60:61] offset0:4 offset1:5
	;; [unrolled: 1-line block ×3, first 2 shown]
	s_waitcnt lgkmcnt(0)
	s_barrier
	ds_read_b64 v[14:15], v104 offset:1024
	ds_read_b64 v[12:13], v105 offset:2048
	;; [unrolled: 1-line block ×7, first 2 shown]
	v_mov_b32_e32 v67, 0
	v_lshlrev_b64 v[2:3], 3, v[66:67]
	v_mov_b32_e32 v16, s47
	v_add_co_u32_e32 v2, vcc, s33, v2
	v_addc_co_u32_e32 v3, vcc, v16, v3, vcc
	s_and_saveexec_b64 s[16:17], s[0:1]
	s_cbranch_execnz .LBB142_111
; %bb.93:
	s_or_b64 exec, exec, s[16:17]
	s_and_saveexec_b64 s[16:17], s[2:3]
	s_cbranch_execnz .LBB142_112
.LBB142_94:
	s_or_b64 exec, exec, s[16:17]
	s_and_saveexec_b64 s[16:17], s[4:5]
	s_cbranch_execnz .LBB142_113
.LBB142_95:
	s_or_b64 exec, exec, s[16:17]
	s_and_saveexec_b64 s[16:17], s[6:7]
	s_cbranch_execnz .LBB142_114
.LBB142_96:
	s_or_b64 exec, exec, s[16:17]
	s_and_saveexec_b64 s[16:17], s[8:9]
	s_cbranch_execnz .LBB142_115
.LBB142_97:
	s_or_b64 exec, exec, s[16:17]
	s_and_saveexec_b64 s[16:17], s[10:11]
	s_cbranch_execnz .LBB142_116
.LBB142_98:
	s_or_b64 exec, exec, s[16:17]
	s_and_saveexec_b64 s[16:17], s[12:13]
	s_cbranch_execnz .LBB142_117
.LBB142_99:
	s_or_b64 exec, exec, s[16:17]
	s_and_saveexec_b64 s[16:17], s[14:15]
	s_cbranch_execz .LBB142_101
.LBB142_100:
	s_mul_i32 s18, s46, 0x380
	s_mov_b32 s19, 0
	s_lshl_b64 s[18:19], s[18:19], 3
	s_waitcnt lgkmcnt(1)
	v_mov_b32_e32 v4, s19
	v_add_co_u32_e32 v2, vcc, s18, v2
	v_addc_co_u32_e32 v3, vcc, v3, v4, vcc
	s_waitcnt lgkmcnt(0)
	global_store_dwordx2 v[2:3], v[0:1], off
.LBB142_101:
	s_or_b64 exec, exec, s[16:17]
	s_waitcnt lgkmcnt(0)
	s_barrier
	ds_write2_b64 v111, v[34:35], v[36:37] offset1:1
	ds_write2_b64 v111, v[38:39], v[40:41] offset0:2 offset1:3
	ds_write2_b64 v111, v[42:43], v[44:45] offset0:4 offset1:5
	ds_write2_b64 v111, v[46:47], v[48:49] offset0:6 offset1:7
	s_waitcnt lgkmcnt(0)
	s_barrier
	ds_read_b64 v[14:15], v104 offset:1024
	ds_read_b64 v[12:13], v105 offset:2048
	;; [unrolled: 1-line block ×7, first 2 shown]
	v_mov_b32_e32 v69, 0
	v_lshlrev_b64 v[2:3], 3, v[68:69]
	v_mov_b32_e32 v16, s52
	v_add_co_u32_e32 v2, vcc, s49, v2
	v_addc_co_u32_e32 v3, vcc, v16, v3, vcc
	s_and_saveexec_b64 s[16:17], s[0:1]
	s_cbranch_execnz .LBB142_118
; %bb.102:
	s_or_b64 exec, exec, s[16:17]
	s_and_saveexec_b64 s[0:1], s[2:3]
	s_cbranch_execnz .LBB142_119
.LBB142_103:
	s_or_b64 exec, exec, s[0:1]
	s_and_saveexec_b64 s[0:1], s[4:5]
	s_cbranch_execnz .LBB142_120
.LBB142_104:
	s_or_b64 exec, exec, s[0:1]
	s_and_saveexec_b64 s[0:1], s[6:7]
	s_cbranch_execnz .LBB142_121
.LBB142_105:
	s_or_b64 exec, exec, s[0:1]
	s_and_saveexec_b64 s[0:1], s[8:9]
	s_cbranch_execnz .LBB142_122
.LBB142_106:
	s_or_b64 exec, exec, s[0:1]
	s_and_saveexec_b64 s[0:1], s[10:11]
	s_cbranch_execnz .LBB142_123
.LBB142_107:
	s_or_b64 exec, exec, s[0:1]
	s_and_saveexec_b64 s[0:1], s[12:13]
	s_cbranch_execnz .LBB142_124
.LBB142_108:
	s_or_b64 exec, exec, s[0:1]
	s_and_saveexec_b64 s[0:1], s[14:15]
	s_cbranch_execz .LBB142_110
.LBB142_109:
	s_mul_i32 s0, s48, 0x380
	s_mov_b32 s1, 0
	s_lshl_b64 s[0:1], s[0:1], 3
	s_waitcnt lgkmcnt(1)
	v_mov_b32_e32 v4, s1
	v_add_co_u32_e32 v2, vcc, s0, v2
	v_addc_co_u32_e32 v3, vcc, v3, v4, vcc
	s_waitcnt lgkmcnt(0)
	global_store_dwordx2 v[2:3], v[0:1], off
.LBB142_110:
	s_endpgm
.LBB142_111:
	ds_read_b64 v[16:17], v71
	s_waitcnt lgkmcnt(0)
	global_store_dwordx2 v[2:3], v[16:17], off
	s_or_b64 exec, exec, s[16:17]
	s_and_saveexec_b64 s[16:17], s[2:3]
	s_cbranch_execz .LBB142_94
.LBB142_112:
	s_lshl_b32 s18, s46, 7
	s_mov_b32 s19, 0
	s_lshl_b64 s[18:19], s[18:19], 3
	v_mov_b32_e32 v17, s19
	v_add_co_u32_e32 v16, vcc, s18, v2
	v_addc_co_u32_e32 v17, vcc, v3, v17, vcc
	s_waitcnt lgkmcnt(6)
	global_store_dwordx2 v[16:17], v[14:15], off
	s_or_b64 exec, exec, s[16:17]
	s_and_saveexec_b64 s[16:17], s[4:5]
	s_cbranch_execz .LBB142_95
.LBB142_113:
	s_lshl_b32 s18, s46, 8
	s_mov_b32 s19, 0
	s_lshl_b64 s[18:19], s[18:19], 3
	s_waitcnt lgkmcnt(6)
	v_mov_b32_e32 v15, s19
	v_add_co_u32_e32 v14, vcc, s18, v2
	v_addc_co_u32_e32 v15, vcc, v3, v15, vcc
	s_waitcnt lgkmcnt(5)
	global_store_dwordx2 v[14:15], v[12:13], off
	s_or_b64 exec, exec, s[16:17]
	s_and_saveexec_b64 s[16:17], s[6:7]
	s_cbranch_execz .LBB142_96
.LBB142_114:
	s_mul_i32 s18, s46, 0x180
	s_mov_b32 s19, 0
	s_lshl_b64 s[18:19], s[18:19], 3
	s_waitcnt lgkmcnt(5)
	v_mov_b32_e32 v13, s19
	v_add_co_u32_e32 v12, vcc, s18, v2
	v_addc_co_u32_e32 v13, vcc, v3, v13, vcc
	s_waitcnt lgkmcnt(4)
	global_store_dwordx2 v[12:13], v[10:11], off
	s_or_b64 exec, exec, s[16:17]
	s_and_saveexec_b64 s[16:17], s[8:9]
	s_cbranch_execz .LBB142_97
.LBB142_115:
	s_lshl_b32 s18, s46, 9
	s_mov_b32 s19, 0
	s_lshl_b64 s[18:19], s[18:19], 3
	s_waitcnt lgkmcnt(4)
	v_mov_b32_e32 v11, s19
	v_add_co_u32_e32 v10, vcc, s18, v2
	v_addc_co_u32_e32 v11, vcc, v3, v11, vcc
	s_waitcnt lgkmcnt(3)
	global_store_dwordx2 v[10:11], v[8:9], off
	s_or_b64 exec, exec, s[16:17]
	s_and_saveexec_b64 s[16:17], s[10:11]
	s_cbranch_execz .LBB142_98
.LBB142_116:
	s_mul_i32 s18, s46, 0x280
	s_mov_b32 s19, 0
	s_lshl_b64 s[18:19], s[18:19], 3
	s_waitcnt lgkmcnt(3)
	v_mov_b32_e32 v9, s19
	v_add_co_u32_e32 v8, vcc, s18, v2
	v_addc_co_u32_e32 v9, vcc, v3, v9, vcc
	s_waitcnt lgkmcnt(2)
	global_store_dwordx2 v[8:9], v[6:7], off
	s_or_b64 exec, exec, s[16:17]
	s_and_saveexec_b64 s[16:17], s[12:13]
	s_cbranch_execz .LBB142_99
.LBB142_117:
	s_mul_i32 s18, s46, 0x300
	s_mov_b32 s19, 0
	s_lshl_b64 s[18:19], s[18:19], 3
	s_waitcnt lgkmcnt(2)
	v_mov_b32_e32 v7, s19
	v_add_co_u32_e32 v6, vcc, s18, v2
	v_addc_co_u32_e32 v7, vcc, v3, v7, vcc
	s_waitcnt lgkmcnt(1)
	global_store_dwordx2 v[6:7], v[4:5], off
	s_or_b64 exec, exec, s[16:17]
	s_and_saveexec_b64 s[16:17], s[14:15]
	s_cbranch_execnz .LBB142_100
	s_branch .LBB142_101
.LBB142_118:
	ds_read_b64 v[16:17], v71
	s_waitcnt lgkmcnt(0)
	global_store_dwordx2 v[2:3], v[16:17], off
	s_or_b64 exec, exec, s[16:17]
	s_and_saveexec_b64 s[0:1], s[2:3]
	s_cbranch_execz .LBB142_103
.LBB142_119:
	s_lshl_b32 s2, s48, 7
	s_mov_b32 s3, 0
	s_lshl_b64 s[2:3], s[2:3], 3
	v_mov_b32_e32 v17, s3
	v_add_co_u32_e32 v16, vcc, s2, v2
	v_addc_co_u32_e32 v17, vcc, v3, v17, vcc
	s_waitcnt lgkmcnt(6)
	global_store_dwordx2 v[16:17], v[14:15], off
	s_or_b64 exec, exec, s[0:1]
	s_and_saveexec_b64 s[0:1], s[4:5]
	s_cbranch_execz .LBB142_104
.LBB142_120:
	s_lshl_b32 s2, s48, 8
	s_mov_b32 s3, 0
	s_lshl_b64 s[2:3], s[2:3], 3
	s_waitcnt lgkmcnt(6)
	v_mov_b32_e32 v15, s3
	v_add_co_u32_e32 v14, vcc, s2, v2
	v_addc_co_u32_e32 v15, vcc, v3, v15, vcc
	s_waitcnt lgkmcnt(5)
	global_store_dwordx2 v[14:15], v[12:13], off
	s_or_b64 exec, exec, s[0:1]
	s_and_saveexec_b64 s[0:1], s[6:7]
	s_cbranch_execz .LBB142_105
.LBB142_121:
	s_mul_i32 s2, s48, 0x180
	s_mov_b32 s3, 0
	s_lshl_b64 s[2:3], s[2:3], 3
	s_waitcnt lgkmcnt(5)
	v_mov_b32_e32 v13, s3
	v_add_co_u32_e32 v12, vcc, s2, v2
	v_addc_co_u32_e32 v13, vcc, v3, v13, vcc
	s_waitcnt lgkmcnt(4)
	global_store_dwordx2 v[12:13], v[10:11], off
	s_or_b64 exec, exec, s[0:1]
	s_and_saveexec_b64 s[0:1], s[8:9]
	s_cbranch_execz .LBB142_106
.LBB142_122:
	s_lshl_b32 s2, s48, 9
	s_mov_b32 s3, 0
	s_lshl_b64 s[2:3], s[2:3], 3
	s_waitcnt lgkmcnt(4)
	v_mov_b32_e32 v11, s3
	v_add_co_u32_e32 v10, vcc, s2, v2
	v_addc_co_u32_e32 v11, vcc, v3, v11, vcc
	s_waitcnt lgkmcnt(3)
	global_store_dwordx2 v[10:11], v[8:9], off
	s_or_b64 exec, exec, s[0:1]
	s_and_saveexec_b64 s[0:1], s[10:11]
	s_cbranch_execz .LBB142_107
.LBB142_123:
	s_mul_i32 s2, s48, 0x280
	s_mov_b32 s3, 0
	s_lshl_b64 s[2:3], s[2:3], 3
	s_waitcnt lgkmcnt(3)
	v_mov_b32_e32 v9, s3
	v_add_co_u32_e32 v8, vcc, s2, v2
	v_addc_co_u32_e32 v9, vcc, v3, v9, vcc
	s_waitcnt lgkmcnt(2)
	global_store_dwordx2 v[8:9], v[6:7], off
	s_or_b64 exec, exec, s[0:1]
	s_and_saveexec_b64 s[0:1], s[12:13]
	s_cbranch_execz .LBB142_108
.LBB142_124:
	s_mul_i32 s2, s48, 0x300
	s_mov_b32 s3, 0
	s_lshl_b64 s[2:3], s[2:3], 3
	s_waitcnt lgkmcnt(2)
	v_mov_b32_e32 v7, s3
	v_add_co_u32_e32 v6, vcc, s2, v2
	v_addc_co_u32_e32 v7, vcc, v3, v7, vcc
	s_waitcnt lgkmcnt(1)
	global_store_dwordx2 v[6:7], v[4:5], off
	s_or_b64 exec, exec, s[0:1]
	s_and_saveexec_b64 s[0:1], s[14:15]
	s_cbranch_execnz .LBB142_109
	s_branch .LBB142_110
	.section	.rodata,"a",@progbits
	.p2align	6, 0x0
	.amdhsa_kernel _ZN2at6native18radixSortKVInPlaceILin2ELin1ELi128ELi8ElljEEvNS_4cuda6detail10TensorInfoIT3_T5_EES6_S6_S6_NS4_IT4_S6_EES6_b
		.amdhsa_group_segment_fixed_size 8448
		.amdhsa_private_segment_fixed_size 0
		.amdhsa_kernarg_size 712
		.amdhsa_user_sgpr_count 6
		.amdhsa_user_sgpr_private_segment_buffer 1
		.amdhsa_user_sgpr_dispatch_ptr 0
		.amdhsa_user_sgpr_queue_ptr 0
		.amdhsa_user_sgpr_kernarg_segment_ptr 1
		.amdhsa_user_sgpr_dispatch_id 0
		.amdhsa_user_sgpr_flat_scratch_init 0
		.amdhsa_user_sgpr_kernarg_preload_length 0
		.amdhsa_user_sgpr_kernarg_preload_offset 0
		.amdhsa_user_sgpr_private_segment_size 0
		.amdhsa_uses_dynamic_stack 0
		.amdhsa_system_sgpr_private_segment_wavefront_offset 0
		.amdhsa_system_sgpr_workgroup_id_x 1
		.amdhsa_system_sgpr_workgroup_id_y 1
		.amdhsa_system_sgpr_workgroup_id_z 1
		.amdhsa_system_sgpr_workgroup_info 0
		.amdhsa_system_vgpr_workitem_id 2
		.amdhsa_next_free_vgpr 139
		.amdhsa_next_free_sgpr 58
		.amdhsa_accum_offset 140
		.amdhsa_reserve_vcc 1
		.amdhsa_reserve_flat_scratch 0
		.amdhsa_float_round_mode_32 0
		.amdhsa_float_round_mode_16_64 0
		.amdhsa_float_denorm_mode_32 3
		.amdhsa_float_denorm_mode_16_64 3
		.amdhsa_dx10_clamp 1
		.amdhsa_ieee_mode 1
		.amdhsa_fp16_overflow 0
		.amdhsa_tg_split 0
		.amdhsa_exception_fp_ieee_invalid_op 0
		.amdhsa_exception_fp_denorm_src 0
		.amdhsa_exception_fp_ieee_div_zero 0
		.amdhsa_exception_fp_ieee_overflow 0
		.amdhsa_exception_fp_ieee_underflow 0
		.amdhsa_exception_fp_ieee_inexact 0
		.amdhsa_exception_int_div_zero 0
	.end_amdhsa_kernel
	.section	.text._ZN2at6native18radixSortKVInPlaceILin2ELin1ELi128ELi8ElljEEvNS_4cuda6detail10TensorInfoIT3_T5_EES6_S6_S6_NS4_IT4_S6_EES6_b,"axG",@progbits,_ZN2at6native18radixSortKVInPlaceILin2ELin1ELi128ELi8ElljEEvNS_4cuda6detail10TensorInfoIT3_T5_EES6_S6_S6_NS4_IT4_S6_EES6_b,comdat
.Lfunc_end142:
	.size	_ZN2at6native18radixSortKVInPlaceILin2ELin1ELi128ELi8ElljEEvNS_4cuda6detail10TensorInfoIT3_T5_EES6_S6_S6_NS4_IT4_S6_EES6_b, .Lfunc_end142-_ZN2at6native18radixSortKVInPlaceILin2ELin1ELi128ELi8ElljEEvNS_4cuda6detail10TensorInfoIT3_T5_EES6_S6_S6_NS4_IT4_S6_EES6_b
                                        ; -- End function
	.section	.AMDGPU.csdata,"",@progbits
; Kernel info:
; codeLenInByte = 12996
; NumSgprs: 62
; NumVgprs: 139
; NumAgprs: 0
; TotalNumVgprs: 139
; ScratchSize: 0
; MemoryBound: 0
; FloatMode: 240
; IeeeMode: 1
; LDSByteSize: 8448 bytes/workgroup (compile time only)
; SGPRBlocks: 7
; VGPRBlocks: 17
; NumSGPRsForWavesPerEU: 62
; NumVGPRsForWavesPerEU: 139
; AccumOffset: 140
; Occupancy: 3
; WaveLimiterHint : 1
; COMPUTE_PGM_RSRC2:SCRATCH_EN: 0
; COMPUTE_PGM_RSRC2:USER_SGPR: 6
; COMPUTE_PGM_RSRC2:TRAP_HANDLER: 0
; COMPUTE_PGM_RSRC2:TGID_X_EN: 1
; COMPUTE_PGM_RSRC2:TGID_Y_EN: 1
; COMPUTE_PGM_RSRC2:TGID_Z_EN: 1
; COMPUTE_PGM_RSRC2:TIDIG_COMP_CNT: 2
; COMPUTE_PGM_RSRC3_GFX90A:ACCUM_OFFSET: 34
; COMPUTE_PGM_RSRC3_GFX90A:TG_SPLIT: 0
	.section	.text._ZN2at6native18radixSortKVInPlaceILin2ELin1ELi32ELi4ElljEEvNS_4cuda6detail10TensorInfoIT3_T5_EES6_S6_S6_NS4_IT4_S6_EES6_b,"axG",@progbits,_ZN2at6native18radixSortKVInPlaceILin2ELin1ELi32ELi4ElljEEvNS_4cuda6detail10TensorInfoIT3_T5_EES6_S6_S6_NS4_IT4_S6_EES6_b,comdat
	.protected	_ZN2at6native18radixSortKVInPlaceILin2ELin1ELi32ELi4ElljEEvNS_4cuda6detail10TensorInfoIT3_T5_EES6_S6_S6_NS4_IT4_S6_EES6_b ; -- Begin function _ZN2at6native18radixSortKVInPlaceILin2ELin1ELi32ELi4ElljEEvNS_4cuda6detail10TensorInfoIT3_T5_EES6_S6_S6_NS4_IT4_S6_EES6_b
	.globl	_ZN2at6native18radixSortKVInPlaceILin2ELin1ELi32ELi4ElljEEvNS_4cuda6detail10TensorInfoIT3_T5_EES6_S6_S6_NS4_IT4_S6_EES6_b
	.p2align	8
	.type	_ZN2at6native18radixSortKVInPlaceILin2ELin1ELi32ELi4ElljEEvNS_4cuda6detail10TensorInfoIT3_T5_EES6_S6_S6_NS4_IT4_S6_EES6_b,@function
_ZN2at6native18radixSortKVInPlaceILin2ELin1ELi32ELi4ElljEEvNS_4cuda6detail10TensorInfoIT3_T5_EES6_S6_S6_NS4_IT4_S6_EES6_b: ; @_ZN2at6native18radixSortKVInPlaceILin2ELin1ELi32ELi4ElljEEvNS_4cuda6detail10TensorInfoIT3_T5_EES6_S6_S6_NS4_IT4_S6_EES6_b
; %bb.0:
	s_load_dwordx2 s[0:1], s[4:5], 0x1c8
	s_load_dwordx4 s[24:27], s[4:5], 0xd8
	s_waitcnt lgkmcnt(0)
	s_mul_i32 s1, s1, s8
	s_add_i32 s1, s1, s7
	s_mul_i32 s0, s1, s0
	s_add_i32 s6, s0, s6
	s_cmp_ge_u32 s6, s24
	s_cbranch_scc1 .LBB143_60
; %bb.1:
	s_load_dword s2, s[4:5], 0x1b8
	s_load_dwordx2 s[0:1], s[4:5], 0x0
	s_add_u32 s14, s4, 0xe8
	s_addc_u32 s15, s5, 0
	s_mov_b32 s13, 0
	s_waitcnt lgkmcnt(0)
	s_cmp_lt_i32 s2, 2
	s_mov_b32 s12, s6
	s_cbranch_scc1 .LBB143_4
; %bb.2:
	s_add_i32 s12, s2, -1
	s_add_i32 s7, s2, 1
	s_lshl_b64 s[2:3], s[12:13], 2
	s_add_u32 s2, s2, s14
	s_addc_u32 s3, s3, s15
	s_add_u32 s2, s2, 8
	s_addc_u32 s3, s3, 0
	s_mov_b32 s12, s6
.LBB143_3:                              ; =>This Inner Loop Header: Depth=1
	s_load_dword s8, s[2:3], 0x0
	s_load_dword s10, s[2:3], 0x64
	s_mov_b32 s9, s12
	s_waitcnt lgkmcnt(0)
	v_cvt_f32_u32_e32 v1, s8
	s_sub_i32 s11, 0, s8
	v_rcp_iflag_f32_e32 v1, v1
	v_mul_f32_e32 v1, 0x4f7ffffe, v1
	v_cvt_u32_f32_e32 v1, v1
	v_readfirstlane_b32 s12, v1
	s_mul_i32 s11, s11, s12
	s_mul_hi_u32 s11, s12, s11
	s_add_i32 s12, s12, s11
	s_mul_hi_u32 s11, s9, s12
	s_mul_i32 s12, s11, s8
	s_sub_i32 s12, s9, s12
	s_add_i32 s16, s11, 1
	s_sub_i32 s17, s12, s8
	s_cmp_ge_u32 s12, s8
	s_cselect_b32 s11, s16, s11
	s_cselect_b32 s12, s17, s12
	s_add_i32 s16, s11, 1
	s_cmp_ge_u32 s12, s8
	s_cselect_b32 s12, s16, s11
	s_mul_i32 s8, s12, s8
	s_sub_i32 s8, s9, s8
	s_mul_i32 s8, s10, s8
	s_add_i32 s7, s7, -1
	s_add_i32 s13, s8, s13
	s_add_u32 s2, s2, -4
	s_addc_u32 s3, s3, -1
	s_cmp_gt_u32 s7, 2
	s_cbranch_scc1 .LBB143_3
.LBB143_4:
	s_load_dword s2, s[4:5], 0x6c
	s_load_dwordx2 s[28:29], s[4:5], 0x1c0
	s_mov_b32 s3, 0
	v_mul_lo_u32 v34, v0, s26
	s_waitcnt lgkmcnt(0)
	s_mul_i32 s2, s2, s6
	s_bitcmp1_b32 s29, 0
	s_cselect_b64 s[16:17], -1, 0
	s_brev_b32 s6, 1
	s_and_b64 s[4:5], s[16:17], exec
	s_cselect_b32 s4, 0, -1
	s_cselect_b32 s5, s6, 0x7fffffff
	s_lshl_b64 s[2:3], s[2:3], 3
	s_add_u32 s27, s0, s2
	s_mov_b32 s6, s4
	s_mov_b32 s7, s5
	;; [unrolled: 1-line block ×6, first 2 shown]
	v_pk_mov_b32 v[2:3], s[4:5], s[4:5] op_sel:[0,1]
	s_addc_u32 s29, s1, s3
	v_cmp_gt_u32_e64 s[0:1], s25, v0
	v_pk_mov_b32 v[4:5], s[6:7], s[6:7] op_sel:[0,1]
	v_pk_mov_b32 v[6:7], s[8:9], s[8:9] op_sel:[0,1]
	;; [unrolled: 1-line block ×4, first 2 shown]
	s_and_saveexec_b64 s[2:3], s[0:1]
	s_cbranch_execz .LBB143_6
; %bb.5:
	v_mov_b32_e32 v35, 0
	v_lshlrev_b64 v[2:3], 3, v[34:35]
	v_mov_b32_e32 v1, s29
	v_add_co_u32_e32 v2, vcc, s27, v2
	v_addc_co_u32_e32 v3, vcc, v1, v3, vcc
	global_load_dwordx2 v[10:11], v[2:3], off
	v_pk_mov_b32 v[2:3], s[4:5], s[4:5] op_sel:[0,1]
	v_pk_mov_b32 v[4:5], s[6:7], s[6:7] op_sel:[0,1]
	;; [unrolled: 1-line block ×4, first 2 shown]
.LBB143_6:
	s_or_b64 exec, exec, s[2:3]
	v_or_b32_e32 v1, 32, v0
	v_cmp_gt_u32_e64 s[2:3], s25, v1
	s_and_saveexec_b64 s[4:5], s[2:3]
	s_cbranch_execz .LBB143_8
; %bb.7:
	v_mul_lo_u32 v2, v1, s26
	v_mov_b32_e32 v3, 0
	v_lshlrev_b64 v[2:3], 3, v[2:3]
	v_mov_b32_e32 v4, s29
	v_add_co_u32_e32 v2, vcc, s27, v2
	v_addc_co_u32_e32 v3, vcc, v4, v3, vcc
	global_load_dwordx2 v[4:5], v[2:3], off
.LBB143_8:
	s_or_b64 exec, exec, s[4:5]
	s_load_dwordx2 s[10:11], s[14:15], 0x0
	v_or_b32_e32 v19, 64, v0
	v_cmp_gt_u32_e64 s[4:5], s25, v19
	s_and_saveexec_b64 s[6:7], s[4:5]
	s_cbranch_execz .LBB143_10
; %bb.9:
	v_mul_lo_u32 v2, v19, s26
	v_mov_b32_e32 v3, 0
	v_lshlrev_b64 v[2:3], 3, v[2:3]
	v_mov_b32_e32 v6, s29
	v_add_co_u32_e32 v2, vcc, s27, v2
	v_addc_co_u32_e32 v3, vcc, v6, v3, vcc
	global_load_dwordx2 v[6:7], v[2:3], off
.LBB143_10:
	s_or_b64 exec, exec, s[6:7]
	s_load_dword s14, s[14:15], 0x6c
	v_or_b32_e32 v20, 0x60, v0
	v_cmp_gt_u32_e64 s[6:7], s25, v20
	s_and_saveexec_b64 s[8:9], s[6:7]
	s_cbranch_execz .LBB143_12
; %bb.11:
	v_mul_lo_u32 v2, v20, s26
	v_mov_b32_e32 v3, 0
	v_lshlrev_b64 v[2:3], 3, v[2:3]
	v_mov_b32_e32 v8, s29
	v_add_co_u32_e32 v2, vcc, s27, v2
	v_addc_co_u32_e32 v3, vcc, v8, v3, vcc
	global_load_dwordx2 v[8:9], v[2:3], off
.LBB143_12:
	s_or_b64 exec, exec, s[8:9]
	v_lshrrev_b32_e32 v2, 5, v1
	v_add_lshl_u32 v55, v2, v0, 3
	v_lshrrev_b32_e32 v2, 5, v19
	v_add_lshl_u32 v56, v2, v0, 3
	;; [unrolled: 2-line block ×3, first 2 shown]
	v_lshlrev_b32_e32 v18, 2, v0
	v_lshrrev_b32_e32 v2, 3, v0
	v_or_b32_e32 v2, v2, v18
	s_waitcnt lgkmcnt(0)
	s_mul_i32 s8, s14, s12
	v_lshlrev_b32_e32 v54, 3, v0
	v_lshlrev_b32_e32 v58, 3, v2
	s_add_i32 s8, s8, s13
	s_mov_b32 s9, 0
	s_waitcnt vmcnt(0)
	ds_write_b64 v54, v[10:11]
	ds_write_b64 v55, v[4:5] offset:256
	ds_write_b64 v56, v[6:7] offset:512
	;; [unrolled: 1-line block ×3, first 2 shown]
	s_waitcnt lgkmcnt(0)
	; wave barrier
	s_waitcnt lgkmcnt(0)
	ds_read2_b64 v[14:17], v58 offset1:1
	ds_read2_b64 v[10:13], v58 offset0:2 offset1:3
	s_lshl_b64 s[12:13], s[8:9], 3
	s_add_u32 s33, s10, s12
	s_mov_b32 s8, s9
	s_addc_u32 s38, s11, s13
	s_mov_b32 s10, s9
	s_mov_b32 s11, s9
	;; [unrolled: 1-line block ×6, first 2 shown]
	v_pk_mov_b32 v[2:3], s[8:9], s[8:9] op_sel:[0,1]
	v_pk_mov_b32 v[4:5], s[10:11], s[10:11] op_sel:[0,1]
	;; [unrolled: 1-line block ×4, first 2 shown]
	v_pk_mov_b32 v[2:3], 0, 0
	v_mul_lo_u32 v36, v0, s28
	s_waitcnt lgkmcnt(0)
	; wave barrier
	s_waitcnt lgkmcnt(0)
	s_and_saveexec_b64 s[8:9], s[0:1]
	s_cbranch_execnz .LBB143_32
; %bb.13:
	s_or_b64 exec, exec, s[8:9]
	s_and_saveexec_b64 s[8:9], s[2:3]
	s_cbranch_execnz .LBB143_33
.LBB143_14:
	s_or_b64 exec, exec, s[8:9]
	s_and_saveexec_b64 s[8:9], s[4:5]
	s_cbranch_execnz .LBB143_34
.LBB143_15:
	s_or_b64 exec, exec, s[8:9]
	s_xor_b64 s[24:25], s[16:17], -1
	s_and_saveexec_b64 s[8:9], s[6:7]
	s_cbranch_execz .LBB143_17
.LBB143_16:
	v_mul_lo_u32 v8, v20, s28
	v_mov_b32_e32 v9, 0
	v_lshlrev_b64 v[8:9], 3, v[8:9]
	v_mov_b32_e32 v19, s38
	v_add_co_u32_e32 v8, vcc, s33, v8
	v_addc_co_u32_e32 v9, vcc, v19, v9, vcc
	global_load_dwordx2 v[8:9], v[8:9], off
.LBB143_17:
	s_or_b64 exec, exec, s[8:9]
	v_mbcnt_lo_u32_b32 v19, -1, 0
	v_mbcnt_hi_u32_b32 v19, -1, v19
	s_getpc_b64 s[8:9]
	s_add_u32 s8, s8, _ZN7rocprim17ROCPRIM_400000_NS16block_radix_sortIlLj32ELj4ElLj1ELj1ELj0ELNS0_26block_radix_rank_algorithmE1ELNS0_18block_padding_hintE2ELNS0_4arch9wavefront6targetE1EE19radix_bits_per_passE@rel32@lo+4
	s_addc_u32 s9, s9, _ZN7rocprim17ROCPRIM_400000_NS16block_radix_sortIlLj32ELj4ElLj1ELj1ELj0ELNS0_26block_radix_rank_algorithmE1ELNS0_18block_padding_hintE2ELNS0_4arch9wavefront6targetE1EE19radix_bits_per_passE@rel32@hi+12
	v_and_b32_e32 v20, 15, v19
	s_waitcnt vmcnt(0)
	ds_write_b64 v54, v[2:3]
	ds_write_b64 v55, v[4:5] offset:256
	ds_write_b64 v56, v[6:7] offset:512
	ds_write_b64 v57, v[8:9] offset:768
	s_waitcnt lgkmcnt(0)
	; wave barrier
	s_waitcnt lgkmcnt(0)
	ds_read2_b64 v[2:5], v58 offset1:1
	ds_read2_b64 v[6:9], v58 offset0:2 offset1:3
	s_load_dword s39, s[8:9], 0x0
	v_cmp_eq_u32_e64 s[10:11], 0, v20
	v_cmp_lt_u32_e64 s[12:13], 1, v20
	v_cmp_lt_u32_e64 s[14:15], 3, v20
	;; [unrolled: 1-line block ×3, first 2 shown]
	v_and_b32_e32 v20, 16, v19
	v_cmp_eq_u32_e64 s[18:19], 0, v20
	v_add_u32_e32 v20, -1, v19
	v_and_b32_e32 v21, 0x60, v19
	v_cmp_lt_i32_e32 vcc, v20, v21
	s_movk_i32 s8, 0x100
	v_cndmask_b32_e32 v20, v20, v19, vcc
	v_cmp_gt_u32_e64 s[8:9], s8, v0
	v_lshlrev_b32_e32 v37, 5, v0
	s_mov_b32 s40, 0
	v_cmp_eq_u32_e64 s[20:21], 31, v0
	v_lshlrev_b32_e32 v59, 2, v20
	v_cmp_eq_u32_e64 s[22:23], 0, v19
	v_lshlrev_b32_e32 v35, 3, v18
	s_and_b64 vcc, exec, s[24:25]
	v_add_u32_e64 v60, 7, 2
	s_waitcnt lgkmcnt(0)
	; wave barrier
	s_waitcnt lgkmcnt(0)
	s_cbranch_vccz .LBB143_35
; %bb.18:
	v_xor_b32_e32 v19, 0x80000000, v15
	v_mov_b32_e32 v18, v14
	v_xor_b32_e32 v21, 0x80000000, v17
	v_mov_b32_e32 v20, v16
	;; [unrolled: 2-line block ×4, first 2 shown]
	v_and_b32_e32 v61, 14, v60
	v_mov_b32_e32 v62, 0
	s_movk_i32 s41, 0xe0
	v_pk_mov_b32 v[26:27], v[2:3], v[2:3] op_sel:[0,1]
	v_pk_mov_b32 v[28:29], v[4:5], v[4:5] op_sel:[0,1]
	v_pk_mov_b32 v[30:31], v[6:7], v[6:7] op_sel:[0,1]
	v_pk_mov_b32 v[32:33], v[8:9], v[8:9] op_sel:[0,1]
	s_branch .LBB143_20
.LBB143_19:                             ;   in Loop: Header=BB143_20 Depth=1
	v_lshlrev_b32_e32 v26, 3, v66
	v_lshlrev_b32_e32 v27, 3, v64
	v_lshlrev_b32_e32 v28, 3, v63
	v_lshlrev_b32_e32 v29, 3, v65
	s_waitcnt lgkmcnt(0)
	; wave barrier
	ds_write_b64 v26, v[52:53]
	ds_write_b64 v27, v[50:51]
	;; [unrolled: 1-line block ×4, first 2 shown]
	s_waitcnt lgkmcnt(0)
	; wave barrier
	s_waitcnt lgkmcnt(0)
	ds_read2_b64 v[18:21], v35 offset1:1
	ds_read2_b64 v[22:25], v35 offset0:2 offset1:3
	s_waitcnt lgkmcnt(0)
	; wave barrier
	s_waitcnt lgkmcnt(0)
	ds_write_b64 v26, v[44:45]
	ds_write_b64 v27, v[42:43]
	;; [unrolled: 1-line block ×4, first 2 shown]
	s_waitcnt lgkmcnt(0)
	; wave barrier
	s_waitcnt lgkmcnt(0)
	ds_read2_b64 v[26:29], v35 offset1:1
	ds_read2_b64 v[30:33], v35 offset0:2 offset1:3
	s_add_i32 s40, s40, 4
	s_waitcnt lgkmcnt(0)
	; wave barrier
	s_waitcnt lgkmcnt(0)
	s_cbranch_execz .LBB143_31
.LBB143_20:                             ; =>This Loop Header: Depth=1
                                        ;     Child Loop BB143_23 Depth 2
	v_pk_mov_b32 v[46:47], v[24:25], v[24:25] op_sel:[0,1]
	v_pk_mov_b32 v[48:49], v[22:23], v[22:23] op_sel:[0,1]
	;; [unrolled: 1-line block ×8, first 2 shown]
	s_and_saveexec_b64 s[24:25], s[8:9]
	s_cbranch_execz .LBB143_27
; %bb.21:                               ;   in Loop: Header=BB143_20 Depth=1
	s_mov_b32 s42, 0
	s_mov_b64 s[30:31], 0
	v_pk_mov_b32 v[18:19], v[0:1], v[0:1] op_sel:[0,1]
	s_branch .LBB143_23
.LBB143_22:                             ;   in Loop: Header=BB143_23 Depth=2
	s_or_b64 exec, exec, s[36:37]
	s_add_i32 s42, s42, 2
	v_cmp_eq_u32_e32 vcc, s42, v61
	v_add_u32_e32 v19, 64, v19
	s_or_b64 s[30:31], vcc, s[30:31]
	v_add_u32_e32 v18, 64, v18
	s_andn2_b64 exec, exec, s[30:31]
	s_cbranch_execz .LBB143_27
.LBB143_23:                             ;   Parent Loop BB143_20 Depth=1
                                        ; =>  This Inner Loop Header: Depth=2
	s_or_b32 s34, s42, 1
	v_cmp_le_u32_e64 s[34:35], s34, 7
	v_cmp_le_u32_e64 s[44:45], s42, 7
	s_and_saveexec_b64 s[36:37], s[44:45]
	s_cbranch_execz .LBB143_25
; %bb.24:                               ;   in Loop: Header=BB143_23 Depth=2
	v_lshlrev_b32_e32 v20, 2, v18
	ds_write_b32 v20, v62
.LBB143_25:                             ;   in Loop: Header=BB143_23 Depth=2
	s_or_b64 exec, exec, s[36:37]
	s_and_saveexec_b64 s[36:37], s[34:35]
	s_cbranch_execz .LBB143_22
; %bb.26:                               ;   in Loop: Header=BB143_23 Depth=2
	v_lshlrev_b32_e32 v20, 2, v19
	ds_write_b32 v20, v62
	s_branch .LBB143_22
.LBB143_27:                             ;   in Loop: Header=BB143_20 Depth=1
	s_or_b64 exec, exec, s[24:25]
	s_sub_i32 s24, 64, s40
	s_min_u32 s24, s39, s24
	s_lshl_b32 s24, -1, s24
	s_not_b32 s24, s24
	v_lshrrev_b64 v[18:19], s40, v[52:53]
	v_and_b32_e32 v18, s24, v18
	v_lshrrev_b32_e32 v19, 3, v18
	v_lshlrev_b32_e32 v18, 5, v18
	v_and_or_b32 v18, v18, s41, v0
	v_lshlrev_b32_e32 v18, 1, v18
	v_add_lshl_u32 v27, v18, v19, 1
	ds_read_u16 v26, v27
	v_lshrrev_b64 v[18:19], s40, v[50:51]
	v_and_b32_e32 v18, s24, v18
	s_waitcnt lgkmcnt(0)
	v_add_u16_e32 v19, 1, v26
	ds_write_b16 v27, v19
	v_lshrrev_b32_e32 v19, 3, v18
	v_lshlrev_b32_e32 v18, 5, v18
	v_and_or_b32 v18, v18, s41, v0
	v_lshlrev_b32_e32 v18, 1, v18
	v_add_lshl_u32 v29, v18, v19, 1
	ds_read_u16 v28, v29
	s_waitcnt lgkmcnt(0)
	v_add_u16_e32 v18, 1, v28
	ds_write_b16 v29, v18
	v_lshrrev_b64 v[18:19], s40, v[48:49]
	v_and_b32_e32 v18, s24, v18
	v_lshrrev_b32_e32 v19, 3, v18
	v_lshlrev_b32_e32 v18, 5, v18
	v_and_or_b32 v18, v18, s41, v0
	v_lshlrev_b32_e32 v18, 1, v18
	v_add_lshl_u32 v31, v18, v19, 1
	ds_read_u16 v30, v31
	s_waitcnt lgkmcnt(0)
	v_add_u16_e32 v18, 1, v30
	ds_write_b16 v31, v18
	v_lshrrev_b64 v[18:19], s40, v[46:47]
	v_and_b32_e32 v18, s24, v18
	v_lshrrev_b32_e32 v19, 3, v18
	v_lshlrev_b32_e32 v18, 5, v18
	v_and_or_b32 v18, v18, s41, v0
	v_lshlrev_b32_e32 v18, 1, v18
	v_add_lshl_u32 v33, v18, v19, 1
	ds_read_u16 v32, v33
	s_waitcnt lgkmcnt(0)
	v_add_u16_e32 v18, 1, v32
	ds_write_b16 v33, v18
	s_waitcnt lgkmcnt(0)
	; wave barrier
	s_waitcnt lgkmcnt(0)
	ds_read2_b32 v[24:25], v37 offset1:1
	ds_read2_b32 v[22:23], v37 offset0:2 offset1:3
	ds_read2_b32 v[18:19], v37 offset0:4 offset1:5
	;; [unrolled: 1-line block ×3, first 2 shown]
	s_waitcnt lgkmcnt(3)
	v_add_u32_e32 v63, v25, v24
	s_waitcnt lgkmcnt(2)
	v_add3_u32 v63, v63, v22, v23
	s_waitcnt lgkmcnt(1)
	v_add3_u32 v63, v63, v18, v19
	s_waitcnt lgkmcnt(0)
	v_add3_u32 v21, v63, v20, v21
	s_nop 1
	v_mov_b32_dpp v63, v21 row_shr:1 row_mask:0xf bank_mask:0xf
	v_cndmask_b32_e64 v63, v63, 0, s[10:11]
	v_add_u32_e32 v21, v63, v21
	s_nop 1
	v_mov_b32_dpp v63, v21 row_shr:2 row_mask:0xf bank_mask:0xf
	v_cndmask_b32_e64 v63, 0, v63, s[12:13]
	v_add_u32_e32 v21, v21, v63
	;; [unrolled: 4-line block ×4, first 2 shown]
	s_nop 1
	v_mov_b32_dpp v63, v21 row_bcast:15 row_mask:0xf bank_mask:0xf
	v_cndmask_b32_e64 v63, v63, 0, s[18:19]
	v_add_u32_e32 v21, v21, v63
	s_and_saveexec_b64 s[24:25], s[20:21]
	s_cbranch_execz .LBB143_29
; %bb.28:                               ;   in Loop: Header=BB143_20 Depth=1
	ds_write_b32 v62, v21 offset:1024
.LBB143_29:                             ;   in Loop: Header=BB143_20 Depth=1
	s_or_b64 exec, exec, s[24:25]
	ds_bpermute_b32 v21, v59, v21
	s_waitcnt lgkmcnt(0)
	; wave barrier
	s_waitcnt lgkmcnt(0)
	ds_read_b32 v63, v62 offset:1024
	s_cmp_gt_u32 s40, 59
	v_cndmask_b32_e64 v21, v21, 0, s[22:23]
	s_waitcnt lgkmcnt(0)
	v_lshl_add_u32 v21, v63, 16, v21
	v_add_u32_e32 v24, v21, v24
	v_add_u32_e32 v25, v24, v25
	ds_write2_b32 v37, v21, v24 offset1:1
	v_add_u32_e32 v21, v25, v22
	v_add_u32_e32 v22, v21, v23
	;; [unrolled: 1-line block ×5, first 2 shown]
	ds_write2_b32 v37, v25, v21 offset0:2 offset1:3
	ds_write2_b32 v37, v22, v18 offset0:4 offset1:5
	ds_write2_b32 v37, v19, v20 offset0:6 offset1:7
	s_waitcnt lgkmcnt(0)
	; wave barrier
	s_waitcnt lgkmcnt(0)
	ds_read_u16 v18, v27
	ds_read_u16 v19, v29
	;; [unrolled: 1-line block ×4, first 2 shown]
	s_waitcnt lgkmcnt(3)
	v_add_u32_sdwa v66, v18, v26 dst_sel:DWORD dst_unused:UNUSED_PAD src0_sel:DWORD src1_sel:WORD_0
	s_waitcnt lgkmcnt(2)
	v_add_u32_sdwa v64, v19, v28 dst_sel:DWORD dst_unused:UNUSED_PAD src0_sel:DWORD src1_sel:WORD_0
	;; [unrolled: 2-line block ×4, first 2 shown]
	s_cbranch_scc0 .LBB143_19
; %bb.30:
                                        ; implicit-def: $vgpr24_vgpr25
                                        ; implicit-def: $vgpr20_vgpr21
                                        ; implicit-def: $vgpr32_vgpr33
                                        ; implicit-def: $vgpr28_vgpr29
                                        ; implicit-def: $sgpr40
.LBB143_31:
	v_lshlrev_b32_e32 v18, 3, v66
	v_lshlrev_b32_e32 v19, 3, v64
	;; [unrolled: 1-line block ×4, first 2 shown]
	s_waitcnt lgkmcnt(0)
	; wave barrier
	ds_write_b64 v18, v[52:53]
	ds_write_b64 v19, v[50:51]
	;; [unrolled: 1-line block ×4, first 2 shown]
	s_waitcnt lgkmcnt(0)
	; wave barrier
	s_waitcnt lgkmcnt(0)
	ds_read2_b64 v[26:29], v35 offset1:1
	ds_read2_b64 v[30:33], v35 offset0:2 offset1:3
	s_waitcnt lgkmcnt(0)
	; wave barrier
	s_waitcnt lgkmcnt(0)
	ds_write_b64 v18, v[44:45]
	ds_write_b64 v19, v[42:43]
	;; [unrolled: 1-line block ×4, first 2 shown]
	s_waitcnt lgkmcnt(0)
	; wave barrier
	s_waitcnt lgkmcnt(0)
	ds_read2_b64 v[18:21], v35 offset1:1
	ds_read2_b64 v[22:25], v35 offset0:2 offset1:3
	v_xor_b32_e32 v27, 0x80000000, v27
	v_xor_b32_e32 v29, 0x80000000, v29
	;; [unrolled: 1-line block ×4, first 2 shown]
	s_branch .LBB143_50
.LBB143_32:
	v_mov_b32_e32 v37, 0
	v_lshlrev_b64 v[2:3], 3, v[36:37]
	v_mov_b32_e32 v4, s38
	v_add_co_u32_e32 v2, vcc, s33, v2
	v_addc_co_u32_e32 v3, vcc, v4, v3, vcc
	global_load_dwordx2 v[2:3], v[2:3], off
	v_mov_b32_e32 v4, v37
	v_mov_b32_e32 v5, v37
	;; [unrolled: 1-line block ×6, first 2 shown]
	s_or_b64 exec, exec, s[8:9]
	s_and_saveexec_b64 s[8:9], s[2:3]
	s_cbranch_execz .LBB143_14
.LBB143_33:
	v_mul_lo_u32 v4, v1, s28
	v_mov_b32_e32 v5, 0
	v_lshlrev_b64 v[4:5], 3, v[4:5]
	v_mov_b32_e32 v21, s38
	v_add_co_u32_e32 v4, vcc, s33, v4
	v_addc_co_u32_e32 v5, vcc, v21, v5, vcc
	global_load_dwordx2 v[4:5], v[4:5], off
	s_or_b64 exec, exec, s[8:9]
	s_and_saveexec_b64 s[8:9], s[4:5]
	s_cbranch_execz .LBB143_15
.LBB143_34:
	v_mul_lo_u32 v6, v19, s28
	v_mov_b32_e32 v7, 0
	v_lshlrev_b64 v[6:7], 3, v[6:7]
	v_mov_b32_e32 v19, s38
	v_add_co_u32_e32 v6, vcc, s33, v6
	v_addc_co_u32_e32 v7, vcc, v19, v7, vcc
	global_load_dwordx2 v[6:7], v[6:7], off
	s_or_b64 exec, exec, s[8:9]
	s_xor_b64 s[24:25], s[16:17], -1
	s_and_saveexec_b64 s[8:9], s[6:7]
	s_cbranch_execnz .LBB143_16
	s_branch .LBB143_17
.LBB143_35:
                                        ; implicit-def: $vgpr32_vgpr33
                                        ; implicit-def: $vgpr28_vgpr29
                                        ; implicit-def: $vgpr24_vgpr25
                                        ; implicit-def: $vgpr20_vgpr21
	s_cbranch_execz .LBB143_50
; %bb.36:
	v_xor_b32_e32 v15, 0x7fffffff, v15
	v_xor_b32_e32 v14, -1, v14
	v_xor_b32_e32 v17, 0x7fffffff, v17
	v_xor_b32_e32 v16, -1, v16
	;; [unrolled: 2-line block ×4, first 2 shown]
	v_and_b32_e32 v38, 14, v60
	s_mov_b32 s41, 0
	v_mov_b32_e32 v39, 0
	s_movk_i32 s40, 0xe0
	s_branch .LBB143_38
.LBB143_37:                             ;   in Loop: Header=BB143_38 Depth=1
	v_lshlrev_b32_e32 v2, 3, v43
	v_lshlrev_b32_e32 v3, 3, v41
	;; [unrolled: 1-line block ×4, first 2 shown]
	s_waitcnt lgkmcnt(0)
	; wave barrier
	ds_write_b64 v2, v[32:33]
	ds_write_b64 v3, v[30:31]
	ds_write_b64 v4, v[28:29]
	ds_write_b64 v5, v[26:27]
	s_waitcnt lgkmcnt(0)
	; wave barrier
	s_waitcnt lgkmcnt(0)
	ds_read2_b64 v[14:17], v35 offset1:1
	ds_read2_b64 v[10:13], v35 offset0:2 offset1:3
	s_waitcnt lgkmcnt(0)
	; wave barrier
	s_waitcnt lgkmcnt(0)
	ds_write_b64 v2, v[24:25]
	ds_write_b64 v3, v[22:23]
	;; [unrolled: 1-line block ×4, first 2 shown]
	s_waitcnt lgkmcnt(0)
	; wave barrier
	s_waitcnt lgkmcnt(0)
	ds_read2_b64 v[2:5], v35 offset1:1
	ds_read2_b64 v[6:9], v35 offset0:2 offset1:3
	s_add_i32 s41, s41, 4
	s_waitcnt lgkmcnt(0)
	; wave barrier
	s_waitcnt lgkmcnt(0)
	s_cbranch_execz .LBB143_49
.LBB143_38:                             ; =>This Loop Header: Depth=1
                                        ;     Child Loop BB143_41 Depth 2
	v_pk_mov_b32 v[26:27], v[12:13], v[12:13] op_sel:[0,1]
	v_pk_mov_b32 v[28:29], v[10:11], v[10:11] op_sel:[0,1]
	;; [unrolled: 1-line block ×4, first 2 shown]
	s_waitcnt lgkmcnt(1)
	v_pk_mov_b32 v[18:19], v[8:9], v[8:9] op_sel:[0,1]
	v_pk_mov_b32 v[20:21], v[6:7], v[6:7] op_sel:[0,1]
	s_waitcnt lgkmcnt(0)
	v_pk_mov_b32 v[22:23], v[4:5], v[4:5] op_sel:[0,1]
	v_pk_mov_b32 v[24:25], v[2:3], v[2:3] op_sel:[0,1]
	s_and_saveexec_b64 s[24:25], s[8:9]
	s_cbranch_execz .LBB143_45
; %bb.39:                               ;   in Loop: Header=BB143_38 Depth=1
	s_mov_b32 s42, 0
	s_mov_b64 s[30:31], 0
	v_pk_mov_b32 v[2:3], v[0:1], v[0:1] op_sel:[0,1]
	s_branch .LBB143_41
.LBB143_40:                             ;   in Loop: Header=BB143_41 Depth=2
	s_or_b64 exec, exec, s[36:37]
	s_add_i32 s42, s42, 2
	v_cmp_eq_u32_e32 vcc, s42, v38
	v_add_u32_e32 v3, 64, v3
	s_or_b64 s[30:31], vcc, s[30:31]
	v_add_u32_e32 v2, 64, v2
	s_andn2_b64 exec, exec, s[30:31]
	s_cbranch_execz .LBB143_45
.LBB143_41:                             ;   Parent Loop BB143_38 Depth=1
                                        ; =>  This Inner Loop Header: Depth=2
	s_or_b32 s34, s42, 1
	v_cmp_le_u32_e64 s[34:35], s34, 7
	v_cmp_le_u32_e64 s[44:45], s42, 7
	s_and_saveexec_b64 s[36:37], s[44:45]
	s_cbranch_execz .LBB143_43
; %bb.42:                               ;   in Loop: Header=BB143_41 Depth=2
	v_lshlrev_b32_e32 v4, 2, v2
	ds_write_b32 v4, v39
.LBB143_43:                             ;   in Loop: Header=BB143_41 Depth=2
	s_or_b64 exec, exec, s[36:37]
	s_and_saveexec_b64 s[36:37], s[34:35]
	s_cbranch_execz .LBB143_40
; %bb.44:                               ;   in Loop: Header=BB143_41 Depth=2
	v_lshlrev_b32_e32 v4, 2, v3
	ds_write_b32 v4, v39
	s_branch .LBB143_40
.LBB143_45:                             ;   in Loop: Header=BB143_38 Depth=1
	s_or_b64 exec, exec, s[24:25]
	s_sub_i32 s24, 64, s41
	s_min_u32 s24, s39, s24
	s_lshl_b32 s24, -1, s24
	s_not_b32 s24, s24
	v_lshrrev_b64 v[2:3], s41, v[32:33]
	v_and_b32_e32 v2, s24, v2
	v_lshrrev_b32_e32 v3, 3, v2
	v_lshlrev_b32_e32 v2, 5, v2
	v_and_or_b32 v2, v2, s40, v0
	v_lshlrev_b32_e32 v2, 1, v2
	v_add_lshl_u32 v11, v2, v3, 1
	ds_read_u16 v10, v11
	v_lshrrev_b64 v[2:3], s41, v[30:31]
	v_and_b32_e32 v2, s24, v2
	s_waitcnt lgkmcnt(0)
	v_add_u16_e32 v3, 1, v10
	ds_write_b16 v11, v3
	v_lshrrev_b32_e32 v3, 3, v2
	v_lshlrev_b32_e32 v2, 5, v2
	v_and_or_b32 v2, v2, s40, v0
	v_lshlrev_b32_e32 v2, 1, v2
	v_add_lshl_u32 v13, v2, v3, 1
	ds_read_u16 v12, v13
	s_waitcnt lgkmcnt(0)
	v_add_u16_e32 v2, 1, v12
	ds_write_b16 v13, v2
	v_lshrrev_b64 v[2:3], s41, v[28:29]
	v_and_b32_e32 v2, s24, v2
	v_lshrrev_b32_e32 v3, 3, v2
	v_lshlrev_b32_e32 v2, 5, v2
	v_and_or_b32 v2, v2, s40, v0
	v_lshlrev_b32_e32 v2, 1, v2
	v_add_lshl_u32 v15, v2, v3, 1
	ds_read_u16 v14, v15
	s_waitcnt lgkmcnt(0)
	v_add_u16_e32 v2, 1, v14
	ds_write_b16 v15, v2
	v_lshrrev_b64 v[2:3], s41, v[26:27]
	v_and_b32_e32 v2, s24, v2
	v_lshrrev_b32_e32 v3, 3, v2
	v_lshlrev_b32_e32 v2, 5, v2
	v_and_or_b32 v2, v2, s40, v0
	v_lshlrev_b32_e32 v2, 1, v2
	v_add_lshl_u32 v17, v2, v3, 1
	ds_read_u16 v16, v17
	s_waitcnt lgkmcnt(0)
	v_add_u16_e32 v2, 1, v16
	ds_write_b16 v17, v2
	s_waitcnt lgkmcnt(0)
	; wave barrier
	s_waitcnt lgkmcnt(0)
	ds_read2_b32 v[8:9], v37 offset1:1
	ds_read2_b32 v[6:7], v37 offset0:2 offset1:3
	ds_read2_b32 v[2:3], v37 offset0:4 offset1:5
	ds_read2_b32 v[4:5], v37 offset0:6 offset1:7
	s_waitcnt lgkmcnt(3)
	v_add_u32_e32 v40, v9, v8
	s_waitcnt lgkmcnt(2)
	v_add3_u32 v40, v40, v6, v7
	s_waitcnt lgkmcnt(1)
	v_add3_u32 v40, v40, v2, v3
	;; [unrolled: 2-line block ×3, first 2 shown]
	s_nop 1
	v_mov_b32_dpp v40, v5 row_shr:1 row_mask:0xf bank_mask:0xf
	v_cndmask_b32_e64 v40, v40, 0, s[10:11]
	v_add_u32_e32 v5, v40, v5
	s_nop 1
	v_mov_b32_dpp v40, v5 row_shr:2 row_mask:0xf bank_mask:0xf
	v_cndmask_b32_e64 v40, 0, v40, s[12:13]
	v_add_u32_e32 v5, v5, v40
	;; [unrolled: 4-line block ×4, first 2 shown]
	s_nop 1
	v_mov_b32_dpp v40, v5 row_bcast:15 row_mask:0xf bank_mask:0xf
	v_cndmask_b32_e64 v40, v40, 0, s[18:19]
	v_add_u32_e32 v5, v5, v40
	s_and_saveexec_b64 s[24:25], s[20:21]
	s_cbranch_execz .LBB143_47
; %bb.46:                               ;   in Loop: Header=BB143_38 Depth=1
	ds_write_b32 v39, v5 offset:1024
.LBB143_47:                             ;   in Loop: Header=BB143_38 Depth=1
	s_or_b64 exec, exec, s[24:25]
	ds_bpermute_b32 v5, v59, v5
	s_waitcnt lgkmcnt(0)
	; wave barrier
	s_waitcnt lgkmcnt(0)
	ds_read_b32 v40, v39 offset:1024
	s_cmp_gt_u32 s41, 59
	v_cndmask_b32_e64 v5, v5, 0, s[22:23]
	s_waitcnt lgkmcnt(0)
	v_lshl_add_u32 v5, v40, 16, v5
	v_add_u32_e32 v8, v5, v8
	v_add_u32_e32 v9, v8, v9
	ds_write2_b32 v37, v5, v8 offset1:1
	v_add_u32_e32 v5, v9, v6
	v_add_u32_e32 v6, v5, v7
	;; [unrolled: 1-line block ×5, first 2 shown]
	ds_write2_b32 v37, v9, v5 offset0:2 offset1:3
	ds_write2_b32 v37, v6, v2 offset0:4 offset1:5
	;; [unrolled: 1-line block ×3, first 2 shown]
	s_waitcnt lgkmcnt(0)
	; wave barrier
	s_waitcnt lgkmcnt(0)
	ds_read_u16 v2, v11
	ds_read_u16 v3, v13
	;; [unrolled: 1-line block ×4, first 2 shown]
	s_waitcnt lgkmcnt(3)
	v_add_u32_sdwa v43, v2, v10 dst_sel:DWORD dst_unused:UNUSED_PAD src0_sel:DWORD src1_sel:WORD_0
	s_waitcnt lgkmcnt(2)
	v_add_u32_sdwa v41, v3, v12 dst_sel:DWORD dst_unused:UNUSED_PAD src0_sel:DWORD src1_sel:WORD_0
	s_waitcnt lgkmcnt(1)
	v_add_u32_sdwa v40, v4, v14 dst_sel:DWORD dst_unused:UNUSED_PAD src0_sel:DWORD src1_sel:WORD_0
	s_waitcnt lgkmcnt(0)
	v_add_u32_sdwa v42, v5, v16 dst_sel:DWORD dst_unused:UNUSED_PAD src0_sel:DWORD src1_sel:WORD_0
	s_cbranch_scc0 .LBB143_37
; %bb.48:
                                        ; implicit-def: $vgpr12_vgpr13
                                        ; implicit-def: $vgpr16_vgpr17
                                        ; implicit-def: $vgpr8_vgpr9
                                        ; implicit-def: $vgpr4_vgpr5
                                        ; implicit-def: $sgpr41
.LBB143_49:
	v_lshlrev_b32_e32 v8, 3, v43
	v_lshlrev_b32_e32 v9, 3, v41
	;; [unrolled: 1-line block ×4, first 2 shown]
	s_waitcnt lgkmcnt(0)
	; wave barrier
	ds_write_b64 v8, v[32:33]
	ds_write_b64 v9, v[30:31]
	ds_write_b64 v10, v[28:29]
	ds_write_b64 v11, v[26:27]
	s_waitcnt lgkmcnt(0)
	; wave barrier
	s_waitcnt lgkmcnt(0)
	ds_read2_b64 v[0:3], v35 offset1:1
	ds_read2_b64 v[4:7], v35 offset0:2 offset1:3
	s_waitcnt lgkmcnt(0)
	; wave barrier
	s_waitcnt lgkmcnt(0)
	ds_write_b64 v8, v[24:25]
	ds_write_b64 v9, v[22:23]
	ds_write_b64 v10, v[20:21]
	ds_write_b64 v11, v[18:19]
	s_waitcnt lgkmcnt(0)
	; wave barrier
	s_waitcnt lgkmcnt(0)
	ds_read2_b64 v[18:21], v35 offset1:1
	ds_read2_b64 v[22:25], v35 offset0:2 offset1:3
	v_xor_b32_e32 v27, 0x7fffffff, v1
	v_xor_b32_e32 v26, -1, v0
	v_xor_b32_e32 v29, 0x7fffffff, v3
	v_xor_b32_e32 v28, -1, v2
	;; [unrolled: 2-line block ×4, first 2 shown]
.LBB143_50:
	s_waitcnt lgkmcnt(0)
	; wave barrier
	s_waitcnt lgkmcnt(0)
	ds_write2_b64 v58, v[26:27], v[28:29] offset1:1
	ds_write2_b64 v58, v[30:31], v[32:33] offset0:2 offset1:3
	s_waitcnt lgkmcnt(0)
	; wave barrier
	s_waitcnt lgkmcnt(0)
	ds_read_b64 v[6:7], v55 offset:256
	ds_read_b64 v[4:5], v56 offset:512
	;; [unrolled: 1-line block ×3, first 2 shown]
	v_mov_b32_e32 v35, 0
	v_lshlrev_b64 v[2:3], 3, v[34:35]
	v_mov_b32_e32 v8, s29
	v_add_co_u32_e32 v2, vcc, s27, v2
	v_addc_co_u32_e32 v3, vcc, v8, v3, vcc
	s_and_saveexec_b64 s[8:9], s[0:1]
	s_cbranch_execnz .LBB143_61
; %bb.51:
	s_or_b64 exec, exec, s[8:9]
	s_and_saveexec_b64 s[8:9], s[2:3]
	s_cbranch_execnz .LBB143_62
.LBB143_52:
	s_or_b64 exec, exec, s[8:9]
	s_and_saveexec_b64 s[8:9], s[4:5]
	s_cbranch_execnz .LBB143_63
.LBB143_53:
	s_or_b64 exec, exec, s[8:9]
	s_and_saveexec_b64 s[8:9], s[6:7]
	s_cbranch_execz .LBB143_55
.LBB143_54:
	s_mul_i32 s10, s26, 0x60
	s_mov_b32 s11, 0
	s_lshl_b64 s[10:11], s[10:11], 3
	s_waitcnt lgkmcnt(1)
	v_mov_b32_e32 v4, s11
	v_add_co_u32_e32 v2, vcc, s10, v2
	v_addc_co_u32_e32 v3, vcc, v3, v4, vcc
	s_waitcnt lgkmcnt(0)
	global_store_dwordx2 v[2:3], v[0:1], off
.LBB143_55:
	s_or_b64 exec, exec, s[8:9]
	s_waitcnt lgkmcnt(0)
	; wave barrier
	s_waitcnt lgkmcnt(0)
	ds_write2_b64 v58, v[18:19], v[20:21] offset1:1
	ds_write2_b64 v58, v[22:23], v[24:25] offset0:2 offset1:3
	s_waitcnt lgkmcnt(0)
	; wave barrier
	s_waitcnt lgkmcnt(0)
	ds_read_b64 v[6:7], v55 offset:256
	ds_read_b64 v[4:5], v56 offset:512
	;; [unrolled: 1-line block ×3, first 2 shown]
	v_mov_b32_e32 v37, 0
	v_lshlrev_b64 v[2:3], 3, v[36:37]
	v_mov_b32_e32 v8, s38
	v_add_co_u32_e32 v2, vcc, s33, v2
	v_addc_co_u32_e32 v3, vcc, v8, v3, vcc
	s_and_saveexec_b64 s[8:9], s[0:1]
	s_cbranch_execnz .LBB143_64
; %bb.56:
	s_or_b64 exec, exec, s[8:9]
	s_and_saveexec_b64 s[0:1], s[2:3]
	s_cbranch_execnz .LBB143_65
.LBB143_57:
	s_or_b64 exec, exec, s[0:1]
	s_and_saveexec_b64 s[0:1], s[4:5]
	s_cbranch_execnz .LBB143_66
.LBB143_58:
	s_or_b64 exec, exec, s[0:1]
	s_and_saveexec_b64 s[0:1], s[6:7]
	s_cbranch_execz .LBB143_60
.LBB143_59:
	s_mul_i32 s0, s28, 0x60
	s_mov_b32 s1, 0
	s_lshl_b64 s[0:1], s[0:1], 3
	s_waitcnt lgkmcnt(1)
	v_mov_b32_e32 v4, s1
	v_add_co_u32_e32 v2, vcc, s0, v2
	v_addc_co_u32_e32 v3, vcc, v3, v4, vcc
	s_waitcnt lgkmcnt(0)
	global_store_dwordx2 v[2:3], v[0:1], off
.LBB143_60:
	s_endpgm
.LBB143_61:
	ds_read_b64 v[8:9], v54
	s_waitcnt lgkmcnt(0)
	global_store_dwordx2 v[2:3], v[8:9], off
	s_or_b64 exec, exec, s[8:9]
	s_and_saveexec_b64 s[8:9], s[2:3]
	s_cbranch_execz .LBB143_52
.LBB143_62:
	s_lshl_b32 s10, s26, 5
	s_mov_b32 s11, 0
	s_lshl_b64 s[10:11], s[10:11], 3
	v_mov_b32_e32 v9, s11
	v_add_co_u32_e32 v8, vcc, s10, v2
	v_addc_co_u32_e32 v9, vcc, v3, v9, vcc
	s_waitcnt lgkmcnt(2)
	global_store_dwordx2 v[8:9], v[6:7], off
	s_or_b64 exec, exec, s[8:9]
	s_and_saveexec_b64 s[8:9], s[4:5]
	s_cbranch_execz .LBB143_53
.LBB143_63:
	s_lshl_b32 s10, s26, 6
	s_mov_b32 s11, 0
	s_lshl_b64 s[10:11], s[10:11], 3
	s_waitcnt lgkmcnt(2)
	v_mov_b32_e32 v7, s11
	v_add_co_u32_e32 v6, vcc, s10, v2
	v_addc_co_u32_e32 v7, vcc, v3, v7, vcc
	s_waitcnt lgkmcnt(1)
	global_store_dwordx2 v[6:7], v[4:5], off
	s_or_b64 exec, exec, s[8:9]
	s_and_saveexec_b64 s[8:9], s[6:7]
	s_cbranch_execnz .LBB143_54
	s_branch .LBB143_55
.LBB143_64:
	ds_read_b64 v[8:9], v54
	s_waitcnt lgkmcnt(0)
	global_store_dwordx2 v[2:3], v[8:9], off
	s_or_b64 exec, exec, s[8:9]
	s_and_saveexec_b64 s[0:1], s[2:3]
	s_cbranch_execz .LBB143_57
.LBB143_65:
	s_lshl_b32 s2, s28, 5
	s_mov_b32 s3, 0
	s_lshl_b64 s[2:3], s[2:3], 3
	v_mov_b32_e32 v9, s3
	v_add_co_u32_e32 v8, vcc, s2, v2
	v_addc_co_u32_e32 v9, vcc, v3, v9, vcc
	s_waitcnt lgkmcnt(2)
	global_store_dwordx2 v[8:9], v[6:7], off
	s_or_b64 exec, exec, s[0:1]
	s_and_saveexec_b64 s[0:1], s[4:5]
	s_cbranch_execz .LBB143_58
.LBB143_66:
	s_lshl_b32 s2, s28, 6
	s_mov_b32 s3, 0
	s_lshl_b64 s[2:3], s[2:3], 3
	s_waitcnt lgkmcnt(2)
	v_mov_b32_e32 v7, s3
	v_add_co_u32_e32 v6, vcc, s2, v2
	v_addc_co_u32_e32 v7, vcc, v3, v7, vcc
	s_waitcnt lgkmcnt(1)
	global_store_dwordx2 v[6:7], v[4:5], off
	s_or_b64 exec, exec, s[0:1]
	s_and_saveexec_b64 s[0:1], s[6:7]
	s_cbranch_execnz .LBB143_59
	s_branch .LBB143_60
	.section	.rodata,"a",@progbits
	.p2align	6, 0x0
	.amdhsa_kernel _ZN2at6native18radixSortKVInPlaceILin2ELin1ELi32ELi4ElljEEvNS_4cuda6detail10TensorInfoIT3_T5_EES6_S6_S6_NS4_IT4_S6_EES6_b
		.amdhsa_group_segment_fixed_size 1056
		.amdhsa_private_segment_fixed_size 0
		.amdhsa_kernarg_size 712
		.amdhsa_user_sgpr_count 6
		.amdhsa_user_sgpr_private_segment_buffer 1
		.amdhsa_user_sgpr_dispatch_ptr 0
		.amdhsa_user_sgpr_queue_ptr 0
		.amdhsa_user_sgpr_kernarg_segment_ptr 1
		.amdhsa_user_sgpr_dispatch_id 0
		.amdhsa_user_sgpr_flat_scratch_init 0
		.amdhsa_user_sgpr_kernarg_preload_length 0
		.amdhsa_user_sgpr_kernarg_preload_offset 0
		.amdhsa_user_sgpr_private_segment_size 0
		.amdhsa_uses_dynamic_stack 0
		.amdhsa_system_sgpr_private_segment_wavefront_offset 0
		.amdhsa_system_sgpr_workgroup_id_x 1
		.amdhsa_system_sgpr_workgroup_id_y 1
		.amdhsa_system_sgpr_workgroup_id_z 1
		.amdhsa_system_sgpr_workgroup_info 0
		.amdhsa_system_vgpr_workitem_id 0
		.amdhsa_next_free_vgpr 67
		.amdhsa_next_free_sgpr 46
		.amdhsa_accum_offset 68
		.amdhsa_reserve_vcc 1
		.amdhsa_reserve_flat_scratch 0
		.amdhsa_float_round_mode_32 0
		.amdhsa_float_round_mode_16_64 0
		.amdhsa_float_denorm_mode_32 3
		.amdhsa_float_denorm_mode_16_64 3
		.amdhsa_dx10_clamp 1
		.amdhsa_ieee_mode 1
		.amdhsa_fp16_overflow 0
		.amdhsa_tg_split 0
		.amdhsa_exception_fp_ieee_invalid_op 0
		.amdhsa_exception_fp_denorm_src 0
		.amdhsa_exception_fp_ieee_div_zero 0
		.amdhsa_exception_fp_ieee_overflow 0
		.amdhsa_exception_fp_ieee_underflow 0
		.amdhsa_exception_fp_ieee_inexact 0
		.amdhsa_exception_int_div_zero 0
	.end_amdhsa_kernel
	.section	.text._ZN2at6native18radixSortKVInPlaceILin2ELin1ELi32ELi4ElljEEvNS_4cuda6detail10TensorInfoIT3_T5_EES6_S6_S6_NS4_IT4_S6_EES6_b,"axG",@progbits,_ZN2at6native18radixSortKVInPlaceILin2ELin1ELi32ELi4ElljEEvNS_4cuda6detail10TensorInfoIT3_T5_EES6_S6_S6_NS4_IT4_S6_EES6_b,comdat
.Lfunc_end143:
	.size	_ZN2at6native18radixSortKVInPlaceILin2ELin1ELi32ELi4ElljEEvNS_4cuda6detail10TensorInfoIT3_T5_EES6_S6_S6_NS4_IT4_S6_EES6_b, .Lfunc_end143-_ZN2at6native18radixSortKVInPlaceILin2ELin1ELi32ELi4ElljEEvNS_4cuda6detail10TensorInfoIT3_T5_EES6_S6_S6_NS4_IT4_S6_EES6_b
                                        ; -- End function
	.section	.AMDGPU.csdata,"",@progbits
; Kernel info:
; codeLenInByte = 4696
; NumSgprs: 50
; NumVgprs: 67
; NumAgprs: 0
; TotalNumVgprs: 67
; ScratchSize: 0
; MemoryBound: 0
; FloatMode: 240
; IeeeMode: 1
; LDSByteSize: 1056 bytes/workgroup (compile time only)
; SGPRBlocks: 6
; VGPRBlocks: 8
; NumSGPRsForWavesPerEU: 50
; NumVGPRsForWavesPerEU: 67
; AccumOffset: 68
; Occupancy: 7
; WaveLimiterHint : 1
; COMPUTE_PGM_RSRC2:SCRATCH_EN: 0
; COMPUTE_PGM_RSRC2:USER_SGPR: 6
; COMPUTE_PGM_RSRC2:TRAP_HANDLER: 0
; COMPUTE_PGM_RSRC2:TGID_X_EN: 1
; COMPUTE_PGM_RSRC2:TGID_Y_EN: 1
; COMPUTE_PGM_RSRC2:TGID_Z_EN: 1
; COMPUTE_PGM_RSRC2:TIDIG_COMP_CNT: 0
; COMPUTE_PGM_RSRC3_GFX90A:ACCUM_OFFSET: 16
; COMPUTE_PGM_RSRC3_GFX90A:TG_SPLIT: 0
	.section	.text._ZN2at6native18radixSortKVInPlaceILin2ELin1ELi16ELi2ElljEEvNS_4cuda6detail10TensorInfoIT3_T5_EES6_S6_S6_NS4_IT4_S6_EES6_b,"axG",@progbits,_ZN2at6native18radixSortKVInPlaceILin2ELin1ELi16ELi2ElljEEvNS_4cuda6detail10TensorInfoIT3_T5_EES6_S6_S6_NS4_IT4_S6_EES6_b,comdat
	.protected	_ZN2at6native18radixSortKVInPlaceILin2ELin1ELi16ELi2ElljEEvNS_4cuda6detail10TensorInfoIT3_T5_EES6_S6_S6_NS4_IT4_S6_EES6_b ; -- Begin function _ZN2at6native18radixSortKVInPlaceILin2ELin1ELi16ELi2ElljEEvNS_4cuda6detail10TensorInfoIT3_T5_EES6_S6_S6_NS4_IT4_S6_EES6_b
	.globl	_ZN2at6native18radixSortKVInPlaceILin2ELin1ELi16ELi2ElljEEvNS_4cuda6detail10TensorInfoIT3_T5_EES6_S6_S6_NS4_IT4_S6_EES6_b
	.p2align	8
	.type	_ZN2at6native18radixSortKVInPlaceILin2ELin1ELi16ELi2ElljEEvNS_4cuda6detail10TensorInfoIT3_T5_EES6_S6_S6_NS4_IT4_S6_EES6_b,@function
_ZN2at6native18radixSortKVInPlaceILin2ELin1ELi16ELi2ElljEEvNS_4cuda6detail10TensorInfoIT3_T5_EES6_S6_S6_NS4_IT4_S6_EES6_b: ; @_ZN2at6native18radixSortKVInPlaceILin2ELin1ELi16ELi2ElljEEvNS_4cuda6detail10TensorInfoIT3_T5_EES6_S6_S6_NS4_IT4_S6_EES6_b
; %bb.0:
	s_load_dwordx2 s[0:1], s[4:5], 0x1c8
	s_load_dwordx4 s[16:19], s[4:5], 0xd8
	s_waitcnt lgkmcnt(0)
	s_mul_i32 s1, s1, s8
	s_add_i32 s1, s1, s7
	s_mul_i32 s10, s1, s0
	s_add_i32 s10, s10, s6
	s_cmp_ge_u32 s10, s16
	s_cbranch_scc1 .LBB144_50
; %bb.1:
	s_load_dword s6, s[4:5], 0x1b8
	s_load_dwordx2 s[0:1], s[4:5], 0x0
	s_add_u32 s2, s4, 0xe8
	s_addc_u32 s3, s5, 0
	s_mov_b32 s9, 0
	s_waitcnt lgkmcnt(0)
	s_cmp_lt_i32 s6, 2
	s_mov_b32 s8, s10
	s_cbranch_scc1 .LBB144_4
; %bb.2:
	s_add_i32 s8, s6, -1
	s_add_i32 s11, s6, 1
	s_lshl_b64 s[6:7], s[8:9], 2
	s_add_u32 s6, s6, s2
	s_addc_u32 s7, s7, s3
	s_add_u32 s6, s6, 8
	s_addc_u32 s7, s7, 0
	s_mov_b32 s8, s10
.LBB144_3:                              ; =>This Inner Loop Header: Depth=1
	s_load_dword s12, s[6:7], 0x0
	s_load_dword s14, s[6:7], 0x64
	s_mov_b32 s13, s8
	s_waitcnt lgkmcnt(0)
	v_cvt_f32_u32_e32 v1, s12
	s_sub_i32 s8, 0, s12
	v_rcp_iflag_f32_e32 v1, v1
	v_mul_f32_e32 v1, 0x4f7ffffe, v1
	v_cvt_u32_f32_e32 v1, v1
	v_readfirstlane_b32 s15, v1
	s_mul_i32 s8, s8, s15
	s_mul_hi_u32 s8, s15, s8
	s_add_i32 s15, s15, s8
	s_mul_hi_u32 s8, s13, s15
	s_mul_i32 s15, s8, s12
	s_sub_i32 s15, s13, s15
	s_add_i32 s16, s8, 1
	s_sub_i32 s19, s15, s12
	s_cmp_ge_u32 s15, s12
	s_cselect_b32 s8, s16, s8
	s_cselect_b32 s15, s19, s15
	s_add_i32 s16, s8, 1
	s_cmp_ge_u32 s15, s12
	s_cselect_b32 s8, s16, s8
	s_mul_i32 s12, s8, s12
	s_sub_i32 s12, s13, s12
	s_mul_i32 s12, s14, s12
	s_add_i32 s11, s11, -1
	s_add_i32 s9, s12, s9
	s_add_u32 s6, s6, -4
	s_addc_u32 s7, s7, -1
	s_cmp_gt_u32 s11, 2
	s_cbranch_scc1 .LBB144_3
.LBB144_4:
	s_load_dword s6, s[4:5], 0x6c
	s_load_dwordx2 s[20:21], s[4:5], 0x1c0
	s_mov_b32 s7, 0
	s_brev_b32 s14, 1
	s_load_dwordx2 s[12:13], s[2:3], 0x0
	s_waitcnt lgkmcnt(0)
	s_mul_i32 s6, s6, s10
	s_bitcmp1_b32 s21, 0
	s_cselect_b64 s[10:11], -1, 0
	s_and_b64 s[4:5], s[10:11], exec
	s_cselect_b32 s4, 0, -1
	s_cselect_b32 s5, s14, 0x7fffffff
	s_lshl_b64 s[6:7], s[6:7], 3
	s_add_u32 s19, s0, s6
	s_addc_u32 s21, s1, s7
	s_mov_b32 s6, s4
	s_mov_b32 s7, s5
	v_pk_mov_b32 v[2:3], s[4:5], s[4:5] op_sel:[0,1]
	v_cmp_gt_u32_e64 s[0:1], s17, v0
	v_pk_mov_b32 v[4:5], s[6:7], s[6:7] op_sel:[0,1]
	v_pk_mov_b32 v[6:7], s[4:5], s[4:5] op_sel:[0,1]
	v_mul_lo_u32 v18, v0, s18
	s_and_saveexec_b64 s[14:15], s[0:1]
	s_cbranch_execz .LBB144_6
; %bb.5:
	v_mov_b32_e32 v19, 0
	v_lshlrev_b64 v[2:3], 3, v[18:19]
	v_mov_b32_e32 v1, s21
	v_add_co_u32_e32 v2, vcc, s19, v2
	v_addc_co_u32_e32 v3, vcc, v1, v3, vcc
	global_load_dwordx2 v[6:7], v[2:3], off
	v_pk_mov_b32 v[2:3], s[4:5], s[4:5] op_sel:[0,1]
	v_pk_mov_b32 v[4:5], s[6:7], s[6:7] op_sel:[0,1]
.LBB144_6:
	s_or_b64 exec, exec, s[14:15]
	s_load_dword s6, s[2:3], 0x6c
	v_or_b32_e32 v1, 16, v0
	v_cmp_gt_u32_e64 s[2:3], s17, v1
	s_and_saveexec_b64 s[4:5], s[2:3]
	s_cbranch_execz .LBB144_8
; %bb.7:
	v_mul_lo_u32 v2, v1, s18
	v_mov_b32_e32 v3, 0
	v_lshlrev_b64 v[2:3], 3, v[2:3]
	v_mov_b32_e32 v4, s21
	v_add_co_u32_e32 v2, vcc, s19, v2
	v_addc_co_u32_e32 v3, vcc, v4, v3, vcc
	global_load_dwordx2 v[4:5], v[2:3], off
.LBB144_8:
	s_or_b64 exec, exec, s[4:5]
	s_waitcnt lgkmcnt(0)
	s_mul_i32 s4, s6, s8
	s_add_i32 s4, s4, s9
	s_mov_b32 s5, 0
	s_lshl_b64 s[6:7], s[4:5], 3
	v_lshlrev_b32_e32 v30, 3, v0
	v_lshlrev_b32_e32 v31, 4, v0
	s_add_u32 s30, s12, s6
	s_waitcnt vmcnt(0)
	ds_write2_b64 v30, v[6:7], v[4:5] offset1:16
	s_waitcnt lgkmcnt(0)
	; wave barrier
	s_waitcnt lgkmcnt(0)
	ds_read2_b64 v[2:5], v31 offset1:1
	s_addc_u32 s31, s13, s7
	s_mov_b32 s6, s5
	s_mov_b32 s7, s5
	;; [unrolled: 1-line block ×3, first 2 shown]
	v_pk_mov_b32 v[8:9], s[6:7], s[6:7] op_sel:[0,1]
	v_pk_mov_b32 v[6:7], s[4:5], s[4:5] op_sel:[0,1]
	v_pk_mov_b32 v[6:7], 0, 0
	v_mul_lo_u32 v20, v0, s20
	s_waitcnt lgkmcnt(0)
	; wave barrier
	s_waitcnt lgkmcnt(0)
	s_and_saveexec_b64 s[4:5], s[0:1]
	s_cbranch_execz .LBB144_10
; %bb.9:
	v_mov_b32_e32 v21, 0
	v_lshlrev_b64 v[6:7], 3, v[20:21]
	v_mov_b32_e32 v8, s31
	v_add_co_u32_e32 v6, vcc, s30, v6
	v_addc_co_u32_e32 v7, vcc, v8, v7, vcc
	global_load_dwordx2 v[6:7], v[6:7], off
	v_mov_b32_e32 v8, v21
	v_mov_b32_e32 v9, v21
.LBB144_10:
	s_or_b64 exec, exec, s[4:5]
	s_xor_b64 s[22:23], s[10:11], -1
	v_lshlrev_b32_e32 v10, 1, v0
	s_and_saveexec_b64 s[4:5], s[2:3]
	s_cbranch_execz .LBB144_12
; %bb.11:
	v_mul_lo_u32 v8, v1, s20
	v_mov_b32_e32 v9, 0
	v_lshlrev_b64 v[8:9], 3, v[8:9]
	v_mov_b32_e32 v11, s31
	v_add_co_u32_e32 v8, vcc, s30, v8
	v_addc_co_u32_e32 v9, vcc, v11, v9, vcc
	global_load_dwordx2 v[8:9], v[8:9], off
.LBB144_12:
	s_or_b64 exec, exec, s[4:5]
	v_mbcnt_lo_u32_b32 v11, -1, 0
	s_getpc_b64 s[4:5]
	s_add_u32 s4, s4, _ZN7rocprim17ROCPRIM_400000_NS16block_radix_sortIlLj16ELj2ElLj1ELj1ELj0ELNS0_26block_radix_rank_algorithmE1ELNS0_18block_padding_hintE2ELNS0_4arch9wavefront6targetE1EE19radix_bits_per_passE@rel32@lo+4
	s_addc_u32 s5, s5, _ZN7rocprim17ROCPRIM_400000_NS16block_radix_sortIlLj16ELj2ElLj1ELj1ELj0ELNS0_26block_radix_rank_algorithmE1ELNS0_18block_padding_hintE2ELNS0_4arch9wavefront6targetE1EE19radix_bits_per_passE@rel32@hi+12
	v_mbcnt_hi_u32_b32 v11, -1, v11
	s_waitcnt vmcnt(0)
	ds_write2_b64 v30, v[6:7], v[8:9] offset1:16
	s_waitcnt lgkmcnt(0)
	; wave barrier
	s_waitcnt lgkmcnt(0)
	ds_read2_b64 v[6:9], v31 offset1:1
	s_load_dword s33, s[4:5], 0x0
	v_and_b32_e32 v12, 15, v11
	v_cmp_eq_u32_e64 s[6:7], 0, v12
	v_cmp_lt_u32_e64 s[8:9], 1, v12
	v_cmp_lt_u32_e64 s[10:11], 3, v12
	;; [unrolled: 1-line block ×3, first 2 shown]
	v_add_u32_e32 v12, -1, v11
	v_and_b32_e32 v13, 0x70, v11
	v_cmp_lt_i32_e32 vcc, v12, v13
	s_movk_i32 s4, 0x80
	v_cndmask_b32_e32 v12, v12, v11, vcc
	v_cmp_gt_u32_e64 s[4:5], s4, v0
	v_lshlrev_b32_e32 v21, 5, v0
	s_mov_b32 s34, 0
	v_cmp_eq_u32_e64 s[14:15], 15, v0
	s_movk_i32 s35, 0x70
	v_lshlrev_b32_e32 v32, 2, v12
	v_cmp_eq_u32_e64 s[16:17], 0, v11
	v_lshlrev_b32_e32 v19, 3, v10
	s_and_b64 vcc, exec, s[22:23]
	v_add_u32_e64 v33, 7, 2
	s_waitcnt lgkmcnt(0)
	; wave barrier
	s_waitcnt lgkmcnt(0)
	s_cbranch_vccz .LBB144_27
; %bb.13:
	v_xor_b32_e32 v11, 0x80000000, v3
	v_mov_b32_e32 v10, v2
	v_xor_b32_e32 v13, 0x80000000, v5
	v_mov_b32_e32 v12, v4
	v_and_b32_e32 v34, 14, v33
	v_mov_b32_e32 v35, 0
	v_pk_mov_b32 v[14:15], v[6:7], v[6:7] op_sel:[0,1]
	v_pk_mov_b32 v[16:17], v[8:9], v[8:9] op_sel:[0,1]
	s_branch .LBB144_15
.LBB144_14:                             ;   in Loop: Header=BB144_15 Depth=1
	v_lshlrev_b32_e32 v14, 3, v36
	v_lshlrev_b32_e32 v15, 3, v37
	s_waitcnt lgkmcnt(0)
	; wave barrier
	ds_write_b64 v14, v[28:29]
	ds_write_b64 v15, v[26:27]
	s_waitcnt lgkmcnt(0)
	; wave barrier
	s_waitcnt lgkmcnt(0)
	ds_read2_b64 v[10:13], v19 offset1:1
	s_waitcnt lgkmcnt(0)
	; wave barrier
	s_waitcnt lgkmcnt(0)
	ds_write_b64 v14, v[24:25]
	ds_write_b64 v15, v[22:23]
	s_waitcnt lgkmcnt(0)
	; wave barrier
	s_waitcnt lgkmcnt(0)
	ds_read2_b64 v[14:17], v19 offset1:1
	s_add_i32 s34, s34, 4
	s_waitcnt lgkmcnt(0)
	; wave barrier
	s_waitcnt lgkmcnt(0)
	s_cbranch_execz .LBB144_26
.LBB144_15:                             ; =>This Loop Header: Depth=1
                                        ;     Child Loop BB144_18 Depth 2
	v_pk_mov_b32 v[26:27], v[12:13], v[12:13] op_sel:[0,1]
	v_pk_mov_b32 v[28:29], v[10:11], v[10:11] op_sel:[0,1]
	;; [unrolled: 1-line block ×4, first 2 shown]
	s_and_saveexec_b64 s[22:23], s[4:5]
	s_cbranch_execz .LBB144_22
; %bb.16:                               ;   in Loop: Header=BB144_15 Depth=1
	s_mov_b32 s36, 0
	s_mov_b64 s[24:25], 0
	v_pk_mov_b32 v[10:11], v[0:1], v[0:1] op_sel:[0,1]
	s_branch .LBB144_18
.LBB144_17:                             ;   in Loop: Header=BB144_18 Depth=2
	s_or_b64 exec, exec, s[28:29]
	s_add_i32 s36, s36, 2
	v_cmp_eq_u32_e32 vcc, s36, v34
	v_add_u32_e32 v11, 32, v11
	s_or_b64 s[24:25], vcc, s[24:25]
	v_add_u32_e32 v10, 32, v10
	s_andn2_b64 exec, exec, s[24:25]
	s_cbranch_execz .LBB144_22
.LBB144_18:                             ;   Parent Loop BB144_15 Depth=1
                                        ; =>  This Inner Loop Header: Depth=2
	s_or_b32 s26, s36, 1
	v_cmp_le_u32_e64 s[26:27], s26, 7
	v_cmp_le_u32_e64 s[38:39], s36, 7
	s_and_saveexec_b64 s[28:29], s[38:39]
	s_cbranch_execz .LBB144_20
; %bb.19:                               ;   in Loop: Header=BB144_18 Depth=2
	v_lshlrev_b32_e32 v12, 2, v10
	ds_write_b32 v12, v35
.LBB144_20:                             ;   in Loop: Header=BB144_18 Depth=2
	s_or_b64 exec, exec, s[28:29]
	s_and_saveexec_b64 s[28:29], s[26:27]
	s_cbranch_execz .LBB144_17
; %bb.21:                               ;   in Loop: Header=BB144_18 Depth=2
	v_lshlrev_b32_e32 v12, 2, v11
	ds_write_b32 v12, v35
	s_branch .LBB144_17
.LBB144_22:                             ;   in Loop: Header=BB144_15 Depth=1
	s_or_b64 exec, exec, s[22:23]
	s_sub_i32 s22, 64, s34
	s_min_u32 s22, s33, s22
	s_lshl_b32 s22, -1, s22
	s_not_b32 s22, s22
	v_lshrrev_b64 v[10:11], s34, v[28:29]
	v_and_b32_e32 v10, s22, v10
	v_lshrrev_b32_e32 v11, 3, v10
	v_lshlrev_b32_e32 v10, 4, v10
	v_and_or_b32 v10, v10, s35, v0
	v_lshlrev_b32_e32 v10, 1, v10
	v_add_lshl_u32 v37, v10, v11, 1
	ds_read_u16 v36, v37
	v_lshrrev_b64 v[10:11], s34, v[26:27]
	v_and_b32_e32 v10, s22, v10
	s_waitcnt lgkmcnt(0)
	v_add_u16_e32 v11, 1, v36
	ds_write_b16 v37, v11
	v_lshrrev_b32_e32 v11, 3, v10
	v_lshlrev_b32_e32 v10, 4, v10
	v_and_or_b32 v10, v10, s35, v0
	v_lshlrev_b32_e32 v10, 1, v10
	v_add_lshl_u32 v39, v10, v11, 1
	ds_read_u16 v38, v39
	s_waitcnt lgkmcnt(0)
	v_add_u16_e32 v10, 1, v38
	ds_write_b16 v39, v10
	s_waitcnt lgkmcnt(0)
	; wave barrier
	s_waitcnt lgkmcnt(0)
	ds_read2_b32 v[16:17], v21 offset1:1
	ds_read2_b32 v[14:15], v21 offset0:2 offset1:3
	ds_read2_b32 v[10:11], v21 offset0:4 offset1:5
	;; [unrolled: 1-line block ×3, first 2 shown]
	s_waitcnt lgkmcnt(3)
	v_add_u32_e32 v40, v17, v16
	s_waitcnt lgkmcnt(2)
	v_add3_u32 v40, v40, v14, v15
	s_waitcnt lgkmcnt(1)
	v_add3_u32 v40, v40, v10, v11
	;; [unrolled: 2-line block ×3, first 2 shown]
	s_nop 1
	v_mov_b32_dpp v40, v13 row_shr:1 row_mask:0xf bank_mask:0xf
	v_cndmask_b32_e64 v40, v40, 0, s[6:7]
	v_add_u32_e32 v13, v40, v13
	s_nop 1
	v_mov_b32_dpp v40, v13 row_shr:2 row_mask:0xf bank_mask:0xf
	v_cndmask_b32_e64 v40, 0, v40, s[8:9]
	v_add_u32_e32 v13, v13, v40
	s_nop 1
	v_mov_b32_dpp v40, v13 row_shr:4 row_mask:0xf bank_mask:0xf
	v_cndmask_b32_e64 v40, 0, v40, s[10:11]
	v_add_u32_e32 v13, v13, v40
	s_nop 1
	v_mov_b32_dpp v40, v13 row_shr:8 row_mask:0xf bank_mask:0xf
	v_cndmask_b32_e64 v40, 0, v40, s[12:13]
	v_add_u32_e32 v13, v13, v40
	s_and_saveexec_b64 s[22:23], s[14:15]
	s_cbranch_execz .LBB144_24
; %bb.23:                               ;   in Loop: Header=BB144_15 Depth=1
	ds_write_b32 v35, v13 offset:512
.LBB144_24:                             ;   in Loop: Header=BB144_15 Depth=1
	s_or_b64 exec, exec, s[22:23]
	ds_bpermute_b32 v13, v32, v13
	s_waitcnt lgkmcnt(0)
	; wave barrier
	s_waitcnt lgkmcnt(0)
	ds_read_b32 v40, v35 offset:512
	s_cmp_gt_u32 s34, 59
	v_cndmask_b32_e64 v13, v13, 0, s[16:17]
	s_waitcnt lgkmcnt(0)
	v_lshl_add_u32 v13, v40, 16, v13
	v_add_u32_e32 v16, v13, v16
	v_add_u32_e32 v17, v16, v17
	ds_write2_b32 v21, v13, v16 offset1:1
	v_add_u32_e32 v13, v17, v14
	v_add_u32_e32 v14, v13, v15
	;; [unrolled: 1-line block ×5, first 2 shown]
	ds_write2_b32 v21, v17, v13 offset0:2 offset1:3
	ds_write2_b32 v21, v14, v10 offset0:4 offset1:5
	;; [unrolled: 1-line block ×3, first 2 shown]
	s_waitcnt lgkmcnt(0)
	; wave barrier
	s_waitcnt lgkmcnt(0)
	ds_read_u16 v10, v37
	ds_read_u16 v11, v39
	s_waitcnt lgkmcnt(1)
	v_add_u32_sdwa v36, v10, v36 dst_sel:DWORD dst_unused:UNUSED_PAD src0_sel:DWORD src1_sel:WORD_0
	s_waitcnt lgkmcnt(0)
	v_add_u32_sdwa v37, v11, v38 dst_sel:DWORD dst_unused:UNUSED_PAD src0_sel:DWORD src1_sel:WORD_0
	s_cbranch_scc0 .LBB144_14
; %bb.25:
                                        ; implicit-def: $vgpr12_vgpr13
                                        ; implicit-def: $vgpr16_vgpr17
                                        ; implicit-def: $sgpr34
.LBB144_26:
	v_lshlrev_b32_e32 v10, 3, v36
	v_lshlrev_b32_e32 v11, 3, v37
	s_waitcnt lgkmcnt(0)
	; wave barrier
	ds_write_b64 v10, v[28:29]
	ds_write_b64 v11, v[26:27]
	s_waitcnt lgkmcnt(0)
	; wave barrier
	s_waitcnt lgkmcnt(0)
	ds_read2_b64 v[14:17], v19 offset1:1
	s_waitcnt lgkmcnt(0)
	; wave barrier
	s_waitcnt lgkmcnt(0)
	ds_write_b64 v10, v[24:25]
	ds_write_b64 v11, v[22:23]
	s_waitcnt lgkmcnt(0)
	; wave barrier
	s_waitcnt lgkmcnt(0)
	ds_read2_b64 v[10:13], v19 offset1:1
	v_xor_b32_e32 v15, 0x80000000, v15
	v_xor_b32_e32 v17, 0x80000000, v17
	s_branch .LBB144_42
.LBB144_27:
                                        ; implicit-def: $vgpr16_vgpr17
                                        ; implicit-def: $vgpr12_vgpr13
	s_cbranch_execz .LBB144_42
; %bb.28:
	v_xor_b32_e32 v3, 0x7fffffff, v3
	v_xor_b32_e32 v2, -1, v2
	v_xor_b32_e32 v5, 0x7fffffff, v5
	v_xor_b32_e32 v4, -1, v4
	v_and_b32_e32 v22, 14, v33
	s_mov_b32 s35, 0
	v_mov_b32_e32 v23, 0
	s_movk_i32 s34, 0x70
	s_branch .LBB144_30
.LBB144_29:                             ;   in Loop: Header=BB144_30 Depth=1
	v_lshlrev_b32_e32 v6, 3, v24
	v_lshlrev_b32_e32 v7, 3, v25
	s_waitcnt lgkmcnt(0)
	; wave barrier
	ds_write_b64 v6, v[16:17]
	ds_write_b64 v7, v[14:15]
	s_waitcnt lgkmcnt(0)
	; wave barrier
	s_waitcnt lgkmcnt(0)
	ds_read2_b64 v[2:5], v19 offset1:1
	s_waitcnt lgkmcnt(0)
	; wave barrier
	s_waitcnt lgkmcnt(0)
	ds_write_b64 v6, v[12:13]
	ds_write_b64 v7, v[10:11]
	s_waitcnt lgkmcnt(0)
	; wave barrier
	s_waitcnt lgkmcnt(0)
	ds_read2_b64 v[6:9], v19 offset1:1
	s_add_i32 s35, s35, 4
	s_waitcnt lgkmcnt(0)
	; wave barrier
	s_waitcnt lgkmcnt(0)
	s_cbranch_execz .LBB144_41
.LBB144_30:                             ; =>This Loop Header: Depth=1
                                        ;     Child Loop BB144_33 Depth 2
	v_pk_mov_b32 v[14:15], v[4:5], v[4:5] op_sel:[0,1]
	v_pk_mov_b32 v[16:17], v[2:3], v[2:3] op_sel:[0,1]
	s_waitcnt lgkmcnt(0)
	v_pk_mov_b32 v[10:11], v[8:9], v[8:9] op_sel:[0,1]
	v_pk_mov_b32 v[12:13], v[6:7], v[6:7] op_sel:[0,1]
	s_and_saveexec_b64 s[22:23], s[4:5]
	s_cbranch_execz .LBB144_37
; %bb.31:                               ;   in Loop: Header=BB144_30 Depth=1
	s_mov_b32 s36, 0
	s_mov_b64 s[24:25], 0
	v_pk_mov_b32 v[2:3], v[0:1], v[0:1] op_sel:[0,1]
	s_branch .LBB144_33
.LBB144_32:                             ;   in Loop: Header=BB144_33 Depth=2
	s_or_b64 exec, exec, s[28:29]
	s_add_i32 s36, s36, 2
	v_cmp_eq_u32_e32 vcc, s36, v22
	v_add_u32_e32 v3, 32, v3
	s_or_b64 s[24:25], vcc, s[24:25]
	v_add_u32_e32 v2, 32, v2
	s_andn2_b64 exec, exec, s[24:25]
	s_cbranch_execz .LBB144_37
.LBB144_33:                             ;   Parent Loop BB144_30 Depth=1
                                        ; =>  This Inner Loop Header: Depth=2
	s_or_b32 s26, s36, 1
	v_cmp_le_u32_e64 s[26:27], s26, 7
	v_cmp_le_u32_e64 s[38:39], s36, 7
	s_and_saveexec_b64 s[28:29], s[38:39]
	s_cbranch_execz .LBB144_35
; %bb.34:                               ;   in Loop: Header=BB144_33 Depth=2
	v_lshlrev_b32_e32 v4, 2, v2
	ds_write_b32 v4, v23
.LBB144_35:                             ;   in Loop: Header=BB144_33 Depth=2
	s_or_b64 exec, exec, s[28:29]
	s_and_saveexec_b64 s[28:29], s[26:27]
	s_cbranch_execz .LBB144_32
; %bb.36:                               ;   in Loop: Header=BB144_33 Depth=2
	v_lshlrev_b32_e32 v4, 2, v3
	ds_write_b32 v4, v23
	s_branch .LBB144_32
.LBB144_37:                             ;   in Loop: Header=BB144_30 Depth=1
	s_or_b64 exec, exec, s[22:23]
	s_sub_i32 s22, 64, s35
	s_min_u32 s22, s33, s22
	s_lshl_b32 s22, -1, s22
	s_not_b32 s22, s22
	v_lshrrev_b64 v[2:3], s35, v[16:17]
	v_and_b32_e32 v2, s22, v2
	v_lshrrev_b32_e32 v3, 3, v2
	v_lshlrev_b32_e32 v2, 4, v2
	v_and_or_b32 v2, v2, s34, v0
	v_lshlrev_b32_e32 v2, 1, v2
	v_add_lshl_u32 v25, v2, v3, 1
	ds_read_u16 v24, v25
	v_lshrrev_b64 v[2:3], s35, v[14:15]
	v_and_b32_e32 v2, s22, v2
	s_waitcnt lgkmcnt(0)
	v_add_u16_e32 v3, 1, v24
	ds_write_b16 v25, v3
	v_lshrrev_b32_e32 v3, 3, v2
	v_lshlrev_b32_e32 v2, 4, v2
	v_and_or_b32 v2, v2, s34, v0
	v_lshlrev_b32_e32 v2, 1, v2
	v_add_lshl_u32 v27, v2, v3, 1
	ds_read_u16 v26, v27
	s_waitcnt lgkmcnt(0)
	v_add_u16_e32 v2, 1, v26
	ds_write_b16 v27, v2
	s_waitcnt lgkmcnt(0)
	; wave barrier
	s_waitcnt lgkmcnt(0)
	ds_read2_b32 v[8:9], v21 offset1:1
	ds_read2_b32 v[6:7], v21 offset0:2 offset1:3
	ds_read2_b32 v[2:3], v21 offset0:4 offset1:5
	;; [unrolled: 1-line block ×3, first 2 shown]
	s_waitcnt lgkmcnt(3)
	v_add_u32_e32 v28, v9, v8
	s_waitcnt lgkmcnt(2)
	v_add3_u32 v28, v28, v6, v7
	s_waitcnt lgkmcnt(1)
	v_add3_u32 v28, v28, v2, v3
	;; [unrolled: 2-line block ×3, first 2 shown]
	s_nop 1
	v_mov_b32_dpp v28, v5 row_shr:1 row_mask:0xf bank_mask:0xf
	v_cndmask_b32_e64 v28, v28, 0, s[6:7]
	v_add_u32_e32 v5, v28, v5
	s_nop 1
	v_mov_b32_dpp v28, v5 row_shr:2 row_mask:0xf bank_mask:0xf
	v_cndmask_b32_e64 v28, 0, v28, s[8:9]
	v_add_u32_e32 v5, v5, v28
	;; [unrolled: 4-line block ×4, first 2 shown]
	s_and_saveexec_b64 s[22:23], s[14:15]
	s_cbranch_execz .LBB144_39
; %bb.38:                               ;   in Loop: Header=BB144_30 Depth=1
	ds_write_b32 v23, v5 offset:512
.LBB144_39:                             ;   in Loop: Header=BB144_30 Depth=1
	s_or_b64 exec, exec, s[22:23]
	ds_bpermute_b32 v5, v32, v5
	s_waitcnt lgkmcnt(0)
	; wave barrier
	s_waitcnt lgkmcnt(0)
	ds_read_b32 v28, v23 offset:512
	s_cmp_gt_u32 s35, 59
	v_cndmask_b32_e64 v5, v5, 0, s[16:17]
	s_waitcnt lgkmcnt(0)
	v_lshl_add_u32 v5, v28, 16, v5
	v_add_u32_e32 v8, v5, v8
	v_add_u32_e32 v9, v8, v9
	ds_write2_b32 v21, v5, v8 offset1:1
	v_add_u32_e32 v5, v9, v6
	v_add_u32_e32 v6, v5, v7
	;; [unrolled: 1-line block ×5, first 2 shown]
	ds_write2_b32 v21, v9, v5 offset0:2 offset1:3
	ds_write2_b32 v21, v6, v2 offset0:4 offset1:5
	;; [unrolled: 1-line block ×3, first 2 shown]
	s_waitcnt lgkmcnt(0)
	; wave barrier
	s_waitcnt lgkmcnt(0)
	ds_read_u16 v2, v25
	ds_read_u16 v3, v27
	s_waitcnt lgkmcnt(1)
	v_add_u32_sdwa v24, v2, v24 dst_sel:DWORD dst_unused:UNUSED_PAD src0_sel:DWORD src1_sel:WORD_0
	s_waitcnt lgkmcnt(0)
	v_add_u32_sdwa v25, v3, v26 dst_sel:DWORD dst_unused:UNUSED_PAD src0_sel:DWORD src1_sel:WORD_0
	s_cbranch_scc0 .LBB144_29
; %bb.40:
                                        ; implicit-def: $vgpr4_vgpr5
                                        ; implicit-def: $vgpr8_vgpr9
                                        ; implicit-def: $sgpr35
.LBB144_41:
	v_lshlrev_b32_e32 v4, 3, v24
	v_lshlrev_b32_e32 v5, 3, v25
	s_waitcnt lgkmcnt(0)
	; wave barrier
	ds_write_b64 v4, v[16:17]
	ds_write_b64 v5, v[14:15]
	s_waitcnt lgkmcnt(0)
	; wave barrier
	s_waitcnt lgkmcnt(0)
	ds_read2_b64 v[0:3], v19 offset1:1
	s_waitcnt lgkmcnt(0)
	; wave barrier
	s_waitcnt lgkmcnt(0)
	ds_write_b64 v4, v[12:13]
	ds_write_b64 v5, v[10:11]
	s_waitcnt lgkmcnt(0)
	; wave barrier
	s_waitcnt lgkmcnt(0)
	ds_read2_b64 v[10:13], v19 offset1:1
	v_xor_b32_e32 v15, 0x7fffffff, v1
	v_xor_b32_e32 v14, -1, v0
	v_xor_b32_e32 v17, 0x7fffffff, v3
	v_xor_b32_e32 v16, -1, v2
.LBB144_42:
	s_waitcnt lgkmcnt(0)
	; wave barrier
	s_waitcnt lgkmcnt(0)
	ds_write2_b64 v31, v[14:15], v[16:17] offset1:1
	s_waitcnt lgkmcnt(0)
	; wave barrier
	s_waitcnt lgkmcnt(0)
	ds_read_b64 v[0:1], v30 offset:128
	v_mov_b32_e32 v19, 0
	v_lshlrev_b64 v[2:3], 3, v[18:19]
	v_mov_b32_e32 v4, s21
	v_add_co_u32_e32 v2, vcc, s19, v2
	v_addc_co_u32_e32 v3, vcc, v4, v3, vcc
	s_and_saveexec_b64 s[4:5], s[0:1]
	s_cbranch_execz .LBB144_44
; %bb.43:
	ds_read_b64 v[4:5], v30
	s_waitcnt lgkmcnt(0)
	global_store_dwordx2 v[2:3], v[4:5], off
.LBB144_44:
	s_or_b64 exec, exec, s[4:5]
	s_and_saveexec_b64 s[4:5], s[2:3]
	s_cbranch_execz .LBB144_46
; %bb.45:
	s_lshl_b32 s6, s18, 4
	s_mov_b32 s7, 0
	s_lshl_b64 s[6:7], s[6:7], 3
	v_mov_b32_e32 v4, s7
	v_add_co_u32_e32 v2, vcc, s6, v2
	v_addc_co_u32_e32 v3, vcc, v3, v4, vcc
	s_waitcnt lgkmcnt(0)
	global_store_dwordx2 v[2:3], v[0:1], off
.LBB144_46:
	s_or_b64 exec, exec, s[4:5]
	s_waitcnt lgkmcnt(0)
	; wave barrier
	s_waitcnt lgkmcnt(0)
	ds_write2_b64 v31, v[10:11], v[12:13] offset1:1
	s_waitcnt lgkmcnt(0)
	; wave barrier
	s_waitcnt lgkmcnt(0)
	ds_read_b64 v[0:1], v30 offset:128
	v_mov_b32_e32 v21, 0
	v_lshlrev_b64 v[2:3], 3, v[20:21]
	v_mov_b32_e32 v4, s31
	v_add_co_u32_e32 v2, vcc, s30, v2
	v_addc_co_u32_e32 v3, vcc, v4, v3, vcc
	s_and_saveexec_b64 s[4:5], s[0:1]
	s_cbranch_execz .LBB144_48
; %bb.47:
	ds_read_b64 v[4:5], v30
	s_waitcnt lgkmcnt(0)
	global_store_dwordx2 v[2:3], v[4:5], off
.LBB144_48:
	s_or_b64 exec, exec, s[4:5]
	s_and_saveexec_b64 s[0:1], s[2:3]
	s_cbranch_execz .LBB144_50
; %bb.49:
	s_lshl_b32 s0, s20, 4
	s_mov_b32 s1, 0
	s_lshl_b64 s[0:1], s[0:1], 3
	v_mov_b32_e32 v4, s1
	v_add_co_u32_e32 v2, vcc, s0, v2
	v_addc_co_u32_e32 v3, vcc, v3, v4, vcc
	s_waitcnt lgkmcnt(0)
	global_store_dwordx2 v[2:3], v[0:1], off
.LBB144_50:
	s_endpgm
	.section	.rodata,"a",@progbits
	.p2align	6, 0x0
	.amdhsa_kernel _ZN2at6native18radixSortKVInPlaceILin2ELin1ELi16ELi2ElljEEvNS_4cuda6detail10TensorInfoIT3_T5_EES6_S6_S6_NS4_IT4_S6_EES6_b
		.amdhsa_group_segment_fixed_size 528
		.amdhsa_private_segment_fixed_size 0
		.amdhsa_kernarg_size 712
		.amdhsa_user_sgpr_count 6
		.amdhsa_user_sgpr_private_segment_buffer 1
		.amdhsa_user_sgpr_dispatch_ptr 0
		.amdhsa_user_sgpr_queue_ptr 0
		.amdhsa_user_sgpr_kernarg_segment_ptr 1
		.amdhsa_user_sgpr_dispatch_id 0
		.amdhsa_user_sgpr_flat_scratch_init 0
		.amdhsa_user_sgpr_kernarg_preload_length 0
		.amdhsa_user_sgpr_kernarg_preload_offset 0
		.amdhsa_user_sgpr_private_segment_size 0
		.amdhsa_uses_dynamic_stack 0
		.amdhsa_system_sgpr_private_segment_wavefront_offset 0
		.amdhsa_system_sgpr_workgroup_id_x 1
		.amdhsa_system_sgpr_workgroup_id_y 1
		.amdhsa_system_sgpr_workgroup_id_z 1
		.amdhsa_system_sgpr_workgroup_info 0
		.amdhsa_system_vgpr_workitem_id 0
		.amdhsa_next_free_vgpr 41
		.amdhsa_next_free_sgpr 40
		.amdhsa_accum_offset 44
		.amdhsa_reserve_vcc 1
		.amdhsa_reserve_flat_scratch 0
		.amdhsa_float_round_mode_32 0
		.amdhsa_float_round_mode_16_64 0
		.amdhsa_float_denorm_mode_32 3
		.amdhsa_float_denorm_mode_16_64 3
		.amdhsa_dx10_clamp 1
		.amdhsa_ieee_mode 1
		.amdhsa_fp16_overflow 0
		.amdhsa_tg_split 0
		.amdhsa_exception_fp_ieee_invalid_op 0
		.amdhsa_exception_fp_denorm_src 0
		.amdhsa_exception_fp_ieee_div_zero 0
		.amdhsa_exception_fp_ieee_overflow 0
		.amdhsa_exception_fp_ieee_underflow 0
		.amdhsa_exception_fp_ieee_inexact 0
		.amdhsa_exception_int_div_zero 0
	.end_amdhsa_kernel
	.section	.text._ZN2at6native18radixSortKVInPlaceILin2ELin1ELi16ELi2ElljEEvNS_4cuda6detail10TensorInfoIT3_T5_EES6_S6_S6_NS4_IT4_S6_EES6_b,"axG",@progbits,_ZN2at6native18radixSortKVInPlaceILin2ELin1ELi16ELi2ElljEEvNS_4cuda6detail10TensorInfoIT3_T5_EES6_S6_S6_NS4_IT4_S6_EES6_b,comdat
.Lfunc_end144:
	.size	_ZN2at6native18radixSortKVInPlaceILin2ELin1ELi16ELi2ElljEEvNS_4cuda6detail10TensorInfoIT3_T5_EES6_S6_S6_NS4_IT4_S6_EES6_b, .Lfunc_end144-_ZN2at6native18radixSortKVInPlaceILin2ELin1ELi16ELi2ElljEEvNS_4cuda6detail10TensorInfoIT3_T5_EES6_S6_S6_NS4_IT4_S6_EES6_b
                                        ; -- End function
	.section	.AMDGPU.csdata,"",@progbits
; Kernel info:
; codeLenInByte = 3076
; NumSgprs: 44
; NumVgprs: 41
; NumAgprs: 0
; TotalNumVgprs: 41
; ScratchSize: 0
; MemoryBound: 0
; FloatMode: 240
; IeeeMode: 1
; LDSByteSize: 528 bytes/workgroup (compile time only)
; SGPRBlocks: 5
; VGPRBlocks: 5
; NumSGPRsForWavesPerEU: 44
; NumVGPRsForWavesPerEU: 41
; AccumOffset: 44
; Occupancy: 8
; WaveLimiterHint : 1
; COMPUTE_PGM_RSRC2:SCRATCH_EN: 0
; COMPUTE_PGM_RSRC2:USER_SGPR: 6
; COMPUTE_PGM_RSRC2:TRAP_HANDLER: 0
; COMPUTE_PGM_RSRC2:TGID_X_EN: 1
; COMPUTE_PGM_RSRC2:TGID_Y_EN: 1
; COMPUTE_PGM_RSRC2:TGID_Z_EN: 1
; COMPUTE_PGM_RSRC2:TIDIG_COMP_CNT: 0
; COMPUTE_PGM_RSRC3_GFX90A:ACCUM_OFFSET: 10
; COMPUTE_PGM_RSRC3_GFX90A:TG_SPLIT: 0
	.section	.text._ZN2at6native18radixSortKVInPlaceILi2ELin1ELi512ELi8ElljEEvNS_4cuda6detail10TensorInfoIT3_T5_EES6_S6_S6_NS4_IT4_S6_EES6_b,"axG",@progbits,_ZN2at6native18radixSortKVInPlaceILi2ELin1ELi512ELi8ElljEEvNS_4cuda6detail10TensorInfoIT3_T5_EES6_S6_S6_NS4_IT4_S6_EES6_b,comdat
	.protected	_ZN2at6native18radixSortKVInPlaceILi2ELin1ELi512ELi8ElljEEvNS_4cuda6detail10TensorInfoIT3_T5_EES6_S6_S6_NS4_IT4_S6_EES6_b ; -- Begin function _ZN2at6native18radixSortKVInPlaceILi2ELin1ELi512ELi8ElljEEvNS_4cuda6detail10TensorInfoIT3_T5_EES6_S6_S6_NS4_IT4_S6_EES6_b
	.globl	_ZN2at6native18radixSortKVInPlaceILi2ELin1ELi512ELi8ElljEEvNS_4cuda6detail10TensorInfoIT3_T5_EES6_S6_S6_NS4_IT4_S6_EES6_b
	.p2align	8
	.type	_ZN2at6native18radixSortKVInPlaceILi2ELin1ELi512ELi8ElljEEvNS_4cuda6detail10TensorInfoIT3_T5_EES6_S6_S6_NS4_IT4_S6_EES6_b,@function
_ZN2at6native18radixSortKVInPlaceILi2ELin1ELi512ELi8ElljEEvNS_4cuda6detail10TensorInfoIT3_T5_EES6_S6_S6_NS4_IT4_S6_EES6_b: ; @_ZN2at6native18radixSortKVInPlaceILi2ELin1ELi512ELi8ElljEEvNS_4cuda6detail10TensorInfoIT3_T5_EES6_S6_S6_NS4_IT4_S6_EES6_b
; %bb.0:
	s_load_dwordx2 s[0:1], s[4:5], 0x1c8
	s_load_dwordx4 s[48:51], s[4:5], 0xd8
	s_add_u32 s54, s4, 0x1c8
	s_addc_u32 s55, s5, 0
	s_waitcnt lgkmcnt(0)
	s_mul_i32 s1, s1, s8
	s_add_i32 s1, s1, s7
	s_mul_i32 s8, s1, s0
	s_add_i32 s8, s8, s6
	s_cmp_ge_u32 s8, s48
	s_cbranch_scc1 .LBB145_110
; %bb.1:
	s_load_dword s9, s[4:5], 0xc
	s_load_dwordx2 s[0:1], s[4:5], 0x6c
	s_load_dword s6, s[4:5], 0x1b8
	s_add_u32 s22, s4, 0xe8
	s_load_dwordx2 s[2:3], s[4:5], 0x0
	s_waitcnt lgkmcnt(0)
	v_cvt_f32_u32_e32 v1, s9
	s_addc_u32 s23, s5, 0
	s_sub_i32 s7, 0, s9
	s_mov_b32 s21, 0
	v_rcp_iflag_f32_e32 v1, v1
	s_mov_b32 s20, s8
	v_mul_f32_e32 v1, 0x4f7ffffe, v1
	v_cvt_u32_f32_e32 v1, v1
	v_readfirstlane_b32 s10, v1
	s_mul_i32 s7, s7, s10
	s_mul_hi_u32 s7, s10, s7
	s_add_i32 s10, s10, s7
	s_mul_hi_u32 s10, s8, s10
	s_cmp_lt_i32 s6, 2
	s_cbranch_scc1 .LBB145_4
; %bb.2:
	s_add_i32 s20, s6, -1
	s_add_i32 s11, s6, 1
	s_lshl_b64 s[6:7], s[20:21], 2
	s_add_u32 s6, s6, s22
	s_addc_u32 s7, s7, s23
	s_add_u32 s6, s6, 8
	s_addc_u32 s7, s7, 0
	s_mov_b32 s20, s8
.LBB145_3:                              ; =>This Inner Loop Header: Depth=1
	s_load_dword s12, s[6:7], 0x0
	s_load_dword s14, s[6:7], 0x64
	s_mov_b32 s13, s20
	s_waitcnt lgkmcnt(0)
	v_cvt_f32_u32_e32 v1, s12
	s_sub_i32 s15, 0, s12
	v_rcp_iflag_f32_e32 v1, v1
	v_mul_f32_e32 v1, 0x4f7ffffe, v1
	v_cvt_u32_f32_e32 v1, v1
	v_readfirstlane_b32 s16, v1
	s_mul_i32 s15, s15, s16
	s_mul_hi_u32 s15, s16, s15
	s_add_i32 s16, s16, s15
	s_mul_hi_u32 s15, s20, s16
	s_mul_i32 s16, s15, s12
	s_sub_i32 s16, s20, s16
	s_add_i32 s17, s15, 1
	s_sub_i32 s18, s16, s12
	s_cmp_ge_u32 s16, s12
	s_cselect_b32 s15, s17, s15
	s_cselect_b32 s16, s18, s16
	s_add_i32 s17, s15, 1
	s_cmp_ge_u32 s16, s12
	s_cselect_b32 s20, s17, s15
	s_mul_i32 s12, s20, s12
	s_sub_i32 s12, s13, s12
	s_mul_i32 s12, s14, s12
	s_add_i32 s11, s11, -1
	s_add_i32 s21, s12, s21
	s_add_u32 s6, s6, -4
	s_addc_u32 s7, s7, -1
	s_cmp_gt_u32 s11, 2
	s_cbranch_scc1 .LBB145_3
.LBB145_4:
	s_mul_i32 s6, s10, s9
	s_sub_i32 s6, s8, s6
	s_add_i32 s7, s10, 1
	s_sub_i32 s11, s6, s9
	s_cmp_ge_u32 s6, s9
	s_cselect_b32 s7, s7, s10
	s_cselect_b32 s6, s11, s6
	s_add_i32 s10, s7, 1
	s_cmp_ge_u32 s6, s9
	s_cselect_b32 s6, s10, s7
	s_load_dwordx2 s[52:53], s[4:5], 0x1c0
	s_mul_i32 s7, s6, s9
	s_sub_i32 s4, s8, s7
	s_mul_i32 s4, s4, s1
	s_mul_i32 s0, s6, s0
	s_add_i32 s0, s0, s4
	s_waitcnt lgkmcnt(0)
	s_bitcmp1_b32 s53, 0
	s_cselect_b64 s[34:35], -1, 0
	s_and_b64 s[4:5], s[34:35], exec
	s_mov_b32 s1, 0
	s_brev_b32 s5, 1
	s_cselect_b32 s4, 0, -1
	s_cselect_b32 s5, s5, 0x7fffffff
	s_lshl_b64 s[0:1], s[0:1], 3
	s_add_u32 s33, s2, s0
	v_and_b32_e32 v70, 0x3ff, v0
	s_mov_b32 s6, s4
	s_mov_b32 s7, s5
	;; [unrolled: 1-line block ×14, first 2 shown]
	v_pk_mov_b32 v[2:3], s[4:5], s[4:5] op_sel:[0,1]
	s_addc_u32 s51, s3, s1
	v_cmp_gt_u32_e64 s[0:1], s49, v70
	v_pk_mov_b32 v[4:5], s[6:7], s[6:7] op_sel:[0,1]
	v_pk_mov_b32 v[6:7], s[8:9], s[8:9] op_sel:[0,1]
	;; [unrolled: 1-line block ×8, first 2 shown]
	v_mul_lo_u32 v66, v70, s50
	s_and_saveexec_b64 s[2:3], s[0:1]
	s_cbranch_execz .LBB145_6
; %bb.5:
	v_mov_b32_e32 v67, 0
	v_lshlrev_b64 v[2:3], 3, v[66:67]
	v_mov_b32_e32 v1, s51
	v_add_co_u32_e32 v2, vcc, s33, v2
	v_addc_co_u32_e32 v3, vcc, v1, v3, vcc
	global_load_dwordx2 v[18:19], v[2:3], off
	v_pk_mov_b32 v[2:3], s[4:5], s[4:5] op_sel:[0,1]
	v_pk_mov_b32 v[4:5], s[6:7], s[6:7] op_sel:[0,1]
	;; [unrolled: 1-line block ×8, first 2 shown]
.LBB145_6:
	s_or_b64 exec, exec, s[2:3]
	v_add_u32_e32 v1, 0x200, v70
	v_cmp_gt_u32_e64 s[2:3], s49, v1
	s_and_saveexec_b64 s[4:5], s[2:3]
	s_cbranch_execz .LBB145_8
; %bb.7:
	v_mul_lo_u32 v2, v1, s50
	v_mov_b32_e32 v3, 0
	v_lshlrev_b64 v[2:3], 3, v[2:3]
	v_mov_b32_e32 v4, s51
	v_add_co_u32_e32 v2, vcc, s33, v2
	v_addc_co_u32_e32 v3, vcc, v4, v3, vcc
	global_load_dwordx2 v[4:5], v[2:3], off
.LBB145_8:
	s_or_b64 exec, exec, s[4:5]
	v_or_b32_e32 v34, 0x400, v70
	v_cmp_gt_u32_e64 s[4:5], s49, v34
	s_and_saveexec_b64 s[6:7], s[4:5]
	s_cbranch_execz .LBB145_10
; %bb.9:
	v_mul_lo_u32 v2, v34, s50
	v_mov_b32_e32 v3, 0
	v_lshlrev_b64 v[2:3], 3, v[2:3]
	v_mov_b32_e32 v6, s51
	v_add_co_u32_e32 v2, vcc, s33, v2
	v_addc_co_u32_e32 v3, vcc, v6, v3, vcc
	global_load_dwordx2 v[6:7], v[2:3], off
.LBB145_10:
	s_or_b64 exec, exec, s[6:7]
	v_add_u32_e32 v35, 0x600, v70
	v_cmp_gt_u32_e64 s[6:7], s49, v35
	s_and_saveexec_b64 s[8:9], s[6:7]
	s_cbranch_execz .LBB145_12
; %bb.11:
	v_mul_lo_u32 v2, v35, s50
	v_mov_b32_e32 v3, 0
	v_lshlrev_b64 v[2:3], 3, v[2:3]
	v_mov_b32_e32 v8, s51
	v_add_co_u32_e32 v2, vcc, s33, v2
	v_addc_co_u32_e32 v3, vcc, v8, v3, vcc
	global_load_dwordx2 v[8:9], v[2:3], off
.LBB145_12:
	s_or_b64 exec, exec, s[8:9]
	v_or_b32_e32 v36, 0x800, v70
	v_cmp_gt_u32_e64 s[8:9], s49, v36
	s_and_saveexec_b64 s[10:11], s[8:9]
	s_cbranch_execz .LBB145_14
; %bb.13:
	v_mul_lo_u32 v2, v36, s50
	v_mov_b32_e32 v3, 0
	v_lshlrev_b64 v[2:3], 3, v[2:3]
	v_mov_b32_e32 v10, s51
	v_add_co_u32_e32 v2, vcc, s33, v2
	v_addc_co_u32_e32 v3, vcc, v10, v3, vcc
	global_load_dwordx2 v[10:11], v[2:3], off
.LBB145_14:
	s_or_b64 exec, exec, s[10:11]
	v_add_u32_e32 v37, 0xa00, v70
	v_cmp_gt_u32_e64 s[10:11], s49, v37
	s_and_saveexec_b64 s[12:13], s[10:11]
	s_cbranch_execz .LBB145_16
; %bb.15:
	v_mul_lo_u32 v2, v37, s50
	v_mov_b32_e32 v3, 0
	v_lshlrev_b64 v[2:3], 3, v[2:3]
	v_mov_b32_e32 v12, s51
	v_add_co_u32_e32 v2, vcc, s33, v2
	v_addc_co_u32_e32 v3, vcc, v12, v3, vcc
	global_load_dwordx2 v[12:13], v[2:3], off
.LBB145_16:
	s_or_b64 exec, exec, s[12:13]
	s_load_dwordx2 s[18:19], s[22:23], 0x0
	v_or_b32_e32 v38, 0xc00, v70
	v_cmp_gt_u32_e64 s[12:13], s49, v38
	s_and_saveexec_b64 s[14:15], s[12:13]
	s_cbranch_execz .LBB145_18
; %bb.17:
	v_mul_lo_u32 v2, v38, s50
	v_mov_b32_e32 v3, 0
	v_lshlrev_b64 v[2:3], 3, v[2:3]
	v_mov_b32_e32 v14, s51
	v_add_co_u32_e32 v2, vcc, s33, v2
	v_addc_co_u32_e32 v3, vcc, v14, v3, vcc
	global_load_dwordx2 v[14:15], v[2:3], off
.LBB145_18:
	s_or_b64 exec, exec, s[14:15]
	s_load_dword s22, s[22:23], 0x6c
	v_add_u32_e32 v39, 0xe00, v70
	v_cmp_gt_u32_e64 s[14:15], s49, v39
	s_and_saveexec_b64 s[16:17], s[14:15]
	s_cbranch_execz .LBB145_20
; %bb.19:
	v_mul_lo_u32 v2, v39, s50
	v_mov_b32_e32 v3, 0
	v_lshlrev_b64 v[2:3], 3, v[2:3]
	v_mov_b32_e32 v16, s51
	v_add_co_u32_e32 v2, vcc, s33, v2
	v_addc_co_u32_e32 v3, vcc, v16, v3, vcc
	global_load_dwordx2 v[16:17], v[2:3], off
.LBB145_20:
	s_or_b64 exec, exec, s[16:17]
	v_lshrrev_b32_e32 v2, 5, v70
	v_add_lshl_u32 v71, v2, v70, 3
	v_lshrrev_b32_e32 v2, 5, v1
	v_add_lshl_u32 v104, v2, v70, 3
	;; [unrolled: 2-line block ×8, first 2 shown]
	v_lshlrev_b32_e32 v67, 3, v70
	v_lshrrev_b32_e32 v2, 2, v70
	v_add_lshl_u32 v111, v2, v67, 3
	s_waitcnt vmcnt(0)
	ds_write_b64 v71, v[18:19]
	ds_write_b64 v104, v[4:5] offset:4096
	ds_write_b64 v105, v[6:7] offset:8192
	;; [unrolled: 1-line block ×7, first 2 shown]
	s_waitcnt lgkmcnt(0)
	s_barrier
	ds_read2_b64 v[30:33], v111 offset1:1
	ds_read2_b64 v[26:29], v111 offset0:2 offset1:3
	ds_read2_b64 v[22:25], v111 offset0:4 offset1:5
	ds_read2_b64 v[18:21], v111 offset0:6 offset1:7
	s_mul_i32 s16, s22, s20
	s_add_i32 s16, s16, s21
	s_mov_b32 s17, 0
	s_lshl_b64 s[20:21], s[16:17], 3
	s_add_u32 s53, s18, s20
	s_mov_b32 s16, s17
	s_addc_u32 s56, s19, s21
	s_mov_b32 s18, s17
	s_mov_b32 s19, s17
	;; [unrolled: 1-line block ×14, first 2 shown]
	v_pk_mov_b32 v[2:3], s[16:17], s[16:17] op_sel:[0,1]
	v_pk_mov_b32 v[4:5], s[18:19], s[18:19] op_sel:[0,1]
	;; [unrolled: 1-line block ×8, first 2 shown]
	v_pk_mov_b32 v[2:3], 0, 0
	v_mul_lo_u32 v68, v70, s52
	s_waitcnt lgkmcnt(0)
	s_barrier
	s_and_saveexec_b64 s[16:17], s[0:1]
	s_cbranch_execnz .LBB145_57
; %bb.21:
	s_or_b64 exec, exec, s[16:17]
	s_and_saveexec_b64 s[16:17], s[2:3]
	s_cbranch_execnz .LBB145_58
.LBB145_22:
	s_or_b64 exec, exec, s[16:17]
	s_and_saveexec_b64 s[16:17], s[4:5]
	s_cbranch_execnz .LBB145_59
.LBB145_23:
	s_or_b64 exec, exec, s[16:17]
	s_and_saveexec_b64 s[16:17], s[6:7]
	s_cbranch_execnz .LBB145_60
.LBB145_24:
	s_or_b64 exec, exec, s[16:17]
	s_and_saveexec_b64 s[16:17], s[8:9]
	s_cbranch_execnz .LBB145_61
.LBB145_25:
	s_or_b64 exec, exec, s[16:17]
	s_and_saveexec_b64 s[16:17], s[10:11]
	s_cbranch_execnz .LBB145_62
.LBB145_26:
	s_or_b64 exec, exec, s[16:17]
	s_and_saveexec_b64 s[16:17], s[12:13]
	s_cbranch_execnz .LBB145_63
.LBB145_27:
	s_or_b64 exec, exec, s[16:17]
	s_xor_b64 s[16:17], s[34:35], -1
	s_and_saveexec_b64 s[18:19], s[14:15]
	s_cbranch_execz .LBB145_29
.LBB145_28:
	v_mul_lo_u32 v16, v39, s52
	v_mov_b32_e32 v17, 0
	v_lshlrev_b64 v[16:17], 3, v[16:17]
	v_mov_b32_e32 v1, s56
	v_add_co_u32_e32 v16, vcc, s53, v16
	v_addc_co_u32_e32 v17, vcc, v1, v17, vcc
	global_load_dwordx2 v[16:17], v[16:17], off
.LBB145_29:
	s_or_b64 exec, exec, s[18:19]
	s_waitcnt vmcnt(0)
	ds_write_b64 v71, v[2:3]
	ds_write_b64 v104, v[4:5] offset:4096
	ds_write_b64 v105, v[6:7] offset:8192
	;; [unrolled: 1-line block ×7, first 2 shown]
	s_waitcnt lgkmcnt(0)
	s_barrier
	ds_read2_b64 v[14:17], v111 offset1:1
	ds_read2_b64 v[10:13], v111 offset0:2 offset1:3
	ds_read2_b64 v[6:9], v111 offset0:4 offset1:5
	;; [unrolled: 1-line block ×3, first 2 shown]
	v_mbcnt_lo_u32_b32 v1, -1, 0
	v_mbcnt_hi_u32_b32 v113, -1, v1
	v_and_b32_e32 v1, 0x1e00, v67
	v_and_b32_e32 v114, 0x3c0, v70
	v_or_b32_e32 v34, v113, v1
	v_add_lshl_u32 v125, v113, v114, 6
	v_lshlrev_b32_e32 v124, 3, v34
	s_and_b64 vcc, exec, s[16:17]
	v_bfe_u32 v122, v0, 10, 10
	v_bfe_u32 v123, v0, 20, 10
	v_lshlrev_b32_e32 v69, 2, v70
	v_lshlrev_b32_e32 v112, 4, v70
	v_and_b32_e32 v120, 15, v113
	v_and_b32_e32 v121, 16, v113
	v_cmp_lt_u32_e64 s[16:17], 31, v113
	v_cmp_gt_u32_e64 s[18:19], 8, v70
	v_cmp_lt_u32_e64 s[20:21], 63, v70
	v_add_u32_e32 v117, -1, v113
	v_and_b32_e32 v119, 64, v113
	v_cmp_eq_u32_e64 s[22:23], 0, v113
	v_cmp_eq_u32_e64 s[24:25], 0, v70
	v_lshrrev_b32_e32 v118, 4, v70
	v_and_b32_e32 v116, 7, v113
	v_and_or_b32 v115, v113, 63, v1
	s_waitcnt lgkmcnt(0)
	s_barrier
	s_cbranch_vccz .LBB145_64
; %bb.30:
	v_xor_b32_e32 v1, 0x80000000, v31
	v_xor_b32_e32 v35, 0x80000000, v33
	v_xor_b32_e32 v37, 0x80000000, v27
	v_xor_b32_e32 v39, 0x80000000, v29
	v_xor_b32_e32 v41, 0x80000000, v23
	v_xor_b32_e32 v43, 0x80000000, v25
	v_xor_b32_e32 v45, 0x80000000, v19
	v_xor_b32_e32 v47, 0x80000000, v21
	v_mov_b32_e32 v0, v30
	v_mov_b32_e32 v34, v32
	v_mov_b32_e32 v36, v26
	v_mov_b32_e32 v38, v28
	v_mov_b32_e32 v40, v22
	v_mov_b32_e32 v42, v24
	v_mov_b32_e32 v44, v18
	v_mov_b32_e32 v46, v20
	ds_write2_b64 v125, v[0:1], v[34:35] offset1:1
	ds_write2_b64 v125, v[36:37], v[38:39] offset0:2 offset1:3
	ds_write2_b64 v125, v[40:41], v[42:43] offset0:4 offset1:5
	;; [unrolled: 1-line block ×3, first 2 shown]
	; wave barrier
	ds_read2st64_b64 v[34:37], v124 offset1:1
	ds_read2st64_b64 v[38:41], v124 offset0:2 offset1:3
	ds_read2st64_b64 v[42:45], v124 offset0:4 offset1:5
	;; [unrolled: 1-line block ×3, first 2 shown]
	; wave barrier
	ds_write2_b64 v125, v[14:15], v[16:17] offset1:1
	ds_write2_b64 v125, v[10:11], v[12:13] offset0:2 offset1:3
	ds_write2_b64 v125, v[6:7], v[8:9] offset0:4 offset1:5
	;; [unrolled: 1-line block ×3, first 2 shown]
	; wave barrier
	ds_read2st64_b64 v[50:53], v124 offset1:1
	ds_read2st64_b64 v[54:57], v124 offset0:2 offset1:3
	ds_read2st64_b64 v[58:61], v124 offset0:4 offset1:5
	;; [unrolled: 1-line block ×3, first 2 shown]
	s_waitcnt lgkmcnt(0)
	s_barrier
	s_load_dword s28, s[54:55], 0xc
	s_getpc_b64 s[26:27]
	s_add_u32 s26, s26, _ZN7rocprim17ROCPRIM_400000_NS16block_radix_sortIlLj512ELj8ElLj1ELj1ELj0ELNS0_26block_radix_rank_algorithmE1ELNS0_18block_padding_hintE2ELNS0_4arch9wavefront6targetE1EE19radix_bits_per_passE@rel32@lo+4
	s_addc_u32 s27, s27, _ZN7rocprim17ROCPRIM_400000_NS16block_radix_sortIlLj512ELj8ElLj1ELj1ELj0ELNS0_26block_radix_rank_algorithmE1ELNS0_18block_padding_hintE2ELNS0_4arch9wavefront6targetE1EE19radix_bits_per_passE@rel32@hi+12
	s_load_dword s57, s[26:27], 0x0
	v_cmp_lt_i32_e32 vcc, v117, v119
	v_and_b32_e32 v129, 60, v118
	s_waitcnt lgkmcnt(0)
	s_lshr_b32 s26, s28, 16
	s_and_b32 s27, s28, 0xffff
	v_mad_u32_u24 v0, v123, s26, v122
	v_mad_u64_u32 v[0:1], s[26:27], v0, s27, v[70:71]
	v_lshrrev_b32_e32 v127, 6, v0
	v_min_u32_e32 v0, 0x1c0, v114
	v_or_b32_e32 v0, 63, v0
	v_cmp_eq_u32_e64 s[38:39], v0, v70
	v_cndmask_b32_e32 v0, v117, v113, vcc
	v_add_u32_e32 v126, 32, v112
	v_cmp_eq_u32_e64 s[26:27], 0, v120
	v_cmp_lt_u32_e64 s[28:29], 1, v120
	v_cmp_lt_u32_e64 s[30:31], 3, v120
	;; [unrolled: 1-line block ×3, first 2 shown]
	v_cmp_eq_u32_e64 s[36:37], 0, v121
	s_mov_b32 s58, 64
	v_lshlrev_b32_e32 v128, 2, v0
	v_cmp_eq_u32_e64 s[40:41], 0, v116
	v_cmp_lt_u32_e64 s[42:43], 1, v116
	v_cmp_lt_u32_e64 s[44:45], 3, v116
	v_add_u32_e32 v130, -4, v129
	v_lshlrev_b32_e32 v131, 3, v115
	s_mov_b64 s[48:49], 0
	v_mov_b32_e32 v86, 0
	s_branch .LBB145_32
.LBB145_31:                             ;   in Loop: Header=BB145_32 Depth=1
	v_lshlrev_b32_e32 v50, 3, v138
	v_lshlrev_b32_e32 v51, 3, v137
	;; [unrolled: 1-line block ×8, first 2 shown]
	s_barrier
	ds_write_b64 v50, v[102:103]
	ds_write_b64 v51, v[100:101]
	;; [unrolled: 1-line block ×8, first 2 shown]
	s_waitcnt lgkmcnt(0)
	s_barrier
	ds_read2st64_b64 v[34:37], v131 offset1:1
	ds_read2st64_b64 v[38:41], v131 offset0:2 offset1:3
	ds_read2st64_b64 v[42:45], v131 offset0:4 offset1:5
	;; [unrolled: 1-line block ×3, first 2 shown]
	s_waitcnt lgkmcnt(0)
	s_barrier
	ds_write_b64 v50, v[84:85]
	ds_write_b64 v51, v[82:83]
	;; [unrolled: 1-line block ×8, first 2 shown]
	s_waitcnt lgkmcnt(0)
	s_barrier
	ds_read2st64_b64 v[50:53], v131 offset1:1
	ds_read2st64_b64 v[54:57], v131 offset0:2 offset1:3
	ds_read2st64_b64 v[58:61], v131 offset0:4 offset1:5
	;; [unrolled: 1-line block ×3, first 2 shown]
	s_add_u32 s48, s48, 8
	s_addc_u32 s49, s49, 0
	s_add_i32 s58, s58, -8
	s_waitcnt lgkmcnt(0)
	s_barrier
	s_cbranch_execz .LBB145_56
.LBB145_32:                             ; =>This Inner Loop Header: Depth=1
	s_min_u32 s46, s57, s58
	v_pk_mov_b32 v[102:103], v[34:35], v[34:35] op_sel:[0,1]
	s_lshl_b32 s46, -1, s46
	s_not_b32 s59, s46
	v_lshrrev_b64 v[34:35], s48, v[102:103]
	v_and_b32_e32 v34, s59, v34
	v_lshl_add_u32 v35, v34, 3, v127
	v_pk_mov_b32 v[98:99], v[38:39], v[38:39] op_sel:[0,1]
	v_lshl_add_u32 v38, v35, 2, 32
	v_and_b32_e32 v35, 1, v34
	v_pk_mov_b32 v[100:101], v[36:37], v[36:37] op_sel:[0,1]
	v_add_co_u32_e32 v36, vcc, -1, v35
	v_addc_co_u32_e64 v37, s[46:47], 0, -1, vcc
	v_cmp_ne_u32_e32 vcc, 0, v35
	v_lshlrev_b32_e32 v87, 30, v34
	v_xor_b32_e32 v35, vcc_hi, v37
	v_not_b32_e32 v37, v87
	v_xor_b32_e32 v36, vcc_lo, v36
	v_cmp_gt_i64_e32 vcc, 0, v[86:87]
	v_ashrrev_i32_e32 v37, 31, v37
	v_and_b32_e32 v36, exec_lo, v36
	v_xor_b32_e32 v39, vcc_hi, v37
	v_xor_b32_e32 v37, vcc_lo, v37
	v_lshlrev_b32_e32 v87, 29, v34
	v_and_b32_e32 v36, v36, v37
	v_not_b32_e32 v37, v87
	v_and_b32_e32 v35, exec_hi, v35
	v_cmp_gt_i64_e32 vcc, 0, v[86:87]
	v_ashrrev_i32_e32 v37, 31, v37
	v_and_b32_e32 v35, v35, v39
	v_xor_b32_e32 v39, vcc_hi, v37
	v_xor_b32_e32 v37, vcc_lo, v37
	v_lshlrev_b32_e32 v87, 28, v34
	v_and_b32_e32 v36, v36, v37
	v_not_b32_e32 v37, v87
	v_cmp_gt_i64_e32 vcc, 0, v[86:87]
	v_ashrrev_i32_e32 v37, 31, v37
	v_and_b32_e32 v35, v35, v39
	v_xor_b32_e32 v39, vcc_hi, v37
	v_xor_b32_e32 v37, vcc_lo, v37
	v_lshlrev_b32_e32 v87, 27, v34
	v_and_b32_e32 v36, v36, v37
	v_not_b32_e32 v37, v87
	;; [unrolled: 8-line block ×3, first 2 shown]
	v_cmp_gt_i64_e32 vcc, 0, v[86:87]
	v_ashrrev_i32_e32 v37, 31, v37
	v_and_b32_e32 v35, v35, v39
	v_xor_b32_e32 v39, vcc_hi, v37
	v_xor_b32_e32 v37, vcc_lo, v37
	v_lshlrev_b32_e32 v87, 25, v34
	v_and_b32_e32 v36, v36, v37
	v_cmp_gt_i64_e32 vcc, 0, v[86:87]
	v_not_b32_e32 v37, v87
	v_lshlrev_b32_e32 v87, 24, v34
	v_ashrrev_i32_e32 v37, 31, v37
	v_not_b32_e32 v34, v87
	v_and_b32_e32 v35, v35, v39
	v_xor_b32_e32 v39, vcc_hi, v37
	v_xor_b32_e32 v37, vcc_lo, v37
	v_cmp_gt_i64_e32 vcc, 0, v[86:87]
	v_ashrrev_i32_e32 v34, 31, v34
	v_and_b32_e32 v36, v36, v37
	v_xor_b32_e32 v37, vcc_hi, v34
	v_xor_b32_e32 v34, vcc_lo, v34
	v_and_b32_e32 v35, v35, v39
	v_and_b32_e32 v34, v36, v34
	;; [unrolled: 1-line block ×3, first 2 shown]
	v_mbcnt_lo_u32_b32 v36, v34, 0
	v_mbcnt_hi_u32_b32 v39, v35, v36
	v_cmp_eq_u32_e32 vcc, 0, v39
	v_cmp_ne_u64_e64 s[46:47], 0, v[34:35]
	v_pk_mov_b32 v[88:89], v[48:49], v[48:49] op_sel:[0,1]
	v_pk_mov_b32 v[90:91], v[46:47], v[46:47] op_sel:[0,1]
	;; [unrolled: 1-line block ×13, first 2 shown]
	s_and_b64 s[60:61], s[46:47], vcc
	ds_write2_b32 v112, v86, v86 offset0:8 offset1:9
	ds_write2_b32 v126, v86, v86 offset0:2 offset1:3
	s_waitcnt lgkmcnt(0)
	s_barrier
	s_waitcnt lgkmcnt(0)
	; wave barrier
	s_and_saveexec_b64 s[46:47], s[60:61]
	s_cbranch_execz .LBB145_34
; %bb.33:                               ;   in Loop: Header=BB145_32 Depth=1
	v_bcnt_u32_b32 v34, v34, 0
	v_bcnt_u32_b32 v34, v35, v34
	ds_write_b32 v38, v34
.LBB145_34:                             ;   in Loop: Header=BB145_32 Depth=1
	s_or_b64 exec, exec, s[46:47]
	v_lshrrev_b64 v[34:35], s48, v[100:101]
	v_and_b32_e32 v34, s59, v34
	v_lshlrev_b32_e32 v35, 3, v34
	v_add_lshl_u32 v35, v35, v127, 2
	; wave barrier
	v_add_u32_e32 v41, 32, v35
	ds_read_b32 v40, v35 offset:32
	v_and_b32_e32 v35, 1, v34
	v_add_co_u32_e32 v36, vcc, -1, v35
	v_addc_co_u32_e64 v37, s[46:47], 0, -1, vcc
	v_cmp_ne_u32_e32 vcc, 0, v35
	v_lshlrev_b32_e32 v87, 30, v34
	v_xor_b32_e32 v35, vcc_hi, v37
	v_not_b32_e32 v37, v87
	v_xor_b32_e32 v36, vcc_lo, v36
	v_cmp_gt_i64_e32 vcc, 0, v[86:87]
	v_ashrrev_i32_e32 v37, 31, v37
	v_and_b32_e32 v36, exec_lo, v36
	v_xor_b32_e32 v42, vcc_hi, v37
	v_xor_b32_e32 v37, vcc_lo, v37
	v_lshlrev_b32_e32 v87, 29, v34
	v_and_b32_e32 v36, v36, v37
	v_not_b32_e32 v37, v87
	v_and_b32_e32 v35, exec_hi, v35
	v_cmp_gt_i64_e32 vcc, 0, v[86:87]
	v_ashrrev_i32_e32 v37, 31, v37
	v_and_b32_e32 v35, v35, v42
	v_xor_b32_e32 v42, vcc_hi, v37
	v_xor_b32_e32 v37, vcc_lo, v37
	v_lshlrev_b32_e32 v87, 28, v34
	v_and_b32_e32 v36, v36, v37
	v_not_b32_e32 v37, v87
	v_cmp_gt_i64_e32 vcc, 0, v[86:87]
	v_ashrrev_i32_e32 v37, 31, v37
	v_and_b32_e32 v35, v35, v42
	v_xor_b32_e32 v42, vcc_hi, v37
	v_xor_b32_e32 v37, vcc_lo, v37
	v_lshlrev_b32_e32 v87, 27, v34
	v_and_b32_e32 v36, v36, v37
	v_not_b32_e32 v37, v87
	;; [unrolled: 8-line block ×3, first 2 shown]
	v_cmp_gt_i64_e32 vcc, 0, v[86:87]
	v_ashrrev_i32_e32 v37, 31, v37
	v_and_b32_e32 v35, v35, v42
	v_xor_b32_e32 v42, vcc_hi, v37
	v_xor_b32_e32 v37, vcc_lo, v37
	v_lshlrev_b32_e32 v87, 25, v34
	v_and_b32_e32 v36, v36, v37
	v_cmp_gt_i64_e32 vcc, 0, v[86:87]
	v_not_b32_e32 v37, v87
	v_lshlrev_b32_e32 v87, 24, v34
	v_ashrrev_i32_e32 v37, 31, v37
	v_not_b32_e32 v34, v87
	v_and_b32_e32 v35, v35, v42
	v_xor_b32_e32 v42, vcc_hi, v37
	v_xor_b32_e32 v37, vcc_lo, v37
	v_cmp_gt_i64_e32 vcc, 0, v[86:87]
	v_ashrrev_i32_e32 v34, 31, v34
	v_and_b32_e32 v36, v36, v37
	v_xor_b32_e32 v37, vcc_hi, v34
	v_xor_b32_e32 v34, vcc_lo, v34
	v_and_b32_e32 v35, v35, v42
	v_and_b32_e32 v34, v36, v34
	;; [unrolled: 1-line block ×3, first 2 shown]
	v_mbcnt_lo_u32_b32 v36, v34, 0
	v_mbcnt_hi_u32_b32 v42, v35, v36
	v_cmp_eq_u32_e32 vcc, 0, v42
	v_cmp_ne_u64_e64 s[46:47], 0, v[34:35]
	s_and_b64 s[60:61], s[46:47], vcc
	; wave barrier
	s_and_saveexec_b64 s[46:47], s[60:61]
	s_cbranch_execz .LBB145_36
; %bb.35:                               ;   in Loop: Header=BB145_32 Depth=1
	v_bcnt_u32_b32 v34, v34, 0
	v_bcnt_u32_b32 v34, v35, v34
	s_waitcnt lgkmcnt(0)
	v_add_u32_e32 v34, v40, v34
	ds_write_b32 v41, v34
.LBB145_36:                             ;   in Loop: Header=BB145_32 Depth=1
	s_or_b64 exec, exec, s[46:47]
	v_lshrrev_b64 v[34:35], s48, v[98:99]
	v_and_b32_e32 v34, s59, v34
	v_lshlrev_b32_e32 v35, 3, v34
	v_add_lshl_u32 v35, v35, v127, 2
	; wave barrier
	v_add_u32_e32 v44, 32, v35
	ds_read_b32 v43, v35 offset:32
	v_and_b32_e32 v35, 1, v34
	v_add_co_u32_e32 v36, vcc, -1, v35
	v_addc_co_u32_e64 v37, s[46:47], 0, -1, vcc
	v_cmp_ne_u32_e32 vcc, 0, v35
	v_lshlrev_b32_e32 v87, 30, v34
	v_xor_b32_e32 v35, vcc_hi, v37
	v_not_b32_e32 v37, v87
	v_xor_b32_e32 v36, vcc_lo, v36
	v_cmp_gt_i64_e32 vcc, 0, v[86:87]
	v_ashrrev_i32_e32 v37, 31, v37
	v_and_b32_e32 v36, exec_lo, v36
	v_xor_b32_e32 v45, vcc_hi, v37
	v_xor_b32_e32 v37, vcc_lo, v37
	v_lshlrev_b32_e32 v87, 29, v34
	v_and_b32_e32 v36, v36, v37
	v_not_b32_e32 v37, v87
	v_and_b32_e32 v35, exec_hi, v35
	v_cmp_gt_i64_e32 vcc, 0, v[86:87]
	v_ashrrev_i32_e32 v37, 31, v37
	v_and_b32_e32 v35, v35, v45
	v_xor_b32_e32 v45, vcc_hi, v37
	v_xor_b32_e32 v37, vcc_lo, v37
	v_lshlrev_b32_e32 v87, 28, v34
	v_and_b32_e32 v36, v36, v37
	v_not_b32_e32 v37, v87
	v_cmp_gt_i64_e32 vcc, 0, v[86:87]
	v_ashrrev_i32_e32 v37, 31, v37
	v_and_b32_e32 v35, v35, v45
	v_xor_b32_e32 v45, vcc_hi, v37
	v_xor_b32_e32 v37, vcc_lo, v37
	v_lshlrev_b32_e32 v87, 27, v34
	v_and_b32_e32 v36, v36, v37
	v_not_b32_e32 v37, v87
	;; [unrolled: 8-line block ×3, first 2 shown]
	v_cmp_gt_i64_e32 vcc, 0, v[86:87]
	v_ashrrev_i32_e32 v37, 31, v37
	v_and_b32_e32 v35, v35, v45
	v_xor_b32_e32 v45, vcc_hi, v37
	v_xor_b32_e32 v37, vcc_lo, v37
	v_lshlrev_b32_e32 v87, 25, v34
	v_and_b32_e32 v36, v36, v37
	v_cmp_gt_i64_e32 vcc, 0, v[86:87]
	v_not_b32_e32 v37, v87
	v_lshlrev_b32_e32 v87, 24, v34
	v_ashrrev_i32_e32 v37, 31, v37
	v_not_b32_e32 v34, v87
	v_and_b32_e32 v35, v35, v45
	v_xor_b32_e32 v45, vcc_hi, v37
	v_xor_b32_e32 v37, vcc_lo, v37
	v_cmp_gt_i64_e32 vcc, 0, v[86:87]
	v_ashrrev_i32_e32 v34, 31, v34
	v_and_b32_e32 v36, v36, v37
	v_xor_b32_e32 v37, vcc_hi, v34
	v_xor_b32_e32 v34, vcc_lo, v34
	v_and_b32_e32 v35, v35, v45
	v_and_b32_e32 v34, v36, v34
	;; [unrolled: 1-line block ×3, first 2 shown]
	v_mbcnt_lo_u32_b32 v36, v34, 0
	v_mbcnt_hi_u32_b32 v45, v35, v36
	v_cmp_eq_u32_e32 vcc, 0, v45
	v_cmp_ne_u64_e64 s[46:47], 0, v[34:35]
	s_and_b64 s[60:61], s[46:47], vcc
	; wave barrier
	s_and_saveexec_b64 s[46:47], s[60:61]
	s_cbranch_execz .LBB145_38
; %bb.37:                               ;   in Loop: Header=BB145_32 Depth=1
	v_bcnt_u32_b32 v34, v34, 0
	v_bcnt_u32_b32 v34, v35, v34
	s_waitcnt lgkmcnt(0)
	v_add_u32_e32 v34, v43, v34
	ds_write_b32 v44, v34
.LBB145_38:                             ;   in Loop: Header=BB145_32 Depth=1
	s_or_b64 exec, exec, s[46:47]
	v_lshrrev_b64 v[34:35], s48, v[96:97]
	v_and_b32_e32 v34, s59, v34
	v_lshlrev_b32_e32 v35, 3, v34
	v_add_lshl_u32 v35, v35, v127, 2
	; wave barrier
	v_add_u32_e32 v47, 32, v35
	ds_read_b32 v46, v35 offset:32
	v_and_b32_e32 v35, 1, v34
	v_add_co_u32_e32 v36, vcc, -1, v35
	v_addc_co_u32_e64 v37, s[46:47], 0, -1, vcc
	v_cmp_ne_u32_e32 vcc, 0, v35
	v_lshlrev_b32_e32 v87, 30, v34
	v_xor_b32_e32 v35, vcc_hi, v37
	v_not_b32_e32 v37, v87
	v_xor_b32_e32 v36, vcc_lo, v36
	v_cmp_gt_i64_e32 vcc, 0, v[86:87]
	v_ashrrev_i32_e32 v37, 31, v37
	v_and_b32_e32 v36, exec_lo, v36
	v_xor_b32_e32 v48, vcc_hi, v37
	v_xor_b32_e32 v37, vcc_lo, v37
	v_lshlrev_b32_e32 v87, 29, v34
	v_and_b32_e32 v36, v36, v37
	v_not_b32_e32 v37, v87
	v_and_b32_e32 v35, exec_hi, v35
	v_cmp_gt_i64_e32 vcc, 0, v[86:87]
	v_ashrrev_i32_e32 v37, 31, v37
	v_and_b32_e32 v35, v35, v48
	v_xor_b32_e32 v48, vcc_hi, v37
	v_xor_b32_e32 v37, vcc_lo, v37
	v_lshlrev_b32_e32 v87, 28, v34
	v_and_b32_e32 v36, v36, v37
	v_not_b32_e32 v37, v87
	v_cmp_gt_i64_e32 vcc, 0, v[86:87]
	v_ashrrev_i32_e32 v37, 31, v37
	v_and_b32_e32 v35, v35, v48
	v_xor_b32_e32 v48, vcc_hi, v37
	v_xor_b32_e32 v37, vcc_lo, v37
	v_lshlrev_b32_e32 v87, 27, v34
	v_and_b32_e32 v36, v36, v37
	v_not_b32_e32 v37, v87
	;; [unrolled: 8-line block ×3, first 2 shown]
	v_cmp_gt_i64_e32 vcc, 0, v[86:87]
	v_ashrrev_i32_e32 v37, 31, v37
	v_and_b32_e32 v35, v35, v48
	v_xor_b32_e32 v48, vcc_hi, v37
	v_xor_b32_e32 v37, vcc_lo, v37
	v_lshlrev_b32_e32 v87, 25, v34
	v_and_b32_e32 v36, v36, v37
	v_cmp_gt_i64_e32 vcc, 0, v[86:87]
	v_not_b32_e32 v37, v87
	v_lshlrev_b32_e32 v87, 24, v34
	v_ashrrev_i32_e32 v37, 31, v37
	v_not_b32_e32 v34, v87
	v_and_b32_e32 v35, v35, v48
	v_xor_b32_e32 v48, vcc_hi, v37
	v_xor_b32_e32 v37, vcc_lo, v37
	v_cmp_gt_i64_e32 vcc, 0, v[86:87]
	v_ashrrev_i32_e32 v34, 31, v34
	v_and_b32_e32 v36, v36, v37
	v_xor_b32_e32 v37, vcc_hi, v34
	v_xor_b32_e32 v34, vcc_lo, v34
	v_and_b32_e32 v35, v35, v48
	v_and_b32_e32 v34, v36, v34
	;; [unrolled: 1-line block ×3, first 2 shown]
	v_mbcnt_lo_u32_b32 v36, v34, 0
	v_mbcnt_hi_u32_b32 v48, v35, v36
	v_cmp_eq_u32_e32 vcc, 0, v48
	v_cmp_ne_u64_e64 s[46:47], 0, v[34:35]
	s_and_b64 s[60:61], s[46:47], vcc
	; wave barrier
	s_and_saveexec_b64 s[46:47], s[60:61]
	s_cbranch_execz .LBB145_40
; %bb.39:                               ;   in Loop: Header=BB145_32 Depth=1
	v_bcnt_u32_b32 v34, v34, 0
	v_bcnt_u32_b32 v34, v35, v34
	s_waitcnt lgkmcnt(0)
	v_add_u32_e32 v34, v46, v34
	ds_write_b32 v47, v34
.LBB145_40:                             ;   in Loop: Header=BB145_32 Depth=1
	s_or_b64 exec, exec, s[46:47]
	v_lshrrev_b64 v[34:35], s48, v[94:95]
	v_and_b32_e32 v34, s59, v34
	v_lshlrev_b32_e32 v35, 3, v34
	v_add_lshl_u32 v35, v35, v127, 2
	; wave barrier
	v_add_u32_e32 v50, 32, v35
	ds_read_b32 v49, v35 offset:32
	v_and_b32_e32 v35, 1, v34
	v_add_co_u32_e32 v36, vcc, -1, v35
	v_addc_co_u32_e64 v37, s[46:47], 0, -1, vcc
	v_cmp_ne_u32_e32 vcc, 0, v35
	v_lshlrev_b32_e32 v87, 30, v34
	v_xor_b32_e32 v35, vcc_hi, v37
	v_not_b32_e32 v37, v87
	v_xor_b32_e32 v36, vcc_lo, v36
	v_cmp_gt_i64_e32 vcc, 0, v[86:87]
	v_ashrrev_i32_e32 v37, 31, v37
	v_and_b32_e32 v36, exec_lo, v36
	v_xor_b32_e32 v51, vcc_hi, v37
	v_xor_b32_e32 v37, vcc_lo, v37
	v_lshlrev_b32_e32 v87, 29, v34
	v_and_b32_e32 v36, v36, v37
	v_not_b32_e32 v37, v87
	v_and_b32_e32 v35, exec_hi, v35
	v_cmp_gt_i64_e32 vcc, 0, v[86:87]
	v_ashrrev_i32_e32 v37, 31, v37
	v_and_b32_e32 v35, v35, v51
	v_xor_b32_e32 v51, vcc_hi, v37
	v_xor_b32_e32 v37, vcc_lo, v37
	v_lshlrev_b32_e32 v87, 28, v34
	v_and_b32_e32 v36, v36, v37
	v_not_b32_e32 v37, v87
	v_cmp_gt_i64_e32 vcc, 0, v[86:87]
	v_ashrrev_i32_e32 v37, 31, v37
	v_and_b32_e32 v35, v35, v51
	v_xor_b32_e32 v51, vcc_hi, v37
	v_xor_b32_e32 v37, vcc_lo, v37
	v_lshlrev_b32_e32 v87, 27, v34
	v_and_b32_e32 v36, v36, v37
	v_not_b32_e32 v37, v87
	;; [unrolled: 8-line block ×3, first 2 shown]
	v_cmp_gt_i64_e32 vcc, 0, v[86:87]
	v_ashrrev_i32_e32 v37, 31, v37
	v_and_b32_e32 v35, v35, v51
	v_xor_b32_e32 v51, vcc_hi, v37
	v_xor_b32_e32 v37, vcc_lo, v37
	v_lshlrev_b32_e32 v87, 25, v34
	v_and_b32_e32 v36, v36, v37
	v_cmp_gt_i64_e32 vcc, 0, v[86:87]
	v_not_b32_e32 v37, v87
	v_lshlrev_b32_e32 v87, 24, v34
	v_ashrrev_i32_e32 v37, 31, v37
	v_not_b32_e32 v34, v87
	v_and_b32_e32 v35, v35, v51
	v_xor_b32_e32 v51, vcc_hi, v37
	v_xor_b32_e32 v37, vcc_lo, v37
	v_cmp_gt_i64_e32 vcc, 0, v[86:87]
	v_ashrrev_i32_e32 v34, 31, v34
	v_and_b32_e32 v36, v36, v37
	v_xor_b32_e32 v37, vcc_hi, v34
	v_xor_b32_e32 v34, vcc_lo, v34
	v_and_b32_e32 v35, v35, v51
	v_and_b32_e32 v34, v36, v34
	;; [unrolled: 1-line block ×3, first 2 shown]
	v_mbcnt_lo_u32_b32 v36, v34, 0
	v_mbcnt_hi_u32_b32 v51, v35, v36
	v_cmp_eq_u32_e32 vcc, 0, v51
	v_cmp_ne_u64_e64 s[46:47], 0, v[34:35]
	s_and_b64 s[60:61], s[46:47], vcc
	; wave barrier
	s_and_saveexec_b64 s[46:47], s[60:61]
	s_cbranch_execz .LBB145_42
; %bb.41:                               ;   in Loop: Header=BB145_32 Depth=1
	v_bcnt_u32_b32 v34, v34, 0
	v_bcnt_u32_b32 v34, v35, v34
	s_waitcnt lgkmcnt(0)
	v_add_u32_e32 v34, v49, v34
	ds_write_b32 v50, v34
.LBB145_42:                             ;   in Loop: Header=BB145_32 Depth=1
	s_or_b64 exec, exec, s[46:47]
	v_lshrrev_b64 v[34:35], s48, v[92:93]
	v_and_b32_e32 v34, s59, v34
	v_lshlrev_b32_e32 v35, 3, v34
	v_add_lshl_u32 v35, v35, v127, 2
	; wave barrier
	v_add_u32_e32 v53, 32, v35
	ds_read_b32 v52, v35 offset:32
	v_and_b32_e32 v35, 1, v34
	v_add_co_u32_e32 v36, vcc, -1, v35
	v_addc_co_u32_e64 v37, s[46:47], 0, -1, vcc
	v_cmp_ne_u32_e32 vcc, 0, v35
	v_lshlrev_b32_e32 v87, 30, v34
	v_xor_b32_e32 v35, vcc_hi, v37
	v_not_b32_e32 v37, v87
	v_xor_b32_e32 v36, vcc_lo, v36
	v_cmp_gt_i64_e32 vcc, 0, v[86:87]
	v_ashrrev_i32_e32 v37, 31, v37
	v_and_b32_e32 v36, exec_lo, v36
	v_xor_b32_e32 v54, vcc_hi, v37
	v_xor_b32_e32 v37, vcc_lo, v37
	v_lshlrev_b32_e32 v87, 29, v34
	v_and_b32_e32 v36, v36, v37
	v_not_b32_e32 v37, v87
	v_and_b32_e32 v35, exec_hi, v35
	v_cmp_gt_i64_e32 vcc, 0, v[86:87]
	v_ashrrev_i32_e32 v37, 31, v37
	v_and_b32_e32 v35, v35, v54
	v_xor_b32_e32 v54, vcc_hi, v37
	v_xor_b32_e32 v37, vcc_lo, v37
	v_lshlrev_b32_e32 v87, 28, v34
	v_and_b32_e32 v36, v36, v37
	v_not_b32_e32 v37, v87
	v_cmp_gt_i64_e32 vcc, 0, v[86:87]
	v_ashrrev_i32_e32 v37, 31, v37
	v_and_b32_e32 v35, v35, v54
	v_xor_b32_e32 v54, vcc_hi, v37
	v_xor_b32_e32 v37, vcc_lo, v37
	v_lshlrev_b32_e32 v87, 27, v34
	v_and_b32_e32 v36, v36, v37
	v_not_b32_e32 v37, v87
	v_cmp_gt_i64_e32 vcc, 0, v[86:87]
	v_ashrrev_i32_e32 v37, 31, v37
	v_and_b32_e32 v35, v35, v54
	v_xor_b32_e32 v54, vcc_hi, v37
	v_xor_b32_e32 v37, vcc_lo, v37
	v_lshlrev_b32_e32 v87, 26, v34
	v_and_b32_e32 v36, v36, v37
	v_not_b32_e32 v37, v87
	v_cmp_gt_i64_e32 vcc, 0, v[86:87]
	v_ashrrev_i32_e32 v37, 31, v37
	v_and_b32_e32 v35, v35, v54
	v_xor_b32_e32 v54, vcc_hi, v37
	v_xor_b32_e32 v37, vcc_lo, v37
	v_lshlrev_b32_e32 v87, 25, v34
	v_and_b32_e32 v36, v36, v37
	v_cmp_gt_i64_e32 vcc, 0, v[86:87]
	v_not_b32_e32 v37, v87
	v_lshlrev_b32_e32 v87, 24, v34
	v_ashrrev_i32_e32 v37, 31, v37
	v_not_b32_e32 v34, v87
	v_and_b32_e32 v35, v35, v54
	v_xor_b32_e32 v54, vcc_hi, v37
	v_xor_b32_e32 v37, vcc_lo, v37
	v_cmp_gt_i64_e32 vcc, 0, v[86:87]
	v_ashrrev_i32_e32 v34, 31, v34
	v_and_b32_e32 v36, v36, v37
	v_xor_b32_e32 v37, vcc_hi, v34
	v_xor_b32_e32 v34, vcc_lo, v34
	v_and_b32_e32 v35, v35, v54
	v_and_b32_e32 v34, v36, v34
	;; [unrolled: 1-line block ×3, first 2 shown]
	v_mbcnt_lo_u32_b32 v36, v34, 0
	v_mbcnt_hi_u32_b32 v54, v35, v36
	v_cmp_eq_u32_e32 vcc, 0, v54
	v_cmp_ne_u64_e64 s[46:47], 0, v[34:35]
	s_and_b64 s[60:61], s[46:47], vcc
	; wave barrier
	s_and_saveexec_b64 s[46:47], s[60:61]
	s_cbranch_execz .LBB145_44
; %bb.43:                               ;   in Loop: Header=BB145_32 Depth=1
	v_bcnt_u32_b32 v34, v34, 0
	v_bcnt_u32_b32 v34, v35, v34
	s_waitcnt lgkmcnt(0)
	v_add_u32_e32 v34, v52, v34
	ds_write_b32 v53, v34
.LBB145_44:                             ;   in Loop: Header=BB145_32 Depth=1
	s_or_b64 exec, exec, s[46:47]
	v_lshrrev_b64 v[34:35], s48, v[90:91]
	v_and_b32_e32 v34, s59, v34
	v_lshlrev_b32_e32 v35, 3, v34
	v_add_lshl_u32 v35, v35, v127, 2
	; wave barrier
	v_add_u32_e32 v56, 32, v35
	ds_read_b32 v55, v35 offset:32
	v_and_b32_e32 v35, 1, v34
	v_add_co_u32_e32 v36, vcc, -1, v35
	v_addc_co_u32_e64 v37, s[46:47], 0, -1, vcc
	v_cmp_ne_u32_e32 vcc, 0, v35
	v_lshlrev_b32_e32 v87, 30, v34
	v_xor_b32_e32 v35, vcc_hi, v37
	v_not_b32_e32 v37, v87
	v_xor_b32_e32 v36, vcc_lo, v36
	v_cmp_gt_i64_e32 vcc, 0, v[86:87]
	v_ashrrev_i32_e32 v37, 31, v37
	v_and_b32_e32 v36, exec_lo, v36
	v_xor_b32_e32 v57, vcc_hi, v37
	v_xor_b32_e32 v37, vcc_lo, v37
	v_lshlrev_b32_e32 v87, 29, v34
	v_and_b32_e32 v36, v36, v37
	v_not_b32_e32 v37, v87
	v_and_b32_e32 v35, exec_hi, v35
	v_cmp_gt_i64_e32 vcc, 0, v[86:87]
	v_ashrrev_i32_e32 v37, 31, v37
	v_and_b32_e32 v35, v35, v57
	v_xor_b32_e32 v57, vcc_hi, v37
	v_xor_b32_e32 v37, vcc_lo, v37
	v_lshlrev_b32_e32 v87, 28, v34
	v_and_b32_e32 v36, v36, v37
	v_not_b32_e32 v37, v87
	v_cmp_gt_i64_e32 vcc, 0, v[86:87]
	v_ashrrev_i32_e32 v37, 31, v37
	v_and_b32_e32 v35, v35, v57
	v_xor_b32_e32 v57, vcc_hi, v37
	v_xor_b32_e32 v37, vcc_lo, v37
	v_lshlrev_b32_e32 v87, 27, v34
	v_and_b32_e32 v36, v36, v37
	v_not_b32_e32 v37, v87
	v_cmp_gt_i64_e32 vcc, 0, v[86:87]
	v_ashrrev_i32_e32 v37, 31, v37
	v_and_b32_e32 v35, v35, v57
	v_xor_b32_e32 v57, vcc_hi, v37
	v_xor_b32_e32 v37, vcc_lo, v37
	v_lshlrev_b32_e32 v87, 26, v34
	v_and_b32_e32 v36, v36, v37
	v_not_b32_e32 v37, v87
	v_cmp_gt_i64_e32 vcc, 0, v[86:87]
	v_ashrrev_i32_e32 v37, 31, v37
	v_and_b32_e32 v35, v35, v57
	v_xor_b32_e32 v57, vcc_hi, v37
	v_xor_b32_e32 v37, vcc_lo, v37
	v_lshlrev_b32_e32 v87, 25, v34
	v_and_b32_e32 v36, v36, v37
	v_cmp_gt_i64_e32 vcc, 0, v[86:87]
	v_not_b32_e32 v37, v87
	v_lshlrev_b32_e32 v87, 24, v34
	v_ashrrev_i32_e32 v37, 31, v37
	v_not_b32_e32 v34, v87
	v_and_b32_e32 v35, v35, v57
	v_xor_b32_e32 v57, vcc_hi, v37
	v_xor_b32_e32 v37, vcc_lo, v37
	v_cmp_gt_i64_e32 vcc, 0, v[86:87]
	v_ashrrev_i32_e32 v34, 31, v34
	v_and_b32_e32 v36, v36, v37
	v_xor_b32_e32 v37, vcc_hi, v34
	v_xor_b32_e32 v34, vcc_lo, v34
	v_and_b32_e32 v35, v35, v57
	v_and_b32_e32 v34, v36, v34
	;; [unrolled: 1-line block ×3, first 2 shown]
	v_mbcnt_lo_u32_b32 v36, v34, 0
	v_mbcnt_hi_u32_b32 v57, v35, v36
	v_cmp_eq_u32_e32 vcc, 0, v57
	v_cmp_ne_u64_e64 s[46:47], 0, v[34:35]
	s_and_b64 s[60:61], s[46:47], vcc
	; wave barrier
	s_and_saveexec_b64 s[46:47], s[60:61]
	s_cbranch_execz .LBB145_46
; %bb.45:                               ;   in Loop: Header=BB145_32 Depth=1
	v_bcnt_u32_b32 v34, v34, 0
	v_bcnt_u32_b32 v34, v35, v34
	s_waitcnt lgkmcnt(0)
	v_add_u32_e32 v34, v55, v34
	ds_write_b32 v56, v34
.LBB145_46:                             ;   in Loop: Header=BB145_32 Depth=1
	s_or_b64 exec, exec, s[46:47]
	v_lshrrev_b64 v[34:35], s48, v[88:89]
	v_and_b32_e32 v34, s59, v34
	v_lshlrev_b32_e32 v35, 3, v34
	v_add_lshl_u32 v35, v35, v127, 2
	; wave barrier
	v_add_u32_e32 v59, 32, v35
	ds_read_b32 v58, v35 offset:32
	v_and_b32_e32 v35, 1, v34
	v_add_co_u32_e32 v36, vcc, -1, v35
	v_addc_co_u32_e64 v37, s[46:47], 0, -1, vcc
	v_cmp_ne_u32_e32 vcc, 0, v35
	v_lshlrev_b32_e32 v87, 30, v34
	v_xor_b32_e32 v35, vcc_hi, v37
	v_not_b32_e32 v37, v87
	v_xor_b32_e32 v36, vcc_lo, v36
	v_cmp_gt_i64_e32 vcc, 0, v[86:87]
	v_ashrrev_i32_e32 v37, 31, v37
	v_and_b32_e32 v36, exec_lo, v36
	v_xor_b32_e32 v60, vcc_hi, v37
	v_xor_b32_e32 v37, vcc_lo, v37
	v_lshlrev_b32_e32 v87, 29, v34
	v_and_b32_e32 v36, v36, v37
	v_not_b32_e32 v37, v87
	v_and_b32_e32 v35, exec_hi, v35
	v_cmp_gt_i64_e32 vcc, 0, v[86:87]
	v_ashrrev_i32_e32 v37, 31, v37
	v_and_b32_e32 v35, v35, v60
	v_xor_b32_e32 v60, vcc_hi, v37
	v_xor_b32_e32 v37, vcc_lo, v37
	v_lshlrev_b32_e32 v87, 28, v34
	v_and_b32_e32 v36, v36, v37
	v_not_b32_e32 v37, v87
	v_cmp_gt_i64_e32 vcc, 0, v[86:87]
	v_ashrrev_i32_e32 v37, 31, v37
	v_and_b32_e32 v35, v35, v60
	v_xor_b32_e32 v60, vcc_hi, v37
	v_xor_b32_e32 v37, vcc_lo, v37
	v_lshlrev_b32_e32 v87, 27, v34
	v_and_b32_e32 v36, v36, v37
	v_not_b32_e32 v37, v87
	;; [unrolled: 8-line block ×3, first 2 shown]
	v_cmp_gt_i64_e32 vcc, 0, v[86:87]
	v_ashrrev_i32_e32 v37, 31, v37
	v_and_b32_e32 v35, v35, v60
	v_xor_b32_e32 v60, vcc_hi, v37
	v_xor_b32_e32 v37, vcc_lo, v37
	v_lshlrev_b32_e32 v87, 25, v34
	v_and_b32_e32 v36, v36, v37
	v_cmp_gt_i64_e32 vcc, 0, v[86:87]
	v_not_b32_e32 v37, v87
	v_lshlrev_b32_e32 v87, 24, v34
	v_ashrrev_i32_e32 v37, 31, v37
	v_not_b32_e32 v34, v87
	v_and_b32_e32 v35, v35, v60
	v_xor_b32_e32 v60, vcc_hi, v37
	v_xor_b32_e32 v37, vcc_lo, v37
	v_cmp_gt_i64_e32 vcc, 0, v[86:87]
	v_ashrrev_i32_e32 v34, 31, v34
	v_and_b32_e32 v36, v36, v37
	v_xor_b32_e32 v37, vcc_hi, v34
	v_xor_b32_e32 v34, vcc_lo, v34
	v_and_b32_e32 v35, v35, v60
	v_and_b32_e32 v34, v36, v34
	;; [unrolled: 1-line block ×3, first 2 shown]
	v_mbcnt_lo_u32_b32 v36, v34, 0
	v_mbcnt_hi_u32_b32 v60, v35, v36
	v_cmp_eq_u32_e32 vcc, 0, v60
	v_cmp_ne_u64_e64 s[46:47], 0, v[34:35]
	s_and_b64 s[60:61], s[46:47], vcc
	; wave barrier
	s_and_saveexec_b64 s[46:47], s[60:61]
	s_cbranch_execz .LBB145_48
; %bb.47:                               ;   in Loop: Header=BB145_32 Depth=1
	v_bcnt_u32_b32 v34, v34, 0
	v_bcnt_u32_b32 v34, v35, v34
	s_waitcnt lgkmcnt(0)
	v_add_u32_e32 v34, v58, v34
	ds_write_b32 v59, v34
.LBB145_48:                             ;   in Loop: Header=BB145_32 Depth=1
	s_or_b64 exec, exec, s[46:47]
	; wave barrier
	s_waitcnt lgkmcnt(0)
	s_barrier
	ds_read2_b32 v[36:37], v112 offset0:8 offset1:9
	ds_read2_b32 v[34:35], v126 offset0:2 offset1:3
	s_waitcnt lgkmcnt(1)
	v_add_u32_e32 v61, v37, v36
	s_waitcnt lgkmcnt(0)
	v_add3_u32 v35, v61, v34, v35
	s_nop 1
	v_mov_b32_dpp v61, v35 row_shr:1 row_mask:0xf bank_mask:0xf
	v_cndmask_b32_e64 v61, v61, 0, s[26:27]
	v_add_u32_e32 v35, v61, v35
	s_nop 1
	v_mov_b32_dpp v61, v35 row_shr:2 row_mask:0xf bank_mask:0xf
	v_cndmask_b32_e64 v61, 0, v61, s[28:29]
	v_add_u32_e32 v35, v35, v61
	;; [unrolled: 4-line block ×4, first 2 shown]
	s_nop 1
	v_mov_b32_dpp v61, v35 row_bcast:15 row_mask:0xf bank_mask:0xf
	v_cndmask_b32_e64 v61, v61, 0, s[36:37]
	v_add_u32_e32 v35, v35, v61
	s_nop 1
	v_mov_b32_dpp v61, v35 row_bcast:31 row_mask:0xf bank_mask:0xf
	v_cndmask_b32_e64 v61, 0, v61, s[16:17]
	v_add_u32_e32 v35, v35, v61
	s_and_saveexec_b64 s[46:47], s[38:39]
	s_cbranch_execz .LBB145_50
; %bb.49:                               ;   in Loop: Header=BB145_32 Depth=1
	ds_write_b32 v129, v35
.LBB145_50:                             ;   in Loop: Header=BB145_32 Depth=1
	s_or_b64 exec, exec, s[46:47]
	s_waitcnt lgkmcnt(0)
	s_barrier
	s_and_saveexec_b64 s[46:47], s[18:19]
	s_cbranch_execz .LBB145_52
; %bb.51:                               ;   in Loop: Header=BB145_32 Depth=1
	ds_read_b32 v61, v69
	s_waitcnt lgkmcnt(0)
	s_nop 0
	v_mov_b32_dpp v62, v61 row_shr:1 row_mask:0xf bank_mask:0xf
	v_cndmask_b32_e64 v62, v62, 0, s[40:41]
	v_add_u32_e32 v61, v62, v61
	s_nop 1
	v_mov_b32_dpp v62, v61 row_shr:2 row_mask:0xf bank_mask:0xf
	v_cndmask_b32_e64 v62, 0, v62, s[42:43]
	v_add_u32_e32 v61, v61, v62
	;; [unrolled: 4-line block ×3, first 2 shown]
	ds_write_b32 v69, v61
.LBB145_52:                             ;   in Loop: Header=BB145_32 Depth=1
	s_or_b64 exec, exec, s[46:47]
	v_mov_b32_e32 v61, 0
	s_waitcnt lgkmcnt(0)
	s_barrier
	s_and_saveexec_b64 s[46:47], s[20:21]
	s_cbranch_execz .LBB145_54
; %bb.53:                               ;   in Loop: Header=BB145_32 Depth=1
	ds_read_b32 v61, v130
.LBB145_54:                             ;   in Loop: Header=BB145_32 Depth=1
	s_or_b64 exec, exec, s[46:47]
	s_waitcnt lgkmcnt(0)
	v_add_u32_e32 v35, v61, v35
	ds_bpermute_b32 v35, v128, v35
	s_cmp_gt_u32 s48, 55
	s_waitcnt lgkmcnt(0)
	v_cndmask_b32_e64 v35, v35, v61, s[22:23]
	v_cndmask_b32_e64 v35, v35, 0, s[24:25]
	v_add_u32_e32 v36, v35, v36
	v_add_u32_e32 v37, v36, v37
	;; [unrolled: 1-line block ×3, first 2 shown]
	ds_write2_b32 v112, v35, v36 offset0:8 offset1:9
	ds_write2_b32 v126, v37, v34 offset0:2 offset1:3
	s_waitcnt lgkmcnt(0)
	s_barrier
	ds_read_b32 v34, v38
	ds_read_b32 v35, v41
	;; [unrolled: 1-line block ×8, first 2 shown]
	s_waitcnt lgkmcnt(7)
	v_add_u32_e32 v138, v34, v39
	s_waitcnt lgkmcnt(6)
	v_add3_u32 v137, v42, v40, v35
	s_waitcnt lgkmcnt(5)
	v_add3_u32 v136, v45, v43, v36
	;; [unrolled: 2-line block ×7, first 2 shown]
	s_cbranch_scc0 .LBB145_31
; %bb.55:
                                        ; implicit-def: $vgpr48_vgpr49
                                        ; implicit-def: $vgpr44_vgpr45
                                        ; implicit-def: $vgpr40_vgpr41
                                        ; implicit-def: $vgpr36_vgpr37
                                        ; implicit-def: $vgpr64_vgpr65
                                        ; implicit-def: $vgpr60_vgpr61
                                        ; implicit-def: $vgpr56_vgpr57
                                        ; implicit-def: $vgpr52_vgpr53
                                        ; implicit-def: $sgpr48_sgpr49
                                        ; implicit-def: $sgpr58
.LBB145_56:
	v_lshlrev_b32_e32 v34, 3, v138
	v_lshlrev_b32_e32 v35, 3, v137
	;; [unrolled: 1-line block ×9, first 2 shown]
	s_barrier
	ds_write_b64 v34, v[102:103]
	ds_write_b64 v35, v[100:101]
	;; [unrolled: 1-line block ×8, first 2 shown]
	s_waitcnt lgkmcnt(0)
	s_barrier
	ds_read2_b64 v[50:53], v46 offset1:1
	ds_read2_b64 v[54:57], v46 offset0:2 offset1:3
	ds_read2_b64 v[58:61], v46 offset0:4 offset1:5
	;; [unrolled: 1-line block ×3, first 2 shown]
	s_waitcnt lgkmcnt(0)
	s_barrier
	ds_write_b64 v34, v[84:85]
	ds_write_b64 v35, v[82:83]
	;; [unrolled: 1-line block ×8, first 2 shown]
	s_waitcnt lgkmcnt(0)
	s_barrier
	ds_read2_b64 v[34:37], v46 offset1:1
	ds_read2_b64 v[38:41], v46 offset0:2 offset1:3
	ds_read2_b64 v[42:45], v46 offset0:4 offset1:5
	;; [unrolled: 1-line block ×3, first 2 shown]
	v_xor_b32_e32 v51, 0x80000000, v51
	v_xor_b32_e32 v53, 0x80000000, v53
	;; [unrolled: 1-line block ×8, first 2 shown]
	s_branch .LBB145_92
.LBB145_57:
	v_mov_b32_e32 v69, 0
	v_lshlrev_b64 v[2:3], 3, v[68:69]
	v_mov_b32_e32 v4, s56
	v_add_co_u32_e32 v2, vcc, s53, v2
	v_addc_co_u32_e32 v3, vcc, v4, v3, vcc
	global_load_dwordx2 v[2:3], v[2:3], off
	v_mov_b32_e32 v4, v69
	v_mov_b32_e32 v5, v69
	;; [unrolled: 1-line block ×14, first 2 shown]
	s_or_b64 exec, exec, s[16:17]
	s_and_saveexec_b64 s[16:17], s[2:3]
	s_cbranch_execz .LBB145_22
.LBB145_58:
	v_mul_lo_u32 v4, v1, s52
	v_mov_b32_e32 v5, 0
	v_lshlrev_b64 v[4:5], 3, v[4:5]
	v_mov_b32_e32 v1, s56
	v_add_co_u32_e32 v4, vcc, s53, v4
	v_addc_co_u32_e32 v5, vcc, v1, v5, vcc
	global_load_dwordx2 v[4:5], v[4:5], off
	s_or_b64 exec, exec, s[16:17]
	s_and_saveexec_b64 s[16:17], s[4:5]
	s_cbranch_execz .LBB145_23
.LBB145_59:
	v_mul_lo_u32 v6, v34, s52
	v_mov_b32_e32 v7, 0
	v_lshlrev_b64 v[6:7], 3, v[6:7]
	v_mov_b32_e32 v1, s56
	v_add_co_u32_e32 v6, vcc, s53, v6
	v_addc_co_u32_e32 v7, vcc, v1, v7, vcc
	global_load_dwordx2 v[6:7], v[6:7], off
	s_or_b64 exec, exec, s[16:17]
	s_and_saveexec_b64 s[16:17], s[6:7]
	s_cbranch_execz .LBB145_24
.LBB145_60:
	v_mul_lo_u32 v8, v35, s52
	v_mov_b32_e32 v9, 0
	v_lshlrev_b64 v[8:9], 3, v[8:9]
	v_mov_b32_e32 v1, s56
	v_add_co_u32_e32 v8, vcc, s53, v8
	v_addc_co_u32_e32 v9, vcc, v1, v9, vcc
	global_load_dwordx2 v[8:9], v[8:9], off
	s_or_b64 exec, exec, s[16:17]
	s_and_saveexec_b64 s[16:17], s[8:9]
	s_cbranch_execz .LBB145_25
.LBB145_61:
	v_mul_lo_u32 v10, v36, s52
	v_mov_b32_e32 v11, 0
	v_lshlrev_b64 v[10:11], 3, v[10:11]
	v_mov_b32_e32 v1, s56
	v_add_co_u32_e32 v10, vcc, s53, v10
	v_addc_co_u32_e32 v11, vcc, v1, v11, vcc
	global_load_dwordx2 v[10:11], v[10:11], off
	s_or_b64 exec, exec, s[16:17]
	s_and_saveexec_b64 s[16:17], s[10:11]
	s_cbranch_execz .LBB145_26
.LBB145_62:
	v_mul_lo_u32 v12, v37, s52
	v_mov_b32_e32 v13, 0
	v_lshlrev_b64 v[12:13], 3, v[12:13]
	v_mov_b32_e32 v1, s56
	v_add_co_u32_e32 v12, vcc, s53, v12
	v_addc_co_u32_e32 v13, vcc, v1, v13, vcc
	global_load_dwordx2 v[12:13], v[12:13], off
	s_or_b64 exec, exec, s[16:17]
	s_and_saveexec_b64 s[16:17], s[12:13]
	s_cbranch_execz .LBB145_27
.LBB145_63:
	v_mul_lo_u32 v14, v38, s52
	v_mov_b32_e32 v15, 0
	v_lshlrev_b64 v[14:15], 3, v[14:15]
	v_mov_b32_e32 v1, s56
	v_add_co_u32_e32 v14, vcc, s53, v14
	v_addc_co_u32_e32 v15, vcc, v1, v15, vcc
	global_load_dwordx2 v[14:15], v[14:15], off
	s_or_b64 exec, exec, s[16:17]
	s_xor_b64 s[16:17], s[34:35], -1
	s_and_saveexec_b64 s[18:19], s[14:15]
	s_cbranch_execnz .LBB145_28
	s_branch .LBB145_29
.LBB145_64:
                                        ; implicit-def: $vgpr64_vgpr65
                                        ; implicit-def: $vgpr60_vgpr61
                                        ; implicit-def: $vgpr56_vgpr57
                                        ; implicit-def: $vgpr52_vgpr53
                                        ; implicit-def: $vgpr48_vgpr49
                                        ; implicit-def: $vgpr44_vgpr45
                                        ; implicit-def: $vgpr40_vgpr41
                                        ; implicit-def: $vgpr36_vgpr37
	s_cbranch_execz .LBB145_92
; %bb.65:
	v_xor_b32_e32 v1, 0x7fffffff, v31
	v_xor_b32_e32 v0, -1, v30
	v_xor_b32_e32 v31, 0x7fffffff, v33
	v_xor_b32_e32 v30, -1, v32
	;; [unrolled: 2-line block ×8, first 2 shown]
	ds_write2_b64 v125, v[0:1], v[30:31] offset1:1
	ds_write2_b64 v125, v[26:27], v[28:29] offset0:2 offset1:3
	ds_write2_b64 v125, v[22:23], v[24:25] offset0:4 offset1:5
	;; [unrolled: 1-line block ×3, first 2 shown]
	; wave barrier
	ds_read2st64_b64 v[18:21], v124 offset1:1
	ds_read2st64_b64 v[22:25], v124 offset0:2 offset1:3
	ds_read2st64_b64 v[26:29], v124 offset0:4 offset1:5
	;; [unrolled: 1-line block ×3, first 2 shown]
	; wave barrier
	ds_write2_b64 v125, v[14:15], v[16:17] offset1:1
	ds_write2_b64 v125, v[10:11], v[12:13] offset0:2 offset1:3
	ds_write2_b64 v125, v[6:7], v[8:9] offset0:4 offset1:5
	;; [unrolled: 1-line block ×3, first 2 shown]
	; wave barrier
	ds_read2st64_b64 v[0:3], v124 offset1:1
	ds_read2st64_b64 v[4:7], v124 offset0:2 offset1:3
	ds_read2st64_b64 v[8:11], v124 offset0:4 offset1:5
	;; [unrolled: 1-line block ×3, first 2 shown]
	s_waitcnt lgkmcnt(0)
	s_barrier
	s_load_dword s18, s[54:55], 0xc
	s_getpc_b64 s[16:17]
	s_add_u32 s16, s16, _ZN7rocprim17ROCPRIM_400000_NS16block_radix_sortIlLj512ELj8ElLj1ELj1ELj0ELNS0_26block_radix_rank_algorithmE1ELNS0_18block_padding_hintE2ELNS0_4arch9wavefront6targetE1EE19radix_bits_per_passE@rel32@lo+4
	s_addc_u32 s17, s17, _ZN7rocprim17ROCPRIM_400000_NS16block_radix_sortIlLj512ELj8ElLj1ELj1ELj0ELNS0_26block_radix_rank_algorithmE1ELNS0_18block_padding_hintE2ELNS0_4arch9wavefront6targetE1EE19radix_bits_per_passE@rel32@hi+12
	s_load_dword s54, s[16:17], 0x0
	v_cmp_lt_i32_e32 vcc, v117, v119
	v_cmp_gt_u32_e64 s[30:31], 8, v70
	s_waitcnt lgkmcnt(0)
	s_lshr_b32 s16, s18, 16
	s_and_b32 s17, s18, 0xffff
	v_mad_u32_u24 v16, v123, s16, v122
	v_mad_u64_u32 v[16:17], s[16:17], v16, s17, v[70:71]
	v_lshrrev_b32_e32 v73, 6, v16
	v_min_u32_e32 v16, 0x1c0, v114
	v_or_b32_e32 v16, 63, v16
	v_cmp_eq_u32_e64 s[28:29], v16, v70
	v_cmp_lt_u32_e64 s[34:35], 63, v70
	v_cndmask_b32_e32 v16, v117, v113, vcc
	v_cmp_eq_u32_e64 s[38:39], 0, v70
	v_and_b32_e32 v70, 60, v118
	v_add_u32_e32 v72, 32, v112
	v_cmp_eq_u32_e64 s[16:17], 0, v120
	v_cmp_lt_u32_e64 s[18:19], 1, v120
	v_cmp_lt_u32_e64 s[20:21], 3, v120
	;; [unrolled: 1-line block ×3, first 2 shown]
	v_cmp_eq_u32_e64 s[24:25], 0, v121
	v_cmp_lt_u32_e64 s[26:27], 31, v113
	s_mov_b32 s55, 64
	v_lshlrev_b32_e32 v74, 2, v16
	v_cmp_eq_u32_e64 s[36:37], 0, v113
	v_cmp_eq_u32_e64 s[40:41], 0, v116
	v_cmp_lt_u32_e64 s[42:43], 1, v116
	v_cmp_lt_u32_e64 s[44:45], 3, v116
	v_add_u32_e32 v75, -4, v70
	v_lshlrev_b32_e32 v76, 3, v115
	s_mov_b64 s[48:49], 0
	v_mov_b32_e32 v42, 0
	s_branch .LBB145_67
.LBB145_66:                             ;   in Loop: Header=BB145_67 Depth=1
	v_lshlrev_b32_e32 v0, 3, v83
	v_lshlrev_b32_e32 v1, 3, v82
	;; [unrolled: 1-line block ×8, first 2 shown]
	s_barrier
	ds_write_b64 v0, v[64:65]
	ds_write_b64 v1, v[62:63]
	;; [unrolled: 1-line block ×8, first 2 shown]
	s_waitcnt lgkmcnt(0)
	s_barrier
	ds_read2st64_b64 v[18:21], v76 offset1:1
	ds_read2st64_b64 v[22:25], v76 offset0:2 offset1:3
	ds_read2st64_b64 v[26:29], v76 offset0:4 offset1:5
	;; [unrolled: 1-line block ×3, first 2 shown]
	s_waitcnt lgkmcnt(0)
	s_barrier
	ds_write_b64 v0, v[50:51]
	ds_write_b64 v1, v[48:49]
	;; [unrolled: 1-line block ×8, first 2 shown]
	s_waitcnt lgkmcnt(0)
	s_barrier
	ds_read2st64_b64 v[0:3], v76 offset1:1
	ds_read2st64_b64 v[4:7], v76 offset0:2 offset1:3
	ds_read2st64_b64 v[8:11], v76 offset0:4 offset1:5
	;; [unrolled: 1-line block ×3, first 2 shown]
	s_add_u32 s48, s48, 8
	s_addc_u32 s49, s49, 0
	s_add_i32 s55, s55, -8
	s_waitcnt lgkmcnt(0)
	s_barrier
	s_cbranch_execz .LBB145_91
.LBB145_67:                             ; =>This Inner Loop Header: Depth=1
	s_min_u32 s46, s54, s55
	v_pk_mov_b32 v[64:65], v[18:19], v[18:19] op_sel:[0,1]
	s_lshl_b32 s46, -1, s46
	v_pk_mov_b32 v[50:51], v[0:1], v[0:1] op_sel:[0,1]
	s_not_b32 s57, s46
	v_lshrrev_b64 v[0:1], s48, v[64:65]
	v_and_b32_e32 v0, s57, v0
	v_lshl_add_u32 v1, v0, 3, v73
	v_pk_mov_b32 v[44:45], v[4:5], v[4:5] op_sel:[0,1]
	v_lshl_add_u32 v4, v1, 2, 32
	v_and_b32_e32 v1, 1, v0
	v_pk_mov_b32 v[48:49], v[2:3], v[2:3] op_sel:[0,1]
	v_add_co_u32_e32 v2, vcc, -1, v1
	v_addc_co_u32_e64 v3, s[46:47], 0, -1, vcc
	v_cmp_ne_u32_e32 vcc, 0, v1
	v_lshlrev_b32_e32 v43, 30, v0
	v_xor_b32_e32 v1, vcc_hi, v3
	v_not_b32_e32 v3, v43
	v_xor_b32_e32 v2, vcc_lo, v2
	v_cmp_gt_i64_e32 vcc, 0, v[42:43]
	v_ashrrev_i32_e32 v3, 31, v3
	v_and_b32_e32 v2, exec_lo, v2
	v_xor_b32_e32 v5, vcc_hi, v3
	v_xor_b32_e32 v3, vcc_lo, v3
	v_lshlrev_b32_e32 v43, 29, v0
	v_and_b32_e32 v2, v2, v3
	v_not_b32_e32 v3, v43
	v_and_b32_e32 v1, exec_hi, v1
	v_cmp_gt_i64_e32 vcc, 0, v[42:43]
	v_ashrrev_i32_e32 v3, 31, v3
	v_and_b32_e32 v1, v1, v5
	v_xor_b32_e32 v5, vcc_hi, v3
	v_xor_b32_e32 v3, vcc_lo, v3
	v_lshlrev_b32_e32 v43, 28, v0
	v_and_b32_e32 v2, v2, v3
	v_not_b32_e32 v3, v43
	v_cmp_gt_i64_e32 vcc, 0, v[42:43]
	v_ashrrev_i32_e32 v3, 31, v3
	v_and_b32_e32 v1, v1, v5
	v_xor_b32_e32 v5, vcc_hi, v3
	v_xor_b32_e32 v3, vcc_lo, v3
	v_lshlrev_b32_e32 v43, 27, v0
	v_and_b32_e32 v2, v2, v3
	v_not_b32_e32 v3, v43
	;; [unrolled: 8-line block ×3, first 2 shown]
	v_cmp_gt_i64_e32 vcc, 0, v[42:43]
	v_ashrrev_i32_e32 v3, 31, v3
	v_and_b32_e32 v1, v1, v5
	v_xor_b32_e32 v5, vcc_hi, v3
	v_xor_b32_e32 v3, vcc_lo, v3
	v_lshlrev_b32_e32 v43, 25, v0
	v_and_b32_e32 v2, v2, v3
	v_cmp_gt_i64_e32 vcc, 0, v[42:43]
	v_not_b32_e32 v3, v43
	v_lshlrev_b32_e32 v43, 24, v0
	v_ashrrev_i32_e32 v3, 31, v3
	v_not_b32_e32 v0, v43
	v_and_b32_e32 v1, v1, v5
	v_xor_b32_e32 v5, vcc_hi, v3
	v_xor_b32_e32 v3, vcc_lo, v3
	v_cmp_gt_i64_e32 vcc, 0, v[42:43]
	v_ashrrev_i32_e32 v0, 31, v0
	v_and_b32_e32 v2, v2, v3
	v_xor_b32_e32 v3, vcc_hi, v0
	v_xor_b32_e32 v0, vcc_lo, v0
	v_and_b32_e32 v1, v1, v5
	v_and_b32_e32 v0, v2, v0
	;; [unrolled: 1-line block ×3, first 2 shown]
	v_mbcnt_lo_u32_b32 v2, v0, 0
	v_mbcnt_hi_u32_b32 v5, v1, v2
	v_cmp_eq_u32_e32 vcc, 0, v5
	v_cmp_ne_u64_e64 s[46:47], 0, v[0:1]
	v_pk_mov_b32 v[46:47], v[32:33], v[32:33] op_sel:[0,1]
	v_pk_mov_b32 v[52:53], v[30:31], v[30:31] op_sel:[0,1]
	;; [unrolled: 1-line block ×12, first 2 shown]
	s_and_b64 s[58:59], s[46:47], vcc
	ds_write2_b32 v112, v42, v42 offset0:8 offset1:9
	ds_write2_b32 v72, v42, v42 offset0:2 offset1:3
	s_waitcnt lgkmcnt(0)
	s_barrier
	s_waitcnt lgkmcnt(0)
	; wave barrier
	s_and_saveexec_b64 s[46:47], s[58:59]
	s_cbranch_execz .LBB145_69
; %bb.68:                               ;   in Loop: Header=BB145_67 Depth=1
	v_bcnt_u32_b32 v0, v0, 0
	v_bcnt_u32_b32 v0, v1, v0
	ds_write_b32 v4, v0
.LBB145_69:                             ;   in Loop: Header=BB145_67 Depth=1
	s_or_b64 exec, exec, s[46:47]
	v_lshrrev_b64 v[0:1], s48, v[62:63]
	v_and_b32_e32 v0, s57, v0
	v_lshlrev_b32_e32 v1, 3, v0
	v_add_lshl_u32 v1, v1, v73, 2
	; wave barrier
	v_add_u32_e32 v7, 32, v1
	ds_read_b32 v6, v1 offset:32
	v_and_b32_e32 v1, 1, v0
	v_add_co_u32_e32 v2, vcc, -1, v1
	v_addc_co_u32_e64 v3, s[46:47], 0, -1, vcc
	v_cmp_ne_u32_e32 vcc, 0, v1
	v_lshlrev_b32_e32 v43, 30, v0
	v_xor_b32_e32 v1, vcc_hi, v3
	v_not_b32_e32 v3, v43
	v_xor_b32_e32 v2, vcc_lo, v2
	v_cmp_gt_i64_e32 vcc, 0, v[42:43]
	v_ashrrev_i32_e32 v3, 31, v3
	v_and_b32_e32 v2, exec_lo, v2
	v_xor_b32_e32 v8, vcc_hi, v3
	v_xor_b32_e32 v3, vcc_lo, v3
	v_lshlrev_b32_e32 v43, 29, v0
	v_and_b32_e32 v2, v2, v3
	v_not_b32_e32 v3, v43
	v_and_b32_e32 v1, exec_hi, v1
	v_cmp_gt_i64_e32 vcc, 0, v[42:43]
	v_ashrrev_i32_e32 v3, 31, v3
	v_and_b32_e32 v1, v1, v8
	v_xor_b32_e32 v8, vcc_hi, v3
	v_xor_b32_e32 v3, vcc_lo, v3
	v_lshlrev_b32_e32 v43, 28, v0
	v_and_b32_e32 v2, v2, v3
	v_not_b32_e32 v3, v43
	v_cmp_gt_i64_e32 vcc, 0, v[42:43]
	v_ashrrev_i32_e32 v3, 31, v3
	v_and_b32_e32 v1, v1, v8
	v_xor_b32_e32 v8, vcc_hi, v3
	v_xor_b32_e32 v3, vcc_lo, v3
	v_lshlrev_b32_e32 v43, 27, v0
	v_and_b32_e32 v2, v2, v3
	v_not_b32_e32 v3, v43
	;; [unrolled: 8-line block ×3, first 2 shown]
	v_cmp_gt_i64_e32 vcc, 0, v[42:43]
	v_ashrrev_i32_e32 v3, 31, v3
	v_and_b32_e32 v1, v1, v8
	v_xor_b32_e32 v8, vcc_hi, v3
	v_xor_b32_e32 v3, vcc_lo, v3
	v_lshlrev_b32_e32 v43, 25, v0
	v_and_b32_e32 v2, v2, v3
	v_cmp_gt_i64_e32 vcc, 0, v[42:43]
	v_not_b32_e32 v3, v43
	v_lshlrev_b32_e32 v43, 24, v0
	v_ashrrev_i32_e32 v3, 31, v3
	v_not_b32_e32 v0, v43
	v_and_b32_e32 v1, v1, v8
	v_xor_b32_e32 v8, vcc_hi, v3
	v_xor_b32_e32 v3, vcc_lo, v3
	v_cmp_gt_i64_e32 vcc, 0, v[42:43]
	v_ashrrev_i32_e32 v0, 31, v0
	v_and_b32_e32 v2, v2, v3
	v_xor_b32_e32 v3, vcc_hi, v0
	v_xor_b32_e32 v0, vcc_lo, v0
	v_and_b32_e32 v1, v1, v8
	v_and_b32_e32 v0, v2, v0
	;; [unrolled: 1-line block ×3, first 2 shown]
	v_mbcnt_lo_u32_b32 v2, v0, 0
	v_mbcnt_hi_u32_b32 v8, v1, v2
	v_cmp_eq_u32_e32 vcc, 0, v8
	v_cmp_ne_u64_e64 s[46:47], 0, v[0:1]
	s_and_b64 s[58:59], s[46:47], vcc
	; wave barrier
	s_and_saveexec_b64 s[46:47], s[58:59]
	s_cbranch_execz .LBB145_71
; %bb.70:                               ;   in Loop: Header=BB145_67 Depth=1
	v_bcnt_u32_b32 v0, v0, 0
	v_bcnt_u32_b32 v0, v1, v0
	s_waitcnt lgkmcnt(0)
	v_add_u32_e32 v0, v6, v0
	ds_write_b32 v7, v0
.LBB145_71:                             ;   in Loop: Header=BB145_67 Depth=1
	s_or_b64 exec, exec, s[46:47]
	v_lshrrev_b64 v[0:1], s48, v[60:61]
	v_and_b32_e32 v0, s57, v0
	v_lshlrev_b32_e32 v1, 3, v0
	v_add_lshl_u32 v1, v1, v73, 2
	; wave barrier
	v_add_u32_e32 v10, 32, v1
	ds_read_b32 v9, v1 offset:32
	v_and_b32_e32 v1, 1, v0
	v_add_co_u32_e32 v2, vcc, -1, v1
	v_addc_co_u32_e64 v3, s[46:47], 0, -1, vcc
	v_cmp_ne_u32_e32 vcc, 0, v1
	v_lshlrev_b32_e32 v43, 30, v0
	v_xor_b32_e32 v1, vcc_hi, v3
	v_not_b32_e32 v3, v43
	v_xor_b32_e32 v2, vcc_lo, v2
	v_cmp_gt_i64_e32 vcc, 0, v[42:43]
	v_ashrrev_i32_e32 v3, 31, v3
	v_and_b32_e32 v2, exec_lo, v2
	v_xor_b32_e32 v11, vcc_hi, v3
	v_xor_b32_e32 v3, vcc_lo, v3
	v_lshlrev_b32_e32 v43, 29, v0
	v_and_b32_e32 v2, v2, v3
	v_not_b32_e32 v3, v43
	v_and_b32_e32 v1, exec_hi, v1
	v_cmp_gt_i64_e32 vcc, 0, v[42:43]
	v_ashrrev_i32_e32 v3, 31, v3
	v_and_b32_e32 v1, v1, v11
	v_xor_b32_e32 v11, vcc_hi, v3
	v_xor_b32_e32 v3, vcc_lo, v3
	v_lshlrev_b32_e32 v43, 28, v0
	v_and_b32_e32 v2, v2, v3
	v_not_b32_e32 v3, v43
	v_cmp_gt_i64_e32 vcc, 0, v[42:43]
	v_ashrrev_i32_e32 v3, 31, v3
	v_and_b32_e32 v1, v1, v11
	v_xor_b32_e32 v11, vcc_hi, v3
	v_xor_b32_e32 v3, vcc_lo, v3
	v_lshlrev_b32_e32 v43, 27, v0
	v_and_b32_e32 v2, v2, v3
	v_not_b32_e32 v3, v43
	;; [unrolled: 8-line block ×3, first 2 shown]
	v_cmp_gt_i64_e32 vcc, 0, v[42:43]
	v_ashrrev_i32_e32 v3, 31, v3
	v_and_b32_e32 v1, v1, v11
	v_xor_b32_e32 v11, vcc_hi, v3
	v_xor_b32_e32 v3, vcc_lo, v3
	v_lshlrev_b32_e32 v43, 25, v0
	v_and_b32_e32 v2, v2, v3
	v_cmp_gt_i64_e32 vcc, 0, v[42:43]
	v_not_b32_e32 v3, v43
	v_lshlrev_b32_e32 v43, 24, v0
	v_ashrrev_i32_e32 v3, 31, v3
	v_not_b32_e32 v0, v43
	v_and_b32_e32 v1, v1, v11
	v_xor_b32_e32 v11, vcc_hi, v3
	v_xor_b32_e32 v3, vcc_lo, v3
	v_cmp_gt_i64_e32 vcc, 0, v[42:43]
	v_ashrrev_i32_e32 v0, 31, v0
	v_and_b32_e32 v2, v2, v3
	v_xor_b32_e32 v3, vcc_hi, v0
	v_xor_b32_e32 v0, vcc_lo, v0
	v_and_b32_e32 v1, v1, v11
	v_and_b32_e32 v0, v2, v0
	;; [unrolled: 1-line block ×3, first 2 shown]
	v_mbcnt_lo_u32_b32 v2, v0, 0
	v_mbcnt_hi_u32_b32 v11, v1, v2
	v_cmp_eq_u32_e32 vcc, 0, v11
	v_cmp_ne_u64_e64 s[46:47], 0, v[0:1]
	s_and_b64 s[58:59], s[46:47], vcc
	; wave barrier
	s_and_saveexec_b64 s[46:47], s[58:59]
	s_cbranch_execz .LBB145_73
; %bb.72:                               ;   in Loop: Header=BB145_67 Depth=1
	v_bcnt_u32_b32 v0, v0, 0
	v_bcnt_u32_b32 v0, v1, v0
	s_waitcnt lgkmcnt(0)
	v_add_u32_e32 v0, v9, v0
	ds_write_b32 v10, v0
.LBB145_73:                             ;   in Loop: Header=BB145_67 Depth=1
	s_or_b64 exec, exec, s[46:47]
	v_lshrrev_b64 v[0:1], s48, v[58:59]
	v_and_b32_e32 v0, s57, v0
	v_lshlrev_b32_e32 v1, 3, v0
	v_add_lshl_u32 v1, v1, v73, 2
	; wave barrier
	v_add_u32_e32 v13, 32, v1
	ds_read_b32 v12, v1 offset:32
	v_and_b32_e32 v1, 1, v0
	v_add_co_u32_e32 v2, vcc, -1, v1
	v_addc_co_u32_e64 v3, s[46:47], 0, -1, vcc
	v_cmp_ne_u32_e32 vcc, 0, v1
	v_lshlrev_b32_e32 v43, 30, v0
	v_xor_b32_e32 v1, vcc_hi, v3
	v_not_b32_e32 v3, v43
	v_xor_b32_e32 v2, vcc_lo, v2
	v_cmp_gt_i64_e32 vcc, 0, v[42:43]
	v_ashrrev_i32_e32 v3, 31, v3
	v_and_b32_e32 v2, exec_lo, v2
	v_xor_b32_e32 v14, vcc_hi, v3
	v_xor_b32_e32 v3, vcc_lo, v3
	v_lshlrev_b32_e32 v43, 29, v0
	v_and_b32_e32 v2, v2, v3
	v_not_b32_e32 v3, v43
	v_and_b32_e32 v1, exec_hi, v1
	v_cmp_gt_i64_e32 vcc, 0, v[42:43]
	v_ashrrev_i32_e32 v3, 31, v3
	v_and_b32_e32 v1, v1, v14
	v_xor_b32_e32 v14, vcc_hi, v3
	v_xor_b32_e32 v3, vcc_lo, v3
	v_lshlrev_b32_e32 v43, 28, v0
	v_and_b32_e32 v2, v2, v3
	v_not_b32_e32 v3, v43
	v_cmp_gt_i64_e32 vcc, 0, v[42:43]
	v_ashrrev_i32_e32 v3, 31, v3
	v_and_b32_e32 v1, v1, v14
	v_xor_b32_e32 v14, vcc_hi, v3
	v_xor_b32_e32 v3, vcc_lo, v3
	v_lshlrev_b32_e32 v43, 27, v0
	v_and_b32_e32 v2, v2, v3
	v_not_b32_e32 v3, v43
	;; [unrolled: 8-line block ×3, first 2 shown]
	v_cmp_gt_i64_e32 vcc, 0, v[42:43]
	v_ashrrev_i32_e32 v3, 31, v3
	v_and_b32_e32 v1, v1, v14
	v_xor_b32_e32 v14, vcc_hi, v3
	v_xor_b32_e32 v3, vcc_lo, v3
	v_lshlrev_b32_e32 v43, 25, v0
	v_and_b32_e32 v2, v2, v3
	v_cmp_gt_i64_e32 vcc, 0, v[42:43]
	v_not_b32_e32 v3, v43
	v_lshlrev_b32_e32 v43, 24, v0
	v_ashrrev_i32_e32 v3, 31, v3
	v_not_b32_e32 v0, v43
	v_and_b32_e32 v1, v1, v14
	v_xor_b32_e32 v14, vcc_hi, v3
	v_xor_b32_e32 v3, vcc_lo, v3
	v_cmp_gt_i64_e32 vcc, 0, v[42:43]
	v_ashrrev_i32_e32 v0, 31, v0
	v_and_b32_e32 v2, v2, v3
	v_xor_b32_e32 v3, vcc_hi, v0
	v_xor_b32_e32 v0, vcc_lo, v0
	v_and_b32_e32 v1, v1, v14
	v_and_b32_e32 v0, v2, v0
	v_and_b32_e32 v1, v1, v3
	v_mbcnt_lo_u32_b32 v2, v0, 0
	v_mbcnt_hi_u32_b32 v14, v1, v2
	v_cmp_eq_u32_e32 vcc, 0, v14
	v_cmp_ne_u64_e64 s[46:47], 0, v[0:1]
	s_and_b64 s[58:59], s[46:47], vcc
	; wave barrier
	s_and_saveexec_b64 s[46:47], s[58:59]
	s_cbranch_execz .LBB145_75
; %bb.74:                               ;   in Loop: Header=BB145_67 Depth=1
	v_bcnt_u32_b32 v0, v0, 0
	v_bcnt_u32_b32 v0, v1, v0
	s_waitcnt lgkmcnt(0)
	v_add_u32_e32 v0, v12, v0
	ds_write_b32 v13, v0
.LBB145_75:                             ;   in Loop: Header=BB145_67 Depth=1
	s_or_b64 exec, exec, s[46:47]
	v_lshrrev_b64 v[0:1], s48, v[56:57]
	v_and_b32_e32 v0, s57, v0
	v_lshlrev_b32_e32 v1, 3, v0
	v_add_lshl_u32 v1, v1, v73, 2
	; wave barrier
	v_add_u32_e32 v18, 32, v1
	ds_read_b32 v15, v1 offset:32
	v_and_b32_e32 v1, 1, v0
	v_add_co_u32_e32 v2, vcc, -1, v1
	v_addc_co_u32_e64 v3, s[46:47], 0, -1, vcc
	v_cmp_ne_u32_e32 vcc, 0, v1
	v_lshlrev_b32_e32 v43, 30, v0
	v_xor_b32_e32 v1, vcc_hi, v3
	v_not_b32_e32 v3, v43
	v_xor_b32_e32 v2, vcc_lo, v2
	v_cmp_gt_i64_e32 vcc, 0, v[42:43]
	v_ashrrev_i32_e32 v3, 31, v3
	v_and_b32_e32 v2, exec_lo, v2
	v_xor_b32_e32 v19, vcc_hi, v3
	v_xor_b32_e32 v3, vcc_lo, v3
	v_lshlrev_b32_e32 v43, 29, v0
	v_and_b32_e32 v2, v2, v3
	v_not_b32_e32 v3, v43
	v_and_b32_e32 v1, exec_hi, v1
	v_cmp_gt_i64_e32 vcc, 0, v[42:43]
	v_ashrrev_i32_e32 v3, 31, v3
	v_and_b32_e32 v1, v1, v19
	v_xor_b32_e32 v19, vcc_hi, v3
	v_xor_b32_e32 v3, vcc_lo, v3
	v_lshlrev_b32_e32 v43, 28, v0
	v_and_b32_e32 v2, v2, v3
	v_not_b32_e32 v3, v43
	v_cmp_gt_i64_e32 vcc, 0, v[42:43]
	v_ashrrev_i32_e32 v3, 31, v3
	v_and_b32_e32 v1, v1, v19
	v_xor_b32_e32 v19, vcc_hi, v3
	v_xor_b32_e32 v3, vcc_lo, v3
	v_lshlrev_b32_e32 v43, 27, v0
	v_and_b32_e32 v2, v2, v3
	v_not_b32_e32 v3, v43
	;; [unrolled: 8-line block ×3, first 2 shown]
	v_cmp_gt_i64_e32 vcc, 0, v[42:43]
	v_ashrrev_i32_e32 v3, 31, v3
	v_and_b32_e32 v1, v1, v19
	v_xor_b32_e32 v19, vcc_hi, v3
	v_xor_b32_e32 v3, vcc_lo, v3
	v_lshlrev_b32_e32 v43, 25, v0
	v_and_b32_e32 v2, v2, v3
	v_cmp_gt_i64_e32 vcc, 0, v[42:43]
	v_not_b32_e32 v3, v43
	v_lshlrev_b32_e32 v43, 24, v0
	v_ashrrev_i32_e32 v3, 31, v3
	v_not_b32_e32 v0, v43
	v_and_b32_e32 v1, v1, v19
	v_xor_b32_e32 v19, vcc_hi, v3
	v_xor_b32_e32 v3, vcc_lo, v3
	v_cmp_gt_i64_e32 vcc, 0, v[42:43]
	v_ashrrev_i32_e32 v0, 31, v0
	v_and_b32_e32 v2, v2, v3
	v_xor_b32_e32 v3, vcc_hi, v0
	v_xor_b32_e32 v0, vcc_lo, v0
	v_and_b32_e32 v1, v1, v19
	v_and_b32_e32 v0, v2, v0
	;; [unrolled: 1-line block ×3, first 2 shown]
	v_mbcnt_lo_u32_b32 v2, v0, 0
	v_mbcnt_hi_u32_b32 v19, v1, v2
	v_cmp_eq_u32_e32 vcc, 0, v19
	v_cmp_ne_u64_e64 s[46:47], 0, v[0:1]
	s_and_b64 s[58:59], s[46:47], vcc
	; wave barrier
	s_and_saveexec_b64 s[46:47], s[58:59]
	s_cbranch_execz .LBB145_77
; %bb.76:                               ;   in Loop: Header=BB145_67 Depth=1
	v_bcnt_u32_b32 v0, v0, 0
	v_bcnt_u32_b32 v0, v1, v0
	s_waitcnt lgkmcnt(0)
	v_add_u32_e32 v0, v15, v0
	ds_write_b32 v18, v0
.LBB145_77:                             ;   in Loop: Header=BB145_67 Depth=1
	s_or_b64 exec, exec, s[46:47]
	v_lshrrev_b64 v[0:1], s48, v[54:55]
	v_and_b32_e32 v0, s57, v0
	v_lshlrev_b32_e32 v1, 3, v0
	v_add_lshl_u32 v1, v1, v73, 2
	; wave barrier
	v_add_u32_e32 v21, 32, v1
	ds_read_b32 v20, v1 offset:32
	v_and_b32_e32 v1, 1, v0
	v_add_co_u32_e32 v2, vcc, -1, v1
	v_addc_co_u32_e64 v3, s[46:47], 0, -1, vcc
	v_cmp_ne_u32_e32 vcc, 0, v1
	v_lshlrev_b32_e32 v43, 30, v0
	v_xor_b32_e32 v1, vcc_hi, v3
	v_not_b32_e32 v3, v43
	v_xor_b32_e32 v2, vcc_lo, v2
	v_cmp_gt_i64_e32 vcc, 0, v[42:43]
	v_ashrrev_i32_e32 v3, 31, v3
	v_and_b32_e32 v2, exec_lo, v2
	v_xor_b32_e32 v22, vcc_hi, v3
	v_xor_b32_e32 v3, vcc_lo, v3
	v_lshlrev_b32_e32 v43, 29, v0
	v_and_b32_e32 v2, v2, v3
	v_not_b32_e32 v3, v43
	v_and_b32_e32 v1, exec_hi, v1
	v_cmp_gt_i64_e32 vcc, 0, v[42:43]
	v_ashrrev_i32_e32 v3, 31, v3
	v_and_b32_e32 v1, v1, v22
	v_xor_b32_e32 v22, vcc_hi, v3
	v_xor_b32_e32 v3, vcc_lo, v3
	v_lshlrev_b32_e32 v43, 28, v0
	v_and_b32_e32 v2, v2, v3
	v_not_b32_e32 v3, v43
	v_cmp_gt_i64_e32 vcc, 0, v[42:43]
	v_ashrrev_i32_e32 v3, 31, v3
	v_and_b32_e32 v1, v1, v22
	v_xor_b32_e32 v22, vcc_hi, v3
	v_xor_b32_e32 v3, vcc_lo, v3
	v_lshlrev_b32_e32 v43, 27, v0
	v_and_b32_e32 v2, v2, v3
	v_not_b32_e32 v3, v43
	;; [unrolled: 8-line block ×3, first 2 shown]
	v_cmp_gt_i64_e32 vcc, 0, v[42:43]
	v_ashrrev_i32_e32 v3, 31, v3
	v_and_b32_e32 v1, v1, v22
	v_xor_b32_e32 v22, vcc_hi, v3
	v_xor_b32_e32 v3, vcc_lo, v3
	v_lshlrev_b32_e32 v43, 25, v0
	v_and_b32_e32 v2, v2, v3
	v_cmp_gt_i64_e32 vcc, 0, v[42:43]
	v_not_b32_e32 v3, v43
	v_lshlrev_b32_e32 v43, 24, v0
	v_ashrrev_i32_e32 v3, 31, v3
	v_not_b32_e32 v0, v43
	v_and_b32_e32 v1, v1, v22
	v_xor_b32_e32 v22, vcc_hi, v3
	v_xor_b32_e32 v3, vcc_lo, v3
	v_cmp_gt_i64_e32 vcc, 0, v[42:43]
	v_ashrrev_i32_e32 v0, 31, v0
	v_and_b32_e32 v2, v2, v3
	v_xor_b32_e32 v3, vcc_hi, v0
	v_xor_b32_e32 v0, vcc_lo, v0
	v_and_b32_e32 v1, v1, v22
	v_and_b32_e32 v0, v2, v0
	;; [unrolled: 1-line block ×3, first 2 shown]
	v_mbcnt_lo_u32_b32 v2, v0, 0
	v_mbcnt_hi_u32_b32 v22, v1, v2
	v_cmp_eq_u32_e32 vcc, 0, v22
	v_cmp_ne_u64_e64 s[46:47], 0, v[0:1]
	s_and_b64 s[58:59], s[46:47], vcc
	; wave barrier
	s_and_saveexec_b64 s[46:47], s[58:59]
	s_cbranch_execz .LBB145_79
; %bb.78:                               ;   in Loop: Header=BB145_67 Depth=1
	v_bcnt_u32_b32 v0, v0, 0
	v_bcnt_u32_b32 v0, v1, v0
	s_waitcnt lgkmcnt(0)
	v_add_u32_e32 v0, v20, v0
	ds_write_b32 v21, v0
.LBB145_79:                             ;   in Loop: Header=BB145_67 Depth=1
	s_or_b64 exec, exec, s[46:47]
	v_lshrrev_b64 v[0:1], s48, v[52:53]
	v_and_b32_e32 v0, s57, v0
	v_lshlrev_b32_e32 v1, 3, v0
	v_add_lshl_u32 v1, v1, v73, 2
	; wave barrier
	v_add_u32_e32 v24, 32, v1
	ds_read_b32 v23, v1 offset:32
	v_and_b32_e32 v1, 1, v0
	v_add_co_u32_e32 v2, vcc, -1, v1
	v_addc_co_u32_e64 v3, s[46:47], 0, -1, vcc
	v_cmp_ne_u32_e32 vcc, 0, v1
	v_lshlrev_b32_e32 v43, 30, v0
	v_xor_b32_e32 v1, vcc_hi, v3
	v_not_b32_e32 v3, v43
	v_xor_b32_e32 v2, vcc_lo, v2
	v_cmp_gt_i64_e32 vcc, 0, v[42:43]
	v_ashrrev_i32_e32 v3, 31, v3
	v_and_b32_e32 v2, exec_lo, v2
	v_xor_b32_e32 v25, vcc_hi, v3
	v_xor_b32_e32 v3, vcc_lo, v3
	v_lshlrev_b32_e32 v43, 29, v0
	v_and_b32_e32 v2, v2, v3
	v_not_b32_e32 v3, v43
	v_and_b32_e32 v1, exec_hi, v1
	v_cmp_gt_i64_e32 vcc, 0, v[42:43]
	v_ashrrev_i32_e32 v3, 31, v3
	v_and_b32_e32 v1, v1, v25
	v_xor_b32_e32 v25, vcc_hi, v3
	v_xor_b32_e32 v3, vcc_lo, v3
	v_lshlrev_b32_e32 v43, 28, v0
	v_and_b32_e32 v2, v2, v3
	v_not_b32_e32 v3, v43
	v_cmp_gt_i64_e32 vcc, 0, v[42:43]
	v_ashrrev_i32_e32 v3, 31, v3
	v_and_b32_e32 v1, v1, v25
	v_xor_b32_e32 v25, vcc_hi, v3
	v_xor_b32_e32 v3, vcc_lo, v3
	v_lshlrev_b32_e32 v43, 27, v0
	v_and_b32_e32 v2, v2, v3
	v_not_b32_e32 v3, v43
	;; [unrolled: 8-line block ×3, first 2 shown]
	v_cmp_gt_i64_e32 vcc, 0, v[42:43]
	v_ashrrev_i32_e32 v3, 31, v3
	v_and_b32_e32 v1, v1, v25
	v_xor_b32_e32 v25, vcc_hi, v3
	v_xor_b32_e32 v3, vcc_lo, v3
	v_lshlrev_b32_e32 v43, 25, v0
	v_and_b32_e32 v2, v2, v3
	v_cmp_gt_i64_e32 vcc, 0, v[42:43]
	v_not_b32_e32 v3, v43
	v_lshlrev_b32_e32 v43, 24, v0
	v_ashrrev_i32_e32 v3, 31, v3
	v_not_b32_e32 v0, v43
	v_and_b32_e32 v1, v1, v25
	v_xor_b32_e32 v25, vcc_hi, v3
	v_xor_b32_e32 v3, vcc_lo, v3
	v_cmp_gt_i64_e32 vcc, 0, v[42:43]
	v_ashrrev_i32_e32 v0, 31, v0
	v_and_b32_e32 v2, v2, v3
	v_xor_b32_e32 v3, vcc_hi, v0
	v_xor_b32_e32 v0, vcc_lo, v0
	v_and_b32_e32 v1, v1, v25
	v_and_b32_e32 v0, v2, v0
	;; [unrolled: 1-line block ×3, first 2 shown]
	v_mbcnt_lo_u32_b32 v2, v0, 0
	v_mbcnt_hi_u32_b32 v25, v1, v2
	v_cmp_eq_u32_e32 vcc, 0, v25
	v_cmp_ne_u64_e64 s[46:47], 0, v[0:1]
	s_and_b64 s[58:59], s[46:47], vcc
	; wave barrier
	s_and_saveexec_b64 s[46:47], s[58:59]
	s_cbranch_execz .LBB145_81
; %bb.80:                               ;   in Loop: Header=BB145_67 Depth=1
	v_bcnt_u32_b32 v0, v0, 0
	v_bcnt_u32_b32 v0, v1, v0
	s_waitcnt lgkmcnt(0)
	v_add_u32_e32 v0, v23, v0
	ds_write_b32 v24, v0
.LBB145_81:                             ;   in Loop: Header=BB145_67 Depth=1
	s_or_b64 exec, exec, s[46:47]
	v_lshrrev_b64 v[0:1], s48, v[46:47]
	v_and_b32_e32 v0, s57, v0
	v_lshlrev_b32_e32 v1, 3, v0
	v_add_lshl_u32 v1, v1, v73, 2
	; wave barrier
	v_add_u32_e32 v27, 32, v1
	ds_read_b32 v26, v1 offset:32
	v_and_b32_e32 v1, 1, v0
	v_add_co_u32_e32 v2, vcc, -1, v1
	v_addc_co_u32_e64 v3, s[46:47], 0, -1, vcc
	v_cmp_ne_u32_e32 vcc, 0, v1
	v_lshlrev_b32_e32 v43, 30, v0
	v_xor_b32_e32 v1, vcc_hi, v3
	v_not_b32_e32 v3, v43
	v_xor_b32_e32 v2, vcc_lo, v2
	v_cmp_gt_i64_e32 vcc, 0, v[42:43]
	v_ashrrev_i32_e32 v3, 31, v3
	v_and_b32_e32 v2, exec_lo, v2
	v_xor_b32_e32 v28, vcc_hi, v3
	v_xor_b32_e32 v3, vcc_lo, v3
	v_lshlrev_b32_e32 v43, 29, v0
	v_and_b32_e32 v2, v2, v3
	v_not_b32_e32 v3, v43
	v_and_b32_e32 v1, exec_hi, v1
	v_cmp_gt_i64_e32 vcc, 0, v[42:43]
	v_ashrrev_i32_e32 v3, 31, v3
	v_and_b32_e32 v1, v1, v28
	v_xor_b32_e32 v28, vcc_hi, v3
	v_xor_b32_e32 v3, vcc_lo, v3
	v_lshlrev_b32_e32 v43, 28, v0
	v_and_b32_e32 v2, v2, v3
	v_not_b32_e32 v3, v43
	v_cmp_gt_i64_e32 vcc, 0, v[42:43]
	v_ashrrev_i32_e32 v3, 31, v3
	v_and_b32_e32 v1, v1, v28
	v_xor_b32_e32 v28, vcc_hi, v3
	v_xor_b32_e32 v3, vcc_lo, v3
	v_lshlrev_b32_e32 v43, 27, v0
	v_and_b32_e32 v2, v2, v3
	v_not_b32_e32 v3, v43
	;; [unrolled: 8-line block ×3, first 2 shown]
	v_cmp_gt_i64_e32 vcc, 0, v[42:43]
	v_ashrrev_i32_e32 v3, 31, v3
	v_and_b32_e32 v1, v1, v28
	v_xor_b32_e32 v28, vcc_hi, v3
	v_xor_b32_e32 v3, vcc_lo, v3
	v_lshlrev_b32_e32 v43, 25, v0
	v_and_b32_e32 v2, v2, v3
	v_cmp_gt_i64_e32 vcc, 0, v[42:43]
	v_not_b32_e32 v3, v43
	v_lshlrev_b32_e32 v43, 24, v0
	v_ashrrev_i32_e32 v3, 31, v3
	v_not_b32_e32 v0, v43
	v_and_b32_e32 v1, v1, v28
	v_xor_b32_e32 v28, vcc_hi, v3
	v_xor_b32_e32 v3, vcc_lo, v3
	v_cmp_gt_i64_e32 vcc, 0, v[42:43]
	v_ashrrev_i32_e32 v0, 31, v0
	v_and_b32_e32 v2, v2, v3
	v_xor_b32_e32 v3, vcc_hi, v0
	v_xor_b32_e32 v0, vcc_lo, v0
	v_and_b32_e32 v1, v1, v28
	v_and_b32_e32 v0, v2, v0
	;; [unrolled: 1-line block ×3, first 2 shown]
	v_mbcnt_lo_u32_b32 v2, v0, 0
	v_mbcnt_hi_u32_b32 v28, v1, v2
	v_cmp_eq_u32_e32 vcc, 0, v28
	v_cmp_ne_u64_e64 s[46:47], 0, v[0:1]
	s_and_b64 s[58:59], s[46:47], vcc
	; wave barrier
	s_and_saveexec_b64 s[46:47], s[58:59]
	s_cbranch_execz .LBB145_83
; %bb.82:                               ;   in Loop: Header=BB145_67 Depth=1
	v_bcnt_u32_b32 v0, v0, 0
	v_bcnt_u32_b32 v0, v1, v0
	s_waitcnt lgkmcnt(0)
	v_add_u32_e32 v0, v26, v0
	ds_write_b32 v27, v0
.LBB145_83:                             ;   in Loop: Header=BB145_67 Depth=1
	s_or_b64 exec, exec, s[46:47]
	; wave barrier
	s_waitcnt lgkmcnt(0)
	s_barrier
	ds_read2_b32 v[2:3], v112 offset0:8 offset1:9
	ds_read2_b32 v[0:1], v72 offset0:2 offset1:3
	s_waitcnt lgkmcnt(1)
	v_add_u32_e32 v29, v3, v2
	s_waitcnt lgkmcnt(0)
	v_add3_u32 v1, v29, v0, v1
	s_nop 1
	v_mov_b32_dpp v29, v1 row_shr:1 row_mask:0xf bank_mask:0xf
	v_cndmask_b32_e64 v29, v29, 0, s[16:17]
	v_add_u32_e32 v1, v29, v1
	s_nop 1
	v_mov_b32_dpp v29, v1 row_shr:2 row_mask:0xf bank_mask:0xf
	v_cndmask_b32_e64 v29, 0, v29, s[18:19]
	v_add_u32_e32 v1, v1, v29
	;; [unrolled: 4-line block ×4, first 2 shown]
	s_nop 1
	v_mov_b32_dpp v29, v1 row_bcast:15 row_mask:0xf bank_mask:0xf
	v_cndmask_b32_e64 v29, v29, 0, s[24:25]
	v_add_u32_e32 v1, v1, v29
	s_nop 1
	v_mov_b32_dpp v29, v1 row_bcast:31 row_mask:0xf bank_mask:0xf
	v_cndmask_b32_e64 v29, 0, v29, s[26:27]
	v_add_u32_e32 v1, v1, v29
	s_and_saveexec_b64 s[46:47], s[28:29]
	s_cbranch_execz .LBB145_85
; %bb.84:                               ;   in Loop: Header=BB145_67 Depth=1
	ds_write_b32 v70, v1
.LBB145_85:                             ;   in Loop: Header=BB145_67 Depth=1
	s_or_b64 exec, exec, s[46:47]
	s_waitcnt lgkmcnt(0)
	s_barrier
	s_and_saveexec_b64 s[46:47], s[30:31]
	s_cbranch_execz .LBB145_87
; %bb.86:                               ;   in Loop: Header=BB145_67 Depth=1
	ds_read_b32 v29, v69
	s_waitcnt lgkmcnt(0)
	s_nop 0
	v_mov_b32_dpp v30, v29 row_shr:1 row_mask:0xf bank_mask:0xf
	v_cndmask_b32_e64 v30, v30, 0, s[40:41]
	v_add_u32_e32 v29, v30, v29
	s_nop 1
	v_mov_b32_dpp v30, v29 row_shr:2 row_mask:0xf bank_mask:0xf
	v_cndmask_b32_e64 v30, 0, v30, s[42:43]
	v_add_u32_e32 v29, v29, v30
	;; [unrolled: 4-line block ×3, first 2 shown]
	ds_write_b32 v69, v29
.LBB145_87:                             ;   in Loop: Header=BB145_67 Depth=1
	s_or_b64 exec, exec, s[46:47]
	v_mov_b32_e32 v29, 0
	s_waitcnt lgkmcnt(0)
	s_barrier
	s_and_saveexec_b64 s[46:47], s[34:35]
	s_cbranch_execz .LBB145_89
; %bb.88:                               ;   in Loop: Header=BB145_67 Depth=1
	ds_read_b32 v29, v75
.LBB145_89:                             ;   in Loop: Header=BB145_67 Depth=1
	s_or_b64 exec, exec, s[46:47]
	s_waitcnt lgkmcnt(0)
	v_add_u32_e32 v1, v29, v1
	ds_bpermute_b32 v1, v74, v1
	s_cmp_gt_u32 s48, 55
	s_waitcnt lgkmcnt(0)
	v_cndmask_b32_e64 v1, v1, v29, s[36:37]
	v_cndmask_b32_e64 v1, v1, 0, s[38:39]
	v_add_u32_e32 v2, v1, v2
	v_add_u32_e32 v3, v2, v3
	;; [unrolled: 1-line block ×3, first 2 shown]
	ds_write2_b32 v112, v1, v2 offset0:8 offset1:9
	ds_write2_b32 v72, v3, v0 offset0:2 offset1:3
	s_waitcnt lgkmcnt(0)
	s_barrier
	ds_read_b32 v0, v4
	ds_read_b32 v1, v7
	;; [unrolled: 1-line block ×8, first 2 shown]
	s_waitcnt lgkmcnt(7)
	v_add_u32_e32 v83, v0, v5
	s_waitcnt lgkmcnt(6)
	v_add3_u32 v82, v8, v6, v1
	s_waitcnt lgkmcnt(5)
	v_add3_u32 v81, v11, v9, v2
	;; [unrolled: 2-line block ×7, first 2 shown]
	s_cbranch_scc0 .LBB145_66
; %bb.90:
                                        ; implicit-def: $vgpr32_vgpr33
                                        ; implicit-def: $vgpr28_vgpr29
                                        ; implicit-def: $vgpr24_vgpr25
                                        ; implicit-def: $vgpr20_vgpr21
                                        ; implicit-def: $vgpr14_vgpr15
                                        ; implicit-def: $vgpr10_vgpr11
                                        ; implicit-def: $vgpr6_vgpr7
                                        ; implicit-def: $vgpr2_vgpr3
                                        ; implicit-def: $sgpr48_sgpr49
                                        ; implicit-def: $sgpr55
.LBB145_91:
	v_lshlrev_b32_e32 v18, 3, v83
	v_lshlrev_b32_e32 v19, 3, v82
	;; [unrolled: 1-line block ×9, first 2 shown]
	s_barrier
	ds_write_b64 v18, v[64:65]
	ds_write_b64 v19, v[62:63]
	;; [unrolled: 1-line block ×8, first 2 shown]
	s_waitcnt lgkmcnt(0)
	s_barrier
	ds_read2_b64 v[0:3], v26 offset1:1
	ds_read2_b64 v[4:7], v26 offset0:2 offset1:3
	ds_read2_b64 v[8:11], v26 offset0:4 offset1:5
	;; [unrolled: 1-line block ×3, first 2 shown]
	s_waitcnt lgkmcnt(0)
	s_barrier
	ds_write_b64 v18, v[50:51]
	ds_write_b64 v19, v[48:49]
	;; [unrolled: 1-line block ×8, first 2 shown]
	s_waitcnt lgkmcnt(0)
	s_barrier
	ds_read2_b64 v[34:37], v26 offset1:1
	ds_read2_b64 v[38:41], v26 offset0:2 offset1:3
	ds_read2_b64 v[42:45], v26 offset0:4 offset1:5
	;; [unrolled: 1-line block ×3, first 2 shown]
	v_xor_b32_e32 v51, 0x7fffffff, v1
	v_xor_b32_e32 v50, -1, v0
	v_xor_b32_e32 v53, 0x7fffffff, v3
	v_xor_b32_e32 v52, -1, v2
	;; [unrolled: 2-line block ×8, first 2 shown]
.LBB145_92:
	s_waitcnt lgkmcnt(0)
	s_barrier
	ds_write2_b64 v111, v[50:51], v[52:53] offset1:1
	ds_write2_b64 v111, v[54:55], v[56:57] offset0:2 offset1:3
	ds_write2_b64 v111, v[58:59], v[60:61] offset0:4 offset1:5
	;; [unrolled: 1-line block ×3, first 2 shown]
	s_waitcnt lgkmcnt(0)
	s_barrier
	ds_read_b64 v[14:15], v104 offset:4096
	ds_read_b64 v[12:13], v105 offset:8192
	;; [unrolled: 1-line block ×7, first 2 shown]
	v_mov_b32_e32 v67, 0
	v_lshlrev_b64 v[2:3], 3, v[66:67]
	v_mov_b32_e32 v16, s51
	v_add_co_u32_e32 v2, vcc, s33, v2
	v_addc_co_u32_e32 v3, vcc, v16, v3, vcc
	s_and_saveexec_b64 s[16:17], s[0:1]
	s_cbranch_execnz .LBB145_111
; %bb.93:
	s_or_b64 exec, exec, s[16:17]
	s_and_saveexec_b64 s[16:17], s[2:3]
	s_cbranch_execnz .LBB145_112
.LBB145_94:
	s_or_b64 exec, exec, s[16:17]
	s_and_saveexec_b64 s[16:17], s[4:5]
	s_cbranch_execnz .LBB145_113
.LBB145_95:
	s_or_b64 exec, exec, s[16:17]
	s_and_saveexec_b64 s[16:17], s[6:7]
	s_cbranch_execnz .LBB145_114
.LBB145_96:
	s_or_b64 exec, exec, s[16:17]
	s_and_saveexec_b64 s[16:17], s[8:9]
	s_cbranch_execnz .LBB145_115
.LBB145_97:
	s_or_b64 exec, exec, s[16:17]
	s_and_saveexec_b64 s[16:17], s[10:11]
	s_cbranch_execnz .LBB145_116
.LBB145_98:
	s_or_b64 exec, exec, s[16:17]
	s_and_saveexec_b64 s[16:17], s[12:13]
	s_cbranch_execnz .LBB145_117
.LBB145_99:
	s_or_b64 exec, exec, s[16:17]
	s_and_saveexec_b64 s[16:17], s[14:15]
	s_cbranch_execz .LBB145_101
.LBB145_100:
	s_mul_i32 s18, s50, 0xe00
	s_mov_b32 s19, 0
	s_lshl_b64 s[18:19], s[18:19], 3
	s_waitcnt lgkmcnt(1)
	v_mov_b32_e32 v4, s19
	v_add_co_u32_e32 v2, vcc, s18, v2
	v_addc_co_u32_e32 v3, vcc, v3, v4, vcc
	s_waitcnt lgkmcnt(0)
	global_store_dwordx2 v[2:3], v[0:1], off
.LBB145_101:
	s_or_b64 exec, exec, s[16:17]
	s_waitcnt lgkmcnt(0)
	s_barrier
	ds_write2_b64 v111, v[34:35], v[36:37] offset1:1
	ds_write2_b64 v111, v[38:39], v[40:41] offset0:2 offset1:3
	ds_write2_b64 v111, v[42:43], v[44:45] offset0:4 offset1:5
	ds_write2_b64 v111, v[46:47], v[48:49] offset0:6 offset1:7
	s_waitcnt lgkmcnt(0)
	s_barrier
	ds_read_b64 v[14:15], v104 offset:4096
	ds_read_b64 v[12:13], v105 offset:8192
	;; [unrolled: 1-line block ×7, first 2 shown]
	v_mov_b32_e32 v69, 0
	v_lshlrev_b64 v[2:3], 3, v[68:69]
	v_mov_b32_e32 v16, s56
	v_add_co_u32_e32 v2, vcc, s53, v2
	v_addc_co_u32_e32 v3, vcc, v16, v3, vcc
	s_and_saveexec_b64 s[16:17], s[0:1]
	s_cbranch_execnz .LBB145_118
; %bb.102:
	s_or_b64 exec, exec, s[16:17]
	s_and_saveexec_b64 s[0:1], s[2:3]
	s_cbranch_execnz .LBB145_119
.LBB145_103:
	s_or_b64 exec, exec, s[0:1]
	s_and_saveexec_b64 s[0:1], s[4:5]
	s_cbranch_execnz .LBB145_120
.LBB145_104:
	s_or_b64 exec, exec, s[0:1]
	s_and_saveexec_b64 s[0:1], s[6:7]
	s_cbranch_execnz .LBB145_121
.LBB145_105:
	s_or_b64 exec, exec, s[0:1]
	s_and_saveexec_b64 s[0:1], s[8:9]
	s_cbranch_execnz .LBB145_122
.LBB145_106:
	s_or_b64 exec, exec, s[0:1]
	s_and_saveexec_b64 s[0:1], s[10:11]
	s_cbranch_execnz .LBB145_123
.LBB145_107:
	s_or_b64 exec, exec, s[0:1]
	s_and_saveexec_b64 s[0:1], s[12:13]
	s_cbranch_execnz .LBB145_124
.LBB145_108:
	s_or_b64 exec, exec, s[0:1]
	s_and_saveexec_b64 s[0:1], s[14:15]
	s_cbranch_execz .LBB145_110
.LBB145_109:
	s_mul_i32 s0, s52, 0xe00
	s_mov_b32 s1, 0
	s_lshl_b64 s[0:1], s[0:1], 3
	s_waitcnt lgkmcnt(1)
	v_mov_b32_e32 v4, s1
	v_add_co_u32_e32 v2, vcc, s0, v2
	v_addc_co_u32_e32 v3, vcc, v3, v4, vcc
	s_waitcnt lgkmcnt(0)
	global_store_dwordx2 v[2:3], v[0:1], off
.LBB145_110:
	s_endpgm
.LBB145_111:
	ds_read_b64 v[16:17], v71
	s_waitcnt lgkmcnt(0)
	global_store_dwordx2 v[2:3], v[16:17], off
	s_or_b64 exec, exec, s[16:17]
	s_and_saveexec_b64 s[16:17], s[2:3]
	s_cbranch_execz .LBB145_94
.LBB145_112:
	s_lshl_b32 s18, s50, 9
	s_mov_b32 s19, 0
	s_lshl_b64 s[18:19], s[18:19], 3
	v_mov_b32_e32 v17, s19
	v_add_co_u32_e32 v16, vcc, s18, v2
	v_addc_co_u32_e32 v17, vcc, v3, v17, vcc
	s_waitcnt lgkmcnt(6)
	global_store_dwordx2 v[16:17], v[14:15], off
	s_or_b64 exec, exec, s[16:17]
	s_and_saveexec_b64 s[16:17], s[4:5]
	s_cbranch_execz .LBB145_95
.LBB145_113:
	s_lshl_b32 s18, s50, 10
	s_mov_b32 s19, 0
	s_lshl_b64 s[18:19], s[18:19], 3
	s_waitcnt lgkmcnt(6)
	v_mov_b32_e32 v15, s19
	v_add_co_u32_e32 v14, vcc, s18, v2
	v_addc_co_u32_e32 v15, vcc, v3, v15, vcc
	s_waitcnt lgkmcnt(5)
	global_store_dwordx2 v[14:15], v[12:13], off
	s_or_b64 exec, exec, s[16:17]
	s_and_saveexec_b64 s[16:17], s[6:7]
	s_cbranch_execz .LBB145_96
.LBB145_114:
	s_mul_i32 s18, s50, 0x600
	s_mov_b32 s19, 0
	s_lshl_b64 s[18:19], s[18:19], 3
	s_waitcnt lgkmcnt(5)
	v_mov_b32_e32 v13, s19
	v_add_co_u32_e32 v12, vcc, s18, v2
	v_addc_co_u32_e32 v13, vcc, v3, v13, vcc
	s_waitcnt lgkmcnt(4)
	global_store_dwordx2 v[12:13], v[10:11], off
	s_or_b64 exec, exec, s[16:17]
	s_and_saveexec_b64 s[16:17], s[8:9]
	s_cbranch_execz .LBB145_97
.LBB145_115:
	s_lshl_b32 s18, s50, 11
	s_mov_b32 s19, 0
	s_lshl_b64 s[18:19], s[18:19], 3
	s_waitcnt lgkmcnt(4)
	v_mov_b32_e32 v11, s19
	v_add_co_u32_e32 v10, vcc, s18, v2
	v_addc_co_u32_e32 v11, vcc, v3, v11, vcc
	s_waitcnt lgkmcnt(3)
	global_store_dwordx2 v[10:11], v[8:9], off
	s_or_b64 exec, exec, s[16:17]
	s_and_saveexec_b64 s[16:17], s[10:11]
	s_cbranch_execz .LBB145_98
.LBB145_116:
	s_mul_i32 s18, s50, 0xa00
	s_mov_b32 s19, 0
	s_lshl_b64 s[18:19], s[18:19], 3
	s_waitcnt lgkmcnt(3)
	v_mov_b32_e32 v9, s19
	v_add_co_u32_e32 v8, vcc, s18, v2
	v_addc_co_u32_e32 v9, vcc, v3, v9, vcc
	s_waitcnt lgkmcnt(2)
	global_store_dwordx2 v[8:9], v[6:7], off
	s_or_b64 exec, exec, s[16:17]
	s_and_saveexec_b64 s[16:17], s[12:13]
	s_cbranch_execz .LBB145_99
.LBB145_117:
	s_mul_i32 s18, s50, 0xc00
	s_mov_b32 s19, 0
	s_lshl_b64 s[18:19], s[18:19], 3
	s_waitcnt lgkmcnt(2)
	v_mov_b32_e32 v7, s19
	v_add_co_u32_e32 v6, vcc, s18, v2
	v_addc_co_u32_e32 v7, vcc, v3, v7, vcc
	s_waitcnt lgkmcnt(1)
	global_store_dwordx2 v[6:7], v[4:5], off
	s_or_b64 exec, exec, s[16:17]
	s_and_saveexec_b64 s[16:17], s[14:15]
	s_cbranch_execnz .LBB145_100
	s_branch .LBB145_101
.LBB145_118:
	ds_read_b64 v[16:17], v71
	s_waitcnt lgkmcnt(0)
	global_store_dwordx2 v[2:3], v[16:17], off
	s_or_b64 exec, exec, s[16:17]
	s_and_saveexec_b64 s[0:1], s[2:3]
	s_cbranch_execz .LBB145_103
.LBB145_119:
	s_lshl_b32 s2, s52, 9
	s_mov_b32 s3, 0
	s_lshl_b64 s[2:3], s[2:3], 3
	v_mov_b32_e32 v17, s3
	v_add_co_u32_e32 v16, vcc, s2, v2
	v_addc_co_u32_e32 v17, vcc, v3, v17, vcc
	s_waitcnt lgkmcnt(6)
	global_store_dwordx2 v[16:17], v[14:15], off
	s_or_b64 exec, exec, s[0:1]
	s_and_saveexec_b64 s[0:1], s[4:5]
	s_cbranch_execz .LBB145_104
.LBB145_120:
	s_lshl_b32 s2, s52, 10
	s_mov_b32 s3, 0
	s_lshl_b64 s[2:3], s[2:3], 3
	s_waitcnt lgkmcnt(6)
	v_mov_b32_e32 v15, s3
	v_add_co_u32_e32 v14, vcc, s2, v2
	v_addc_co_u32_e32 v15, vcc, v3, v15, vcc
	s_waitcnt lgkmcnt(5)
	global_store_dwordx2 v[14:15], v[12:13], off
	s_or_b64 exec, exec, s[0:1]
	s_and_saveexec_b64 s[0:1], s[6:7]
	s_cbranch_execz .LBB145_105
.LBB145_121:
	s_mul_i32 s2, s52, 0x600
	s_mov_b32 s3, 0
	s_lshl_b64 s[2:3], s[2:3], 3
	s_waitcnt lgkmcnt(5)
	v_mov_b32_e32 v13, s3
	v_add_co_u32_e32 v12, vcc, s2, v2
	v_addc_co_u32_e32 v13, vcc, v3, v13, vcc
	s_waitcnt lgkmcnt(4)
	global_store_dwordx2 v[12:13], v[10:11], off
	s_or_b64 exec, exec, s[0:1]
	s_and_saveexec_b64 s[0:1], s[8:9]
	s_cbranch_execz .LBB145_106
.LBB145_122:
	s_lshl_b32 s2, s52, 11
	s_mov_b32 s3, 0
	s_lshl_b64 s[2:3], s[2:3], 3
	s_waitcnt lgkmcnt(4)
	v_mov_b32_e32 v11, s3
	v_add_co_u32_e32 v10, vcc, s2, v2
	v_addc_co_u32_e32 v11, vcc, v3, v11, vcc
	s_waitcnt lgkmcnt(3)
	global_store_dwordx2 v[10:11], v[8:9], off
	s_or_b64 exec, exec, s[0:1]
	s_and_saveexec_b64 s[0:1], s[10:11]
	s_cbranch_execz .LBB145_107
.LBB145_123:
	s_mul_i32 s2, s52, 0xa00
	s_mov_b32 s3, 0
	s_lshl_b64 s[2:3], s[2:3], 3
	s_waitcnt lgkmcnt(3)
	v_mov_b32_e32 v9, s3
	v_add_co_u32_e32 v8, vcc, s2, v2
	v_addc_co_u32_e32 v9, vcc, v3, v9, vcc
	s_waitcnt lgkmcnt(2)
	global_store_dwordx2 v[8:9], v[6:7], off
	s_or_b64 exec, exec, s[0:1]
	s_and_saveexec_b64 s[0:1], s[12:13]
	s_cbranch_execz .LBB145_108
.LBB145_124:
	s_mul_i32 s2, s52, 0xc00
	s_mov_b32 s3, 0
	s_lshl_b64 s[2:3], s[2:3], 3
	s_waitcnt lgkmcnt(2)
	v_mov_b32_e32 v7, s3
	v_add_co_u32_e32 v6, vcc, s2, v2
	v_addc_co_u32_e32 v7, vcc, v3, v7, vcc
	s_waitcnt lgkmcnt(1)
	global_store_dwordx2 v[6:7], v[4:5], off
	s_or_b64 exec, exec, s[0:1]
	s_and_saveexec_b64 s[0:1], s[14:15]
	s_cbranch_execnz .LBB145_109
	s_branch .LBB145_110
	.section	.rodata,"a",@progbits
	.p2align	6, 0x0
	.amdhsa_kernel _ZN2at6native18radixSortKVInPlaceILi2ELin1ELi512ELi8ElljEEvNS_4cuda6detail10TensorInfoIT3_T5_EES6_S6_S6_NS4_IT4_S6_EES6_b
		.amdhsa_group_segment_fixed_size 33792
		.amdhsa_private_segment_fixed_size 0
		.amdhsa_kernarg_size 712
		.amdhsa_user_sgpr_count 6
		.amdhsa_user_sgpr_private_segment_buffer 1
		.amdhsa_user_sgpr_dispatch_ptr 0
		.amdhsa_user_sgpr_queue_ptr 0
		.amdhsa_user_sgpr_kernarg_segment_ptr 1
		.amdhsa_user_sgpr_dispatch_id 0
		.amdhsa_user_sgpr_flat_scratch_init 0
		.amdhsa_user_sgpr_kernarg_preload_length 0
		.amdhsa_user_sgpr_kernarg_preload_offset 0
		.amdhsa_user_sgpr_private_segment_size 0
		.amdhsa_uses_dynamic_stack 0
		.amdhsa_system_sgpr_private_segment_wavefront_offset 0
		.amdhsa_system_sgpr_workgroup_id_x 1
		.amdhsa_system_sgpr_workgroup_id_y 1
		.amdhsa_system_sgpr_workgroup_id_z 1
		.amdhsa_system_sgpr_workgroup_info 0
		.amdhsa_system_vgpr_workitem_id 2
		.amdhsa_next_free_vgpr 139
		.amdhsa_next_free_sgpr 62
		.amdhsa_accum_offset 140
		.amdhsa_reserve_vcc 1
		.amdhsa_reserve_flat_scratch 0
		.amdhsa_float_round_mode_32 0
		.amdhsa_float_round_mode_16_64 0
		.amdhsa_float_denorm_mode_32 3
		.amdhsa_float_denorm_mode_16_64 3
		.amdhsa_dx10_clamp 1
		.amdhsa_ieee_mode 1
		.amdhsa_fp16_overflow 0
		.amdhsa_tg_split 0
		.amdhsa_exception_fp_ieee_invalid_op 0
		.amdhsa_exception_fp_denorm_src 0
		.amdhsa_exception_fp_ieee_div_zero 0
		.amdhsa_exception_fp_ieee_overflow 0
		.amdhsa_exception_fp_ieee_underflow 0
		.amdhsa_exception_fp_ieee_inexact 0
		.amdhsa_exception_int_div_zero 0
	.end_amdhsa_kernel
	.section	.text._ZN2at6native18radixSortKVInPlaceILi2ELin1ELi512ELi8ElljEEvNS_4cuda6detail10TensorInfoIT3_T5_EES6_S6_S6_NS4_IT4_S6_EES6_b,"axG",@progbits,_ZN2at6native18radixSortKVInPlaceILi2ELin1ELi512ELi8ElljEEvNS_4cuda6detail10TensorInfoIT3_T5_EES6_S6_S6_NS4_IT4_S6_EES6_b,comdat
.Lfunc_end145:
	.size	_ZN2at6native18radixSortKVInPlaceILi2ELin1ELi512ELi8ElljEEvNS_4cuda6detail10TensorInfoIT3_T5_EES6_S6_S6_NS4_IT4_S6_EES6_b, .Lfunc_end145-_ZN2at6native18radixSortKVInPlaceILi2ELin1ELi512ELi8ElljEEvNS_4cuda6detail10TensorInfoIT3_T5_EES6_S6_S6_NS4_IT4_S6_EES6_b
                                        ; -- End function
	.section	.AMDGPU.csdata,"",@progbits
; Kernel info:
; codeLenInByte = 13244
; NumSgprs: 66
; NumVgprs: 139
; NumAgprs: 0
; TotalNumVgprs: 139
; ScratchSize: 0
; MemoryBound: 0
; FloatMode: 240
; IeeeMode: 1
; LDSByteSize: 33792 bytes/workgroup (compile time only)
; SGPRBlocks: 8
; VGPRBlocks: 17
; NumSGPRsForWavesPerEU: 66
; NumVGPRsForWavesPerEU: 139
; AccumOffset: 140
; Occupancy: 2
; WaveLimiterHint : 1
; COMPUTE_PGM_RSRC2:SCRATCH_EN: 0
; COMPUTE_PGM_RSRC2:USER_SGPR: 6
; COMPUTE_PGM_RSRC2:TRAP_HANDLER: 0
; COMPUTE_PGM_RSRC2:TGID_X_EN: 1
; COMPUTE_PGM_RSRC2:TGID_Y_EN: 1
; COMPUTE_PGM_RSRC2:TGID_Z_EN: 1
; COMPUTE_PGM_RSRC2:TIDIG_COMP_CNT: 2
; COMPUTE_PGM_RSRC3_GFX90A:ACCUM_OFFSET: 34
; COMPUTE_PGM_RSRC3_GFX90A:TG_SPLIT: 0
	.section	.text._ZN2at6native18radixSortKVInPlaceILi2ELin1ELi256ELi8ElljEEvNS_4cuda6detail10TensorInfoIT3_T5_EES6_S6_S6_NS4_IT4_S6_EES6_b,"axG",@progbits,_ZN2at6native18radixSortKVInPlaceILi2ELin1ELi256ELi8ElljEEvNS_4cuda6detail10TensorInfoIT3_T5_EES6_S6_S6_NS4_IT4_S6_EES6_b,comdat
	.protected	_ZN2at6native18radixSortKVInPlaceILi2ELin1ELi256ELi8ElljEEvNS_4cuda6detail10TensorInfoIT3_T5_EES6_S6_S6_NS4_IT4_S6_EES6_b ; -- Begin function _ZN2at6native18radixSortKVInPlaceILi2ELin1ELi256ELi8ElljEEvNS_4cuda6detail10TensorInfoIT3_T5_EES6_S6_S6_NS4_IT4_S6_EES6_b
	.globl	_ZN2at6native18radixSortKVInPlaceILi2ELin1ELi256ELi8ElljEEvNS_4cuda6detail10TensorInfoIT3_T5_EES6_S6_S6_NS4_IT4_S6_EES6_b
	.p2align	8
	.type	_ZN2at6native18radixSortKVInPlaceILi2ELin1ELi256ELi8ElljEEvNS_4cuda6detail10TensorInfoIT3_T5_EES6_S6_S6_NS4_IT4_S6_EES6_b,@function
_ZN2at6native18radixSortKVInPlaceILi2ELin1ELi256ELi8ElljEEvNS_4cuda6detail10TensorInfoIT3_T5_EES6_S6_S6_NS4_IT4_S6_EES6_b: ; @_ZN2at6native18radixSortKVInPlaceILi2ELin1ELi256ELi8ElljEEvNS_4cuda6detail10TensorInfoIT3_T5_EES6_S6_S6_NS4_IT4_S6_EES6_b
; %bb.0:
	s_load_dwordx2 s[0:1], s[4:5], 0x1c8
	s_load_dwordx4 s[44:47], s[4:5], 0xd8
	s_add_u32 s50, s4, 0x1c8
	s_addc_u32 s51, s5, 0
	s_waitcnt lgkmcnt(0)
	s_mul_i32 s1, s1, s8
	s_add_i32 s1, s1, s7
	s_mul_i32 s8, s1, s0
	s_add_i32 s8, s8, s6
	s_cmp_ge_u32 s8, s44
	s_cbranch_scc1 .LBB146_110
; %bb.1:
	s_load_dword s9, s[4:5], 0xc
	s_load_dwordx2 s[0:1], s[4:5], 0x6c
	s_load_dword s6, s[4:5], 0x1b8
	s_add_u32 s22, s4, 0xe8
	s_load_dwordx2 s[2:3], s[4:5], 0x0
	s_waitcnt lgkmcnt(0)
	v_cvt_f32_u32_e32 v1, s9
	s_addc_u32 s23, s5, 0
	s_sub_i32 s7, 0, s9
	s_mov_b32 s21, 0
	v_rcp_iflag_f32_e32 v1, v1
	s_mov_b32 s20, s8
	v_mul_f32_e32 v1, 0x4f7ffffe, v1
	v_cvt_u32_f32_e32 v1, v1
	v_readfirstlane_b32 s10, v1
	s_mul_i32 s7, s7, s10
	s_mul_hi_u32 s7, s10, s7
	s_add_i32 s10, s10, s7
	s_mul_hi_u32 s10, s8, s10
	s_cmp_lt_i32 s6, 2
	s_cbranch_scc1 .LBB146_4
; %bb.2:
	s_add_i32 s20, s6, -1
	s_add_i32 s11, s6, 1
	s_lshl_b64 s[6:7], s[20:21], 2
	s_add_u32 s6, s6, s22
	s_addc_u32 s7, s7, s23
	s_add_u32 s6, s6, 8
	s_addc_u32 s7, s7, 0
	s_mov_b32 s20, s8
.LBB146_3:                              ; =>This Inner Loop Header: Depth=1
	s_load_dword s12, s[6:7], 0x0
	s_load_dword s14, s[6:7], 0x64
	s_mov_b32 s13, s20
	s_waitcnt lgkmcnt(0)
	v_cvt_f32_u32_e32 v1, s12
	s_sub_i32 s15, 0, s12
	v_rcp_iflag_f32_e32 v1, v1
	v_mul_f32_e32 v1, 0x4f7ffffe, v1
	v_cvt_u32_f32_e32 v1, v1
	v_readfirstlane_b32 s16, v1
	s_mul_i32 s15, s15, s16
	s_mul_hi_u32 s15, s16, s15
	s_add_i32 s16, s16, s15
	s_mul_hi_u32 s15, s20, s16
	s_mul_i32 s16, s15, s12
	s_sub_i32 s16, s20, s16
	s_add_i32 s17, s15, 1
	s_sub_i32 s18, s16, s12
	s_cmp_ge_u32 s16, s12
	s_cselect_b32 s15, s17, s15
	s_cselect_b32 s16, s18, s16
	s_add_i32 s17, s15, 1
	s_cmp_ge_u32 s16, s12
	s_cselect_b32 s20, s17, s15
	s_mul_i32 s12, s20, s12
	s_sub_i32 s12, s13, s12
	s_mul_i32 s12, s14, s12
	s_add_i32 s11, s11, -1
	s_add_i32 s21, s12, s21
	s_add_u32 s6, s6, -4
	s_addc_u32 s7, s7, -1
	s_cmp_gt_u32 s11, 2
	s_cbranch_scc1 .LBB146_3
.LBB146_4:
	s_mul_i32 s6, s10, s9
	s_sub_i32 s6, s8, s6
	s_add_i32 s7, s10, 1
	s_sub_i32 s11, s6, s9
	s_cmp_ge_u32 s6, s9
	s_cselect_b32 s7, s7, s10
	s_cselect_b32 s6, s11, s6
	s_add_i32 s10, s7, 1
	s_cmp_ge_u32 s6, s9
	s_cselect_b32 s6, s10, s7
	s_load_dwordx2 s[48:49], s[4:5], 0x1c0
	s_mul_i32 s7, s6, s9
	s_sub_i32 s4, s8, s7
	s_mul_i32 s4, s4, s1
	s_mul_i32 s0, s6, s0
	s_add_i32 s0, s0, s4
	s_waitcnt lgkmcnt(0)
	s_bitcmp1_b32 s49, 0
	s_cselect_b64 s[34:35], -1, 0
	s_and_b64 s[4:5], s[34:35], exec
	s_mov_b32 s1, 0
	s_brev_b32 s5, 1
	s_cselect_b32 s4, 0, -1
	s_cselect_b32 s5, s5, 0x7fffffff
	s_lshl_b64 s[0:1], s[0:1], 3
	s_add_u32 s33, s2, s0
	v_and_b32_e32 v70, 0x3ff, v0
	s_mov_b32 s6, s4
	s_mov_b32 s7, s5
	;; [unrolled: 1-line block ×14, first 2 shown]
	v_pk_mov_b32 v[2:3], s[4:5], s[4:5] op_sel:[0,1]
	s_addc_u32 s47, s3, s1
	v_cmp_gt_u32_e64 s[0:1], s45, v70
	v_pk_mov_b32 v[4:5], s[6:7], s[6:7] op_sel:[0,1]
	v_pk_mov_b32 v[6:7], s[8:9], s[8:9] op_sel:[0,1]
	;; [unrolled: 1-line block ×8, first 2 shown]
	v_mul_lo_u32 v66, v70, s46
	s_and_saveexec_b64 s[2:3], s[0:1]
	s_cbranch_execz .LBB146_6
; %bb.5:
	v_mov_b32_e32 v67, 0
	v_lshlrev_b64 v[2:3], 3, v[66:67]
	v_mov_b32_e32 v1, s47
	v_add_co_u32_e32 v2, vcc, s33, v2
	v_addc_co_u32_e32 v3, vcc, v1, v3, vcc
	global_load_dwordx2 v[18:19], v[2:3], off
	v_pk_mov_b32 v[2:3], s[4:5], s[4:5] op_sel:[0,1]
	v_pk_mov_b32 v[4:5], s[6:7], s[6:7] op_sel:[0,1]
	;; [unrolled: 1-line block ×8, first 2 shown]
.LBB146_6:
	s_or_b64 exec, exec, s[2:3]
	v_add_u32_e32 v1, 0x100, v70
	v_cmp_gt_u32_e64 s[2:3], s45, v1
	s_and_saveexec_b64 s[4:5], s[2:3]
	s_cbranch_execz .LBB146_8
; %bb.7:
	v_mul_lo_u32 v2, v1, s46
	v_mov_b32_e32 v3, 0
	v_lshlrev_b64 v[2:3], 3, v[2:3]
	v_mov_b32_e32 v4, s47
	v_add_co_u32_e32 v2, vcc, s33, v2
	v_addc_co_u32_e32 v3, vcc, v4, v3, vcc
	global_load_dwordx2 v[4:5], v[2:3], off
.LBB146_8:
	s_or_b64 exec, exec, s[4:5]
	v_add_u32_e32 v34, 0x200, v70
	v_cmp_gt_u32_e64 s[4:5], s45, v34
	s_and_saveexec_b64 s[6:7], s[4:5]
	s_cbranch_execz .LBB146_10
; %bb.9:
	v_mul_lo_u32 v2, v34, s46
	v_mov_b32_e32 v3, 0
	v_lshlrev_b64 v[2:3], 3, v[2:3]
	v_mov_b32_e32 v6, s47
	v_add_co_u32_e32 v2, vcc, s33, v2
	v_addc_co_u32_e32 v3, vcc, v6, v3, vcc
	global_load_dwordx2 v[6:7], v[2:3], off
.LBB146_10:
	;; [unrolled: 14-line block ×3, first 2 shown]
	s_or_b64 exec, exec, s[8:9]
	v_or_b32_e32 v36, 0x400, v70
	v_cmp_gt_u32_e64 s[8:9], s45, v36
	s_and_saveexec_b64 s[10:11], s[8:9]
	s_cbranch_execz .LBB146_14
; %bb.13:
	v_mul_lo_u32 v2, v36, s46
	v_mov_b32_e32 v3, 0
	v_lshlrev_b64 v[2:3], 3, v[2:3]
	v_mov_b32_e32 v10, s47
	v_add_co_u32_e32 v2, vcc, s33, v2
	v_addc_co_u32_e32 v3, vcc, v10, v3, vcc
	global_load_dwordx2 v[10:11], v[2:3], off
.LBB146_14:
	s_or_b64 exec, exec, s[10:11]
	v_add_u32_e32 v37, 0x500, v70
	v_cmp_gt_u32_e64 s[10:11], s45, v37
	s_and_saveexec_b64 s[12:13], s[10:11]
	s_cbranch_execz .LBB146_16
; %bb.15:
	v_mul_lo_u32 v2, v37, s46
	v_mov_b32_e32 v3, 0
	v_lshlrev_b64 v[2:3], 3, v[2:3]
	v_mov_b32_e32 v12, s47
	v_add_co_u32_e32 v2, vcc, s33, v2
	v_addc_co_u32_e32 v3, vcc, v12, v3, vcc
	global_load_dwordx2 v[12:13], v[2:3], off
.LBB146_16:
	s_or_b64 exec, exec, s[12:13]
	s_load_dwordx2 s[18:19], s[22:23], 0x0
	v_add_u32_e32 v38, 0x600, v70
	v_cmp_gt_u32_e64 s[12:13], s45, v38
	s_and_saveexec_b64 s[14:15], s[12:13]
	s_cbranch_execz .LBB146_18
; %bb.17:
	v_mul_lo_u32 v2, v38, s46
	v_mov_b32_e32 v3, 0
	v_lshlrev_b64 v[2:3], 3, v[2:3]
	v_mov_b32_e32 v14, s47
	v_add_co_u32_e32 v2, vcc, s33, v2
	v_addc_co_u32_e32 v3, vcc, v14, v3, vcc
	global_load_dwordx2 v[14:15], v[2:3], off
.LBB146_18:
	s_or_b64 exec, exec, s[14:15]
	s_load_dword s22, s[22:23], 0x6c
	v_add_u32_e32 v39, 0x700, v70
	v_cmp_gt_u32_e64 s[14:15], s45, v39
	s_and_saveexec_b64 s[16:17], s[14:15]
	s_cbranch_execz .LBB146_20
; %bb.19:
	v_mul_lo_u32 v2, v39, s46
	v_mov_b32_e32 v3, 0
	v_lshlrev_b64 v[2:3], 3, v[2:3]
	v_mov_b32_e32 v16, s47
	v_add_co_u32_e32 v2, vcc, s33, v2
	v_addc_co_u32_e32 v3, vcc, v16, v3, vcc
	global_load_dwordx2 v[16:17], v[2:3], off
.LBB146_20:
	s_or_b64 exec, exec, s[16:17]
	v_lshrrev_b32_e32 v2, 5, v70
	v_add_lshl_u32 v71, v2, v70, 3
	v_lshrrev_b32_e32 v2, 5, v1
	v_add_lshl_u32 v104, v2, v70, 3
	;; [unrolled: 2-line block ×8, first 2 shown]
	v_lshlrev_b32_e32 v67, 3, v70
	v_lshrrev_b32_e32 v2, 2, v70
	v_add_lshl_u32 v111, v2, v67, 3
	s_waitcnt vmcnt(0)
	ds_write_b64 v71, v[18:19]
	ds_write_b64 v104, v[4:5] offset:2048
	ds_write_b64 v105, v[6:7] offset:4096
	;; [unrolled: 1-line block ×7, first 2 shown]
	s_waitcnt lgkmcnt(0)
	s_barrier
	ds_read2_b64 v[30:33], v111 offset1:1
	ds_read2_b64 v[26:29], v111 offset0:2 offset1:3
	ds_read2_b64 v[22:25], v111 offset0:4 offset1:5
	;; [unrolled: 1-line block ×3, first 2 shown]
	s_mul_i32 s16, s22, s20
	s_add_i32 s16, s16, s21
	s_mov_b32 s17, 0
	s_lshl_b64 s[20:21], s[16:17], 3
	s_add_u32 s49, s18, s20
	s_mov_b32 s16, s17
	s_addc_u32 s54, s19, s21
	s_mov_b32 s18, s17
	s_mov_b32 s19, s17
	;; [unrolled: 1-line block ×14, first 2 shown]
	v_pk_mov_b32 v[2:3], s[16:17], s[16:17] op_sel:[0,1]
	v_pk_mov_b32 v[4:5], s[18:19], s[18:19] op_sel:[0,1]
	;; [unrolled: 1-line block ×8, first 2 shown]
	v_pk_mov_b32 v[2:3], 0, 0
	v_mul_lo_u32 v68, v70, s48
	s_waitcnt lgkmcnt(0)
	s_barrier
	s_and_saveexec_b64 s[16:17], s[0:1]
	s_cbranch_execnz .LBB146_57
; %bb.21:
	s_or_b64 exec, exec, s[16:17]
	s_and_saveexec_b64 s[16:17], s[2:3]
	s_cbranch_execnz .LBB146_58
.LBB146_22:
	s_or_b64 exec, exec, s[16:17]
	s_and_saveexec_b64 s[16:17], s[4:5]
	s_cbranch_execnz .LBB146_59
.LBB146_23:
	s_or_b64 exec, exec, s[16:17]
	s_and_saveexec_b64 s[16:17], s[6:7]
	s_cbranch_execnz .LBB146_60
.LBB146_24:
	s_or_b64 exec, exec, s[16:17]
	s_and_saveexec_b64 s[16:17], s[8:9]
	s_cbranch_execnz .LBB146_61
.LBB146_25:
	s_or_b64 exec, exec, s[16:17]
	s_and_saveexec_b64 s[16:17], s[10:11]
	s_cbranch_execnz .LBB146_62
.LBB146_26:
	s_or_b64 exec, exec, s[16:17]
	s_and_saveexec_b64 s[16:17], s[12:13]
	s_cbranch_execnz .LBB146_63
.LBB146_27:
	s_or_b64 exec, exec, s[16:17]
	s_xor_b64 s[16:17], s[34:35], -1
	s_and_saveexec_b64 s[18:19], s[14:15]
	s_cbranch_execz .LBB146_29
.LBB146_28:
	v_mul_lo_u32 v16, v39, s48
	v_mov_b32_e32 v17, 0
	v_lshlrev_b64 v[16:17], 3, v[16:17]
	v_mov_b32_e32 v1, s54
	v_add_co_u32_e32 v16, vcc, s49, v16
	v_addc_co_u32_e32 v17, vcc, v1, v17, vcc
	global_load_dwordx2 v[16:17], v[16:17], off
.LBB146_29:
	s_or_b64 exec, exec, s[18:19]
	s_waitcnt vmcnt(0)
	ds_write_b64 v71, v[2:3]
	ds_write_b64 v104, v[4:5] offset:2048
	ds_write_b64 v105, v[6:7] offset:4096
	;; [unrolled: 1-line block ×7, first 2 shown]
	s_waitcnt lgkmcnt(0)
	s_barrier
	ds_read2_b64 v[14:17], v111 offset1:1
	ds_read2_b64 v[10:13], v111 offset0:2 offset1:3
	ds_read2_b64 v[6:9], v111 offset0:4 offset1:5
	;; [unrolled: 1-line block ×3, first 2 shown]
	v_mbcnt_lo_u32_b32 v1, -1, 0
	v_mbcnt_hi_u32_b32 v113, -1, v1
	v_and_b32_e32 v1, 0x1e00, v67
	v_and_b32_e32 v114, 0x3c0, v70
	v_or_b32_e32 v34, v113, v1
	v_add_lshl_u32 v125, v113, v114, 6
	v_lshlrev_b32_e32 v124, 3, v34
	s_and_b64 vcc, exec, s[16:17]
	v_bfe_u32 v122, v0, 10, 10
	v_bfe_u32 v123, v0, 20, 10
	v_lshlrev_b32_e32 v69, 2, v70
	v_lshlrev_b32_e32 v112, 4, v70
	v_and_b32_e32 v120, 15, v113
	v_and_b32_e32 v121, 16, v113
	v_cmp_lt_u32_e64 s[16:17], 31, v113
	v_cmp_gt_u32_e64 s[18:19], 4, v70
	v_cmp_lt_u32_e64 s[20:21], 63, v70
	v_add_u32_e32 v117, -1, v113
	v_and_b32_e32 v119, 64, v113
	v_cmp_eq_u32_e64 s[22:23], 0, v113
	v_cmp_eq_u32_e64 s[24:25], 0, v70
	v_lshrrev_b32_e32 v118, 4, v70
	v_and_b32_e32 v116, 3, v113
	v_and_or_b32 v115, v113, 63, v1
	s_waitcnt lgkmcnt(0)
	s_barrier
	s_cbranch_vccz .LBB146_64
; %bb.30:
	v_xor_b32_e32 v1, 0x80000000, v31
	v_xor_b32_e32 v35, 0x80000000, v33
	;; [unrolled: 1-line block ×8, first 2 shown]
	v_mov_b32_e32 v0, v30
	v_mov_b32_e32 v34, v32
	;; [unrolled: 1-line block ×8, first 2 shown]
	ds_write2_b64 v125, v[0:1], v[34:35] offset1:1
	ds_write2_b64 v125, v[36:37], v[38:39] offset0:2 offset1:3
	ds_write2_b64 v125, v[40:41], v[42:43] offset0:4 offset1:5
	;; [unrolled: 1-line block ×3, first 2 shown]
	; wave barrier
	ds_read2st64_b64 v[34:37], v124 offset1:1
	ds_read2st64_b64 v[38:41], v124 offset0:2 offset1:3
	ds_read2st64_b64 v[42:45], v124 offset0:4 offset1:5
	;; [unrolled: 1-line block ×3, first 2 shown]
	; wave barrier
	ds_write2_b64 v125, v[14:15], v[16:17] offset1:1
	ds_write2_b64 v125, v[10:11], v[12:13] offset0:2 offset1:3
	ds_write2_b64 v125, v[6:7], v[8:9] offset0:4 offset1:5
	;; [unrolled: 1-line block ×3, first 2 shown]
	; wave barrier
	ds_read2st64_b64 v[50:53], v124 offset1:1
	ds_read2st64_b64 v[54:57], v124 offset0:2 offset1:3
	ds_read2st64_b64 v[58:61], v124 offset0:4 offset1:5
	;; [unrolled: 1-line block ×3, first 2 shown]
	s_waitcnt lgkmcnt(0)
	s_barrier
	s_load_dword s28, s[50:51], 0xc
	s_getpc_b64 s[26:27]
	s_add_u32 s26, s26, _ZN7rocprim17ROCPRIM_400000_NS16block_radix_sortIlLj256ELj8ElLj1ELj1ELj0ELNS0_26block_radix_rank_algorithmE1ELNS0_18block_padding_hintE2ELNS0_4arch9wavefront6targetE1EE19radix_bits_per_passE@rel32@lo+4
	s_addc_u32 s27, s27, _ZN7rocprim17ROCPRIM_400000_NS16block_radix_sortIlLj256ELj8ElLj1ELj1ELj0ELNS0_26block_radix_rank_algorithmE1ELNS0_18block_padding_hintE2ELNS0_4arch9wavefront6targetE1EE19radix_bits_per_passE@rel32@hi+12
	s_load_dword s55, s[26:27], 0x0
	v_cmp_lt_i32_e32 vcc, v117, v119
	v_and_b32_e32 v129, 60, v118
	s_waitcnt lgkmcnt(0)
	s_lshr_b32 s26, s28, 16
	s_and_b32 s27, s28, 0xffff
	v_mad_u32_u24 v0, v123, s26, v122
	v_mad_u64_u32 v[0:1], s[26:27], v0, s27, v[70:71]
	v_lshrrev_b32_e32 v127, 6, v0
	v_min_u32_e32 v0, 0xc0, v114
	v_or_b32_e32 v0, 63, v0
	v_cmp_eq_u32_e64 s[38:39], v0, v70
	v_cndmask_b32_e32 v0, v117, v113, vcc
	v_add_u32_e32 v126, 16, v112
	v_cmp_eq_u32_e64 s[26:27], 0, v120
	v_cmp_lt_u32_e64 s[28:29], 1, v120
	v_cmp_lt_u32_e64 s[30:31], 3, v120
	;; [unrolled: 1-line block ×3, first 2 shown]
	v_cmp_eq_u32_e64 s[36:37], 0, v121
	s_mov_b32 s56, 64
	v_lshlrev_b32_e32 v128, 2, v0
	v_cmp_eq_u32_e64 s[40:41], 0, v116
	v_cmp_lt_u32_e64 s[42:43], 1, v116
	v_add_u32_e32 v130, -4, v129
	v_lshlrev_b32_e32 v131, 3, v115
	s_mov_b64 s[52:53], 0
	v_mov_b32_e32 v86, 0
	s_branch .LBB146_32
.LBB146_31:                             ;   in Loop: Header=BB146_32 Depth=1
	v_lshlrev_b32_e32 v50, 3, v138
	v_lshlrev_b32_e32 v51, 3, v137
	;; [unrolled: 1-line block ×8, first 2 shown]
	s_barrier
	ds_write_b64 v50, v[102:103]
	ds_write_b64 v51, v[100:101]
	;; [unrolled: 1-line block ×8, first 2 shown]
	s_waitcnt lgkmcnt(0)
	s_barrier
	ds_read2st64_b64 v[34:37], v131 offset1:1
	ds_read2st64_b64 v[38:41], v131 offset0:2 offset1:3
	ds_read2st64_b64 v[42:45], v131 offset0:4 offset1:5
	;; [unrolled: 1-line block ×3, first 2 shown]
	s_waitcnt lgkmcnt(0)
	s_barrier
	ds_write_b64 v50, v[84:85]
	ds_write_b64 v51, v[82:83]
	;; [unrolled: 1-line block ×8, first 2 shown]
	s_waitcnt lgkmcnt(0)
	s_barrier
	ds_read2st64_b64 v[50:53], v131 offset1:1
	ds_read2st64_b64 v[54:57], v131 offset0:2 offset1:3
	ds_read2st64_b64 v[58:61], v131 offset0:4 offset1:5
	;; [unrolled: 1-line block ×3, first 2 shown]
	s_add_u32 s52, s52, 8
	s_addc_u32 s53, s53, 0
	s_add_i32 s56, s56, -8
	s_waitcnt lgkmcnt(0)
	s_barrier
	s_cbranch_execz .LBB146_56
.LBB146_32:                             ; =>This Inner Loop Header: Depth=1
	s_min_u32 s44, s55, s56
	v_pk_mov_b32 v[102:103], v[34:35], v[34:35] op_sel:[0,1]
	s_lshl_b32 s44, -1, s44
	s_not_b32 s57, s44
	v_lshrrev_b64 v[34:35], s52, v[102:103]
	v_and_b32_e32 v34, s57, v34
	v_lshl_add_u32 v35, v34, 2, v127
	v_pk_mov_b32 v[98:99], v[38:39], v[38:39] op_sel:[0,1]
	v_lshl_add_u32 v38, v35, 2, 16
	v_and_b32_e32 v35, 1, v34
	v_pk_mov_b32 v[100:101], v[36:37], v[36:37] op_sel:[0,1]
	v_add_co_u32_e32 v36, vcc, -1, v35
	v_addc_co_u32_e64 v37, s[44:45], 0, -1, vcc
	v_cmp_ne_u32_e32 vcc, 0, v35
	v_lshlrev_b32_e32 v87, 30, v34
	v_xor_b32_e32 v35, vcc_hi, v37
	v_not_b32_e32 v37, v87
	v_xor_b32_e32 v36, vcc_lo, v36
	v_cmp_gt_i64_e32 vcc, 0, v[86:87]
	v_ashrrev_i32_e32 v37, 31, v37
	v_and_b32_e32 v36, exec_lo, v36
	v_xor_b32_e32 v39, vcc_hi, v37
	v_xor_b32_e32 v37, vcc_lo, v37
	v_lshlrev_b32_e32 v87, 29, v34
	v_and_b32_e32 v36, v36, v37
	v_not_b32_e32 v37, v87
	v_and_b32_e32 v35, exec_hi, v35
	v_cmp_gt_i64_e32 vcc, 0, v[86:87]
	v_ashrrev_i32_e32 v37, 31, v37
	v_and_b32_e32 v35, v35, v39
	v_xor_b32_e32 v39, vcc_hi, v37
	v_xor_b32_e32 v37, vcc_lo, v37
	v_lshlrev_b32_e32 v87, 28, v34
	v_and_b32_e32 v36, v36, v37
	v_not_b32_e32 v37, v87
	v_cmp_gt_i64_e32 vcc, 0, v[86:87]
	v_ashrrev_i32_e32 v37, 31, v37
	v_and_b32_e32 v35, v35, v39
	v_xor_b32_e32 v39, vcc_hi, v37
	v_xor_b32_e32 v37, vcc_lo, v37
	v_lshlrev_b32_e32 v87, 27, v34
	v_and_b32_e32 v36, v36, v37
	v_not_b32_e32 v37, v87
	;; [unrolled: 8-line block ×3, first 2 shown]
	v_cmp_gt_i64_e32 vcc, 0, v[86:87]
	v_ashrrev_i32_e32 v37, 31, v37
	v_and_b32_e32 v35, v35, v39
	v_xor_b32_e32 v39, vcc_hi, v37
	v_xor_b32_e32 v37, vcc_lo, v37
	v_lshlrev_b32_e32 v87, 25, v34
	v_and_b32_e32 v36, v36, v37
	v_cmp_gt_i64_e32 vcc, 0, v[86:87]
	v_not_b32_e32 v37, v87
	v_lshlrev_b32_e32 v87, 24, v34
	v_ashrrev_i32_e32 v37, 31, v37
	v_not_b32_e32 v34, v87
	v_and_b32_e32 v35, v35, v39
	v_xor_b32_e32 v39, vcc_hi, v37
	v_xor_b32_e32 v37, vcc_lo, v37
	v_cmp_gt_i64_e32 vcc, 0, v[86:87]
	v_ashrrev_i32_e32 v34, 31, v34
	v_and_b32_e32 v36, v36, v37
	v_xor_b32_e32 v37, vcc_hi, v34
	v_xor_b32_e32 v34, vcc_lo, v34
	v_and_b32_e32 v35, v35, v39
	v_and_b32_e32 v34, v36, v34
	;; [unrolled: 1-line block ×3, first 2 shown]
	v_mbcnt_lo_u32_b32 v36, v34, 0
	v_mbcnt_hi_u32_b32 v39, v35, v36
	v_cmp_eq_u32_e32 vcc, 0, v39
	v_cmp_ne_u64_e64 s[44:45], 0, v[34:35]
	v_pk_mov_b32 v[88:89], v[48:49], v[48:49] op_sel:[0,1]
	v_pk_mov_b32 v[90:91], v[46:47], v[46:47] op_sel:[0,1]
	;; [unrolled: 1-line block ×13, first 2 shown]
	s_and_b64 s[58:59], s[44:45], vcc
	ds_write2_b32 v112, v86, v86 offset0:4 offset1:5
	ds_write2_b32 v126, v86, v86 offset0:2 offset1:3
	s_waitcnt lgkmcnt(0)
	s_barrier
	s_waitcnt lgkmcnt(0)
	; wave barrier
	s_and_saveexec_b64 s[44:45], s[58:59]
	s_cbranch_execz .LBB146_34
; %bb.33:                               ;   in Loop: Header=BB146_32 Depth=1
	v_bcnt_u32_b32 v34, v34, 0
	v_bcnt_u32_b32 v34, v35, v34
	ds_write_b32 v38, v34
.LBB146_34:                             ;   in Loop: Header=BB146_32 Depth=1
	s_or_b64 exec, exec, s[44:45]
	v_lshrrev_b64 v[34:35], s52, v[100:101]
	v_and_b32_e32 v34, s57, v34
	v_lshlrev_b32_e32 v35, 2, v34
	v_add_lshl_u32 v35, v35, v127, 2
	; wave barrier
	v_add_u32_e32 v41, 16, v35
	ds_read_b32 v40, v35 offset:16
	v_and_b32_e32 v35, 1, v34
	v_add_co_u32_e32 v36, vcc, -1, v35
	v_addc_co_u32_e64 v37, s[44:45], 0, -1, vcc
	v_cmp_ne_u32_e32 vcc, 0, v35
	v_lshlrev_b32_e32 v87, 30, v34
	v_xor_b32_e32 v35, vcc_hi, v37
	v_not_b32_e32 v37, v87
	v_xor_b32_e32 v36, vcc_lo, v36
	v_cmp_gt_i64_e32 vcc, 0, v[86:87]
	v_ashrrev_i32_e32 v37, 31, v37
	v_and_b32_e32 v36, exec_lo, v36
	v_xor_b32_e32 v42, vcc_hi, v37
	v_xor_b32_e32 v37, vcc_lo, v37
	v_lshlrev_b32_e32 v87, 29, v34
	v_and_b32_e32 v36, v36, v37
	v_not_b32_e32 v37, v87
	v_and_b32_e32 v35, exec_hi, v35
	v_cmp_gt_i64_e32 vcc, 0, v[86:87]
	v_ashrrev_i32_e32 v37, 31, v37
	v_and_b32_e32 v35, v35, v42
	v_xor_b32_e32 v42, vcc_hi, v37
	v_xor_b32_e32 v37, vcc_lo, v37
	v_lshlrev_b32_e32 v87, 28, v34
	v_and_b32_e32 v36, v36, v37
	v_not_b32_e32 v37, v87
	v_cmp_gt_i64_e32 vcc, 0, v[86:87]
	v_ashrrev_i32_e32 v37, 31, v37
	v_and_b32_e32 v35, v35, v42
	v_xor_b32_e32 v42, vcc_hi, v37
	v_xor_b32_e32 v37, vcc_lo, v37
	v_lshlrev_b32_e32 v87, 27, v34
	v_and_b32_e32 v36, v36, v37
	v_not_b32_e32 v37, v87
	v_cmp_gt_i64_e32 vcc, 0, v[86:87]
	v_ashrrev_i32_e32 v37, 31, v37
	v_and_b32_e32 v35, v35, v42
	v_xor_b32_e32 v42, vcc_hi, v37
	v_xor_b32_e32 v37, vcc_lo, v37
	v_lshlrev_b32_e32 v87, 26, v34
	v_and_b32_e32 v36, v36, v37
	v_not_b32_e32 v37, v87
	v_cmp_gt_i64_e32 vcc, 0, v[86:87]
	v_ashrrev_i32_e32 v37, 31, v37
	v_and_b32_e32 v35, v35, v42
	v_xor_b32_e32 v42, vcc_hi, v37
	v_xor_b32_e32 v37, vcc_lo, v37
	v_lshlrev_b32_e32 v87, 25, v34
	v_and_b32_e32 v36, v36, v37
	v_cmp_gt_i64_e32 vcc, 0, v[86:87]
	v_not_b32_e32 v37, v87
	v_lshlrev_b32_e32 v87, 24, v34
	v_ashrrev_i32_e32 v37, 31, v37
	v_not_b32_e32 v34, v87
	v_and_b32_e32 v35, v35, v42
	v_xor_b32_e32 v42, vcc_hi, v37
	v_xor_b32_e32 v37, vcc_lo, v37
	v_cmp_gt_i64_e32 vcc, 0, v[86:87]
	v_ashrrev_i32_e32 v34, 31, v34
	v_and_b32_e32 v36, v36, v37
	v_xor_b32_e32 v37, vcc_hi, v34
	v_xor_b32_e32 v34, vcc_lo, v34
	v_and_b32_e32 v35, v35, v42
	v_and_b32_e32 v34, v36, v34
	;; [unrolled: 1-line block ×3, first 2 shown]
	v_mbcnt_lo_u32_b32 v36, v34, 0
	v_mbcnt_hi_u32_b32 v42, v35, v36
	v_cmp_eq_u32_e32 vcc, 0, v42
	v_cmp_ne_u64_e64 s[44:45], 0, v[34:35]
	s_and_b64 s[58:59], s[44:45], vcc
	; wave barrier
	s_and_saveexec_b64 s[44:45], s[58:59]
	s_cbranch_execz .LBB146_36
; %bb.35:                               ;   in Loop: Header=BB146_32 Depth=1
	v_bcnt_u32_b32 v34, v34, 0
	v_bcnt_u32_b32 v34, v35, v34
	s_waitcnt lgkmcnt(0)
	v_add_u32_e32 v34, v40, v34
	ds_write_b32 v41, v34
.LBB146_36:                             ;   in Loop: Header=BB146_32 Depth=1
	s_or_b64 exec, exec, s[44:45]
	v_lshrrev_b64 v[34:35], s52, v[98:99]
	v_and_b32_e32 v34, s57, v34
	v_lshlrev_b32_e32 v35, 2, v34
	v_add_lshl_u32 v35, v35, v127, 2
	; wave barrier
	v_add_u32_e32 v44, 16, v35
	ds_read_b32 v43, v35 offset:16
	v_and_b32_e32 v35, 1, v34
	v_add_co_u32_e32 v36, vcc, -1, v35
	v_addc_co_u32_e64 v37, s[44:45], 0, -1, vcc
	v_cmp_ne_u32_e32 vcc, 0, v35
	v_lshlrev_b32_e32 v87, 30, v34
	v_xor_b32_e32 v35, vcc_hi, v37
	v_not_b32_e32 v37, v87
	v_xor_b32_e32 v36, vcc_lo, v36
	v_cmp_gt_i64_e32 vcc, 0, v[86:87]
	v_ashrrev_i32_e32 v37, 31, v37
	v_and_b32_e32 v36, exec_lo, v36
	v_xor_b32_e32 v45, vcc_hi, v37
	v_xor_b32_e32 v37, vcc_lo, v37
	v_lshlrev_b32_e32 v87, 29, v34
	v_and_b32_e32 v36, v36, v37
	v_not_b32_e32 v37, v87
	v_and_b32_e32 v35, exec_hi, v35
	v_cmp_gt_i64_e32 vcc, 0, v[86:87]
	v_ashrrev_i32_e32 v37, 31, v37
	v_and_b32_e32 v35, v35, v45
	v_xor_b32_e32 v45, vcc_hi, v37
	v_xor_b32_e32 v37, vcc_lo, v37
	v_lshlrev_b32_e32 v87, 28, v34
	v_and_b32_e32 v36, v36, v37
	v_not_b32_e32 v37, v87
	v_cmp_gt_i64_e32 vcc, 0, v[86:87]
	v_ashrrev_i32_e32 v37, 31, v37
	v_and_b32_e32 v35, v35, v45
	v_xor_b32_e32 v45, vcc_hi, v37
	v_xor_b32_e32 v37, vcc_lo, v37
	v_lshlrev_b32_e32 v87, 27, v34
	v_and_b32_e32 v36, v36, v37
	v_not_b32_e32 v37, v87
	;; [unrolled: 8-line block ×3, first 2 shown]
	v_cmp_gt_i64_e32 vcc, 0, v[86:87]
	v_ashrrev_i32_e32 v37, 31, v37
	v_and_b32_e32 v35, v35, v45
	v_xor_b32_e32 v45, vcc_hi, v37
	v_xor_b32_e32 v37, vcc_lo, v37
	v_lshlrev_b32_e32 v87, 25, v34
	v_and_b32_e32 v36, v36, v37
	v_cmp_gt_i64_e32 vcc, 0, v[86:87]
	v_not_b32_e32 v37, v87
	v_lshlrev_b32_e32 v87, 24, v34
	v_ashrrev_i32_e32 v37, 31, v37
	v_not_b32_e32 v34, v87
	v_and_b32_e32 v35, v35, v45
	v_xor_b32_e32 v45, vcc_hi, v37
	v_xor_b32_e32 v37, vcc_lo, v37
	v_cmp_gt_i64_e32 vcc, 0, v[86:87]
	v_ashrrev_i32_e32 v34, 31, v34
	v_and_b32_e32 v36, v36, v37
	v_xor_b32_e32 v37, vcc_hi, v34
	v_xor_b32_e32 v34, vcc_lo, v34
	v_and_b32_e32 v35, v35, v45
	v_and_b32_e32 v34, v36, v34
	;; [unrolled: 1-line block ×3, first 2 shown]
	v_mbcnt_lo_u32_b32 v36, v34, 0
	v_mbcnt_hi_u32_b32 v45, v35, v36
	v_cmp_eq_u32_e32 vcc, 0, v45
	v_cmp_ne_u64_e64 s[44:45], 0, v[34:35]
	s_and_b64 s[58:59], s[44:45], vcc
	; wave barrier
	s_and_saveexec_b64 s[44:45], s[58:59]
	s_cbranch_execz .LBB146_38
; %bb.37:                               ;   in Loop: Header=BB146_32 Depth=1
	v_bcnt_u32_b32 v34, v34, 0
	v_bcnt_u32_b32 v34, v35, v34
	s_waitcnt lgkmcnt(0)
	v_add_u32_e32 v34, v43, v34
	ds_write_b32 v44, v34
.LBB146_38:                             ;   in Loop: Header=BB146_32 Depth=1
	s_or_b64 exec, exec, s[44:45]
	v_lshrrev_b64 v[34:35], s52, v[96:97]
	v_and_b32_e32 v34, s57, v34
	v_lshlrev_b32_e32 v35, 2, v34
	v_add_lshl_u32 v35, v35, v127, 2
	; wave barrier
	v_add_u32_e32 v47, 16, v35
	ds_read_b32 v46, v35 offset:16
	v_and_b32_e32 v35, 1, v34
	v_add_co_u32_e32 v36, vcc, -1, v35
	v_addc_co_u32_e64 v37, s[44:45], 0, -1, vcc
	v_cmp_ne_u32_e32 vcc, 0, v35
	v_lshlrev_b32_e32 v87, 30, v34
	v_xor_b32_e32 v35, vcc_hi, v37
	v_not_b32_e32 v37, v87
	v_xor_b32_e32 v36, vcc_lo, v36
	v_cmp_gt_i64_e32 vcc, 0, v[86:87]
	v_ashrrev_i32_e32 v37, 31, v37
	v_and_b32_e32 v36, exec_lo, v36
	v_xor_b32_e32 v48, vcc_hi, v37
	v_xor_b32_e32 v37, vcc_lo, v37
	v_lshlrev_b32_e32 v87, 29, v34
	v_and_b32_e32 v36, v36, v37
	v_not_b32_e32 v37, v87
	v_and_b32_e32 v35, exec_hi, v35
	v_cmp_gt_i64_e32 vcc, 0, v[86:87]
	v_ashrrev_i32_e32 v37, 31, v37
	v_and_b32_e32 v35, v35, v48
	v_xor_b32_e32 v48, vcc_hi, v37
	v_xor_b32_e32 v37, vcc_lo, v37
	v_lshlrev_b32_e32 v87, 28, v34
	v_and_b32_e32 v36, v36, v37
	v_not_b32_e32 v37, v87
	v_cmp_gt_i64_e32 vcc, 0, v[86:87]
	v_ashrrev_i32_e32 v37, 31, v37
	v_and_b32_e32 v35, v35, v48
	v_xor_b32_e32 v48, vcc_hi, v37
	v_xor_b32_e32 v37, vcc_lo, v37
	v_lshlrev_b32_e32 v87, 27, v34
	v_and_b32_e32 v36, v36, v37
	v_not_b32_e32 v37, v87
	;; [unrolled: 8-line block ×3, first 2 shown]
	v_cmp_gt_i64_e32 vcc, 0, v[86:87]
	v_ashrrev_i32_e32 v37, 31, v37
	v_and_b32_e32 v35, v35, v48
	v_xor_b32_e32 v48, vcc_hi, v37
	v_xor_b32_e32 v37, vcc_lo, v37
	v_lshlrev_b32_e32 v87, 25, v34
	v_and_b32_e32 v36, v36, v37
	v_cmp_gt_i64_e32 vcc, 0, v[86:87]
	v_not_b32_e32 v37, v87
	v_lshlrev_b32_e32 v87, 24, v34
	v_ashrrev_i32_e32 v37, 31, v37
	v_not_b32_e32 v34, v87
	v_and_b32_e32 v35, v35, v48
	v_xor_b32_e32 v48, vcc_hi, v37
	v_xor_b32_e32 v37, vcc_lo, v37
	v_cmp_gt_i64_e32 vcc, 0, v[86:87]
	v_ashrrev_i32_e32 v34, 31, v34
	v_and_b32_e32 v36, v36, v37
	v_xor_b32_e32 v37, vcc_hi, v34
	v_xor_b32_e32 v34, vcc_lo, v34
	v_and_b32_e32 v35, v35, v48
	v_and_b32_e32 v34, v36, v34
	;; [unrolled: 1-line block ×3, first 2 shown]
	v_mbcnt_lo_u32_b32 v36, v34, 0
	v_mbcnt_hi_u32_b32 v48, v35, v36
	v_cmp_eq_u32_e32 vcc, 0, v48
	v_cmp_ne_u64_e64 s[44:45], 0, v[34:35]
	s_and_b64 s[58:59], s[44:45], vcc
	; wave barrier
	s_and_saveexec_b64 s[44:45], s[58:59]
	s_cbranch_execz .LBB146_40
; %bb.39:                               ;   in Loop: Header=BB146_32 Depth=1
	v_bcnt_u32_b32 v34, v34, 0
	v_bcnt_u32_b32 v34, v35, v34
	s_waitcnt lgkmcnt(0)
	v_add_u32_e32 v34, v46, v34
	ds_write_b32 v47, v34
.LBB146_40:                             ;   in Loop: Header=BB146_32 Depth=1
	s_or_b64 exec, exec, s[44:45]
	v_lshrrev_b64 v[34:35], s52, v[94:95]
	v_and_b32_e32 v34, s57, v34
	v_lshlrev_b32_e32 v35, 2, v34
	v_add_lshl_u32 v35, v35, v127, 2
	; wave barrier
	v_add_u32_e32 v50, 16, v35
	ds_read_b32 v49, v35 offset:16
	v_and_b32_e32 v35, 1, v34
	v_add_co_u32_e32 v36, vcc, -1, v35
	v_addc_co_u32_e64 v37, s[44:45], 0, -1, vcc
	v_cmp_ne_u32_e32 vcc, 0, v35
	v_lshlrev_b32_e32 v87, 30, v34
	v_xor_b32_e32 v35, vcc_hi, v37
	v_not_b32_e32 v37, v87
	v_xor_b32_e32 v36, vcc_lo, v36
	v_cmp_gt_i64_e32 vcc, 0, v[86:87]
	v_ashrrev_i32_e32 v37, 31, v37
	v_and_b32_e32 v36, exec_lo, v36
	v_xor_b32_e32 v51, vcc_hi, v37
	v_xor_b32_e32 v37, vcc_lo, v37
	v_lshlrev_b32_e32 v87, 29, v34
	v_and_b32_e32 v36, v36, v37
	v_not_b32_e32 v37, v87
	v_and_b32_e32 v35, exec_hi, v35
	v_cmp_gt_i64_e32 vcc, 0, v[86:87]
	v_ashrrev_i32_e32 v37, 31, v37
	v_and_b32_e32 v35, v35, v51
	v_xor_b32_e32 v51, vcc_hi, v37
	v_xor_b32_e32 v37, vcc_lo, v37
	v_lshlrev_b32_e32 v87, 28, v34
	v_and_b32_e32 v36, v36, v37
	v_not_b32_e32 v37, v87
	v_cmp_gt_i64_e32 vcc, 0, v[86:87]
	v_ashrrev_i32_e32 v37, 31, v37
	v_and_b32_e32 v35, v35, v51
	v_xor_b32_e32 v51, vcc_hi, v37
	v_xor_b32_e32 v37, vcc_lo, v37
	v_lshlrev_b32_e32 v87, 27, v34
	v_and_b32_e32 v36, v36, v37
	v_not_b32_e32 v37, v87
	;; [unrolled: 8-line block ×3, first 2 shown]
	v_cmp_gt_i64_e32 vcc, 0, v[86:87]
	v_ashrrev_i32_e32 v37, 31, v37
	v_and_b32_e32 v35, v35, v51
	v_xor_b32_e32 v51, vcc_hi, v37
	v_xor_b32_e32 v37, vcc_lo, v37
	v_lshlrev_b32_e32 v87, 25, v34
	v_and_b32_e32 v36, v36, v37
	v_cmp_gt_i64_e32 vcc, 0, v[86:87]
	v_not_b32_e32 v37, v87
	v_lshlrev_b32_e32 v87, 24, v34
	v_ashrrev_i32_e32 v37, 31, v37
	v_not_b32_e32 v34, v87
	v_and_b32_e32 v35, v35, v51
	v_xor_b32_e32 v51, vcc_hi, v37
	v_xor_b32_e32 v37, vcc_lo, v37
	v_cmp_gt_i64_e32 vcc, 0, v[86:87]
	v_ashrrev_i32_e32 v34, 31, v34
	v_and_b32_e32 v36, v36, v37
	v_xor_b32_e32 v37, vcc_hi, v34
	v_xor_b32_e32 v34, vcc_lo, v34
	v_and_b32_e32 v35, v35, v51
	v_and_b32_e32 v34, v36, v34
	;; [unrolled: 1-line block ×3, first 2 shown]
	v_mbcnt_lo_u32_b32 v36, v34, 0
	v_mbcnt_hi_u32_b32 v51, v35, v36
	v_cmp_eq_u32_e32 vcc, 0, v51
	v_cmp_ne_u64_e64 s[44:45], 0, v[34:35]
	s_and_b64 s[58:59], s[44:45], vcc
	; wave barrier
	s_and_saveexec_b64 s[44:45], s[58:59]
	s_cbranch_execz .LBB146_42
; %bb.41:                               ;   in Loop: Header=BB146_32 Depth=1
	v_bcnt_u32_b32 v34, v34, 0
	v_bcnt_u32_b32 v34, v35, v34
	s_waitcnt lgkmcnt(0)
	v_add_u32_e32 v34, v49, v34
	ds_write_b32 v50, v34
.LBB146_42:                             ;   in Loop: Header=BB146_32 Depth=1
	s_or_b64 exec, exec, s[44:45]
	v_lshrrev_b64 v[34:35], s52, v[92:93]
	v_and_b32_e32 v34, s57, v34
	v_lshlrev_b32_e32 v35, 2, v34
	v_add_lshl_u32 v35, v35, v127, 2
	; wave barrier
	v_add_u32_e32 v53, 16, v35
	ds_read_b32 v52, v35 offset:16
	v_and_b32_e32 v35, 1, v34
	v_add_co_u32_e32 v36, vcc, -1, v35
	v_addc_co_u32_e64 v37, s[44:45], 0, -1, vcc
	v_cmp_ne_u32_e32 vcc, 0, v35
	v_lshlrev_b32_e32 v87, 30, v34
	v_xor_b32_e32 v35, vcc_hi, v37
	v_not_b32_e32 v37, v87
	v_xor_b32_e32 v36, vcc_lo, v36
	v_cmp_gt_i64_e32 vcc, 0, v[86:87]
	v_ashrrev_i32_e32 v37, 31, v37
	v_and_b32_e32 v36, exec_lo, v36
	v_xor_b32_e32 v54, vcc_hi, v37
	v_xor_b32_e32 v37, vcc_lo, v37
	v_lshlrev_b32_e32 v87, 29, v34
	v_and_b32_e32 v36, v36, v37
	v_not_b32_e32 v37, v87
	v_and_b32_e32 v35, exec_hi, v35
	v_cmp_gt_i64_e32 vcc, 0, v[86:87]
	v_ashrrev_i32_e32 v37, 31, v37
	v_and_b32_e32 v35, v35, v54
	v_xor_b32_e32 v54, vcc_hi, v37
	v_xor_b32_e32 v37, vcc_lo, v37
	v_lshlrev_b32_e32 v87, 28, v34
	v_and_b32_e32 v36, v36, v37
	v_not_b32_e32 v37, v87
	v_cmp_gt_i64_e32 vcc, 0, v[86:87]
	v_ashrrev_i32_e32 v37, 31, v37
	v_and_b32_e32 v35, v35, v54
	v_xor_b32_e32 v54, vcc_hi, v37
	v_xor_b32_e32 v37, vcc_lo, v37
	v_lshlrev_b32_e32 v87, 27, v34
	v_and_b32_e32 v36, v36, v37
	v_not_b32_e32 v37, v87
	;; [unrolled: 8-line block ×3, first 2 shown]
	v_cmp_gt_i64_e32 vcc, 0, v[86:87]
	v_ashrrev_i32_e32 v37, 31, v37
	v_and_b32_e32 v35, v35, v54
	v_xor_b32_e32 v54, vcc_hi, v37
	v_xor_b32_e32 v37, vcc_lo, v37
	v_lshlrev_b32_e32 v87, 25, v34
	v_and_b32_e32 v36, v36, v37
	v_cmp_gt_i64_e32 vcc, 0, v[86:87]
	v_not_b32_e32 v37, v87
	v_lshlrev_b32_e32 v87, 24, v34
	v_ashrrev_i32_e32 v37, 31, v37
	v_not_b32_e32 v34, v87
	v_and_b32_e32 v35, v35, v54
	v_xor_b32_e32 v54, vcc_hi, v37
	v_xor_b32_e32 v37, vcc_lo, v37
	v_cmp_gt_i64_e32 vcc, 0, v[86:87]
	v_ashrrev_i32_e32 v34, 31, v34
	v_and_b32_e32 v36, v36, v37
	v_xor_b32_e32 v37, vcc_hi, v34
	v_xor_b32_e32 v34, vcc_lo, v34
	v_and_b32_e32 v35, v35, v54
	v_and_b32_e32 v34, v36, v34
	;; [unrolled: 1-line block ×3, first 2 shown]
	v_mbcnt_lo_u32_b32 v36, v34, 0
	v_mbcnt_hi_u32_b32 v54, v35, v36
	v_cmp_eq_u32_e32 vcc, 0, v54
	v_cmp_ne_u64_e64 s[44:45], 0, v[34:35]
	s_and_b64 s[58:59], s[44:45], vcc
	; wave barrier
	s_and_saveexec_b64 s[44:45], s[58:59]
	s_cbranch_execz .LBB146_44
; %bb.43:                               ;   in Loop: Header=BB146_32 Depth=1
	v_bcnt_u32_b32 v34, v34, 0
	v_bcnt_u32_b32 v34, v35, v34
	s_waitcnt lgkmcnt(0)
	v_add_u32_e32 v34, v52, v34
	ds_write_b32 v53, v34
.LBB146_44:                             ;   in Loop: Header=BB146_32 Depth=1
	s_or_b64 exec, exec, s[44:45]
	v_lshrrev_b64 v[34:35], s52, v[90:91]
	v_and_b32_e32 v34, s57, v34
	v_lshlrev_b32_e32 v35, 2, v34
	v_add_lshl_u32 v35, v35, v127, 2
	; wave barrier
	v_add_u32_e32 v56, 16, v35
	ds_read_b32 v55, v35 offset:16
	v_and_b32_e32 v35, 1, v34
	v_add_co_u32_e32 v36, vcc, -1, v35
	v_addc_co_u32_e64 v37, s[44:45], 0, -1, vcc
	v_cmp_ne_u32_e32 vcc, 0, v35
	v_lshlrev_b32_e32 v87, 30, v34
	v_xor_b32_e32 v35, vcc_hi, v37
	v_not_b32_e32 v37, v87
	v_xor_b32_e32 v36, vcc_lo, v36
	v_cmp_gt_i64_e32 vcc, 0, v[86:87]
	v_ashrrev_i32_e32 v37, 31, v37
	v_and_b32_e32 v36, exec_lo, v36
	v_xor_b32_e32 v57, vcc_hi, v37
	v_xor_b32_e32 v37, vcc_lo, v37
	v_lshlrev_b32_e32 v87, 29, v34
	v_and_b32_e32 v36, v36, v37
	v_not_b32_e32 v37, v87
	v_and_b32_e32 v35, exec_hi, v35
	v_cmp_gt_i64_e32 vcc, 0, v[86:87]
	v_ashrrev_i32_e32 v37, 31, v37
	v_and_b32_e32 v35, v35, v57
	v_xor_b32_e32 v57, vcc_hi, v37
	v_xor_b32_e32 v37, vcc_lo, v37
	v_lshlrev_b32_e32 v87, 28, v34
	v_and_b32_e32 v36, v36, v37
	v_not_b32_e32 v37, v87
	v_cmp_gt_i64_e32 vcc, 0, v[86:87]
	v_ashrrev_i32_e32 v37, 31, v37
	v_and_b32_e32 v35, v35, v57
	v_xor_b32_e32 v57, vcc_hi, v37
	v_xor_b32_e32 v37, vcc_lo, v37
	v_lshlrev_b32_e32 v87, 27, v34
	v_and_b32_e32 v36, v36, v37
	v_not_b32_e32 v37, v87
	;; [unrolled: 8-line block ×3, first 2 shown]
	v_cmp_gt_i64_e32 vcc, 0, v[86:87]
	v_ashrrev_i32_e32 v37, 31, v37
	v_and_b32_e32 v35, v35, v57
	v_xor_b32_e32 v57, vcc_hi, v37
	v_xor_b32_e32 v37, vcc_lo, v37
	v_lshlrev_b32_e32 v87, 25, v34
	v_and_b32_e32 v36, v36, v37
	v_cmp_gt_i64_e32 vcc, 0, v[86:87]
	v_not_b32_e32 v37, v87
	v_lshlrev_b32_e32 v87, 24, v34
	v_ashrrev_i32_e32 v37, 31, v37
	v_not_b32_e32 v34, v87
	v_and_b32_e32 v35, v35, v57
	v_xor_b32_e32 v57, vcc_hi, v37
	v_xor_b32_e32 v37, vcc_lo, v37
	v_cmp_gt_i64_e32 vcc, 0, v[86:87]
	v_ashrrev_i32_e32 v34, 31, v34
	v_and_b32_e32 v36, v36, v37
	v_xor_b32_e32 v37, vcc_hi, v34
	v_xor_b32_e32 v34, vcc_lo, v34
	v_and_b32_e32 v35, v35, v57
	v_and_b32_e32 v34, v36, v34
	v_and_b32_e32 v35, v35, v37
	v_mbcnt_lo_u32_b32 v36, v34, 0
	v_mbcnt_hi_u32_b32 v57, v35, v36
	v_cmp_eq_u32_e32 vcc, 0, v57
	v_cmp_ne_u64_e64 s[44:45], 0, v[34:35]
	s_and_b64 s[58:59], s[44:45], vcc
	; wave barrier
	s_and_saveexec_b64 s[44:45], s[58:59]
	s_cbranch_execz .LBB146_46
; %bb.45:                               ;   in Loop: Header=BB146_32 Depth=1
	v_bcnt_u32_b32 v34, v34, 0
	v_bcnt_u32_b32 v34, v35, v34
	s_waitcnt lgkmcnt(0)
	v_add_u32_e32 v34, v55, v34
	ds_write_b32 v56, v34
.LBB146_46:                             ;   in Loop: Header=BB146_32 Depth=1
	s_or_b64 exec, exec, s[44:45]
	v_lshrrev_b64 v[34:35], s52, v[88:89]
	v_and_b32_e32 v34, s57, v34
	v_lshlrev_b32_e32 v35, 2, v34
	v_add_lshl_u32 v35, v35, v127, 2
	; wave barrier
	v_add_u32_e32 v59, 16, v35
	ds_read_b32 v58, v35 offset:16
	v_and_b32_e32 v35, 1, v34
	v_add_co_u32_e32 v36, vcc, -1, v35
	v_addc_co_u32_e64 v37, s[44:45], 0, -1, vcc
	v_cmp_ne_u32_e32 vcc, 0, v35
	v_lshlrev_b32_e32 v87, 30, v34
	v_xor_b32_e32 v35, vcc_hi, v37
	v_not_b32_e32 v37, v87
	v_xor_b32_e32 v36, vcc_lo, v36
	v_cmp_gt_i64_e32 vcc, 0, v[86:87]
	v_ashrrev_i32_e32 v37, 31, v37
	v_and_b32_e32 v36, exec_lo, v36
	v_xor_b32_e32 v60, vcc_hi, v37
	v_xor_b32_e32 v37, vcc_lo, v37
	v_lshlrev_b32_e32 v87, 29, v34
	v_and_b32_e32 v36, v36, v37
	v_not_b32_e32 v37, v87
	v_and_b32_e32 v35, exec_hi, v35
	v_cmp_gt_i64_e32 vcc, 0, v[86:87]
	v_ashrrev_i32_e32 v37, 31, v37
	v_and_b32_e32 v35, v35, v60
	v_xor_b32_e32 v60, vcc_hi, v37
	v_xor_b32_e32 v37, vcc_lo, v37
	v_lshlrev_b32_e32 v87, 28, v34
	v_and_b32_e32 v36, v36, v37
	v_not_b32_e32 v37, v87
	v_cmp_gt_i64_e32 vcc, 0, v[86:87]
	v_ashrrev_i32_e32 v37, 31, v37
	v_and_b32_e32 v35, v35, v60
	v_xor_b32_e32 v60, vcc_hi, v37
	v_xor_b32_e32 v37, vcc_lo, v37
	v_lshlrev_b32_e32 v87, 27, v34
	v_and_b32_e32 v36, v36, v37
	v_not_b32_e32 v37, v87
	;; [unrolled: 8-line block ×3, first 2 shown]
	v_cmp_gt_i64_e32 vcc, 0, v[86:87]
	v_ashrrev_i32_e32 v37, 31, v37
	v_and_b32_e32 v35, v35, v60
	v_xor_b32_e32 v60, vcc_hi, v37
	v_xor_b32_e32 v37, vcc_lo, v37
	v_lshlrev_b32_e32 v87, 25, v34
	v_and_b32_e32 v36, v36, v37
	v_cmp_gt_i64_e32 vcc, 0, v[86:87]
	v_not_b32_e32 v37, v87
	v_lshlrev_b32_e32 v87, 24, v34
	v_ashrrev_i32_e32 v37, 31, v37
	v_not_b32_e32 v34, v87
	v_and_b32_e32 v35, v35, v60
	v_xor_b32_e32 v60, vcc_hi, v37
	v_xor_b32_e32 v37, vcc_lo, v37
	v_cmp_gt_i64_e32 vcc, 0, v[86:87]
	v_ashrrev_i32_e32 v34, 31, v34
	v_and_b32_e32 v36, v36, v37
	v_xor_b32_e32 v37, vcc_hi, v34
	v_xor_b32_e32 v34, vcc_lo, v34
	v_and_b32_e32 v35, v35, v60
	v_and_b32_e32 v34, v36, v34
	;; [unrolled: 1-line block ×3, first 2 shown]
	v_mbcnt_lo_u32_b32 v36, v34, 0
	v_mbcnt_hi_u32_b32 v60, v35, v36
	v_cmp_eq_u32_e32 vcc, 0, v60
	v_cmp_ne_u64_e64 s[44:45], 0, v[34:35]
	s_and_b64 s[58:59], s[44:45], vcc
	; wave barrier
	s_and_saveexec_b64 s[44:45], s[58:59]
	s_cbranch_execz .LBB146_48
; %bb.47:                               ;   in Loop: Header=BB146_32 Depth=1
	v_bcnt_u32_b32 v34, v34, 0
	v_bcnt_u32_b32 v34, v35, v34
	s_waitcnt lgkmcnt(0)
	v_add_u32_e32 v34, v58, v34
	ds_write_b32 v59, v34
.LBB146_48:                             ;   in Loop: Header=BB146_32 Depth=1
	s_or_b64 exec, exec, s[44:45]
	; wave barrier
	s_waitcnt lgkmcnt(0)
	s_barrier
	ds_read2_b32 v[36:37], v112 offset0:4 offset1:5
	ds_read2_b32 v[34:35], v126 offset0:2 offset1:3
	s_waitcnt lgkmcnt(1)
	v_add_u32_e32 v61, v37, v36
	s_waitcnt lgkmcnt(0)
	v_add3_u32 v35, v61, v34, v35
	s_nop 1
	v_mov_b32_dpp v61, v35 row_shr:1 row_mask:0xf bank_mask:0xf
	v_cndmask_b32_e64 v61, v61, 0, s[26:27]
	v_add_u32_e32 v35, v61, v35
	s_nop 1
	v_mov_b32_dpp v61, v35 row_shr:2 row_mask:0xf bank_mask:0xf
	v_cndmask_b32_e64 v61, 0, v61, s[28:29]
	v_add_u32_e32 v35, v35, v61
	;; [unrolled: 4-line block ×4, first 2 shown]
	s_nop 1
	v_mov_b32_dpp v61, v35 row_bcast:15 row_mask:0xf bank_mask:0xf
	v_cndmask_b32_e64 v61, v61, 0, s[36:37]
	v_add_u32_e32 v35, v35, v61
	s_nop 1
	v_mov_b32_dpp v61, v35 row_bcast:31 row_mask:0xf bank_mask:0xf
	v_cndmask_b32_e64 v61, 0, v61, s[16:17]
	v_add_u32_e32 v35, v35, v61
	s_and_saveexec_b64 s[44:45], s[38:39]
	s_cbranch_execz .LBB146_50
; %bb.49:                               ;   in Loop: Header=BB146_32 Depth=1
	ds_write_b32 v129, v35
.LBB146_50:                             ;   in Loop: Header=BB146_32 Depth=1
	s_or_b64 exec, exec, s[44:45]
	s_waitcnt lgkmcnt(0)
	s_barrier
	s_and_saveexec_b64 s[44:45], s[18:19]
	s_cbranch_execz .LBB146_52
; %bb.51:                               ;   in Loop: Header=BB146_32 Depth=1
	ds_read_b32 v61, v69
	s_waitcnt lgkmcnt(0)
	s_nop 0
	v_mov_b32_dpp v62, v61 row_shr:1 row_mask:0xf bank_mask:0xf
	v_cndmask_b32_e64 v62, v62, 0, s[40:41]
	v_add_u32_e32 v61, v62, v61
	s_nop 1
	v_mov_b32_dpp v62, v61 row_shr:2 row_mask:0xf bank_mask:0xf
	v_cndmask_b32_e64 v62, 0, v62, s[42:43]
	v_add_u32_e32 v61, v61, v62
	ds_write_b32 v69, v61
.LBB146_52:                             ;   in Loop: Header=BB146_32 Depth=1
	s_or_b64 exec, exec, s[44:45]
	v_mov_b32_e32 v61, 0
	s_waitcnt lgkmcnt(0)
	s_barrier
	s_and_saveexec_b64 s[44:45], s[20:21]
	s_cbranch_execz .LBB146_54
; %bb.53:                               ;   in Loop: Header=BB146_32 Depth=1
	ds_read_b32 v61, v130
.LBB146_54:                             ;   in Loop: Header=BB146_32 Depth=1
	s_or_b64 exec, exec, s[44:45]
	s_waitcnt lgkmcnt(0)
	v_add_u32_e32 v35, v61, v35
	ds_bpermute_b32 v35, v128, v35
	s_cmp_gt_u32 s52, 55
	s_waitcnt lgkmcnt(0)
	v_cndmask_b32_e64 v35, v35, v61, s[22:23]
	v_cndmask_b32_e64 v35, v35, 0, s[24:25]
	v_add_u32_e32 v36, v35, v36
	v_add_u32_e32 v37, v36, v37
	;; [unrolled: 1-line block ×3, first 2 shown]
	ds_write2_b32 v112, v35, v36 offset0:4 offset1:5
	ds_write2_b32 v126, v37, v34 offset0:2 offset1:3
	s_waitcnt lgkmcnt(0)
	s_barrier
	ds_read_b32 v34, v38
	ds_read_b32 v35, v41
	;; [unrolled: 1-line block ×8, first 2 shown]
	s_waitcnt lgkmcnt(7)
	v_add_u32_e32 v138, v34, v39
	s_waitcnt lgkmcnt(6)
	v_add3_u32 v137, v42, v40, v35
	s_waitcnt lgkmcnt(5)
	v_add3_u32 v136, v45, v43, v36
	;; [unrolled: 2-line block ×7, first 2 shown]
	s_cbranch_scc0 .LBB146_31
; %bb.55:
                                        ; implicit-def: $vgpr48_vgpr49
                                        ; implicit-def: $vgpr44_vgpr45
                                        ; implicit-def: $vgpr40_vgpr41
                                        ; implicit-def: $vgpr36_vgpr37
                                        ; implicit-def: $vgpr64_vgpr65
                                        ; implicit-def: $vgpr60_vgpr61
                                        ; implicit-def: $vgpr56_vgpr57
                                        ; implicit-def: $vgpr52_vgpr53
                                        ; implicit-def: $sgpr52_sgpr53
                                        ; implicit-def: $sgpr56
.LBB146_56:
	v_lshlrev_b32_e32 v34, 3, v138
	v_lshlrev_b32_e32 v35, 3, v137
	;; [unrolled: 1-line block ×9, first 2 shown]
	s_barrier
	ds_write_b64 v34, v[102:103]
	ds_write_b64 v35, v[100:101]
	;; [unrolled: 1-line block ×8, first 2 shown]
	s_waitcnt lgkmcnt(0)
	s_barrier
	ds_read2_b64 v[50:53], v46 offset1:1
	ds_read2_b64 v[54:57], v46 offset0:2 offset1:3
	ds_read2_b64 v[58:61], v46 offset0:4 offset1:5
	;; [unrolled: 1-line block ×3, first 2 shown]
	s_waitcnt lgkmcnt(0)
	s_barrier
	ds_write_b64 v34, v[84:85]
	ds_write_b64 v35, v[82:83]
	;; [unrolled: 1-line block ×8, first 2 shown]
	s_waitcnt lgkmcnt(0)
	s_barrier
	ds_read2_b64 v[34:37], v46 offset1:1
	ds_read2_b64 v[38:41], v46 offset0:2 offset1:3
	ds_read2_b64 v[42:45], v46 offset0:4 offset1:5
	;; [unrolled: 1-line block ×3, first 2 shown]
	v_xor_b32_e32 v51, 0x80000000, v51
	v_xor_b32_e32 v53, 0x80000000, v53
	;; [unrolled: 1-line block ×8, first 2 shown]
	s_branch .LBB146_92
.LBB146_57:
	v_mov_b32_e32 v69, 0
	v_lshlrev_b64 v[2:3], 3, v[68:69]
	v_mov_b32_e32 v4, s54
	v_add_co_u32_e32 v2, vcc, s49, v2
	v_addc_co_u32_e32 v3, vcc, v4, v3, vcc
	global_load_dwordx2 v[2:3], v[2:3], off
	v_mov_b32_e32 v4, v69
	v_mov_b32_e32 v5, v69
	;; [unrolled: 1-line block ×14, first 2 shown]
	s_or_b64 exec, exec, s[16:17]
	s_and_saveexec_b64 s[16:17], s[2:3]
	s_cbranch_execz .LBB146_22
.LBB146_58:
	v_mul_lo_u32 v4, v1, s48
	v_mov_b32_e32 v5, 0
	v_lshlrev_b64 v[4:5], 3, v[4:5]
	v_mov_b32_e32 v1, s54
	v_add_co_u32_e32 v4, vcc, s49, v4
	v_addc_co_u32_e32 v5, vcc, v1, v5, vcc
	global_load_dwordx2 v[4:5], v[4:5], off
	s_or_b64 exec, exec, s[16:17]
	s_and_saveexec_b64 s[16:17], s[4:5]
	s_cbranch_execz .LBB146_23
.LBB146_59:
	v_mul_lo_u32 v6, v34, s48
	v_mov_b32_e32 v7, 0
	v_lshlrev_b64 v[6:7], 3, v[6:7]
	v_mov_b32_e32 v1, s54
	v_add_co_u32_e32 v6, vcc, s49, v6
	v_addc_co_u32_e32 v7, vcc, v1, v7, vcc
	global_load_dwordx2 v[6:7], v[6:7], off
	s_or_b64 exec, exec, s[16:17]
	s_and_saveexec_b64 s[16:17], s[6:7]
	s_cbranch_execz .LBB146_24
.LBB146_60:
	v_mul_lo_u32 v8, v35, s48
	v_mov_b32_e32 v9, 0
	v_lshlrev_b64 v[8:9], 3, v[8:9]
	v_mov_b32_e32 v1, s54
	v_add_co_u32_e32 v8, vcc, s49, v8
	v_addc_co_u32_e32 v9, vcc, v1, v9, vcc
	global_load_dwordx2 v[8:9], v[8:9], off
	s_or_b64 exec, exec, s[16:17]
	s_and_saveexec_b64 s[16:17], s[8:9]
	s_cbranch_execz .LBB146_25
.LBB146_61:
	v_mul_lo_u32 v10, v36, s48
	v_mov_b32_e32 v11, 0
	v_lshlrev_b64 v[10:11], 3, v[10:11]
	v_mov_b32_e32 v1, s54
	v_add_co_u32_e32 v10, vcc, s49, v10
	v_addc_co_u32_e32 v11, vcc, v1, v11, vcc
	global_load_dwordx2 v[10:11], v[10:11], off
	s_or_b64 exec, exec, s[16:17]
	s_and_saveexec_b64 s[16:17], s[10:11]
	s_cbranch_execz .LBB146_26
.LBB146_62:
	v_mul_lo_u32 v12, v37, s48
	v_mov_b32_e32 v13, 0
	v_lshlrev_b64 v[12:13], 3, v[12:13]
	v_mov_b32_e32 v1, s54
	v_add_co_u32_e32 v12, vcc, s49, v12
	v_addc_co_u32_e32 v13, vcc, v1, v13, vcc
	global_load_dwordx2 v[12:13], v[12:13], off
	s_or_b64 exec, exec, s[16:17]
	s_and_saveexec_b64 s[16:17], s[12:13]
	s_cbranch_execz .LBB146_27
.LBB146_63:
	v_mul_lo_u32 v14, v38, s48
	v_mov_b32_e32 v15, 0
	v_lshlrev_b64 v[14:15], 3, v[14:15]
	v_mov_b32_e32 v1, s54
	v_add_co_u32_e32 v14, vcc, s49, v14
	v_addc_co_u32_e32 v15, vcc, v1, v15, vcc
	global_load_dwordx2 v[14:15], v[14:15], off
	s_or_b64 exec, exec, s[16:17]
	s_xor_b64 s[16:17], s[34:35], -1
	s_and_saveexec_b64 s[18:19], s[14:15]
	s_cbranch_execnz .LBB146_28
	s_branch .LBB146_29
.LBB146_64:
                                        ; implicit-def: $vgpr64_vgpr65
                                        ; implicit-def: $vgpr60_vgpr61
                                        ; implicit-def: $vgpr56_vgpr57
                                        ; implicit-def: $vgpr52_vgpr53
                                        ; implicit-def: $vgpr48_vgpr49
                                        ; implicit-def: $vgpr44_vgpr45
                                        ; implicit-def: $vgpr40_vgpr41
                                        ; implicit-def: $vgpr36_vgpr37
	s_cbranch_execz .LBB146_92
; %bb.65:
	v_xor_b32_e32 v1, 0x7fffffff, v31
	v_xor_b32_e32 v0, -1, v30
	v_xor_b32_e32 v31, 0x7fffffff, v33
	v_xor_b32_e32 v30, -1, v32
	;; [unrolled: 2-line block ×8, first 2 shown]
	ds_write2_b64 v125, v[0:1], v[30:31] offset1:1
	ds_write2_b64 v125, v[26:27], v[28:29] offset0:2 offset1:3
	ds_write2_b64 v125, v[22:23], v[24:25] offset0:4 offset1:5
	;; [unrolled: 1-line block ×3, first 2 shown]
	; wave barrier
	ds_read2st64_b64 v[18:21], v124 offset1:1
	ds_read2st64_b64 v[22:25], v124 offset0:2 offset1:3
	ds_read2st64_b64 v[26:29], v124 offset0:4 offset1:5
	;; [unrolled: 1-line block ×3, first 2 shown]
	; wave barrier
	ds_write2_b64 v125, v[14:15], v[16:17] offset1:1
	ds_write2_b64 v125, v[10:11], v[12:13] offset0:2 offset1:3
	ds_write2_b64 v125, v[6:7], v[8:9] offset0:4 offset1:5
	;; [unrolled: 1-line block ×3, first 2 shown]
	; wave barrier
	ds_read2st64_b64 v[0:3], v124 offset1:1
	ds_read2st64_b64 v[4:7], v124 offset0:2 offset1:3
	ds_read2st64_b64 v[8:11], v124 offset0:4 offset1:5
	;; [unrolled: 1-line block ×3, first 2 shown]
	s_waitcnt lgkmcnt(0)
	s_barrier
	s_load_dword s18, s[50:51], 0xc
	s_getpc_b64 s[16:17]
	s_add_u32 s16, s16, _ZN7rocprim17ROCPRIM_400000_NS16block_radix_sortIlLj256ELj8ElLj1ELj1ELj0ELNS0_26block_radix_rank_algorithmE1ELNS0_18block_padding_hintE2ELNS0_4arch9wavefront6targetE1EE19radix_bits_per_passE@rel32@lo+4
	s_addc_u32 s17, s17, _ZN7rocprim17ROCPRIM_400000_NS16block_radix_sortIlLj256ELj8ElLj1ELj1ELj0ELNS0_26block_radix_rank_algorithmE1ELNS0_18block_padding_hintE2ELNS0_4arch9wavefront6targetE1EE19radix_bits_per_passE@rel32@hi+12
	s_load_dword s52, s[16:17], 0x0
	v_cmp_lt_i32_e32 vcc, v117, v119
	v_cmp_gt_u32_e64 s[30:31], 4, v70
	s_waitcnt lgkmcnt(0)
	s_lshr_b32 s16, s18, 16
	s_and_b32 s17, s18, 0xffff
	v_mad_u32_u24 v16, v123, s16, v122
	v_mad_u64_u32 v[16:17], s[16:17], v16, s17, v[70:71]
	v_lshrrev_b32_e32 v73, 6, v16
	v_min_u32_e32 v16, 0xc0, v114
	v_or_b32_e32 v16, 63, v16
	v_cmp_eq_u32_e64 s[28:29], v16, v70
	v_cmp_lt_u32_e64 s[34:35], 63, v70
	v_cndmask_b32_e32 v16, v117, v113, vcc
	v_cmp_eq_u32_e64 s[38:39], 0, v70
	v_and_b32_e32 v70, 60, v118
	v_add_u32_e32 v72, 16, v112
	v_cmp_eq_u32_e64 s[16:17], 0, v120
	v_cmp_lt_u32_e64 s[18:19], 1, v120
	v_cmp_lt_u32_e64 s[20:21], 3, v120
	;; [unrolled: 1-line block ×3, first 2 shown]
	v_cmp_eq_u32_e64 s[24:25], 0, v121
	v_cmp_lt_u32_e64 s[26:27], 31, v113
	s_mov_b32 s53, 64
	v_lshlrev_b32_e32 v74, 2, v16
	v_cmp_eq_u32_e64 s[36:37], 0, v113
	v_cmp_eq_u32_e64 s[40:41], 0, v116
	v_cmp_lt_u32_e64 s[42:43], 1, v116
	v_add_u32_e32 v75, -4, v70
	v_lshlrev_b32_e32 v76, 3, v115
	s_mov_b64 s[50:51], 0
	v_mov_b32_e32 v42, 0
	s_branch .LBB146_67
.LBB146_66:                             ;   in Loop: Header=BB146_67 Depth=1
	v_lshlrev_b32_e32 v0, 3, v83
	v_lshlrev_b32_e32 v1, 3, v82
	;; [unrolled: 1-line block ×8, first 2 shown]
	s_barrier
	ds_write_b64 v0, v[64:65]
	ds_write_b64 v1, v[62:63]
	;; [unrolled: 1-line block ×8, first 2 shown]
	s_waitcnt lgkmcnt(0)
	s_barrier
	ds_read2st64_b64 v[18:21], v76 offset1:1
	ds_read2st64_b64 v[22:25], v76 offset0:2 offset1:3
	ds_read2st64_b64 v[26:29], v76 offset0:4 offset1:5
	;; [unrolled: 1-line block ×3, first 2 shown]
	s_waitcnt lgkmcnt(0)
	s_barrier
	ds_write_b64 v0, v[50:51]
	ds_write_b64 v1, v[48:49]
	ds_write_b64 v2, v[44:45]
	ds_write_b64 v3, v[40:41]
	ds_write_b64 v4, v[38:39]
	ds_write_b64 v5, v[36:37]
	ds_write_b64 v6, v[34:35]
	ds_write_b64 v7, v[16:17]
	s_waitcnt lgkmcnt(0)
	s_barrier
	ds_read2st64_b64 v[0:3], v76 offset1:1
	ds_read2st64_b64 v[4:7], v76 offset0:2 offset1:3
	ds_read2st64_b64 v[8:11], v76 offset0:4 offset1:5
	;; [unrolled: 1-line block ×3, first 2 shown]
	s_add_u32 s50, s50, 8
	s_addc_u32 s51, s51, 0
	s_add_i32 s53, s53, -8
	s_waitcnt lgkmcnt(0)
	s_barrier
	s_cbranch_execz .LBB146_91
.LBB146_67:                             ; =>This Inner Loop Header: Depth=1
	s_min_u32 s44, s52, s53
	v_pk_mov_b32 v[64:65], v[18:19], v[18:19] op_sel:[0,1]
	s_lshl_b32 s44, -1, s44
	v_pk_mov_b32 v[50:51], v[0:1], v[0:1] op_sel:[0,1]
	s_not_b32 s55, s44
	v_lshrrev_b64 v[0:1], s50, v[64:65]
	v_and_b32_e32 v0, s55, v0
	v_lshl_add_u32 v1, v0, 2, v73
	v_pk_mov_b32 v[44:45], v[4:5], v[4:5] op_sel:[0,1]
	v_lshl_add_u32 v4, v1, 2, 16
	v_and_b32_e32 v1, 1, v0
	v_pk_mov_b32 v[48:49], v[2:3], v[2:3] op_sel:[0,1]
	v_add_co_u32_e32 v2, vcc, -1, v1
	v_addc_co_u32_e64 v3, s[44:45], 0, -1, vcc
	v_cmp_ne_u32_e32 vcc, 0, v1
	v_lshlrev_b32_e32 v43, 30, v0
	v_xor_b32_e32 v1, vcc_hi, v3
	v_not_b32_e32 v3, v43
	v_xor_b32_e32 v2, vcc_lo, v2
	v_cmp_gt_i64_e32 vcc, 0, v[42:43]
	v_ashrrev_i32_e32 v3, 31, v3
	v_and_b32_e32 v2, exec_lo, v2
	v_xor_b32_e32 v5, vcc_hi, v3
	v_xor_b32_e32 v3, vcc_lo, v3
	v_lshlrev_b32_e32 v43, 29, v0
	v_and_b32_e32 v2, v2, v3
	v_not_b32_e32 v3, v43
	v_and_b32_e32 v1, exec_hi, v1
	v_cmp_gt_i64_e32 vcc, 0, v[42:43]
	v_ashrrev_i32_e32 v3, 31, v3
	v_and_b32_e32 v1, v1, v5
	v_xor_b32_e32 v5, vcc_hi, v3
	v_xor_b32_e32 v3, vcc_lo, v3
	v_lshlrev_b32_e32 v43, 28, v0
	v_and_b32_e32 v2, v2, v3
	v_not_b32_e32 v3, v43
	v_cmp_gt_i64_e32 vcc, 0, v[42:43]
	v_ashrrev_i32_e32 v3, 31, v3
	v_and_b32_e32 v1, v1, v5
	v_xor_b32_e32 v5, vcc_hi, v3
	v_xor_b32_e32 v3, vcc_lo, v3
	v_lshlrev_b32_e32 v43, 27, v0
	v_and_b32_e32 v2, v2, v3
	v_not_b32_e32 v3, v43
	;; [unrolled: 8-line block ×3, first 2 shown]
	v_cmp_gt_i64_e32 vcc, 0, v[42:43]
	v_ashrrev_i32_e32 v3, 31, v3
	v_and_b32_e32 v1, v1, v5
	v_xor_b32_e32 v5, vcc_hi, v3
	v_xor_b32_e32 v3, vcc_lo, v3
	v_lshlrev_b32_e32 v43, 25, v0
	v_and_b32_e32 v2, v2, v3
	v_cmp_gt_i64_e32 vcc, 0, v[42:43]
	v_not_b32_e32 v3, v43
	v_lshlrev_b32_e32 v43, 24, v0
	v_ashrrev_i32_e32 v3, 31, v3
	v_not_b32_e32 v0, v43
	v_and_b32_e32 v1, v1, v5
	v_xor_b32_e32 v5, vcc_hi, v3
	v_xor_b32_e32 v3, vcc_lo, v3
	v_cmp_gt_i64_e32 vcc, 0, v[42:43]
	v_ashrrev_i32_e32 v0, 31, v0
	v_and_b32_e32 v2, v2, v3
	v_xor_b32_e32 v3, vcc_hi, v0
	v_xor_b32_e32 v0, vcc_lo, v0
	v_and_b32_e32 v1, v1, v5
	v_and_b32_e32 v0, v2, v0
	;; [unrolled: 1-line block ×3, first 2 shown]
	v_mbcnt_lo_u32_b32 v2, v0, 0
	v_mbcnt_hi_u32_b32 v5, v1, v2
	v_cmp_eq_u32_e32 vcc, 0, v5
	v_cmp_ne_u64_e64 s[44:45], 0, v[0:1]
	v_pk_mov_b32 v[46:47], v[32:33], v[32:33] op_sel:[0,1]
	v_pk_mov_b32 v[52:53], v[30:31], v[30:31] op_sel:[0,1]
	;; [unrolled: 1-line block ×12, first 2 shown]
	s_and_b64 s[56:57], s[44:45], vcc
	ds_write2_b32 v112, v42, v42 offset0:4 offset1:5
	ds_write2_b32 v72, v42, v42 offset0:2 offset1:3
	s_waitcnt lgkmcnt(0)
	s_barrier
	s_waitcnt lgkmcnt(0)
	; wave barrier
	s_and_saveexec_b64 s[44:45], s[56:57]
	s_cbranch_execz .LBB146_69
; %bb.68:                               ;   in Loop: Header=BB146_67 Depth=1
	v_bcnt_u32_b32 v0, v0, 0
	v_bcnt_u32_b32 v0, v1, v0
	ds_write_b32 v4, v0
.LBB146_69:                             ;   in Loop: Header=BB146_67 Depth=1
	s_or_b64 exec, exec, s[44:45]
	v_lshrrev_b64 v[0:1], s50, v[62:63]
	v_and_b32_e32 v0, s55, v0
	v_lshlrev_b32_e32 v1, 2, v0
	v_add_lshl_u32 v1, v1, v73, 2
	; wave barrier
	v_add_u32_e32 v7, 16, v1
	ds_read_b32 v6, v1 offset:16
	v_and_b32_e32 v1, 1, v0
	v_add_co_u32_e32 v2, vcc, -1, v1
	v_addc_co_u32_e64 v3, s[44:45], 0, -1, vcc
	v_cmp_ne_u32_e32 vcc, 0, v1
	v_lshlrev_b32_e32 v43, 30, v0
	v_xor_b32_e32 v1, vcc_hi, v3
	v_not_b32_e32 v3, v43
	v_xor_b32_e32 v2, vcc_lo, v2
	v_cmp_gt_i64_e32 vcc, 0, v[42:43]
	v_ashrrev_i32_e32 v3, 31, v3
	v_and_b32_e32 v2, exec_lo, v2
	v_xor_b32_e32 v8, vcc_hi, v3
	v_xor_b32_e32 v3, vcc_lo, v3
	v_lshlrev_b32_e32 v43, 29, v0
	v_and_b32_e32 v2, v2, v3
	v_not_b32_e32 v3, v43
	v_and_b32_e32 v1, exec_hi, v1
	v_cmp_gt_i64_e32 vcc, 0, v[42:43]
	v_ashrrev_i32_e32 v3, 31, v3
	v_and_b32_e32 v1, v1, v8
	v_xor_b32_e32 v8, vcc_hi, v3
	v_xor_b32_e32 v3, vcc_lo, v3
	v_lshlrev_b32_e32 v43, 28, v0
	v_and_b32_e32 v2, v2, v3
	v_not_b32_e32 v3, v43
	v_cmp_gt_i64_e32 vcc, 0, v[42:43]
	v_ashrrev_i32_e32 v3, 31, v3
	v_and_b32_e32 v1, v1, v8
	v_xor_b32_e32 v8, vcc_hi, v3
	v_xor_b32_e32 v3, vcc_lo, v3
	v_lshlrev_b32_e32 v43, 27, v0
	v_and_b32_e32 v2, v2, v3
	v_not_b32_e32 v3, v43
	;; [unrolled: 8-line block ×3, first 2 shown]
	v_cmp_gt_i64_e32 vcc, 0, v[42:43]
	v_ashrrev_i32_e32 v3, 31, v3
	v_and_b32_e32 v1, v1, v8
	v_xor_b32_e32 v8, vcc_hi, v3
	v_xor_b32_e32 v3, vcc_lo, v3
	v_lshlrev_b32_e32 v43, 25, v0
	v_and_b32_e32 v2, v2, v3
	v_cmp_gt_i64_e32 vcc, 0, v[42:43]
	v_not_b32_e32 v3, v43
	v_lshlrev_b32_e32 v43, 24, v0
	v_ashrrev_i32_e32 v3, 31, v3
	v_not_b32_e32 v0, v43
	v_and_b32_e32 v1, v1, v8
	v_xor_b32_e32 v8, vcc_hi, v3
	v_xor_b32_e32 v3, vcc_lo, v3
	v_cmp_gt_i64_e32 vcc, 0, v[42:43]
	v_ashrrev_i32_e32 v0, 31, v0
	v_and_b32_e32 v2, v2, v3
	v_xor_b32_e32 v3, vcc_hi, v0
	v_xor_b32_e32 v0, vcc_lo, v0
	v_and_b32_e32 v1, v1, v8
	v_and_b32_e32 v0, v2, v0
	v_and_b32_e32 v1, v1, v3
	v_mbcnt_lo_u32_b32 v2, v0, 0
	v_mbcnt_hi_u32_b32 v8, v1, v2
	v_cmp_eq_u32_e32 vcc, 0, v8
	v_cmp_ne_u64_e64 s[44:45], 0, v[0:1]
	s_and_b64 s[56:57], s[44:45], vcc
	; wave barrier
	s_and_saveexec_b64 s[44:45], s[56:57]
	s_cbranch_execz .LBB146_71
; %bb.70:                               ;   in Loop: Header=BB146_67 Depth=1
	v_bcnt_u32_b32 v0, v0, 0
	v_bcnt_u32_b32 v0, v1, v0
	s_waitcnt lgkmcnt(0)
	v_add_u32_e32 v0, v6, v0
	ds_write_b32 v7, v0
.LBB146_71:                             ;   in Loop: Header=BB146_67 Depth=1
	s_or_b64 exec, exec, s[44:45]
	v_lshrrev_b64 v[0:1], s50, v[60:61]
	v_and_b32_e32 v0, s55, v0
	v_lshlrev_b32_e32 v1, 2, v0
	v_add_lshl_u32 v1, v1, v73, 2
	; wave barrier
	v_add_u32_e32 v10, 16, v1
	ds_read_b32 v9, v1 offset:16
	v_and_b32_e32 v1, 1, v0
	v_add_co_u32_e32 v2, vcc, -1, v1
	v_addc_co_u32_e64 v3, s[44:45], 0, -1, vcc
	v_cmp_ne_u32_e32 vcc, 0, v1
	v_lshlrev_b32_e32 v43, 30, v0
	v_xor_b32_e32 v1, vcc_hi, v3
	v_not_b32_e32 v3, v43
	v_xor_b32_e32 v2, vcc_lo, v2
	v_cmp_gt_i64_e32 vcc, 0, v[42:43]
	v_ashrrev_i32_e32 v3, 31, v3
	v_and_b32_e32 v2, exec_lo, v2
	v_xor_b32_e32 v11, vcc_hi, v3
	v_xor_b32_e32 v3, vcc_lo, v3
	v_lshlrev_b32_e32 v43, 29, v0
	v_and_b32_e32 v2, v2, v3
	v_not_b32_e32 v3, v43
	v_and_b32_e32 v1, exec_hi, v1
	v_cmp_gt_i64_e32 vcc, 0, v[42:43]
	v_ashrrev_i32_e32 v3, 31, v3
	v_and_b32_e32 v1, v1, v11
	v_xor_b32_e32 v11, vcc_hi, v3
	v_xor_b32_e32 v3, vcc_lo, v3
	v_lshlrev_b32_e32 v43, 28, v0
	v_and_b32_e32 v2, v2, v3
	v_not_b32_e32 v3, v43
	v_cmp_gt_i64_e32 vcc, 0, v[42:43]
	v_ashrrev_i32_e32 v3, 31, v3
	v_and_b32_e32 v1, v1, v11
	v_xor_b32_e32 v11, vcc_hi, v3
	v_xor_b32_e32 v3, vcc_lo, v3
	v_lshlrev_b32_e32 v43, 27, v0
	v_and_b32_e32 v2, v2, v3
	v_not_b32_e32 v3, v43
	;; [unrolled: 8-line block ×3, first 2 shown]
	v_cmp_gt_i64_e32 vcc, 0, v[42:43]
	v_ashrrev_i32_e32 v3, 31, v3
	v_and_b32_e32 v1, v1, v11
	v_xor_b32_e32 v11, vcc_hi, v3
	v_xor_b32_e32 v3, vcc_lo, v3
	v_lshlrev_b32_e32 v43, 25, v0
	v_and_b32_e32 v2, v2, v3
	v_cmp_gt_i64_e32 vcc, 0, v[42:43]
	v_not_b32_e32 v3, v43
	v_lshlrev_b32_e32 v43, 24, v0
	v_ashrrev_i32_e32 v3, 31, v3
	v_not_b32_e32 v0, v43
	v_and_b32_e32 v1, v1, v11
	v_xor_b32_e32 v11, vcc_hi, v3
	v_xor_b32_e32 v3, vcc_lo, v3
	v_cmp_gt_i64_e32 vcc, 0, v[42:43]
	v_ashrrev_i32_e32 v0, 31, v0
	v_and_b32_e32 v2, v2, v3
	v_xor_b32_e32 v3, vcc_hi, v0
	v_xor_b32_e32 v0, vcc_lo, v0
	v_and_b32_e32 v1, v1, v11
	v_and_b32_e32 v0, v2, v0
	v_and_b32_e32 v1, v1, v3
	v_mbcnt_lo_u32_b32 v2, v0, 0
	v_mbcnt_hi_u32_b32 v11, v1, v2
	v_cmp_eq_u32_e32 vcc, 0, v11
	v_cmp_ne_u64_e64 s[44:45], 0, v[0:1]
	s_and_b64 s[56:57], s[44:45], vcc
	; wave barrier
	s_and_saveexec_b64 s[44:45], s[56:57]
	s_cbranch_execz .LBB146_73
; %bb.72:                               ;   in Loop: Header=BB146_67 Depth=1
	v_bcnt_u32_b32 v0, v0, 0
	v_bcnt_u32_b32 v0, v1, v0
	s_waitcnt lgkmcnt(0)
	v_add_u32_e32 v0, v9, v0
	ds_write_b32 v10, v0
.LBB146_73:                             ;   in Loop: Header=BB146_67 Depth=1
	s_or_b64 exec, exec, s[44:45]
	v_lshrrev_b64 v[0:1], s50, v[58:59]
	v_and_b32_e32 v0, s55, v0
	v_lshlrev_b32_e32 v1, 2, v0
	v_add_lshl_u32 v1, v1, v73, 2
	; wave barrier
	v_add_u32_e32 v13, 16, v1
	ds_read_b32 v12, v1 offset:16
	v_and_b32_e32 v1, 1, v0
	v_add_co_u32_e32 v2, vcc, -1, v1
	v_addc_co_u32_e64 v3, s[44:45], 0, -1, vcc
	v_cmp_ne_u32_e32 vcc, 0, v1
	v_lshlrev_b32_e32 v43, 30, v0
	v_xor_b32_e32 v1, vcc_hi, v3
	v_not_b32_e32 v3, v43
	v_xor_b32_e32 v2, vcc_lo, v2
	v_cmp_gt_i64_e32 vcc, 0, v[42:43]
	v_ashrrev_i32_e32 v3, 31, v3
	v_and_b32_e32 v2, exec_lo, v2
	v_xor_b32_e32 v14, vcc_hi, v3
	v_xor_b32_e32 v3, vcc_lo, v3
	v_lshlrev_b32_e32 v43, 29, v0
	v_and_b32_e32 v2, v2, v3
	v_not_b32_e32 v3, v43
	v_and_b32_e32 v1, exec_hi, v1
	v_cmp_gt_i64_e32 vcc, 0, v[42:43]
	v_ashrrev_i32_e32 v3, 31, v3
	v_and_b32_e32 v1, v1, v14
	v_xor_b32_e32 v14, vcc_hi, v3
	v_xor_b32_e32 v3, vcc_lo, v3
	v_lshlrev_b32_e32 v43, 28, v0
	v_and_b32_e32 v2, v2, v3
	v_not_b32_e32 v3, v43
	v_cmp_gt_i64_e32 vcc, 0, v[42:43]
	v_ashrrev_i32_e32 v3, 31, v3
	v_and_b32_e32 v1, v1, v14
	v_xor_b32_e32 v14, vcc_hi, v3
	v_xor_b32_e32 v3, vcc_lo, v3
	v_lshlrev_b32_e32 v43, 27, v0
	v_and_b32_e32 v2, v2, v3
	v_not_b32_e32 v3, v43
	v_cmp_gt_i64_e32 vcc, 0, v[42:43]
	v_ashrrev_i32_e32 v3, 31, v3
	v_and_b32_e32 v1, v1, v14
	v_xor_b32_e32 v14, vcc_hi, v3
	v_xor_b32_e32 v3, vcc_lo, v3
	v_lshlrev_b32_e32 v43, 26, v0
	v_and_b32_e32 v2, v2, v3
	v_not_b32_e32 v3, v43
	v_cmp_gt_i64_e32 vcc, 0, v[42:43]
	v_ashrrev_i32_e32 v3, 31, v3
	v_and_b32_e32 v1, v1, v14
	v_xor_b32_e32 v14, vcc_hi, v3
	v_xor_b32_e32 v3, vcc_lo, v3
	v_lshlrev_b32_e32 v43, 25, v0
	v_and_b32_e32 v2, v2, v3
	v_cmp_gt_i64_e32 vcc, 0, v[42:43]
	v_not_b32_e32 v3, v43
	v_lshlrev_b32_e32 v43, 24, v0
	v_ashrrev_i32_e32 v3, 31, v3
	v_not_b32_e32 v0, v43
	v_and_b32_e32 v1, v1, v14
	v_xor_b32_e32 v14, vcc_hi, v3
	v_xor_b32_e32 v3, vcc_lo, v3
	v_cmp_gt_i64_e32 vcc, 0, v[42:43]
	v_ashrrev_i32_e32 v0, 31, v0
	v_and_b32_e32 v2, v2, v3
	v_xor_b32_e32 v3, vcc_hi, v0
	v_xor_b32_e32 v0, vcc_lo, v0
	v_and_b32_e32 v1, v1, v14
	v_and_b32_e32 v0, v2, v0
	;; [unrolled: 1-line block ×3, first 2 shown]
	v_mbcnt_lo_u32_b32 v2, v0, 0
	v_mbcnt_hi_u32_b32 v14, v1, v2
	v_cmp_eq_u32_e32 vcc, 0, v14
	v_cmp_ne_u64_e64 s[44:45], 0, v[0:1]
	s_and_b64 s[56:57], s[44:45], vcc
	; wave barrier
	s_and_saveexec_b64 s[44:45], s[56:57]
	s_cbranch_execz .LBB146_75
; %bb.74:                               ;   in Loop: Header=BB146_67 Depth=1
	v_bcnt_u32_b32 v0, v0, 0
	v_bcnt_u32_b32 v0, v1, v0
	s_waitcnt lgkmcnt(0)
	v_add_u32_e32 v0, v12, v0
	ds_write_b32 v13, v0
.LBB146_75:                             ;   in Loop: Header=BB146_67 Depth=1
	s_or_b64 exec, exec, s[44:45]
	v_lshrrev_b64 v[0:1], s50, v[56:57]
	v_and_b32_e32 v0, s55, v0
	v_lshlrev_b32_e32 v1, 2, v0
	v_add_lshl_u32 v1, v1, v73, 2
	; wave barrier
	v_add_u32_e32 v18, 16, v1
	ds_read_b32 v15, v1 offset:16
	v_and_b32_e32 v1, 1, v0
	v_add_co_u32_e32 v2, vcc, -1, v1
	v_addc_co_u32_e64 v3, s[44:45], 0, -1, vcc
	v_cmp_ne_u32_e32 vcc, 0, v1
	v_lshlrev_b32_e32 v43, 30, v0
	v_xor_b32_e32 v1, vcc_hi, v3
	v_not_b32_e32 v3, v43
	v_xor_b32_e32 v2, vcc_lo, v2
	v_cmp_gt_i64_e32 vcc, 0, v[42:43]
	v_ashrrev_i32_e32 v3, 31, v3
	v_and_b32_e32 v2, exec_lo, v2
	v_xor_b32_e32 v19, vcc_hi, v3
	v_xor_b32_e32 v3, vcc_lo, v3
	v_lshlrev_b32_e32 v43, 29, v0
	v_and_b32_e32 v2, v2, v3
	v_not_b32_e32 v3, v43
	v_and_b32_e32 v1, exec_hi, v1
	v_cmp_gt_i64_e32 vcc, 0, v[42:43]
	v_ashrrev_i32_e32 v3, 31, v3
	v_and_b32_e32 v1, v1, v19
	v_xor_b32_e32 v19, vcc_hi, v3
	v_xor_b32_e32 v3, vcc_lo, v3
	v_lshlrev_b32_e32 v43, 28, v0
	v_and_b32_e32 v2, v2, v3
	v_not_b32_e32 v3, v43
	v_cmp_gt_i64_e32 vcc, 0, v[42:43]
	v_ashrrev_i32_e32 v3, 31, v3
	v_and_b32_e32 v1, v1, v19
	v_xor_b32_e32 v19, vcc_hi, v3
	v_xor_b32_e32 v3, vcc_lo, v3
	v_lshlrev_b32_e32 v43, 27, v0
	v_and_b32_e32 v2, v2, v3
	v_not_b32_e32 v3, v43
	;; [unrolled: 8-line block ×3, first 2 shown]
	v_cmp_gt_i64_e32 vcc, 0, v[42:43]
	v_ashrrev_i32_e32 v3, 31, v3
	v_and_b32_e32 v1, v1, v19
	v_xor_b32_e32 v19, vcc_hi, v3
	v_xor_b32_e32 v3, vcc_lo, v3
	v_lshlrev_b32_e32 v43, 25, v0
	v_and_b32_e32 v2, v2, v3
	v_cmp_gt_i64_e32 vcc, 0, v[42:43]
	v_not_b32_e32 v3, v43
	v_lshlrev_b32_e32 v43, 24, v0
	v_ashrrev_i32_e32 v3, 31, v3
	v_not_b32_e32 v0, v43
	v_and_b32_e32 v1, v1, v19
	v_xor_b32_e32 v19, vcc_hi, v3
	v_xor_b32_e32 v3, vcc_lo, v3
	v_cmp_gt_i64_e32 vcc, 0, v[42:43]
	v_ashrrev_i32_e32 v0, 31, v0
	v_and_b32_e32 v2, v2, v3
	v_xor_b32_e32 v3, vcc_hi, v0
	v_xor_b32_e32 v0, vcc_lo, v0
	v_and_b32_e32 v1, v1, v19
	v_and_b32_e32 v0, v2, v0
	;; [unrolled: 1-line block ×3, first 2 shown]
	v_mbcnt_lo_u32_b32 v2, v0, 0
	v_mbcnt_hi_u32_b32 v19, v1, v2
	v_cmp_eq_u32_e32 vcc, 0, v19
	v_cmp_ne_u64_e64 s[44:45], 0, v[0:1]
	s_and_b64 s[56:57], s[44:45], vcc
	; wave barrier
	s_and_saveexec_b64 s[44:45], s[56:57]
	s_cbranch_execz .LBB146_77
; %bb.76:                               ;   in Loop: Header=BB146_67 Depth=1
	v_bcnt_u32_b32 v0, v0, 0
	v_bcnt_u32_b32 v0, v1, v0
	s_waitcnt lgkmcnt(0)
	v_add_u32_e32 v0, v15, v0
	ds_write_b32 v18, v0
.LBB146_77:                             ;   in Loop: Header=BB146_67 Depth=1
	s_or_b64 exec, exec, s[44:45]
	v_lshrrev_b64 v[0:1], s50, v[54:55]
	v_and_b32_e32 v0, s55, v0
	v_lshlrev_b32_e32 v1, 2, v0
	v_add_lshl_u32 v1, v1, v73, 2
	; wave barrier
	v_add_u32_e32 v21, 16, v1
	ds_read_b32 v20, v1 offset:16
	v_and_b32_e32 v1, 1, v0
	v_add_co_u32_e32 v2, vcc, -1, v1
	v_addc_co_u32_e64 v3, s[44:45], 0, -1, vcc
	v_cmp_ne_u32_e32 vcc, 0, v1
	v_lshlrev_b32_e32 v43, 30, v0
	v_xor_b32_e32 v1, vcc_hi, v3
	v_not_b32_e32 v3, v43
	v_xor_b32_e32 v2, vcc_lo, v2
	v_cmp_gt_i64_e32 vcc, 0, v[42:43]
	v_ashrrev_i32_e32 v3, 31, v3
	v_and_b32_e32 v2, exec_lo, v2
	v_xor_b32_e32 v22, vcc_hi, v3
	v_xor_b32_e32 v3, vcc_lo, v3
	v_lshlrev_b32_e32 v43, 29, v0
	v_and_b32_e32 v2, v2, v3
	v_not_b32_e32 v3, v43
	v_and_b32_e32 v1, exec_hi, v1
	v_cmp_gt_i64_e32 vcc, 0, v[42:43]
	v_ashrrev_i32_e32 v3, 31, v3
	v_and_b32_e32 v1, v1, v22
	v_xor_b32_e32 v22, vcc_hi, v3
	v_xor_b32_e32 v3, vcc_lo, v3
	v_lshlrev_b32_e32 v43, 28, v0
	v_and_b32_e32 v2, v2, v3
	v_not_b32_e32 v3, v43
	v_cmp_gt_i64_e32 vcc, 0, v[42:43]
	v_ashrrev_i32_e32 v3, 31, v3
	v_and_b32_e32 v1, v1, v22
	v_xor_b32_e32 v22, vcc_hi, v3
	v_xor_b32_e32 v3, vcc_lo, v3
	v_lshlrev_b32_e32 v43, 27, v0
	v_and_b32_e32 v2, v2, v3
	v_not_b32_e32 v3, v43
	;; [unrolled: 8-line block ×3, first 2 shown]
	v_cmp_gt_i64_e32 vcc, 0, v[42:43]
	v_ashrrev_i32_e32 v3, 31, v3
	v_and_b32_e32 v1, v1, v22
	v_xor_b32_e32 v22, vcc_hi, v3
	v_xor_b32_e32 v3, vcc_lo, v3
	v_lshlrev_b32_e32 v43, 25, v0
	v_and_b32_e32 v2, v2, v3
	v_cmp_gt_i64_e32 vcc, 0, v[42:43]
	v_not_b32_e32 v3, v43
	v_lshlrev_b32_e32 v43, 24, v0
	v_ashrrev_i32_e32 v3, 31, v3
	v_not_b32_e32 v0, v43
	v_and_b32_e32 v1, v1, v22
	v_xor_b32_e32 v22, vcc_hi, v3
	v_xor_b32_e32 v3, vcc_lo, v3
	v_cmp_gt_i64_e32 vcc, 0, v[42:43]
	v_ashrrev_i32_e32 v0, 31, v0
	v_and_b32_e32 v2, v2, v3
	v_xor_b32_e32 v3, vcc_hi, v0
	v_xor_b32_e32 v0, vcc_lo, v0
	v_and_b32_e32 v1, v1, v22
	v_and_b32_e32 v0, v2, v0
	;; [unrolled: 1-line block ×3, first 2 shown]
	v_mbcnt_lo_u32_b32 v2, v0, 0
	v_mbcnt_hi_u32_b32 v22, v1, v2
	v_cmp_eq_u32_e32 vcc, 0, v22
	v_cmp_ne_u64_e64 s[44:45], 0, v[0:1]
	s_and_b64 s[56:57], s[44:45], vcc
	; wave barrier
	s_and_saveexec_b64 s[44:45], s[56:57]
	s_cbranch_execz .LBB146_79
; %bb.78:                               ;   in Loop: Header=BB146_67 Depth=1
	v_bcnt_u32_b32 v0, v0, 0
	v_bcnt_u32_b32 v0, v1, v0
	s_waitcnt lgkmcnt(0)
	v_add_u32_e32 v0, v20, v0
	ds_write_b32 v21, v0
.LBB146_79:                             ;   in Loop: Header=BB146_67 Depth=1
	s_or_b64 exec, exec, s[44:45]
	v_lshrrev_b64 v[0:1], s50, v[52:53]
	v_and_b32_e32 v0, s55, v0
	v_lshlrev_b32_e32 v1, 2, v0
	v_add_lshl_u32 v1, v1, v73, 2
	; wave barrier
	v_add_u32_e32 v24, 16, v1
	ds_read_b32 v23, v1 offset:16
	v_and_b32_e32 v1, 1, v0
	v_add_co_u32_e32 v2, vcc, -1, v1
	v_addc_co_u32_e64 v3, s[44:45], 0, -1, vcc
	v_cmp_ne_u32_e32 vcc, 0, v1
	v_lshlrev_b32_e32 v43, 30, v0
	v_xor_b32_e32 v1, vcc_hi, v3
	v_not_b32_e32 v3, v43
	v_xor_b32_e32 v2, vcc_lo, v2
	v_cmp_gt_i64_e32 vcc, 0, v[42:43]
	v_ashrrev_i32_e32 v3, 31, v3
	v_and_b32_e32 v2, exec_lo, v2
	v_xor_b32_e32 v25, vcc_hi, v3
	v_xor_b32_e32 v3, vcc_lo, v3
	v_lshlrev_b32_e32 v43, 29, v0
	v_and_b32_e32 v2, v2, v3
	v_not_b32_e32 v3, v43
	v_and_b32_e32 v1, exec_hi, v1
	v_cmp_gt_i64_e32 vcc, 0, v[42:43]
	v_ashrrev_i32_e32 v3, 31, v3
	v_and_b32_e32 v1, v1, v25
	v_xor_b32_e32 v25, vcc_hi, v3
	v_xor_b32_e32 v3, vcc_lo, v3
	v_lshlrev_b32_e32 v43, 28, v0
	v_and_b32_e32 v2, v2, v3
	v_not_b32_e32 v3, v43
	v_cmp_gt_i64_e32 vcc, 0, v[42:43]
	v_ashrrev_i32_e32 v3, 31, v3
	v_and_b32_e32 v1, v1, v25
	v_xor_b32_e32 v25, vcc_hi, v3
	v_xor_b32_e32 v3, vcc_lo, v3
	v_lshlrev_b32_e32 v43, 27, v0
	v_and_b32_e32 v2, v2, v3
	v_not_b32_e32 v3, v43
	;; [unrolled: 8-line block ×3, first 2 shown]
	v_cmp_gt_i64_e32 vcc, 0, v[42:43]
	v_ashrrev_i32_e32 v3, 31, v3
	v_and_b32_e32 v1, v1, v25
	v_xor_b32_e32 v25, vcc_hi, v3
	v_xor_b32_e32 v3, vcc_lo, v3
	v_lshlrev_b32_e32 v43, 25, v0
	v_and_b32_e32 v2, v2, v3
	v_cmp_gt_i64_e32 vcc, 0, v[42:43]
	v_not_b32_e32 v3, v43
	v_lshlrev_b32_e32 v43, 24, v0
	v_ashrrev_i32_e32 v3, 31, v3
	v_not_b32_e32 v0, v43
	v_and_b32_e32 v1, v1, v25
	v_xor_b32_e32 v25, vcc_hi, v3
	v_xor_b32_e32 v3, vcc_lo, v3
	v_cmp_gt_i64_e32 vcc, 0, v[42:43]
	v_ashrrev_i32_e32 v0, 31, v0
	v_and_b32_e32 v2, v2, v3
	v_xor_b32_e32 v3, vcc_hi, v0
	v_xor_b32_e32 v0, vcc_lo, v0
	v_and_b32_e32 v1, v1, v25
	v_and_b32_e32 v0, v2, v0
	;; [unrolled: 1-line block ×3, first 2 shown]
	v_mbcnt_lo_u32_b32 v2, v0, 0
	v_mbcnt_hi_u32_b32 v25, v1, v2
	v_cmp_eq_u32_e32 vcc, 0, v25
	v_cmp_ne_u64_e64 s[44:45], 0, v[0:1]
	s_and_b64 s[56:57], s[44:45], vcc
	; wave barrier
	s_and_saveexec_b64 s[44:45], s[56:57]
	s_cbranch_execz .LBB146_81
; %bb.80:                               ;   in Loop: Header=BB146_67 Depth=1
	v_bcnt_u32_b32 v0, v0, 0
	v_bcnt_u32_b32 v0, v1, v0
	s_waitcnt lgkmcnt(0)
	v_add_u32_e32 v0, v23, v0
	ds_write_b32 v24, v0
.LBB146_81:                             ;   in Loop: Header=BB146_67 Depth=1
	s_or_b64 exec, exec, s[44:45]
	v_lshrrev_b64 v[0:1], s50, v[46:47]
	v_and_b32_e32 v0, s55, v0
	v_lshlrev_b32_e32 v1, 2, v0
	v_add_lshl_u32 v1, v1, v73, 2
	; wave barrier
	v_add_u32_e32 v27, 16, v1
	ds_read_b32 v26, v1 offset:16
	v_and_b32_e32 v1, 1, v0
	v_add_co_u32_e32 v2, vcc, -1, v1
	v_addc_co_u32_e64 v3, s[44:45], 0, -1, vcc
	v_cmp_ne_u32_e32 vcc, 0, v1
	v_lshlrev_b32_e32 v43, 30, v0
	v_xor_b32_e32 v1, vcc_hi, v3
	v_not_b32_e32 v3, v43
	v_xor_b32_e32 v2, vcc_lo, v2
	v_cmp_gt_i64_e32 vcc, 0, v[42:43]
	v_ashrrev_i32_e32 v3, 31, v3
	v_and_b32_e32 v2, exec_lo, v2
	v_xor_b32_e32 v28, vcc_hi, v3
	v_xor_b32_e32 v3, vcc_lo, v3
	v_lshlrev_b32_e32 v43, 29, v0
	v_and_b32_e32 v2, v2, v3
	v_not_b32_e32 v3, v43
	v_and_b32_e32 v1, exec_hi, v1
	v_cmp_gt_i64_e32 vcc, 0, v[42:43]
	v_ashrrev_i32_e32 v3, 31, v3
	v_and_b32_e32 v1, v1, v28
	v_xor_b32_e32 v28, vcc_hi, v3
	v_xor_b32_e32 v3, vcc_lo, v3
	v_lshlrev_b32_e32 v43, 28, v0
	v_and_b32_e32 v2, v2, v3
	v_not_b32_e32 v3, v43
	v_cmp_gt_i64_e32 vcc, 0, v[42:43]
	v_ashrrev_i32_e32 v3, 31, v3
	v_and_b32_e32 v1, v1, v28
	v_xor_b32_e32 v28, vcc_hi, v3
	v_xor_b32_e32 v3, vcc_lo, v3
	v_lshlrev_b32_e32 v43, 27, v0
	v_and_b32_e32 v2, v2, v3
	v_not_b32_e32 v3, v43
	;; [unrolled: 8-line block ×3, first 2 shown]
	v_cmp_gt_i64_e32 vcc, 0, v[42:43]
	v_ashrrev_i32_e32 v3, 31, v3
	v_and_b32_e32 v1, v1, v28
	v_xor_b32_e32 v28, vcc_hi, v3
	v_xor_b32_e32 v3, vcc_lo, v3
	v_lshlrev_b32_e32 v43, 25, v0
	v_and_b32_e32 v2, v2, v3
	v_cmp_gt_i64_e32 vcc, 0, v[42:43]
	v_not_b32_e32 v3, v43
	v_lshlrev_b32_e32 v43, 24, v0
	v_ashrrev_i32_e32 v3, 31, v3
	v_not_b32_e32 v0, v43
	v_and_b32_e32 v1, v1, v28
	v_xor_b32_e32 v28, vcc_hi, v3
	v_xor_b32_e32 v3, vcc_lo, v3
	v_cmp_gt_i64_e32 vcc, 0, v[42:43]
	v_ashrrev_i32_e32 v0, 31, v0
	v_and_b32_e32 v2, v2, v3
	v_xor_b32_e32 v3, vcc_hi, v0
	v_xor_b32_e32 v0, vcc_lo, v0
	v_and_b32_e32 v1, v1, v28
	v_and_b32_e32 v0, v2, v0
	v_and_b32_e32 v1, v1, v3
	v_mbcnt_lo_u32_b32 v2, v0, 0
	v_mbcnt_hi_u32_b32 v28, v1, v2
	v_cmp_eq_u32_e32 vcc, 0, v28
	v_cmp_ne_u64_e64 s[44:45], 0, v[0:1]
	s_and_b64 s[56:57], s[44:45], vcc
	; wave barrier
	s_and_saveexec_b64 s[44:45], s[56:57]
	s_cbranch_execz .LBB146_83
; %bb.82:                               ;   in Loop: Header=BB146_67 Depth=1
	v_bcnt_u32_b32 v0, v0, 0
	v_bcnt_u32_b32 v0, v1, v0
	s_waitcnt lgkmcnt(0)
	v_add_u32_e32 v0, v26, v0
	ds_write_b32 v27, v0
.LBB146_83:                             ;   in Loop: Header=BB146_67 Depth=1
	s_or_b64 exec, exec, s[44:45]
	; wave barrier
	s_waitcnt lgkmcnt(0)
	s_barrier
	ds_read2_b32 v[2:3], v112 offset0:4 offset1:5
	ds_read2_b32 v[0:1], v72 offset0:2 offset1:3
	s_waitcnt lgkmcnt(1)
	v_add_u32_e32 v29, v3, v2
	s_waitcnt lgkmcnt(0)
	v_add3_u32 v1, v29, v0, v1
	s_nop 1
	v_mov_b32_dpp v29, v1 row_shr:1 row_mask:0xf bank_mask:0xf
	v_cndmask_b32_e64 v29, v29, 0, s[16:17]
	v_add_u32_e32 v1, v29, v1
	s_nop 1
	v_mov_b32_dpp v29, v1 row_shr:2 row_mask:0xf bank_mask:0xf
	v_cndmask_b32_e64 v29, 0, v29, s[18:19]
	v_add_u32_e32 v1, v1, v29
	;; [unrolled: 4-line block ×4, first 2 shown]
	s_nop 1
	v_mov_b32_dpp v29, v1 row_bcast:15 row_mask:0xf bank_mask:0xf
	v_cndmask_b32_e64 v29, v29, 0, s[24:25]
	v_add_u32_e32 v1, v1, v29
	s_nop 1
	v_mov_b32_dpp v29, v1 row_bcast:31 row_mask:0xf bank_mask:0xf
	v_cndmask_b32_e64 v29, 0, v29, s[26:27]
	v_add_u32_e32 v1, v1, v29
	s_and_saveexec_b64 s[44:45], s[28:29]
	s_cbranch_execz .LBB146_85
; %bb.84:                               ;   in Loop: Header=BB146_67 Depth=1
	ds_write_b32 v70, v1
.LBB146_85:                             ;   in Loop: Header=BB146_67 Depth=1
	s_or_b64 exec, exec, s[44:45]
	s_waitcnt lgkmcnt(0)
	s_barrier
	s_and_saveexec_b64 s[44:45], s[30:31]
	s_cbranch_execz .LBB146_87
; %bb.86:                               ;   in Loop: Header=BB146_67 Depth=1
	ds_read_b32 v29, v69
	s_waitcnt lgkmcnt(0)
	s_nop 0
	v_mov_b32_dpp v30, v29 row_shr:1 row_mask:0xf bank_mask:0xf
	v_cndmask_b32_e64 v30, v30, 0, s[40:41]
	v_add_u32_e32 v29, v30, v29
	s_nop 1
	v_mov_b32_dpp v30, v29 row_shr:2 row_mask:0xf bank_mask:0xf
	v_cndmask_b32_e64 v30, 0, v30, s[42:43]
	v_add_u32_e32 v29, v29, v30
	ds_write_b32 v69, v29
.LBB146_87:                             ;   in Loop: Header=BB146_67 Depth=1
	s_or_b64 exec, exec, s[44:45]
	v_mov_b32_e32 v29, 0
	s_waitcnt lgkmcnt(0)
	s_barrier
	s_and_saveexec_b64 s[44:45], s[34:35]
	s_cbranch_execz .LBB146_89
; %bb.88:                               ;   in Loop: Header=BB146_67 Depth=1
	ds_read_b32 v29, v75
.LBB146_89:                             ;   in Loop: Header=BB146_67 Depth=1
	s_or_b64 exec, exec, s[44:45]
	s_waitcnt lgkmcnt(0)
	v_add_u32_e32 v1, v29, v1
	ds_bpermute_b32 v1, v74, v1
	s_cmp_gt_u32 s50, 55
	s_waitcnt lgkmcnt(0)
	v_cndmask_b32_e64 v1, v1, v29, s[36:37]
	v_cndmask_b32_e64 v1, v1, 0, s[38:39]
	v_add_u32_e32 v2, v1, v2
	v_add_u32_e32 v3, v2, v3
	;; [unrolled: 1-line block ×3, first 2 shown]
	ds_write2_b32 v112, v1, v2 offset0:4 offset1:5
	ds_write2_b32 v72, v3, v0 offset0:2 offset1:3
	s_waitcnt lgkmcnt(0)
	s_barrier
	ds_read_b32 v0, v4
	ds_read_b32 v1, v7
	ds_read_b32 v2, v10
	ds_read_b32 v3, v13
	ds_read_b32 v4, v18
	ds_read_b32 v7, v21
	ds_read_b32 v10, v24
	ds_read_b32 v13, v27
	s_waitcnt lgkmcnt(7)
	v_add_u32_e32 v83, v0, v5
	s_waitcnt lgkmcnt(6)
	v_add3_u32 v82, v8, v6, v1
	s_waitcnt lgkmcnt(5)
	v_add3_u32 v81, v11, v9, v2
	;; [unrolled: 2-line block ×7, first 2 shown]
	s_cbranch_scc0 .LBB146_66
; %bb.90:
                                        ; implicit-def: $vgpr32_vgpr33
                                        ; implicit-def: $vgpr28_vgpr29
                                        ; implicit-def: $vgpr24_vgpr25
                                        ; implicit-def: $vgpr20_vgpr21
                                        ; implicit-def: $vgpr14_vgpr15
                                        ; implicit-def: $vgpr10_vgpr11
                                        ; implicit-def: $vgpr6_vgpr7
                                        ; implicit-def: $vgpr2_vgpr3
                                        ; implicit-def: $sgpr50_sgpr51
                                        ; implicit-def: $sgpr53
.LBB146_91:
	v_lshlrev_b32_e32 v18, 3, v83
	v_lshlrev_b32_e32 v19, 3, v82
	;; [unrolled: 1-line block ×9, first 2 shown]
	s_barrier
	ds_write_b64 v18, v[64:65]
	ds_write_b64 v19, v[62:63]
	;; [unrolled: 1-line block ×8, first 2 shown]
	s_waitcnt lgkmcnt(0)
	s_barrier
	ds_read2_b64 v[0:3], v26 offset1:1
	ds_read2_b64 v[4:7], v26 offset0:2 offset1:3
	ds_read2_b64 v[8:11], v26 offset0:4 offset1:5
	;; [unrolled: 1-line block ×3, first 2 shown]
	s_waitcnt lgkmcnt(0)
	s_barrier
	ds_write_b64 v18, v[50:51]
	ds_write_b64 v19, v[48:49]
	;; [unrolled: 1-line block ×8, first 2 shown]
	s_waitcnt lgkmcnt(0)
	s_barrier
	ds_read2_b64 v[34:37], v26 offset1:1
	ds_read2_b64 v[38:41], v26 offset0:2 offset1:3
	ds_read2_b64 v[42:45], v26 offset0:4 offset1:5
	;; [unrolled: 1-line block ×3, first 2 shown]
	v_xor_b32_e32 v51, 0x7fffffff, v1
	v_xor_b32_e32 v50, -1, v0
	v_xor_b32_e32 v53, 0x7fffffff, v3
	v_xor_b32_e32 v52, -1, v2
	;; [unrolled: 2-line block ×8, first 2 shown]
.LBB146_92:
	s_waitcnt lgkmcnt(0)
	s_barrier
	ds_write2_b64 v111, v[50:51], v[52:53] offset1:1
	ds_write2_b64 v111, v[54:55], v[56:57] offset0:2 offset1:3
	ds_write2_b64 v111, v[58:59], v[60:61] offset0:4 offset1:5
	;; [unrolled: 1-line block ×3, first 2 shown]
	s_waitcnt lgkmcnt(0)
	s_barrier
	ds_read_b64 v[14:15], v104 offset:2048
	ds_read_b64 v[12:13], v105 offset:4096
	;; [unrolled: 1-line block ×7, first 2 shown]
	v_mov_b32_e32 v67, 0
	v_lshlrev_b64 v[2:3], 3, v[66:67]
	v_mov_b32_e32 v16, s47
	v_add_co_u32_e32 v2, vcc, s33, v2
	v_addc_co_u32_e32 v3, vcc, v16, v3, vcc
	s_and_saveexec_b64 s[16:17], s[0:1]
	s_cbranch_execnz .LBB146_111
; %bb.93:
	s_or_b64 exec, exec, s[16:17]
	s_and_saveexec_b64 s[16:17], s[2:3]
	s_cbranch_execnz .LBB146_112
.LBB146_94:
	s_or_b64 exec, exec, s[16:17]
	s_and_saveexec_b64 s[16:17], s[4:5]
	s_cbranch_execnz .LBB146_113
.LBB146_95:
	s_or_b64 exec, exec, s[16:17]
	s_and_saveexec_b64 s[16:17], s[6:7]
	s_cbranch_execnz .LBB146_114
.LBB146_96:
	s_or_b64 exec, exec, s[16:17]
	s_and_saveexec_b64 s[16:17], s[8:9]
	s_cbranch_execnz .LBB146_115
.LBB146_97:
	s_or_b64 exec, exec, s[16:17]
	s_and_saveexec_b64 s[16:17], s[10:11]
	s_cbranch_execnz .LBB146_116
.LBB146_98:
	s_or_b64 exec, exec, s[16:17]
	s_and_saveexec_b64 s[16:17], s[12:13]
	s_cbranch_execnz .LBB146_117
.LBB146_99:
	s_or_b64 exec, exec, s[16:17]
	s_and_saveexec_b64 s[16:17], s[14:15]
	s_cbranch_execz .LBB146_101
.LBB146_100:
	s_mul_i32 s18, s46, 0x700
	s_mov_b32 s19, 0
	s_lshl_b64 s[18:19], s[18:19], 3
	s_waitcnt lgkmcnt(1)
	v_mov_b32_e32 v4, s19
	v_add_co_u32_e32 v2, vcc, s18, v2
	v_addc_co_u32_e32 v3, vcc, v3, v4, vcc
	s_waitcnt lgkmcnt(0)
	global_store_dwordx2 v[2:3], v[0:1], off
.LBB146_101:
	s_or_b64 exec, exec, s[16:17]
	s_waitcnt lgkmcnt(0)
	s_barrier
	ds_write2_b64 v111, v[34:35], v[36:37] offset1:1
	ds_write2_b64 v111, v[38:39], v[40:41] offset0:2 offset1:3
	ds_write2_b64 v111, v[42:43], v[44:45] offset0:4 offset1:5
	;; [unrolled: 1-line block ×3, first 2 shown]
	s_waitcnt lgkmcnt(0)
	s_barrier
	ds_read_b64 v[14:15], v104 offset:2048
	ds_read_b64 v[12:13], v105 offset:4096
	;; [unrolled: 1-line block ×7, first 2 shown]
	v_mov_b32_e32 v69, 0
	v_lshlrev_b64 v[2:3], 3, v[68:69]
	v_mov_b32_e32 v16, s54
	v_add_co_u32_e32 v2, vcc, s49, v2
	v_addc_co_u32_e32 v3, vcc, v16, v3, vcc
	s_and_saveexec_b64 s[16:17], s[0:1]
	s_cbranch_execnz .LBB146_118
; %bb.102:
	s_or_b64 exec, exec, s[16:17]
	s_and_saveexec_b64 s[0:1], s[2:3]
	s_cbranch_execnz .LBB146_119
.LBB146_103:
	s_or_b64 exec, exec, s[0:1]
	s_and_saveexec_b64 s[0:1], s[4:5]
	s_cbranch_execnz .LBB146_120
.LBB146_104:
	s_or_b64 exec, exec, s[0:1]
	s_and_saveexec_b64 s[0:1], s[6:7]
	s_cbranch_execnz .LBB146_121
.LBB146_105:
	s_or_b64 exec, exec, s[0:1]
	s_and_saveexec_b64 s[0:1], s[8:9]
	s_cbranch_execnz .LBB146_122
.LBB146_106:
	s_or_b64 exec, exec, s[0:1]
	s_and_saveexec_b64 s[0:1], s[10:11]
	s_cbranch_execnz .LBB146_123
.LBB146_107:
	s_or_b64 exec, exec, s[0:1]
	s_and_saveexec_b64 s[0:1], s[12:13]
	s_cbranch_execnz .LBB146_124
.LBB146_108:
	s_or_b64 exec, exec, s[0:1]
	s_and_saveexec_b64 s[0:1], s[14:15]
	s_cbranch_execz .LBB146_110
.LBB146_109:
	s_mul_i32 s0, s48, 0x700
	s_mov_b32 s1, 0
	s_lshl_b64 s[0:1], s[0:1], 3
	s_waitcnt lgkmcnt(1)
	v_mov_b32_e32 v4, s1
	v_add_co_u32_e32 v2, vcc, s0, v2
	v_addc_co_u32_e32 v3, vcc, v3, v4, vcc
	s_waitcnt lgkmcnt(0)
	global_store_dwordx2 v[2:3], v[0:1], off
.LBB146_110:
	s_endpgm
.LBB146_111:
	ds_read_b64 v[16:17], v71
	s_waitcnt lgkmcnt(0)
	global_store_dwordx2 v[2:3], v[16:17], off
	s_or_b64 exec, exec, s[16:17]
	s_and_saveexec_b64 s[16:17], s[2:3]
	s_cbranch_execz .LBB146_94
.LBB146_112:
	s_lshl_b32 s18, s46, 8
	s_mov_b32 s19, 0
	s_lshl_b64 s[18:19], s[18:19], 3
	v_mov_b32_e32 v17, s19
	v_add_co_u32_e32 v16, vcc, s18, v2
	v_addc_co_u32_e32 v17, vcc, v3, v17, vcc
	s_waitcnt lgkmcnt(6)
	global_store_dwordx2 v[16:17], v[14:15], off
	s_or_b64 exec, exec, s[16:17]
	s_and_saveexec_b64 s[16:17], s[4:5]
	s_cbranch_execz .LBB146_95
.LBB146_113:
	s_lshl_b32 s18, s46, 9
	s_mov_b32 s19, 0
	s_lshl_b64 s[18:19], s[18:19], 3
	s_waitcnt lgkmcnt(6)
	v_mov_b32_e32 v15, s19
	v_add_co_u32_e32 v14, vcc, s18, v2
	v_addc_co_u32_e32 v15, vcc, v3, v15, vcc
	s_waitcnt lgkmcnt(5)
	global_store_dwordx2 v[14:15], v[12:13], off
	s_or_b64 exec, exec, s[16:17]
	s_and_saveexec_b64 s[16:17], s[6:7]
	s_cbranch_execz .LBB146_96
.LBB146_114:
	s_mul_i32 s18, s46, 0x300
	s_mov_b32 s19, 0
	s_lshl_b64 s[18:19], s[18:19], 3
	s_waitcnt lgkmcnt(5)
	v_mov_b32_e32 v13, s19
	v_add_co_u32_e32 v12, vcc, s18, v2
	v_addc_co_u32_e32 v13, vcc, v3, v13, vcc
	s_waitcnt lgkmcnt(4)
	global_store_dwordx2 v[12:13], v[10:11], off
	s_or_b64 exec, exec, s[16:17]
	s_and_saveexec_b64 s[16:17], s[8:9]
	s_cbranch_execz .LBB146_97
.LBB146_115:
	s_lshl_b32 s18, s46, 10
	s_mov_b32 s19, 0
	s_lshl_b64 s[18:19], s[18:19], 3
	s_waitcnt lgkmcnt(4)
	v_mov_b32_e32 v11, s19
	v_add_co_u32_e32 v10, vcc, s18, v2
	v_addc_co_u32_e32 v11, vcc, v3, v11, vcc
	s_waitcnt lgkmcnt(3)
	global_store_dwordx2 v[10:11], v[8:9], off
	s_or_b64 exec, exec, s[16:17]
	s_and_saveexec_b64 s[16:17], s[10:11]
	s_cbranch_execz .LBB146_98
.LBB146_116:
	s_mul_i32 s18, s46, 0x500
	s_mov_b32 s19, 0
	s_lshl_b64 s[18:19], s[18:19], 3
	s_waitcnt lgkmcnt(3)
	v_mov_b32_e32 v9, s19
	v_add_co_u32_e32 v8, vcc, s18, v2
	v_addc_co_u32_e32 v9, vcc, v3, v9, vcc
	s_waitcnt lgkmcnt(2)
	global_store_dwordx2 v[8:9], v[6:7], off
	s_or_b64 exec, exec, s[16:17]
	s_and_saveexec_b64 s[16:17], s[12:13]
	s_cbranch_execz .LBB146_99
.LBB146_117:
	s_mul_i32 s18, s46, 0x600
	s_mov_b32 s19, 0
	s_lshl_b64 s[18:19], s[18:19], 3
	s_waitcnt lgkmcnt(2)
	v_mov_b32_e32 v7, s19
	v_add_co_u32_e32 v6, vcc, s18, v2
	v_addc_co_u32_e32 v7, vcc, v3, v7, vcc
	s_waitcnt lgkmcnt(1)
	global_store_dwordx2 v[6:7], v[4:5], off
	s_or_b64 exec, exec, s[16:17]
	s_and_saveexec_b64 s[16:17], s[14:15]
	s_cbranch_execnz .LBB146_100
	s_branch .LBB146_101
.LBB146_118:
	ds_read_b64 v[16:17], v71
	s_waitcnt lgkmcnt(0)
	global_store_dwordx2 v[2:3], v[16:17], off
	s_or_b64 exec, exec, s[16:17]
	s_and_saveexec_b64 s[0:1], s[2:3]
	s_cbranch_execz .LBB146_103
.LBB146_119:
	s_lshl_b32 s2, s48, 8
	s_mov_b32 s3, 0
	s_lshl_b64 s[2:3], s[2:3], 3
	v_mov_b32_e32 v17, s3
	v_add_co_u32_e32 v16, vcc, s2, v2
	v_addc_co_u32_e32 v17, vcc, v3, v17, vcc
	s_waitcnt lgkmcnt(6)
	global_store_dwordx2 v[16:17], v[14:15], off
	s_or_b64 exec, exec, s[0:1]
	s_and_saveexec_b64 s[0:1], s[4:5]
	s_cbranch_execz .LBB146_104
.LBB146_120:
	s_lshl_b32 s2, s48, 9
	s_mov_b32 s3, 0
	s_lshl_b64 s[2:3], s[2:3], 3
	s_waitcnt lgkmcnt(6)
	v_mov_b32_e32 v15, s3
	v_add_co_u32_e32 v14, vcc, s2, v2
	v_addc_co_u32_e32 v15, vcc, v3, v15, vcc
	s_waitcnt lgkmcnt(5)
	global_store_dwordx2 v[14:15], v[12:13], off
	s_or_b64 exec, exec, s[0:1]
	s_and_saveexec_b64 s[0:1], s[6:7]
	s_cbranch_execz .LBB146_105
.LBB146_121:
	s_mul_i32 s2, s48, 0x300
	s_mov_b32 s3, 0
	s_lshl_b64 s[2:3], s[2:3], 3
	s_waitcnt lgkmcnt(5)
	v_mov_b32_e32 v13, s3
	v_add_co_u32_e32 v12, vcc, s2, v2
	v_addc_co_u32_e32 v13, vcc, v3, v13, vcc
	s_waitcnt lgkmcnt(4)
	global_store_dwordx2 v[12:13], v[10:11], off
	s_or_b64 exec, exec, s[0:1]
	s_and_saveexec_b64 s[0:1], s[8:9]
	s_cbranch_execz .LBB146_106
.LBB146_122:
	s_lshl_b32 s2, s48, 10
	s_mov_b32 s3, 0
	s_lshl_b64 s[2:3], s[2:3], 3
	s_waitcnt lgkmcnt(4)
	v_mov_b32_e32 v11, s3
	v_add_co_u32_e32 v10, vcc, s2, v2
	v_addc_co_u32_e32 v11, vcc, v3, v11, vcc
	s_waitcnt lgkmcnt(3)
	global_store_dwordx2 v[10:11], v[8:9], off
	s_or_b64 exec, exec, s[0:1]
	s_and_saveexec_b64 s[0:1], s[10:11]
	s_cbranch_execz .LBB146_107
.LBB146_123:
	s_mul_i32 s2, s48, 0x500
	s_mov_b32 s3, 0
	s_lshl_b64 s[2:3], s[2:3], 3
	s_waitcnt lgkmcnt(3)
	v_mov_b32_e32 v9, s3
	v_add_co_u32_e32 v8, vcc, s2, v2
	v_addc_co_u32_e32 v9, vcc, v3, v9, vcc
	s_waitcnt lgkmcnt(2)
	global_store_dwordx2 v[8:9], v[6:7], off
	s_or_b64 exec, exec, s[0:1]
	s_and_saveexec_b64 s[0:1], s[12:13]
	s_cbranch_execz .LBB146_108
.LBB146_124:
	s_mul_i32 s2, s48, 0x600
	s_mov_b32 s3, 0
	s_lshl_b64 s[2:3], s[2:3], 3
	s_waitcnt lgkmcnt(2)
	v_mov_b32_e32 v7, s3
	v_add_co_u32_e32 v6, vcc, s2, v2
	v_addc_co_u32_e32 v7, vcc, v3, v7, vcc
	s_waitcnt lgkmcnt(1)
	global_store_dwordx2 v[6:7], v[4:5], off
	s_or_b64 exec, exec, s[0:1]
	s_and_saveexec_b64 s[0:1], s[14:15]
	s_cbranch_execnz .LBB146_109
	s_branch .LBB146_110
	.section	.rodata,"a",@progbits
	.p2align	6, 0x0
	.amdhsa_kernel _ZN2at6native18radixSortKVInPlaceILi2ELin1ELi256ELi8ElljEEvNS_4cuda6detail10TensorInfoIT3_T5_EES6_S6_S6_NS4_IT4_S6_EES6_b
		.amdhsa_group_segment_fixed_size 16896
		.amdhsa_private_segment_fixed_size 0
		.amdhsa_kernarg_size 712
		.amdhsa_user_sgpr_count 6
		.amdhsa_user_sgpr_private_segment_buffer 1
		.amdhsa_user_sgpr_dispatch_ptr 0
		.amdhsa_user_sgpr_queue_ptr 0
		.amdhsa_user_sgpr_kernarg_segment_ptr 1
		.amdhsa_user_sgpr_dispatch_id 0
		.amdhsa_user_sgpr_flat_scratch_init 0
		.amdhsa_user_sgpr_kernarg_preload_length 0
		.amdhsa_user_sgpr_kernarg_preload_offset 0
		.amdhsa_user_sgpr_private_segment_size 0
		.amdhsa_uses_dynamic_stack 0
		.amdhsa_system_sgpr_private_segment_wavefront_offset 0
		.amdhsa_system_sgpr_workgroup_id_x 1
		.amdhsa_system_sgpr_workgroup_id_y 1
		.amdhsa_system_sgpr_workgroup_id_z 1
		.amdhsa_system_sgpr_workgroup_info 0
		.amdhsa_system_vgpr_workitem_id 2
		.amdhsa_next_free_vgpr 139
		.amdhsa_next_free_sgpr 60
		.amdhsa_accum_offset 140
		.amdhsa_reserve_vcc 1
		.amdhsa_reserve_flat_scratch 0
		.amdhsa_float_round_mode_32 0
		.amdhsa_float_round_mode_16_64 0
		.amdhsa_float_denorm_mode_32 3
		.amdhsa_float_denorm_mode_16_64 3
		.amdhsa_dx10_clamp 1
		.amdhsa_ieee_mode 1
		.amdhsa_fp16_overflow 0
		.amdhsa_tg_split 0
		.amdhsa_exception_fp_ieee_invalid_op 0
		.amdhsa_exception_fp_denorm_src 0
		.amdhsa_exception_fp_ieee_div_zero 0
		.amdhsa_exception_fp_ieee_overflow 0
		.amdhsa_exception_fp_ieee_underflow 0
		.amdhsa_exception_fp_ieee_inexact 0
		.amdhsa_exception_int_div_zero 0
	.end_amdhsa_kernel
	.section	.text._ZN2at6native18radixSortKVInPlaceILi2ELin1ELi256ELi8ElljEEvNS_4cuda6detail10TensorInfoIT3_T5_EES6_S6_S6_NS4_IT4_S6_EES6_b,"axG",@progbits,_ZN2at6native18radixSortKVInPlaceILi2ELin1ELi256ELi8ElljEEvNS_4cuda6detail10TensorInfoIT3_T5_EES6_S6_S6_NS4_IT4_S6_EES6_b,comdat
.Lfunc_end146:
	.size	_ZN2at6native18radixSortKVInPlaceILi2ELin1ELi256ELi8ElljEEvNS_4cuda6detail10TensorInfoIT3_T5_EES6_S6_S6_NS4_IT4_S6_EES6_b, .Lfunc_end146-_ZN2at6native18radixSortKVInPlaceILi2ELin1ELi256ELi8ElljEEvNS_4cuda6detail10TensorInfoIT3_T5_EES6_S6_S6_NS4_IT4_S6_EES6_b
                                        ; -- End function
	.section	.AMDGPU.csdata,"",@progbits
; Kernel info:
; codeLenInByte = 13180
; NumSgprs: 64
; NumVgprs: 139
; NumAgprs: 0
; TotalNumVgprs: 139
; ScratchSize: 0
; MemoryBound: 0
; FloatMode: 240
; IeeeMode: 1
; LDSByteSize: 16896 bytes/workgroup (compile time only)
; SGPRBlocks: 7
; VGPRBlocks: 17
; NumSGPRsForWavesPerEU: 64
; NumVGPRsForWavesPerEU: 139
; AccumOffset: 140
; Occupancy: 3
; WaveLimiterHint : 1
; COMPUTE_PGM_RSRC2:SCRATCH_EN: 0
; COMPUTE_PGM_RSRC2:USER_SGPR: 6
; COMPUTE_PGM_RSRC2:TRAP_HANDLER: 0
; COMPUTE_PGM_RSRC2:TGID_X_EN: 1
; COMPUTE_PGM_RSRC2:TGID_Y_EN: 1
; COMPUTE_PGM_RSRC2:TGID_Z_EN: 1
; COMPUTE_PGM_RSRC2:TIDIG_COMP_CNT: 2
; COMPUTE_PGM_RSRC3_GFX90A:ACCUM_OFFSET: 34
; COMPUTE_PGM_RSRC3_GFX90A:TG_SPLIT: 0
	.section	.text._ZN2at6native18radixSortKVInPlaceILi2ELin1ELi128ELi8ElljEEvNS_4cuda6detail10TensorInfoIT3_T5_EES6_S6_S6_NS4_IT4_S6_EES6_b,"axG",@progbits,_ZN2at6native18radixSortKVInPlaceILi2ELin1ELi128ELi8ElljEEvNS_4cuda6detail10TensorInfoIT3_T5_EES6_S6_S6_NS4_IT4_S6_EES6_b,comdat
	.protected	_ZN2at6native18radixSortKVInPlaceILi2ELin1ELi128ELi8ElljEEvNS_4cuda6detail10TensorInfoIT3_T5_EES6_S6_S6_NS4_IT4_S6_EES6_b ; -- Begin function _ZN2at6native18radixSortKVInPlaceILi2ELin1ELi128ELi8ElljEEvNS_4cuda6detail10TensorInfoIT3_T5_EES6_S6_S6_NS4_IT4_S6_EES6_b
	.globl	_ZN2at6native18radixSortKVInPlaceILi2ELin1ELi128ELi8ElljEEvNS_4cuda6detail10TensorInfoIT3_T5_EES6_S6_S6_NS4_IT4_S6_EES6_b
	.p2align	8
	.type	_ZN2at6native18radixSortKVInPlaceILi2ELin1ELi128ELi8ElljEEvNS_4cuda6detail10TensorInfoIT3_T5_EES6_S6_S6_NS4_IT4_S6_EES6_b,@function
_ZN2at6native18radixSortKVInPlaceILi2ELin1ELi128ELi8ElljEEvNS_4cuda6detail10TensorInfoIT3_T5_EES6_S6_S6_NS4_IT4_S6_EES6_b: ; @_ZN2at6native18radixSortKVInPlaceILi2ELin1ELi128ELi8ElljEEvNS_4cuda6detail10TensorInfoIT3_T5_EES6_S6_S6_NS4_IT4_S6_EES6_b
; %bb.0:
	s_load_dwordx2 s[0:1], s[4:5], 0x1c8
	s_load_dwordx4 s[44:47], s[4:5], 0xd8
	s_add_u32 s50, s4, 0x1c8
	s_addc_u32 s51, s5, 0
	s_waitcnt lgkmcnt(0)
	s_mul_i32 s1, s1, s8
	s_add_i32 s1, s1, s7
	s_mul_i32 s8, s1, s0
	s_add_i32 s8, s8, s6
	s_cmp_ge_u32 s8, s44
	s_cbranch_scc1 .LBB147_110
; %bb.1:
	s_load_dword s9, s[4:5], 0xc
	s_load_dwordx2 s[0:1], s[4:5], 0x6c
	s_load_dword s6, s[4:5], 0x1b8
	s_add_u32 s22, s4, 0xe8
	s_load_dwordx2 s[2:3], s[4:5], 0x0
	s_waitcnt lgkmcnt(0)
	v_cvt_f32_u32_e32 v1, s9
	s_addc_u32 s23, s5, 0
	s_sub_i32 s7, 0, s9
	s_mov_b32 s21, 0
	v_rcp_iflag_f32_e32 v1, v1
	s_mov_b32 s20, s8
	v_mul_f32_e32 v1, 0x4f7ffffe, v1
	v_cvt_u32_f32_e32 v1, v1
	v_readfirstlane_b32 s10, v1
	s_mul_i32 s7, s7, s10
	s_mul_hi_u32 s7, s10, s7
	s_add_i32 s10, s10, s7
	s_mul_hi_u32 s10, s8, s10
	s_cmp_lt_i32 s6, 2
	s_cbranch_scc1 .LBB147_4
; %bb.2:
	s_add_i32 s20, s6, -1
	s_add_i32 s11, s6, 1
	s_lshl_b64 s[6:7], s[20:21], 2
	s_add_u32 s6, s6, s22
	s_addc_u32 s7, s7, s23
	s_add_u32 s6, s6, 8
	s_addc_u32 s7, s7, 0
	s_mov_b32 s20, s8
.LBB147_3:                              ; =>This Inner Loop Header: Depth=1
	s_load_dword s12, s[6:7], 0x0
	s_load_dword s14, s[6:7], 0x64
	s_mov_b32 s13, s20
	s_waitcnt lgkmcnt(0)
	v_cvt_f32_u32_e32 v1, s12
	s_sub_i32 s15, 0, s12
	v_rcp_iflag_f32_e32 v1, v1
	v_mul_f32_e32 v1, 0x4f7ffffe, v1
	v_cvt_u32_f32_e32 v1, v1
	v_readfirstlane_b32 s16, v1
	s_mul_i32 s15, s15, s16
	s_mul_hi_u32 s15, s16, s15
	s_add_i32 s16, s16, s15
	s_mul_hi_u32 s15, s20, s16
	s_mul_i32 s16, s15, s12
	s_sub_i32 s16, s20, s16
	s_add_i32 s17, s15, 1
	s_sub_i32 s18, s16, s12
	s_cmp_ge_u32 s16, s12
	s_cselect_b32 s15, s17, s15
	s_cselect_b32 s16, s18, s16
	s_add_i32 s17, s15, 1
	s_cmp_ge_u32 s16, s12
	s_cselect_b32 s20, s17, s15
	s_mul_i32 s12, s20, s12
	s_sub_i32 s12, s13, s12
	s_mul_i32 s12, s14, s12
	s_add_i32 s11, s11, -1
	s_add_i32 s21, s12, s21
	s_add_u32 s6, s6, -4
	s_addc_u32 s7, s7, -1
	s_cmp_gt_u32 s11, 2
	s_cbranch_scc1 .LBB147_3
.LBB147_4:
	s_mul_i32 s6, s10, s9
	s_sub_i32 s6, s8, s6
	s_add_i32 s7, s10, 1
	s_sub_i32 s11, s6, s9
	s_cmp_ge_u32 s6, s9
	s_cselect_b32 s7, s7, s10
	s_cselect_b32 s6, s11, s6
	s_add_i32 s10, s7, 1
	s_cmp_ge_u32 s6, s9
	s_cselect_b32 s6, s10, s7
	s_load_dwordx2 s[48:49], s[4:5], 0x1c0
	s_mul_i32 s7, s6, s9
	s_sub_i32 s4, s8, s7
	s_mul_i32 s4, s4, s1
	s_mul_i32 s0, s6, s0
	s_add_i32 s0, s0, s4
	s_waitcnt lgkmcnt(0)
	s_bitcmp1_b32 s49, 0
	s_cselect_b64 s[34:35], -1, 0
	s_and_b64 s[4:5], s[34:35], exec
	s_mov_b32 s1, 0
	s_brev_b32 s5, 1
	s_cselect_b32 s4, 0, -1
	s_cselect_b32 s5, s5, 0x7fffffff
	s_lshl_b64 s[0:1], s[0:1], 3
	s_add_u32 s33, s2, s0
	v_and_b32_e32 v70, 0x3ff, v0
	s_mov_b32 s6, s4
	s_mov_b32 s7, s5
	;; [unrolled: 1-line block ×14, first 2 shown]
	v_pk_mov_b32 v[2:3], s[4:5], s[4:5] op_sel:[0,1]
	s_addc_u32 s47, s3, s1
	v_cmp_gt_u32_e64 s[0:1], s45, v70
	v_pk_mov_b32 v[4:5], s[6:7], s[6:7] op_sel:[0,1]
	v_pk_mov_b32 v[6:7], s[8:9], s[8:9] op_sel:[0,1]
	;; [unrolled: 1-line block ×8, first 2 shown]
	v_mul_lo_u32 v66, v70, s46
	s_and_saveexec_b64 s[2:3], s[0:1]
	s_cbranch_execz .LBB147_6
; %bb.5:
	v_mov_b32_e32 v67, 0
	v_lshlrev_b64 v[2:3], 3, v[66:67]
	v_mov_b32_e32 v1, s47
	v_add_co_u32_e32 v2, vcc, s33, v2
	v_addc_co_u32_e32 v3, vcc, v1, v3, vcc
	global_load_dwordx2 v[18:19], v[2:3], off
	v_pk_mov_b32 v[2:3], s[4:5], s[4:5] op_sel:[0,1]
	v_pk_mov_b32 v[4:5], s[6:7], s[6:7] op_sel:[0,1]
	;; [unrolled: 1-line block ×8, first 2 shown]
.LBB147_6:
	s_or_b64 exec, exec, s[2:3]
	v_add_u32_e32 v1, 0x80, v70
	v_cmp_gt_u32_e64 s[2:3], s45, v1
	s_and_saveexec_b64 s[4:5], s[2:3]
	s_cbranch_execz .LBB147_8
; %bb.7:
	v_mul_lo_u32 v2, v1, s46
	v_mov_b32_e32 v3, 0
	v_lshlrev_b64 v[2:3], 3, v[2:3]
	v_mov_b32_e32 v4, s47
	v_add_co_u32_e32 v2, vcc, s33, v2
	v_addc_co_u32_e32 v3, vcc, v4, v3, vcc
	global_load_dwordx2 v[4:5], v[2:3], off
.LBB147_8:
	s_or_b64 exec, exec, s[4:5]
	v_add_u32_e32 v34, 0x100, v70
	v_cmp_gt_u32_e64 s[4:5], s45, v34
	s_and_saveexec_b64 s[6:7], s[4:5]
	s_cbranch_execz .LBB147_10
; %bb.9:
	v_mul_lo_u32 v2, v34, s46
	v_mov_b32_e32 v3, 0
	v_lshlrev_b64 v[2:3], 3, v[2:3]
	v_mov_b32_e32 v6, s47
	v_add_co_u32_e32 v2, vcc, s33, v2
	v_addc_co_u32_e32 v3, vcc, v6, v3, vcc
	global_load_dwordx2 v[6:7], v[2:3], off
.LBB147_10:
	;; [unrolled: 14-line block ×5, first 2 shown]
	s_or_b64 exec, exec, s[12:13]
	s_load_dwordx2 s[18:19], s[22:23], 0x0
	v_add_u32_e32 v38, 0x300, v70
	v_cmp_gt_u32_e64 s[12:13], s45, v38
	s_and_saveexec_b64 s[14:15], s[12:13]
	s_cbranch_execz .LBB147_18
; %bb.17:
	v_mul_lo_u32 v2, v38, s46
	v_mov_b32_e32 v3, 0
	v_lshlrev_b64 v[2:3], 3, v[2:3]
	v_mov_b32_e32 v14, s47
	v_add_co_u32_e32 v2, vcc, s33, v2
	v_addc_co_u32_e32 v3, vcc, v14, v3, vcc
	global_load_dwordx2 v[14:15], v[2:3], off
.LBB147_18:
	s_or_b64 exec, exec, s[14:15]
	s_load_dword s22, s[22:23], 0x6c
	v_add_u32_e32 v39, 0x380, v70
	v_cmp_gt_u32_e64 s[14:15], s45, v39
	s_and_saveexec_b64 s[16:17], s[14:15]
	s_cbranch_execz .LBB147_20
; %bb.19:
	v_mul_lo_u32 v2, v39, s46
	v_mov_b32_e32 v3, 0
	v_lshlrev_b64 v[2:3], 3, v[2:3]
	v_mov_b32_e32 v16, s47
	v_add_co_u32_e32 v2, vcc, s33, v2
	v_addc_co_u32_e32 v3, vcc, v16, v3, vcc
	global_load_dwordx2 v[16:17], v[2:3], off
.LBB147_20:
	s_or_b64 exec, exec, s[16:17]
	v_lshrrev_b32_e32 v2, 5, v70
	v_add_lshl_u32 v71, v2, v70, 3
	v_lshrrev_b32_e32 v2, 5, v1
	v_add_lshl_u32 v104, v2, v70, 3
	;; [unrolled: 2-line block ×8, first 2 shown]
	v_lshlrev_b32_e32 v67, 3, v70
	v_lshrrev_b32_e32 v2, 2, v70
	v_add_lshl_u32 v111, v2, v67, 3
	s_waitcnt vmcnt(0)
	ds_write_b64 v71, v[18:19]
	ds_write_b64 v104, v[4:5] offset:1024
	ds_write_b64 v105, v[6:7] offset:2048
	;; [unrolled: 1-line block ×7, first 2 shown]
	s_waitcnt lgkmcnt(0)
	s_barrier
	ds_read2_b64 v[30:33], v111 offset1:1
	ds_read2_b64 v[26:29], v111 offset0:2 offset1:3
	ds_read2_b64 v[22:25], v111 offset0:4 offset1:5
	;; [unrolled: 1-line block ×3, first 2 shown]
	s_mul_i32 s16, s22, s20
	s_add_i32 s16, s16, s21
	s_mov_b32 s17, 0
	s_lshl_b64 s[20:21], s[16:17], 3
	s_add_u32 s49, s18, s20
	s_mov_b32 s16, s17
	s_addc_u32 s52, s19, s21
	s_mov_b32 s18, s17
	s_mov_b32 s19, s17
	;; [unrolled: 1-line block ×14, first 2 shown]
	v_pk_mov_b32 v[2:3], s[16:17], s[16:17] op_sel:[0,1]
	v_pk_mov_b32 v[4:5], s[18:19], s[18:19] op_sel:[0,1]
	;; [unrolled: 1-line block ×8, first 2 shown]
	v_pk_mov_b32 v[2:3], 0, 0
	v_mul_lo_u32 v68, v70, s48
	s_waitcnt lgkmcnt(0)
	s_barrier
	s_and_saveexec_b64 s[16:17], s[0:1]
	s_cbranch_execnz .LBB147_57
; %bb.21:
	s_or_b64 exec, exec, s[16:17]
	s_and_saveexec_b64 s[16:17], s[2:3]
	s_cbranch_execnz .LBB147_58
.LBB147_22:
	s_or_b64 exec, exec, s[16:17]
	s_and_saveexec_b64 s[16:17], s[4:5]
	s_cbranch_execnz .LBB147_59
.LBB147_23:
	s_or_b64 exec, exec, s[16:17]
	s_and_saveexec_b64 s[16:17], s[6:7]
	s_cbranch_execnz .LBB147_60
.LBB147_24:
	s_or_b64 exec, exec, s[16:17]
	s_and_saveexec_b64 s[16:17], s[8:9]
	s_cbranch_execnz .LBB147_61
.LBB147_25:
	s_or_b64 exec, exec, s[16:17]
	s_and_saveexec_b64 s[16:17], s[10:11]
	s_cbranch_execnz .LBB147_62
.LBB147_26:
	s_or_b64 exec, exec, s[16:17]
	s_and_saveexec_b64 s[16:17], s[12:13]
	s_cbranch_execnz .LBB147_63
.LBB147_27:
	s_or_b64 exec, exec, s[16:17]
	s_xor_b64 s[16:17], s[34:35], -1
	s_and_saveexec_b64 s[18:19], s[14:15]
	s_cbranch_execz .LBB147_29
.LBB147_28:
	v_mul_lo_u32 v16, v39, s48
	v_mov_b32_e32 v17, 0
	v_lshlrev_b64 v[16:17], 3, v[16:17]
	v_mov_b32_e32 v1, s52
	v_add_co_u32_e32 v16, vcc, s49, v16
	v_addc_co_u32_e32 v17, vcc, v1, v17, vcc
	global_load_dwordx2 v[16:17], v[16:17], off
.LBB147_29:
	s_or_b64 exec, exec, s[18:19]
	s_waitcnt vmcnt(0)
	ds_write_b64 v71, v[2:3]
	ds_write_b64 v104, v[4:5] offset:1024
	ds_write_b64 v105, v[6:7] offset:2048
	;; [unrolled: 1-line block ×7, first 2 shown]
	s_waitcnt lgkmcnt(0)
	s_barrier
	ds_read2_b64 v[14:17], v111 offset1:1
	ds_read2_b64 v[10:13], v111 offset0:2 offset1:3
	ds_read2_b64 v[6:9], v111 offset0:4 offset1:5
	;; [unrolled: 1-line block ×3, first 2 shown]
	v_mbcnt_lo_u32_b32 v1, -1, 0
	v_mbcnt_hi_u32_b32 v113, -1, v1
	v_and_b32_e32 v34, 0x1e00, v67
	v_and_b32_e32 v1, 0x3c0, v70
	v_or_b32_e32 v35, v113, v34
	v_add_lshl_u32 v125, v113, v1, 6
	v_lshlrev_b32_e32 v124, 3, v35
	s_and_b64 vcc, exec, s[16:17]
	v_bfe_u32 v122, v0, 10, 10
	v_bfe_u32 v123, v0, 20, 10
	v_lshlrev_b32_e32 v69, 2, v70
	v_lshlrev_b32_e32 v112, 4, v70
	v_and_b32_e32 v120, 15, v113
	v_and_b32_e32 v121, 16, v113
	v_cmp_lt_u32_e64 s[16:17], 31, v113
	v_min_u32_e32 v118, 64, v1
	v_cmp_gt_u32_e64 s[18:19], 2, v70
	v_cmp_lt_u32_e64 s[20:21], 63, v70
	v_add_u32_e32 v115, -1, v113
	v_and_b32_e32 v119, 64, v113
	v_cmp_eq_u32_e64 s[22:23], 0, v113
	v_cmp_eq_u32_e64 s[24:25], 0, v70
	v_lshrrev_b32_e32 v116, 4, v70
	v_and_b32_e32 v117, 1, v113
	v_and_or_b32 v114, v113, 63, v34
	s_waitcnt lgkmcnt(0)
	s_barrier
	s_cbranch_vccz .LBB147_64
; %bb.30:
	v_xor_b32_e32 v1, 0x80000000, v31
	v_xor_b32_e32 v35, 0x80000000, v33
	;; [unrolled: 1-line block ×8, first 2 shown]
	v_mov_b32_e32 v0, v30
	v_mov_b32_e32 v34, v32
	;; [unrolled: 1-line block ×8, first 2 shown]
	ds_write2_b64 v125, v[0:1], v[34:35] offset1:1
	ds_write2_b64 v125, v[36:37], v[38:39] offset0:2 offset1:3
	ds_write2_b64 v125, v[40:41], v[42:43] offset0:4 offset1:5
	;; [unrolled: 1-line block ×3, first 2 shown]
	; wave barrier
	ds_read2st64_b64 v[34:37], v124 offset1:1
	ds_read2st64_b64 v[38:41], v124 offset0:2 offset1:3
	ds_read2st64_b64 v[42:45], v124 offset0:4 offset1:5
	;; [unrolled: 1-line block ×3, first 2 shown]
	; wave barrier
	ds_write2_b64 v125, v[14:15], v[16:17] offset1:1
	ds_write2_b64 v125, v[10:11], v[12:13] offset0:2 offset1:3
	ds_write2_b64 v125, v[6:7], v[8:9] offset0:4 offset1:5
	;; [unrolled: 1-line block ×3, first 2 shown]
	; wave barrier
	ds_read2st64_b64 v[50:53], v124 offset1:1
	ds_read2st64_b64 v[54:57], v124 offset0:2 offset1:3
	ds_read2st64_b64 v[58:61], v124 offset0:4 offset1:5
	;; [unrolled: 1-line block ×3, first 2 shown]
	s_waitcnt lgkmcnt(0)
	s_barrier
	s_load_dword s28, s[50:51], 0xc
	s_getpc_b64 s[26:27]
	s_add_u32 s26, s26, _ZN7rocprim17ROCPRIM_400000_NS16block_radix_sortIlLj128ELj8ElLj1ELj1ELj0ELNS0_26block_radix_rank_algorithmE1ELNS0_18block_padding_hintE2ELNS0_4arch9wavefront6targetE1EE19radix_bits_per_passE@rel32@lo+4
	s_addc_u32 s27, s27, _ZN7rocprim17ROCPRIM_400000_NS16block_radix_sortIlLj128ELj8ElLj1ELj1ELj0ELNS0_26block_radix_rank_algorithmE1ELNS0_18block_padding_hintE2ELNS0_4arch9wavefront6targetE1EE19radix_bits_per_passE@rel32@hi+12
	s_load_dword s53, s[26:27], 0x0
	v_cmp_lt_i32_e32 vcc, v115, v119
	v_and_b32_e32 v129, 60, v116
	s_waitcnt lgkmcnt(0)
	s_lshr_b32 s26, s28, 16
	s_and_b32 s27, s28, 0xffff
	v_mad_u32_u24 v0, v123, s26, v122
	v_mad_u64_u32 v[0:1], s[26:27], v0, s27, v[70:71]
	v_lshrrev_b32_e32 v127, 6, v0
	v_or_b32_e32 v0, 63, v118
	v_cmp_eq_u32_e64 s[38:39], v0, v70
	v_cndmask_b32_e32 v0, v115, v113, vcc
	v_or_b32_e32 v126, 8, v112
	v_cmp_eq_u32_e64 s[26:27], 0, v120
	v_cmp_lt_u32_e64 s[28:29], 1, v120
	v_cmp_lt_u32_e64 s[30:31], 3, v120
	;; [unrolled: 1-line block ×3, first 2 shown]
	v_cmp_eq_u32_e64 s[36:37], 0, v121
	s_mov_b32 s54, 64
	v_lshlrev_b32_e32 v128, 2, v0
	v_cmp_eq_u32_e64 s[40:41], 0, v117
	v_add_u32_e32 v130, -4, v129
	v_lshlrev_b32_e32 v131, 3, v114
	s_mov_b64 s[44:45], 0
	v_mov_b32_e32 v86, 0
	s_branch .LBB147_32
.LBB147_31:                             ;   in Loop: Header=BB147_32 Depth=1
	v_lshlrev_b32_e32 v50, 3, v138
	v_lshlrev_b32_e32 v51, 3, v137
	;; [unrolled: 1-line block ×8, first 2 shown]
	s_barrier
	ds_write_b64 v50, v[102:103]
	ds_write_b64 v51, v[100:101]
	;; [unrolled: 1-line block ×8, first 2 shown]
	s_waitcnt lgkmcnt(0)
	s_barrier
	ds_read2st64_b64 v[34:37], v131 offset1:1
	ds_read2st64_b64 v[38:41], v131 offset0:2 offset1:3
	ds_read2st64_b64 v[42:45], v131 offset0:4 offset1:5
	;; [unrolled: 1-line block ×3, first 2 shown]
	s_waitcnt lgkmcnt(0)
	s_barrier
	ds_write_b64 v50, v[84:85]
	ds_write_b64 v51, v[82:83]
	;; [unrolled: 1-line block ×8, first 2 shown]
	s_waitcnt lgkmcnt(0)
	s_barrier
	ds_read2st64_b64 v[50:53], v131 offset1:1
	ds_read2st64_b64 v[54:57], v131 offset0:2 offset1:3
	ds_read2st64_b64 v[58:61], v131 offset0:4 offset1:5
	;; [unrolled: 1-line block ×3, first 2 shown]
	s_add_u32 s44, s44, 8
	s_addc_u32 s45, s45, 0
	s_add_i32 s54, s54, -8
	s_waitcnt lgkmcnt(0)
	s_barrier
	s_cbranch_execz .LBB147_56
.LBB147_32:                             ; =>This Inner Loop Header: Depth=1
	s_min_u32 s42, s53, s54
	v_pk_mov_b32 v[102:103], v[34:35], v[34:35] op_sel:[0,1]
	s_lshl_b32 s42, -1, s42
	s_not_b32 s55, s42
	v_lshrrev_b64 v[34:35], s44, v[102:103]
	v_and_b32_e32 v34, s55, v34
	v_lshl_add_u32 v35, v34, 1, v127
	v_pk_mov_b32 v[98:99], v[38:39], v[38:39] op_sel:[0,1]
	v_lshl_add_u32 v38, v35, 2, 8
	v_and_b32_e32 v35, 1, v34
	v_pk_mov_b32 v[100:101], v[36:37], v[36:37] op_sel:[0,1]
	v_add_co_u32_e32 v36, vcc, -1, v35
	v_addc_co_u32_e64 v37, s[42:43], 0, -1, vcc
	v_cmp_ne_u32_e32 vcc, 0, v35
	v_lshlrev_b32_e32 v87, 30, v34
	v_xor_b32_e32 v35, vcc_hi, v37
	v_not_b32_e32 v37, v87
	v_xor_b32_e32 v36, vcc_lo, v36
	v_cmp_gt_i64_e32 vcc, 0, v[86:87]
	v_ashrrev_i32_e32 v37, 31, v37
	v_and_b32_e32 v36, exec_lo, v36
	v_xor_b32_e32 v39, vcc_hi, v37
	v_xor_b32_e32 v37, vcc_lo, v37
	v_lshlrev_b32_e32 v87, 29, v34
	v_and_b32_e32 v36, v36, v37
	v_not_b32_e32 v37, v87
	v_and_b32_e32 v35, exec_hi, v35
	v_cmp_gt_i64_e32 vcc, 0, v[86:87]
	v_ashrrev_i32_e32 v37, 31, v37
	v_and_b32_e32 v35, v35, v39
	v_xor_b32_e32 v39, vcc_hi, v37
	v_xor_b32_e32 v37, vcc_lo, v37
	v_lshlrev_b32_e32 v87, 28, v34
	v_and_b32_e32 v36, v36, v37
	v_not_b32_e32 v37, v87
	v_cmp_gt_i64_e32 vcc, 0, v[86:87]
	v_ashrrev_i32_e32 v37, 31, v37
	v_and_b32_e32 v35, v35, v39
	v_xor_b32_e32 v39, vcc_hi, v37
	v_xor_b32_e32 v37, vcc_lo, v37
	v_lshlrev_b32_e32 v87, 27, v34
	v_and_b32_e32 v36, v36, v37
	v_not_b32_e32 v37, v87
	;; [unrolled: 8-line block ×3, first 2 shown]
	v_cmp_gt_i64_e32 vcc, 0, v[86:87]
	v_ashrrev_i32_e32 v37, 31, v37
	v_and_b32_e32 v35, v35, v39
	v_xor_b32_e32 v39, vcc_hi, v37
	v_xor_b32_e32 v37, vcc_lo, v37
	v_lshlrev_b32_e32 v87, 25, v34
	v_and_b32_e32 v36, v36, v37
	v_cmp_gt_i64_e32 vcc, 0, v[86:87]
	v_not_b32_e32 v37, v87
	v_lshlrev_b32_e32 v87, 24, v34
	v_ashrrev_i32_e32 v37, 31, v37
	v_not_b32_e32 v34, v87
	v_and_b32_e32 v35, v35, v39
	v_xor_b32_e32 v39, vcc_hi, v37
	v_xor_b32_e32 v37, vcc_lo, v37
	v_cmp_gt_i64_e32 vcc, 0, v[86:87]
	v_ashrrev_i32_e32 v34, 31, v34
	v_and_b32_e32 v36, v36, v37
	v_xor_b32_e32 v37, vcc_hi, v34
	v_xor_b32_e32 v34, vcc_lo, v34
	v_and_b32_e32 v35, v35, v39
	v_and_b32_e32 v34, v36, v34
	;; [unrolled: 1-line block ×3, first 2 shown]
	v_mbcnt_lo_u32_b32 v36, v34, 0
	v_mbcnt_hi_u32_b32 v39, v35, v36
	v_cmp_eq_u32_e32 vcc, 0, v39
	v_cmp_ne_u64_e64 s[42:43], 0, v[34:35]
	v_pk_mov_b32 v[88:89], v[48:49], v[48:49] op_sel:[0,1]
	v_pk_mov_b32 v[90:91], v[46:47], v[46:47] op_sel:[0,1]
	;; [unrolled: 1-line block ×13, first 2 shown]
	s_and_b64 s[56:57], s[42:43], vcc
	ds_write2_b32 v112, v86, v86 offset0:2 offset1:3
	ds_write2_b32 v126, v86, v86 offset0:2 offset1:3
	s_waitcnt lgkmcnt(0)
	s_barrier
	s_waitcnt lgkmcnt(0)
	; wave barrier
	s_and_saveexec_b64 s[42:43], s[56:57]
	s_cbranch_execz .LBB147_34
; %bb.33:                               ;   in Loop: Header=BB147_32 Depth=1
	v_bcnt_u32_b32 v34, v34, 0
	v_bcnt_u32_b32 v34, v35, v34
	ds_write_b32 v38, v34
.LBB147_34:                             ;   in Loop: Header=BB147_32 Depth=1
	s_or_b64 exec, exec, s[42:43]
	v_lshrrev_b64 v[34:35], s44, v[100:101]
	v_and_b32_e32 v34, s55, v34
	v_lshlrev_b32_e32 v35, 1, v34
	v_add_lshl_u32 v35, v35, v127, 2
	; wave barrier
	v_add_u32_e32 v41, 8, v35
	ds_read_b32 v40, v35 offset:8
	v_and_b32_e32 v35, 1, v34
	v_add_co_u32_e32 v36, vcc, -1, v35
	v_addc_co_u32_e64 v37, s[42:43], 0, -1, vcc
	v_cmp_ne_u32_e32 vcc, 0, v35
	v_lshlrev_b32_e32 v87, 30, v34
	v_xor_b32_e32 v35, vcc_hi, v37
	v_not_b32_e32 v37, v87
	v_xor_b32_e32 v36, vcc_lo, v36
	v_cmp_gt_i64_e32 vcc, 0, v[86:87]
	v_ashrrev_i32_e32 v37, 31, v37
	v_and_b32_e32 v36, exec_lo, v36
	v_xor_b32_e32 v42, vcc_hi, v37
	v_xor_b32_e32 v37, vcc_lo, v37
	v_lshlrev_b32_e32 v87, 29, v34
	v_and_b32_e32 v36, v36, v37
	v_not_b32_e32 v37, v87
	v_and_b32_e32 v35, exec_hi, v35
	v_cmp_gt_i64_e32 vcc, 0, v[86:87]
	v_ashrrev_i32_e32 v37, 31, v37
	v_and_b32_e32 v35, v35, v42
	v_xor_b32_e32 v42, vcc_hi, v37
	v_xor_b32_e32 v37, vcc_lo, v37
	v_lshlrev_b32_e32 v87, 28, v34
	v_and_b32_e32 v36, v36, v37
	v_not_b32_e32 v37, v87
	v_cmp_gt_i64_e32 vcc, 0, v[86:87]
	v_ashrrev_i32_e32 v37, 31, v37
	v_and_b32_e32 v35, v35, v42
	v_xor_b32_e32 v42, vcc_hi, v37
	v_xor_b32_e32 v37, vcc_lo, v37
	v_lshlrev_b32_e32 v87, 27, v34
	v_and_b32_e32 v36, v36, v37
	v_not_b32_e32 v37, v87
	;; [unrolled: 8-line block ×3, first 2 shown]
	v_cmp_gt_i64_e32 vcc, 0, v[86:87]
	v_ashrrev_i32_e32 v37, 31, v37
	v_and_b32_e32 v35, v35, v42
	v_xor_b32_e32 v42, vcc_hi, v37
	v_xor_b32_e32 v37, vcc_lo, v37
	v_lshlrev_b32_e32 v87, 25, v34
	v_and_b32_e32 v36, v36, v37
	v_cmp_gt_i64_e32 vcc, 0, v[86:87]
	v_not_b32_e32 v37, v87
	v_lshlrev_b32_e32 v87, 24, v34
	v_ashrrev_i32_e32 v37, 31, v37
	v_not_b32_e32 v34, v87
	v_and_b32_e32 v35, v35, v42
	v_xor_b32_e32 v42, vcc_hi, v37
	v_xor_b32_e32 v37, vcc_lo, v37
	v_cmp_gt_i64_e32 vcc, 0, v[86:87]
	v_ashrrev_i32_e32 v34, 31, v34
	v_and_b32_e32 v36, v36, v37
	v_xor_b32_e32 v37, vcc_hi, v34
	v_xor_b32_e32 v34, vcc_lo, v34
	v_and_b32_e32 v35, v35, v42
	v_and_b32_e32 v34, v36, v34
	;; [unrolled: 1-line block ×3, first 2 shown]
	v_mbcnt_lo_u32_b32 v36, v34, 0
	v_mbcnt_hi_u32_b32 v42, v35, v36
	v_cmp_eq_u32_e32 vcc, 0, v42
	v_cmp_ne_u64_e64 s[42:43], 0, v[34:35]
	s_and_b64 s[56:57], s[42:43], vcc
	; wave barrier
	s_and_saveexec_b64 s[42:43], s[56:57]
	s_cbranch_execz .LBB147_36
; %bb.35:                               ;   in Loop: Header=BB147_32 Depth=1
	v_bcnt_u32_b32 v34, v34, 0
	v_bcnt_u32_b32 v34, v35, v34
	s_waitcnt lgkmcnt(0)
	v_add_u32_e32 v34, v40, v34
	ds_write_b32 v41, v34
.LBB147_36:                             ;   in Loop: Header=BB147_32 Depth=1
	s_or_b64 exec, exec, s[42:43]
	v_lshrrev_b64 v[34:35], s44, v[98:99]
	v_and_b32_e32 v34, s55, v34
	v_lshlrev_b32_e32 v35, 1, v34
	v_add_lshl_u32 v35, v35, v127, 2
	; wave barrier
	v_add_u32_e32 v44, 8, v35
	ds_read_b32 v43, v35 offset:8
	v_and_b32_e32 v35, 1, v34
	v_add_co_u32_e32 v36, vcc, -1, v35
	v_addc_co_u32_e64 v37, s[42:43], 0, -1, vcc
	v_cmp_ne_u32_e32 vcc, 0, v35
	v_lshlrev_b32_e32 v87, 30, v34
	v_xor_b32_e32 v35, vcc_hi, v37
	v_not_b32_e32 v37, v87
	v_xor_b32_e32 v36, vcc_lo, v36
	v_cmp_gt_i64_e32 vcc, 0, v[86:87]
	v_ashrrev_i32_e32 v37, 31, v37
	v_and_b32_e32 v36, exec_lo, v36
	v_xor_b32_e32 v45, vcc_hi, v37
	v_xor_b32_e32 v37, vcc_lo, v37
	v_lshlrev_b32_e32 v87, 29, v34
	v_and_b32_e32 v36, v36, v37
	v_not_b32_e32 v37, v87
	v_and_b32_e32 v35, exec_hi, v35
	v_cmp_gt_i64_e32 vcc, 0, v[86:87]
	v_ashrrev_i32_e32 v37, 31, v37
	v_and_b32_e32 v35, v35, v45
	v_xor_b32_e32 v45, vcc_hi, v37
	v_xor_b32_e32 v37, vcc_lo, v37
	v_lshlrev_b32_e32 v87, 28, v34
	v_and_b32_e32 v36, v36, v37
	v_not_b32_e32 v37, v87
	v_cmp_gt_i64_e32 vcc, 0, v[86:87]
	v_ashrrev_i32_e32 v37, 31, v37
	v_and_b32_e32 v35, v35, v45
	v_xor_b32_e32 v45, vcc_hi, v37
	v_xor_b32_e32 v37, vcc_lo, v37
	v_lshlrev_b32_e32 v87, 27, v34
	v_and_b32_e32 v36, v36, v37
	v_not_b32_e32 v37, v87
	;; [unrolled: 8-line block ×3, first 2 shown]
	v_cmp_gt_i64_e32 vcc, 0, v[86:87]
	v_ashrrev_i32_e32 v37, 31, v37
	v_and_b32_e32 v35, v35, v45
	v_xor_b32_e32 v45, vcc_hi, v37
	v_xor_b32_e32 v37, vcc_lo, v37
	v_lshlrev_b32_e32 v87, 25, v34
	v_and_b32_e32 v36, v36, v37
	v_cmp_gt_i64_e32 vcc, 0, v[86:87]
	v_not_b32_e32 v37, v87
	v_lshlrev_b32_e32 v87, 24, v34
	v_ashrrev_i32_e32 v37, 31, v37
	v_not_b32_e32 v34, v87
	v_and_b32_e32 v35, v35, v45
	v_xor_b32_e32 v45, vcc_hi, v37
	v_xor_b32_e32 v37, vcc_lo, v37
	v_cmp_gt_i64_e32 vcc, 0, v[86:87]
	v_ashrrev_i32_e32 v34, 31, v34
	v_and_b32_e32 v36, v36, v37
	v_xor_b32_e32 v37, vcc_hi, v34
	v_xor_b32_e32 v34, vcc_lo, v34
	v_and_b32_e32 v35, v35, v45
	v_and_b32_e32 v34, v36, v34
	;; [unrolled: 1-line block ×3, first 2 shown]
	v_mbcnt_lo_u32_b32 v36, v34, 0
	v_mbcnt_hi_u32_b32 v45, v35, v36
	v_cmp_eq_u32_e32 vcc, 0, v45
	v_cmp_ne_u64_e64 s[42:43], 0, v[34:35]
	s_and_b64 s[56:57], s[42:43], vcc
	; wave barrier
	s_and_saveexec_b64 s[42:43], s[56:57]
	s_cbranch_execz .LBB147_38
; %bb.37:                               ;   in Loop: Header=BB147_32 Depth=1
	v_bcnt_u32_b32 v34, v34, 0
	v_bcnt_u32_b32 v34, v35, v34
	s_waitcnt lgkmcnt(0)
	v_add_u32_e32 v34, v43, v34
	ds_write_b32 v44, v34
.LBB147_38:                             ;   in Loop: Header=BB147_32 Depth=1
	s_or_b64 exec, exec, s[42:43]
	v_lshrrev_b64 v[34:35], s44, v[96:97]
	v_and_b32_e32 v34, s55, v34
	v_lshlrev_b32_e32 v35, 1, v34
	v_add_lshl_u32 v35, v35, v127, 2
	; wave barrier
	v_add_u32_e32 v47, 8, v35
	ds_read_b32 v46, v35 offset:8
	v_and_b32_e32 v35, 1, v34
	v_add_co_u32_e32 v36, vcc, -1, v35
	v_addc_co_u32_e64 v37, s[42:43], 0, -1, vcc
	v_cmp_ne_u32_e32 vcc, 0, v35
	v_lshlrev_b32_e32 v87, 30, v34
	v_xor_b32_e32 v35, vcc_hi, v37
	v_not_b32_e32 v37, v87
	v_xor_b32_e32 v36, vcc_lo, v36
	v_cmp_gt_i64_e32 vcc, 0, v[86:87]
	v_ashrrev_i32_e32 v37, 31, v37
	v_and_b32_e32 v36, exec_lo, v36
	v_xor_b32_e32 v48, vcc_hi, v37
	v_xor_b32_e32 v37, vcc_lo, v37
	v_lshlrev_b32_e32 v87, 29, v34
	v_and_b32_e32 v36, v36, v37
	v_not_b32_e32 v37, v87
	v_and_b32_e32 v35, exec_hi, v35
	v_cmp_gt_i64_e32 vcc, 0, v[86:87]
	v_ashrrev_i32_e32 v37, 31, v37
	v_and_b32_e32 v35, v35, v48
	v_xor_b32_e32 v48, vcc_hi, v37
	v_xor_b32_e32 v37, vcc_lo, v37
	v_lshlrev_b32_e32 v87, 28, v34
	v_and_b32_e32 v36, v36, v37
	v_not_b32_e32 v37, v87
	v_cmp_gt_i64_e32 vcc, 0, v[86:87]
	v_ashrrev_i32_e32 v37, 31, v37
	v_and_b32_e32 v35, v35, v48
	v_xor_b32_e32 v48, vcc_hi, v37
	v_xor_b32_e32 v37, vcc_lo, v37
	v_lshlrev_b32_e32 v87, 27, v34
	v_and_b32_e32 v36, v36, v37
	v_not_b32_e32 v37, v87
	;; [unrolled: 8-line block ×3, first 2 shown]
	v_cmp_gt_i64_e32 vcc, 0, v[86:87]
	v_ashrrev_i32_e32 v37, 31, v37
	v_and_b32_e32 v35, v35, v48
	v_xor_b32_e32 v48, vcc_hi, v37
	v_xor_b32_e32 v37, vcc_lo, v37
	v_lshlrev_b32_e32 v87, 25, v34
	v_and_b32_e32 v36, v36, v37
	v_cmp_gt_i64_e32 vcc, 0, v[86:87]
	v_not_b32_e32 v37, v87
	v_lshlrev_b32_e32 v87, 24, v34
	v_ashrrev_i32_e32 v37, 31, v37
	v_not_b32_e32 v34, v87
	v_and_b32_e32 v35, v35, v48
	v_xor_b32_e32 v48, vcc_hi, v37
	v_xor_b32_e32 v37, vcc_lo, v37
	v_cmp_gt_i64_e32 vcc, 0, v[86:87]
	v_ashrrev_i32_e32 v34, 31, v34
	v_and_b32_e32 v36, v36, v37
	v_xor_b32_e32 v37, vcc_hi, v34
	v_xor_b32_e32 v34, vcc_lo, v34
	v_and_b32_e32 v35, v35, v48
	v_and_b32_e32 v34, v36, v34
	;; [unrolled: 1-line block ×3, first 2 shown]
	v_mbcnt_lo_u32_b32 v36, v34, 0
	v_mbcnt_hi_u32_b32 v48, v35, v36
	v_cmp_eq_u32_e32 vcc, 0, v48
	v_cmp_ne_u64_e64 s[42:43], 0, v[34:35]
	s_and_b64 s[56:57], s[42:43], vcc
	; wave barrier
	s_and_saveexec_b64 s[42:43], s[56:57]
	s_cbranch_execz .LBB147_40
; %bb.39:                               ;   in Loop: Header=BB147_32 Depth=1
	v_bcnt_u32_b32 v34, v34, 0
	v_bcnt_u32_b32 v34, v35, v34
	s_waitcnt lgkmcnt(0)
	v_add_u32_e32 v34, v46, v34
	ds_write_b32 v47, v34
.LBB147_40:                             ;   in Loop: Header=BB147_32 Depth=1
	s_or_b64 exec, exec, s[42:43]
	v_lshrrev_b64 v[34:35], s44, v[94:95]
	v_and_b32_e32 v34, s55, v34
	v_lshlrev_b32_e32 v35, 1, v34
	v_add_lshl_u32 v35, v35, v127, 2
	; wave barrier
	v_add_u32_e32 v50, 8, v35
	ds_read_b32 v49, v35 offset:8
	v_and_b32_e32 v35, 1, v34
	v_add_co_u32_e32 v36, vcc, -1, v35
	v_addc_co_u32_e64 v37, s[42:43], 0, -1, vcc
	v_cmp_ne_u32_e32 vcc, 0, v35
	v_lshlrev_b32_e32 v87, 30, v34
	v_xor_b32_e32 v35, vcc_hi, v37
	v_not_b32_e32 v37, v87
	v_xor_b32_e32 v36, vcc_lo, v36
	v_cmp_gt_i64_e32 vcc, 0, v[86:87]
	v_ashrrev_i32_e32 v37, 31, v37
	v_and_b32_e32 v36, exec_lo, v36
	v_xor_b32_e32 v51, vcc_hi, v37
	v_xor_b32_e32 v37, vcc_lo, v37
	v_lshlrev_b32_e32 v87, 29, v34
	v_and_b32_e32 v36, v36, v37
	v_not_b32_e32 v37, v87
	v_and_b32_e32 v35, exec_hi, v35
	v_cmp_gt_i64_e32 vcc, 0, v[86:87]
	v_ashrrev_i32_e32 v37, 31, v37
	v_and_b32_e32 v35, v35, v51
	v_xor_b32_e32 v51, vcc_hi, v37
	v_xor_b32_e32 v37, vcc_lo, v37
	v_lshlrev_b32_e32 v87, 28, v34
	v_and_b32_e32 v36, v36, v37
	v_not_b32_e32 v37, v87
	v_cmp_gt_i64_e32 vcc, 0, v[86:87]
	v_ashrrev_i32_e32 v37, 31, v37
	v_and_b32_e32 v35, v35, v51
	v_xor_b32_e32 v51, vcc_hi, v37
	v_xor_b32_e32 v37, vcc_lo, v37
	v_lshlrev_b32_e32 v87, 27, v34
	v_and_b32_e32 v36, v36, v37
	v_not_b32_e32 v37, v87
	;; [unrolled: 8-line block ×3, first 2 shown]
	v_cmp_gt_i64_e32 vcc, 0, v[86:87]
	v_ashrrev_i32_e32 v37, 31, v37
	v_and_b32_e32 v35, v35, v51
	v_xor_b32_e32 v51, vcc_hi, v37
	v_xor_b32_e32 v37, vcc_lo, v37
	v_lshlrev_b32_e32 v87, 25, v34
	v_and_b32_e32 v36, v36, v37
	v_cmp_gt_i64_e32 vcc, 0, v[86:87]
	v_not_b32_e32 v37, v87
	v_lshlrev_b32_e32 v87, 24, v34
	v_ashrrev_i32_e32 v37, 31, v37
	v_not_b32_e32 v34, v87
	v_and_b32_e32 v35, v35, v51
	v_xor_b32_e32 v51, vcc_hi, v37
	v_xor_b32_e32 v37, vcc_lo, v37
	v_cmp_gt_i64_e32 vcc, 0, v[86:87]
	v_ashrrev_i32_e32 v34, 31, v34
	v_and_b32_e32 v36, v36, v37
	v_xor_b32_e32 v37, vcc_hi, v34
	v_xor_b32_e32 v34, vcc_lo, v34
	v_and_b32_e32 v35, v35, v51
	v_and_b32_e32 v34, v36, v34
	;; [unrolled: 1-line block ×3, first 2 shown]
	v_mbcnt_lo_u32_b32 v36, v34, 0
	v_mbcnt_hi_u32_b32 v51, v35, v36
	v_cmp_eq_u32_e32 vcc, 0, v51
	v_cmp_ne_u64_e64 s[42:43], 0, v[34:35]
	s_and_b64 s[56:57], s[42:43], vcc
	; wave barrier
	s_and_saveexec_b64 s[42:43], s[56:57]
	s_cbranch_execz .LBB147_42
; %bb.41:                               ;   in Loop: Header=BB147_32 Depth=1
	v_bcnt_u32_b32 v34, v34, 0
	v_bcnt_u32_b32 v34, v35, v34
	s_waitcnt lgkmcnt(0)
	v_add_u32_e32 v34, v49, v34
	ds_write_b32 v50, v34
.LBB147_42:                             ;   in Loop: Header=BB147_32 Depth=1
	s_or_b64 exec, exec, s[42:43]
	v_lshrrev_b64 v[34:35], s44, v[92:93]
	v_and_b32_e32 v34, s55, v34
	v_lshlrev_b32_e32 v35, 1, v34
	v_add_lshl_u32 v35, v35, v127, 2
	; wave barrier
	v_add_u32_e32 v53, 8, v35
	ds_read_b32 v52, v35 offset:8
	v_and_b32_e32 v35, 1, v34
	v_add_co_u32_e32 v36, vcc, -1, v35
	v_addc_co_u32_e64 v37, s[42:43], 0, -1, vcc
	v_cmp_ne_u32_e32 vcc, 0, v35
	v_lshlrev_b32_e32 v87, 30, v34
	v_xor_b32_e32 v35, vcc_hi, v37
	v_not_b32_e32 v37, v87
	v_xor_b32_e32 v36, vcc_lo, v36
	v_cmp_gt_i64_e32 vcc, 0, v[86:87]
	v_ashrrev_i32_e32 v37, 31, v37
	v_and_b32_e32 v36, exec_lo, v36
	v_xor_b32_e32 v54, vcc_hi, v37
	v_xor_b32_e32 v37, vcc_lo, v37
	v_lshlrev_b32_e32 v87, 29, v34
	v_and_b32_e32 v36, v36, v37
	v_not_b32_e32 v37, v87
	v_and_b32_e32 v35, exec_hi, v35
	v_cmp_gt_i64_e32 vcc, 0, v[86:87]
	v_ashrrev_i32_e32 v37, 31, v37
	v_and_b32_e32 v35, v35, v54
	v_xor_b32_e32 v54, vcc_hi, v37
	v_xor_b32_e32 v37, vcc_lo, v37
	v_lshlrev_b32_e32 v87, 28, v34
	v_and_b32_e32 v36, v36, v37
	v_not_b32_e32 v37, v87
	v_cmp_gt_i64_e32 vcc, 0, v[86:87]
	v_ashrrev_i32_e32 v37, 31, v37
	v_and_b32_e32 v35, v35, v54
	v_xor_b32_e32 v54, vcc_hi, v37
	v_xor_b32_e32 v37, vcc_lo, v37
	v_lshlrev_b32_e32 v87, 27, v34
	v_and_b32_e32 v36, v36, v37
	v_not_b32_e32 v37, v87
	;; [unrolled: 8-line block ×3, first 2 shown]
	v_cmp_gt_i64_e32 vcc, 0, v[86:87]
	v_ashrrev_i32_e32 v37, 31, v37
	v_and_b32_e32 v35, v35, v54
	v_xor_b32_e32 v54, vcc_hi, v37
	v_xor_b32_e32 v37, vcc_lo, v37
	v_lshlrev_b32_e32 v87, 25, v34
	v_and_b32_e32 v36, v36, v37
	v_cmp_gt_i64_e32 vcc, 0, v[86:87]
	v_not_b32_e32 v37, v87
	v_lshlrev_b32_e32 v87, 24, v34
	v_ashrrev_i32_e32 v37, 31, v37
	v_not_b32_e32 v34, v87
	v_and_b32_e32 v35, v35, v54
	v_xor_b32_e32 v54, vcc_hi, v37
	v_xor_b32_e32 v37, vcc_lo, v37
	v_cmp_gt_i64_e32 vcc, 0, v[86:87]
	v_ashrrev_i32_e32 v34, 31, v34
	v_and_b32_e32 v36, v36, v37
	v_xor_b32_e32 v37, vcc_hi, v34
	v_xor_b32_e32 v34, vcc_lo, v34
	v_and_b32_e32 v35, v35, v54
	v_and_b32_e32 v34, v36, v34
	v_and_b32_e32 v35, v35, v37
	v_mbcnt_lo_u32_b32 v36, v34, 0
	v_mbcnt_hi_u32_b32 v54, v35, v36
	v_cmp_eq_u32_e32 vcc, 0, v54
	v_cmp_ne_u64_e64 s[42:43], 0, v[34:35]
	s_and_b64 s[56:57], s[42:43], vcc
	; wave barrier
	s_and_saveexec_b64 s[42:43], s[56:57]
	s_cbranch_execz .LBB147_44
; %bb.43:                               ;   in Loop: Header=BB147_32 Depth=1
	v_bcnt_u32_b32 v34, v34, 0
	v_bcnt_u32_b32 v34, v35, v34
	s_waitcnt lgkmcnt(0)
	v_add_u32_e32 v34, v52, v34
	ds_write_b32 v53, v34
.LBB147_44:                             ;   in Loop: Header=BB147_32 Depth=1
	s_or_b64 exec, exec, s[42:43]
	v_lshrrev_b64 v[34:35], s44, v[90:91]
	v_and_b32_e32 v34, s55, v34
	v_lshlrev_b32_e32 v35, 1, v34
	v_add_lshl_u32 v35, v35, v127, 2
	; wave barrier
	v_add_u32_e32 v56, 8, v35
	ds_read_b32 v55, v35 offset:8
	v_and_b32_e32 v35, 1, v34
	v_add_co_u32_e32 v36, vcc, -1, v35
	v_addc_co_u32_e64 v37, s[42:43], 0, -1, vcc
	v_cmp_ne_u32_e32 vcc, 0, v35
	v_lshlrev_b32_e32 v87, 30, v34
	v_xor_b32_e32 v35, vcc_hi, v37
	v_not_b32_e32 v37, v87
	v_xor_b32_e32 v36, vcc_lo, v36
	v_cmp_gt_i64_e32 vcc, 0, v[86:87]
	v_ashrrev_i32_e32 v37, 31, v37
	v_and_b32_e32 v36, exec_lo, v36
	v_xor_b32_e32 v57, vcc_hi, v37
	v_xor_b32_e32 v37, vcc_lo, v37
	v_lshlrev_b32_e32 v87, 29, v34
	v_and_b32_e32 v36, v36, v37
	v_not_b32_e32 v37, v87
	v_and_b32_e32 v35, exec_hi, v35
	v_cmp_gt_i64_e32 vcc, 0, v[86:87]
	v_ashrrev_i32_e32 v37, 31, v37
	v_and_b32_e32 v35, v35, v57
	v_xor_b32_e32 v57, vcc_hi, v37
	v_xor_b32_e32 v37, vcc_lo, v37
	v_lshlrev_b32_e32 v87, 28, v34
	v_and_b32_e32 v36, v36, v37
	v_not_b32_e32 v37, v87
	v_cmp_gt_i64_e32 vcc, 0, v[86:87]
	v_ashrrev_i32_e32 v37, 31, v37
	v_and_b32_e32 v35, v35, v57
	v_xor_b32_e32 v57, vcc_hi, v37
	v_xor_b32_e32 v37, vcc_lo, v37
	v_lshlrev_b32_e32 v87, 27, v34
	v_and_b32_e32 v36, v36, v37
	v_not_b32_e32 v37, v87
	;; [unrolled: 8-line block ×3, first 2 shown]
	v_cmp_gt_i64_e32 vcc, 0, v[86:87]
	v_ashrrev_i32_e32 v37, 31, v37
	v_and_b32_e32 v35, v35, v57
	v_xor_b32_e32 v57, vcc_hi, v37
	v_xor_b32_e32 v37, vcc_lo, v37
	v_lshlrev_b32_e32 v87, 25, v34
	v_and_b32_e32 v36, v36, v37
	v_cmp_gt_i64_e32 vcc, 0, v[86:87]
	v_not_b32_e32 v37, v87
	v_lshlrev_b32_e32 v87, 24, v34
	v_ashrrev_i32_e32 v37, 31, v37
	v_not_b32_e32 v34, v87
	v_and_b32_e32 v35, v35, v57
	v_xor_b32_e32 v57, vcc_hi, v37
	v_xor_b32_e32 v37, vcc_lo, v37
	v_cmp_gt_i64_e32 vcc, 0, v[86:87]
	v_ashrrev_i32_e32 v34, 31, v34
	v_and_b32_e32 v36, v36, v37
	v_xor_b32_e32 v37, vcc_hi, v34
	v_xor_b32_e32 v34, vcc_lo, v34
	v_and_b32_e32 v35, v35, v57
	v_and_b32_e32 v34, v36, v34
	;; [unrolled: 1-line block ×3, first 2 shown]
	v_mbcnt_lo_u32_b32 v36, v34, 0
	v_mbcnt_hi_u32_b32 v57, v35, v36
	v_cmp_eq_u32_e32 vcc, 0, v57
	v_cmp_ne_u64_e64 s[42:43], 0, v[34:35]
	s_and_b64 s[56:57], s[42:43], vcc
	; wave barrier
	s_and_saveexec_b64 s[42:43], s[56:57]
	s_cbranch_execz .LBB147_46
; %bb.45:                               ;   in Loop: Header=BB147_32 Depth=1
	v_bcnt_u32_b32 v34, v34, 0
	v_bcnt_u32_b32 v34, v35, v34
	s_waitcnt lgkmcnt(0)
	v_add_u32_e32 v34, v55, v34
	ds_write_b32 v56, v34
.LBB147_46:                             ;   in Loop: Header=BB147_32 Depth=1
	s_or_b64 exec, exec, s[42:43]
	v_lshrrev_b64 v[34:35], s44, v[88:89]
	v_and_b32_e32 v34, s55, v34
	v_lshlrev_b32_e32 v35, 1, v34
	v_add_lshl_u32 v35, v35, v127, 2
	; wave barrier
	v_add_u32_e32 v59, 8, v35
	ds_read_b32 v58, v35 offset:8
	v_and_b32_e32 v35, 1, v34
	v_add_co_u32_e32 v36, vcc, -1, v35
	v_addc_co_u32_e64 v37, s[42:43], 0, -1, vcc
	v_cmp_ne_u32_e32 vcc, 0, v35
	v_lshlrev_b32_e32 v87, 30, v34
	v_xor_b32_e32 v35, vcc_hi, v37
	v_not_b32_e32 v37, v87
	v_xor_b32_e32 v36, vcc_lo, v36
	v_cmp_gt_i64_e32 vcc, 0, v[86:87]
	v_ashrrev_i32_e32 v37, 31, v37
	v_and_b32_e32 v36, exec_lo, v36
	v_xor_b32_e32 v60, vcc_hi, v37
	v_xor_b32_e32 v37, vcc_lo, v37
	v_lshlrev_b32_e32 v87, 29, v34
	v_and_b32_e32 v36, v36, v37
	v_not_b32_e32 v37, v87
	v_and_b32_e32 v35, exec_hi, v35
	v_cmp_gt_i64_e32 vcc, 0, v[86:87]
	v_ashrrev_i32_e32 v37, 31, v37
	v_and_b32_e32 v35, v35, v60
	v_xor_b32_e32 v60, vcc_hi, v37
	v_xor_b32_e32 v37, vcc_lo, v37
	v_lshlrev_b32_e32 v87, 28, v34
	v_and_b32_e32 v36, v36, v37
	v_not_b32_e32 v37, v87
	v_cmp_gt_i64_e32 vcc, 0, v[86:87]
	v_ashrrev_i32_e32 v37, 31, v37
	v_and_b32_e32 v35, v35, v60
	v_xor_b32_e32 v60, vcc_hi, v37
	v_xor_b32_e32 v37, vcc_lo, v37
	v_lshlrev_b32_e32 v87, 27, v34
	v_and_b32_e32 v36, v36, v37
	v_not_b32_e32 v37, v87
	;; [unrolled: 8-line block ×3, first 2 shown]
	v_cmp_gt_i64_e32 vcc, 0, v[86:87]
	v_ashrrev_i32_e32 v37, 31, v37
	v_and_b32_e32 v35, v35, v60
	v_xor_b32_e32 v60, vcc_hi, v37
	v_xor_b32_e32 v37, vcc_lo, v37
	v_lshlrev_b32_e32 v87, 25, v34
	v_and_b32_e32 v36, v36, v37
	v_cmp_gt_i64_e32 vcc, 0, v[86:87]
	v_not_b32_e32 v37, v87
	v_lshlrev_b32_e32 v87, 24, v34
	v_ashrrev_i32_e32 v37, 31, v37
	v_not_b32_e32 v34, v87
	v_and_b32_e32 v35, v35, v60
	v_xor_b32_e32 v60, vcc_hi, v37
	v_xor_b32_e32 v37, vcc_lo, v37
	v_cmp_gt_i64_e32 vcc, 0, v[86:87]
	v_ashrrev_i32_e32 v34, 31, v34
	v_and_b32_e32 v36, v36, v37
	v_xor_b32_e32 v37, vcc_hi, v34
	v_xor_b32_e32 v34, vcc_lo, v34
	v_and_b32_e32 v35, v35, v60
	v_and_b32_e32 v34, v36, v34
	;; [unrolled: 1-line block ×3, first 2 shown]
	v_mbcnt_lo_u32_b32 v36, v34, 0
	v_mbcnt_hi_u32_b32 v60, v35, v36
	v_cmp_eq_u32_e32 vcc, 0, v60
	v_cmp_ne_u64_e64 s[42:43], 0, v[34:35]
	s_and_b64 s[56:57], s[42:43], vcc
	; wave barrier
	s_and_saveexec_b64 s[42:43], s[56:57]
	s_cbranch_execz .LBB147_48
; %bb.47:                               ;   in Loop: Header=BB147_32 Depth=1
	v_bcnt_u32_b32 v34, v34, 0
	v_bcnt_u32_b32 v34, v35, v34
	s_waitcnt lgkmcnt(0)
	v_add_u32_e32 v34, v58, v34
	ds_write_b32 v59, v34
.LBB147_48:                             ;   in Loop: Header=BB147_32 Depth=1
	s_or_b64 exec, exec, s[42:43]
	; wave barrier
	s_waitcnt lgkmcnt(0)
	s_barrier
	ds_read2_b32 v[36:37], v112 offset0:2 offset1:3
	ds_read2_b32 v[34:35], v126 offset0:2 offset1:3
	s_waitcnt lgkmcnt(1)
	v_add_u32_e32 v61, v37, v36
	s_waitcnt lgkmcnt(0)
	v_add3_u32 v35, v61, v34, v35
	s_nop 1
	v_mov_b32_dpp v61, v35 row_shr:1 row_mask:0xf bank_mask:0xf
	v_cndmask_b32_e64 v61, v61, 0, s[26:27]
	v_add_u32_e32 v35, v61, v35
	s_nop 1
	v_mov_b32_dpp v61, v35 row_shr:2 row_mask:0xf bank_mask:0xf
	v_cndmask_b32_e64 v61, 0, v61, s[28:29]
	v_add_u32_e32 v35, v35, v61
	;; [unrolled: 4-line block ×4, first 2 shown]
	s_nop 1
	v_mov_b32_dpp v61, v35 row_bcast:15 row_mask:0xf bank_mask:0xf
	v_cndmask_b32_e64 v61, v61, 0, s[36:37]
	v_add_u32_e32 v35, v35, v61
	s_nop 1
	v_mov_b32_dpp v61, v35 row_bcast:31 row_mask:0xf bank_mask:0xf
	v_cndmask_b32_e64 v61, 0, v61, s[16:17]
	v_add_u32_e32 v35, v35, v61
	s_and_saveexec_b64 s[42:43], s[38:39]
	s_cbranch_execz .LBB147_50
; %bb.49:                               ;   in Loop: Header=BB147_32 Depth=1
	ds_write_b32 v129, v35
.LBB147_50:                             ;   in Loop: Header=BB147_32 Depth=1
	s_or_b64 exec, exec, s[42:43]
	s_waitcnt lgkmcnt(0)
	s_barrier
	s_and_saveexec_b64 s[42:43], s[18:19]
	s_cbranch_execz .LBB147_52
; %bb.51:                               ;   in Loop: Header=BB147_32 Depth=1
	ds_read_b32 v61, v69
	s_waitcnt lgkmcnt(0)
	s_nop 0
	v_mov_b32_dpp v62, v61 row_shr:1 row_mask:0xf bank_mask:0xf
	v_cndmask_b32_e64 v62, v62, 0, s[40:41]
	v_add_u32_e32 v61, v62, v61
	ds_write_b32 v69, v61
.LBB147_52:                             ;   in Loop: Header=BB147_32 Depth=1
	s_or_b64 exec, exec, s[42:43]
	v_mov_b32_e32 v61, 0
	s_waitcnt lgkmcnt(0)
	s_barrier
	s_and_saveexec_b64 s[42:43], s[20:21]
	s_cbranch_execz .LBB147_54
; %bb.53:                               ;   in Loop: Header=BB147_32 Depth=1
	ds_read_b32 v61, v130
.LBB147_54:                             ;   in Loop: Header=BB147_32 Depth=1
	s_or_b64 exec, exec, s[42:43]
	s_waitcnt lgkmcnt(0)
	v_add_u32_e32 v35, v61, v35
	ds_bpermute_b32 v35, v128, v35
	s_cmp_gt_u32 s44, 55
	s_waitcnt lgkmcnt(0)
	v_cndmask_b32_e64 v35, v35, v61, s[22:23]
	v_cndmask_b32_e64 v35, v35, 0, s[24:25]
	v_add_u32_e32 v36, v35, v36
	v_add_u32_e32 v37, v36, v37
	;; [unrolled: 1-line block ×3, first 2 shown]
	ds_write2_b32 v112, v35, v36 offset0:2 offset1:3
	ds_write2_b32 v126, v37, v34 offset0:2 offset1:3
	s_waitcnt lgkmcnt(0)
	s_barrier
	ds_read_b32 v34, v38
	ds_read_b32 v35, v41
	;; [unrolled: 1-line block ×8, first 2 shown]
	s_waitcnt lgkmcnt(7)
	v_add_u32_e32 v138, v34, v39
	s_waitcnt lgkmcnt(6)
	v_add3_u32 v137, v42, v40, v35
	s_waitcnt lgkmcnt(5)
	v_add3_u32 v136, v45, v43, v36
	;; [unrolled: 2-line block ×7, first 2 shown]
	s_cbranch_scc0 .LBB147_31
; %bb.55:
                                        ; implicit-def: $vgpr48_vgpr49
                                        ; implicit-def: $vgpr44_vgpr45
                                        ; implicit-def: $vgpr40_vgpr41
                                        ; implicit-def: $vgpr36_vgpr37
                                        ; implicit-def: $vgpr64_vgpr65
                                        ; implicit-def: $vgpr60_vgpr61
                                        ; implicit-def: $vgpr56_vgpr57
                                        ; implicit-def: $vgpr52_vgpr53
                                        ; implicit-def: $sgpr44_sgpr45
                                        ; implicit-def: $sgpr54
.LBB147_56:
	v_lshlrev_b32_e32 v34, 3, v138
	v_lshlrev_b32_e32 v35, 3, v137
	;; [unrolled: 1-line block ×9, first 2 shown]
	s_barrier
	ds_write_b64 v34, v[102:103]
	ds_write_b64 v35, v[100:101]
	;; [unrolled: 1-line block ×8, first 2 shown]
	s_waitcnt lgkmcnt(0)
	s_barrier
	ds_read2_b64 v[50:53], v46 offset1:1
	ds_read2_b64 v[54:57], v46 offset0:2 offset1:3
	ds_read2_b64 v[58:61], v46 offset0:4 offset1:5
	;; [unrolled: 1-line block ×3, first 2 shown]
	s_waitcnt lgkmcnt(0)
	s_barrier
	ds_write_b64 v34, v[84:85]
	ds_write_b64 v35, v[82:83]
	;; [unrolled: 1-line block ×8, first 2 shown]
	s_waitcnt lgkmcnt(0)
	s_barrier
	ds_read2_b64 v[34:37], v46 offset1:1
	ds_read2_b64 v[38:41], v46 offset0:2 offset1:3
	ds_read2_b64 v[42:45], v46 offset0:4 offset1:5
	;; [unrolled: 1-line block ×3, first 2 shown]
	v_xor_b32_e32 v51, 0x80000000, v51
	v_xor_b32_e32 v53, 0x80000000, v53
	v_xor_b32_e32 v55, 0x80000000, v55
	v_xor_b32_e32 v57, 0x80000000, v57
	v_xor_b32_e32 v59, 0x80000000, v59
	v_xor_b32_e32 v61, 0x80000000, v61
	v_xor_b32_e32 v63, 0x80000000, v63
	v_xor_b32_e32 v65, 0x80000000, v65
	s_branch .LBB147_92
.LBB147_57:
	v_mov_b32_e32 v69, 0
	v_lshlrev_b64 v[2:3], 3, v[68:69]
	v_mov_b32_e32 v4, s52
	v_add_co_u32_e32 v2, vcc, s49, v2
	v_addc_co_u32_e32 v3, vcc, v4, v3, vcc
	global_load_dwordx2 v[2:3], v[2:3], off
	v_mov_b32_e32 v4, v69
	v_mov_b32_e32 v5, v69
	;; [unrolled: 1-line block ×14, first 2 shown]
	s_or_b64 exec, exec, s[16:17]
	s_and_saveexec_b64 s[16:17], s[2:3]
	s_cbranch_execz .LBB147_22
.LBB147_58:
	v_mul_lo_u32 v4, v1, s48
	v_mov_b32_e32 v5, 0
	v_lshlrev_b64 v[4:5], 3, v[4:5]
	v_mov_b32_e32 v1, s52
	v_add_co_u32_e32 v4, vcc, s49, v4
	v_addc_co_u32_e32 v5, vcc, v1, v5, vcc
	global_load_dwordx2 v[4:5], v[4:5], off
	s_or_b64 exec, exec, s[16:17]
	s_and_saveexec_b64 s[16:17], s[4:5]
	s_cbranch_execz .LBB147_23
.LBB147_59:
	v_mul_lo_u32 v6, v34, s48
	v_mov_b32_e32 v7, 0
	v_lshlrev_b64 v[6:7], 3, v[6:7]
	v_mov_b32_e32 v1, s52
	v_add_co_u32_e32 v6, vcc, s49, v6
	v_addc_co_u32_e32 v7, vcc, v1, v7, vcc
	global_load_dwordx2 v[6:7], v[6:7], off
	s_or_b64 exec, exec, s[16:17]
	s_and_saveexec_b64 s[16:17], s[6:7]
	s_cbranch_execz .LBB147_24
.LBB147_60:
	v_mul_lo_u32 v8, v35, s48
	v_mov_b32_e32 v9, 0
	v_lshlrev_b64 v[8:9], 3, v[8:9]
	v_mov_b32_e32 v1, s52
	v_add_co_u32_e32 v8, vcc, s49, v8
	v_addc_co_u32_e32 v9, vcc, v1, v9, vcc
	global_load_dwordx2 v[8:9], v[8:9], off
	s_or_b64 exec, exec, s[16:17]
	s_and_saveexec_b64 s[16:17], s[8:9]
	s_cbranch_execz .LBB147_25
.LBB147_61:
	v_mul_lo_u32 v10, v36, s48
	v_mov_b32_e32 v11, 0
	v_lshlrev_b64 v[10:11], 3, v[10:11]
	v_mov_b32_e32 v1, s52
	v_add_co_u32_e32 v10, vcc, s49, v10
	v_addc_co_u32_e32 v11, vcc, v1, v11, vcc
	global_load_dwordx2 v[10:11], v[10:11], off
	s_or_b64 exec, exec, s[16:17]
	s_and_saveexec_b64 s[16:17], s[10:11]
	s_cbranch_execz .LBB147_26
.LBB147_62:
	v_mul_lo_u32 v12, v37, s48
	v_mov_b32_e32 v13, 0
	v_lshlrev_b64 v[12:13], 3, v[12:13]
	v_mov_b32_e32 v1, s52
	v_add_co_u32_e32 v12, vcc, s49, v12
	v_addc_co_u32_e32 v13, vcc, v1, v13, vcc
	global_load_dwordx2 v[12:13], v[12:13], off
	s_or_b64 exec, exec, s[16:17]
	s_and_saveexec_b64 s[16:17], s[12:13]
	s_cbranch_execz .LBB147_27
.LBB147_63:
	v_mul_lo_u32 v14, v38, s48
	v_mov_b32_e32 v15, 0
	v_lshlrev_b64 v[14:15], 3, v[14:15]
	v_mov_b32_e32 v1, s52
	v_add_co_u32_e32 v14, vcc, s49, v14
	v_addc_co_u32_e32 v15, vcc, v1, v15, vcc
	global_load_dwordx2 v[14:15], v[14:15], off
	s_or_b64 exec, exec, s[16:17]
	s_xor_b64 s[16:17], s[34:35], -1
	s_and_saveexec_b64 s[18:19], s[14:15]
	s_cbranch_execnz .LBB147_28
	s_branch .LBB147_29
.LBB147_64:
                                        ; implicit-def: $vgpr64_vgpr65
                                        ; implicit-def: $vgpr60_vgpr61
                                        ; implicit-def: $vgpr56_vgpr57
                                        ; implicit-def: $vgpr52_vgpr53
                                        ; implicit-def: $vgpr48_vgpr49
                                        ; implicit-def: $vgpr44_vgpr45
                                        ; implicit-def: $vgpr40_vgpr41
                                        ; implicit-def: $vgpr36_vgpr37
	s_cbranch_execz .LBB147_92
; %bb.65:
	v_xor_b32_e32 v1, 0x7fffffff, v31
	v_xor_b32_e32 v0, -1, v30
	v_xor_b32_e32 v31, 0x7fffffff, v33
	v_xor_b32_e32 v30, -1, v32
	;; [unrolled: 2-line block ×8, first 2 shown]
	ds_write2_b64 v125, v[0:1], v[30:31] offset1:1
	ds_write2_b64 v125, v[26:27], v[28:29] offset0:2 offset1:3
	ds_write2_b64 v125, v[22:23], v[24:25] offset0:4 offset1:5
	ds_write2_b64 v125, v[18:19], v[20:21] offset0:6 offset1:7
	; wave barrier
	ds_read2st64_b64 v[18:21], v124 offset1:1
	ds_read2st64_b64 v[22:25], v124 offset0:2 offset1:3
	ds_read2st64_b64 v[26:29], v124 offset0:4 offset1:5
	;; [unrolled: 1-line block ×3, first 2 shown]
	; wave barrier
	ds_write2_b64 v125, v[14:15], v[16:17] offset1:1
	ds_write2_b64 v125, v[10:11], v[12:13] offset0:2 offset1:3
	ds_write2_b64 v125, v[6:7], v[8:9] offset0:4 offset1:5
	;; [unrolled: 1-line block ×3, first 2 shown]
	; wave barrier
	ds_read2st64_b64 v[0:3], v124 offset1:1
	ds_read2st64_b64 v[4:7], v124 offset0:2 offset1:3
	ds_read2st64_b64 v[8:11], v124 offset0:4 offset1:5
	ds_read2st64_b64 v[12:15], v124 offset0:6 offset1:7
	s_waitcnt lgkmcnt(0)
	s_barrier
	s_load_dword s18, s[50:51], 0xc
	s_getpc_b64 s[16:17]
	s_add_u32 s16, s16, _ZN7rocprim17ROCPRIM_400000_NS16block_radix_sortIlLj128ELj8ElLj1ELj1ELj0ELNS0_26block_radix_rank_algorithmE1ELNS0_18block_padding_hintE2ELNS0_4arch9wavefront6targetE1EE19radix_bits_per_passE@rel32@lo+4
	s_addc_u32 s17, s17, _ZN7rocprim17ROCPRIM_400000_NS16block_radix_sortIlLj128ELj8ElLj1ELj1ELj0ELNS0_26block_radix_rank_algorithmE1ELNS0_18block_padding_hintE2ELNS0_4arch9wavefront6targetE1EE19radix_bits_per_passE@rel32@hi+12
	s_load_dword s50, s[16:17], 0x0
	v_cmp_lt_i32_e32 vcc, v115, v119
	v_cmp_gt_u32_e64 s[30:31], 2, v70
	s_waitcnt lgkmcnt(0)
	s_lshr_b32 s16, s18, 16
	s_and_b32 s17, s18, 0xffff
	v_mad_u32_u24 v16, v123, s16, v122
	v_mad_u64_u32 v[16:17], s[16:17], v16, s17, v[70:71]
	v_lshrrev_b32_e32 v73, 6, v16
	v_or_b32_e32 v16, 63, v118
	v_cmp_eq_u32_e64 s[28:29], v16, v70
	v_cmp_lt_u32_e64 s[34:35], 63, v70
	v_cndmask_b32_e32 v16, v115, v113, vcc
	v_cmp_eq_u32_e64 s[38:39], 0, v70
	v_and_b32_e32 v70, 60, v116
	v_or_b32_e32 v72, 8, v112
	v_cmp_eq_u32_e64 s[16:17], 0, v120
	v_cmp_lt_u32_e64 s[18:19], 1, v120
	v_cmp_lt_u32_e64 s[20:21], 3, v120
	;; [unrolled: 1-line block ×3, first 2 shown]
	v_cmp_eq_u32_e64 s[24:25], 0, v121
	v_cmp_lt_u32_e64 s[26:27], 31, v113
	s_mov_b32 s51, 64
	v_lshlrev_b32_e32 v74, 2, v16
	v_cmp_eq_u32_e64 s[36:37], 0, v113
	v_cmp_eq_u32_e64 s[40:41], 0, v117
	v_add_u32_e32 v75, -4, v70
	v_lshlrev_b32_e32 v76, 3, v114
	s_mov_b64 s[44:45], 0
	v_mov_b32_e32 v42, 0
	s_branch .LBB147_67
.LBB147_66:                             ;   in Loop: Header=BB147_67 Depth=1
	v_lshlrev_b32_e32 v0, 3, v83
	v_lshlrev_b32_e32 v1, 3, v82
	v_lshlrev_b32_e32 v2, 3, v81
	v_lshlrev_b32_e32 v3, 3, v80
	v_lshlrev_b32_e32 v4, 3, v79
	v_lshlrev_b32_e32 v5, 3, v77
	v_lshlrev_b32_e32 v6, 3, v43
	v_lshlrev_b32_e32 v7, 3, v78
	s_barrier
	ds_write_b64 v0, v[64:65]
	ds_write_b64 v1, v[62:63]
	;; [unrolled: 1-line block ×8, first 2 shown]
	s_waitcnt lgkmcnt(0)
	s_barrier
	ds_read2st64_b64 v[18:21], v76 offset1:1
	ds_read2st64_b64 v[22:25], v76 offset0:2 offset1:3
	ds_read2st64_b64 v[26:29], v76 offset0:4 offset1:5
	;; [unrolled: 1-line block ×3, first 2 shown]
	s_waitcnt lgkmcnt(0)
	s_barrier
	ds_write_b64 v0, v[50:51]
	ds_write_b64 v1, v[48:49]
	;; [unrolled: 1-line block ×8, first 2 shown]
	s_waitcnt lgkmcnt(0)
	s_barrier
	ds_read2st64_b64 v[0:3], v76 offset1:1
	ds_read2st64_b64 v[4:7], v76 offset0:2 offset1:3
	ds_read2st64_b64 v[8:11], v76 offset0:4 offset1:5
	;; [unrolled: 1-line block ×3, first 2 shown]
	s_add_u32 s44, s44, 8
	s_addc_u32 s45, s45, 0
	s_add_i32 s51, s51, -8
	s_waitcnt lgkmcnt(0)
	s_barrier
	s_cbranch_execz .LBB147_91
.LBB147_67:                             ; =>This Inner Loop Header: Depth=1
	s_min_u32 s42, s50, s51
	v_pk_mov_b32 v[64:65], v[18:19], v[18:19] op_sel:[0,1]
	s_lshl_b32 s42, -1, s42
	v_pk_mov_b32 v[50:51], v[0:1], v[0:1] op_sel:[0,1]
	s_not_b32 s53, s42
	v_lshrrev_b64 v[0:1], s44, v[64:65]
	v_and_b32_e32 v0, s53, v0
	v_lshl_add_u32 v1, v0, 1, v73
	v_pk_mov_b32 v[44:45], v[4:5], v[4:5] op_sel:[0,1]
	v_lshl_add_u32 v4, v1, 2, 8
	v_and_b32_e32 v1, 1, v0
	v_pk_mov_b32 v[48:49], v[2:3], v[2:3] op_sel:[0,1]
	v_add_co_u32_e32 v2, vcc, -1, v1
	v_addc_co_u32_e64 v3, s[42:43], 0, -1, vcc
	v_cmp_ne_u32_e32 vcc, 0, v1
	v_lshlrev_b32_e32 v43, 30, v0
	v_xor_b32_e32 v1, vcc_hi, v3
	v_not_b32_e32 v3, v43
	v_xor_b32_e32 v2, vcc_lo, v2
	v_cmp_gt_i64_e32 vcc, 0, v[42:43]
	v_ashrrev_i32_e32 v3, 31, v3
	v_and_b32_e32 v2, exec_lo, v2
	v_xor_b32_e32 v5, vcc_hi, v3
	v_xor_b32_e32 v3, vcc_lo, v3
	v_lshlrev_b32_e32 v43, 29, v0
	v_and_b32_e32 v2, v2, v3
	v_not_b32_e32 v3, v43
	v_and_b32_e32 v1, exec_hi, v1
	v_cmp_gt_i64_e32 vcc, 0, v[42:43]
	v_ashrrev_i32_e32 v3, 31, v3
	v_and_b32_e32 v1, v1, v5
	v_xor_b32_e32 v5, vcc_hi, v3
	v_xor_b32_e32 v3, vcc_lo, v3
	v_lshlrev_b32_e32 v43, 28, v0
	v_and_b32_e32 v2, v2, v3
	v_not_b32_e32 v3, v43
	v_cmp_gt_i64_e32 vcc, 0, v[42:43]
	v_ashrrev_i32_e32 v3, 31, v3
	v_and_b32_e32 v1, v1, v5
	v_xor_b32_e32 v5, vcc_hi, v3
	v_xor_b32_e32 v3, vcc_lo, v3
	v_lshlrev_b32_e32 v43, 27, v0
	v_and_b32_e32 v2, v2, v3
	v_not_b32_e32 v3, v43
	;; [unrolled: 8-line block ×3, first 2 shown]
	v_cmp_gt_i64_e32 vcc, 0, v[42:43]
	v_ashrrev_i32_e32 v3, 31, v3
	v_and_b32_e32 v1, v1, v5
	v_xor_b32_e32 v5, vcc_hi, v3
	v_xor_b32_e32 v3, vcc_lo, v3
	v_lshlrev_b32_e32 v43, 25, v0
	v_and_b32_e32 v2, v2, v3
	v_cmp_gt_i64_e32 vcc, 0, v[42:43]
	v_not_b32_e32 v3, v43
	v_lshlrev_b32_e32 v43, 24, v0
	v_ashrrev_i32_e32 v3, 31, v3
	v_not_b32_e32 v0, v43
	v_and_b32_e32 v1, v1, v5
	v_xor_b32_e32 v5, vcc_hi, v3
	v_xor_b32_e32 v3, vcc_lo, v3
	v_cmp_gt_i64_e32 vcc, 0, v[42:43]
	v_ashrrev_i32_e32 v0, 31, v0
	v_and_b32_e32 v2, v2, v3
	v_xor_b32_e32 v3, vcc_hi, v0
	v_xor_b32_e32 v0, vcc_lo, v0
	v_and_b32_e32 v1, v1, v5
	v_and_b32_e32 v0, v2, v0
	;; [unrolled: 1-line block ×3, first 2 shown]
	v_mbcnt_lo_u32_b32 v2, v0, 0
	v_mbcnt_hi_u32_b32 v5, v1, v2
	v_cmp_eq_u32_e32 vcc, 0, v5
	v_cmp_ne_u64_e64 s[42:43], 0, v[0:1]
	v_pk_mov_b32 v[46:47], v[32:33], v[32:33] op_sel:[0,1]
	v_pk_mov_b32 v[52:53], v[30:31], v[30:31] op_sel:[0,1]
	;; [unrolled: 1-line block ×12, first 2 shown]
	s_and_b64 s[54:55], s[42:43], vcc
	ds_write2_b32 v112, v42, v42 offset0:2 offset1:3
	ds_write2_b32 v72, v42, v42 offset0:2 offset1:3
	s_waitcnt lgkmcnt(0)
	s_barrier
	s_waitcnt lgkmcnt(0)
	; wave barrier
	s_and_saveexec_b64 s[42:43], s[54:55]
	s_cbranch_execz .LBB147_69
; %bb.68:                               ;   in Loop: Header=BB147_67 Depth=1
	v_bcnt_u32_b32 v0, v0, 0
	v_bcnt_u32_b32 v0, v1, v0
	ds_write_b32 v4, v0
.LBB147_69:                             ;   in Loop: Header=BB147_67 Depth=1
	s_or_b64 exec, exec, s[42:43]
	v_lshrrev_b64 v[0:1], s44, v[62:63]
	v_and_b32_e32 v0, s53, v0
	v_lshlrev_b32_e32 v1, 1, v0
	v_add_lshl_u32 v1, v1, v73, 2
	; wave barrier
	v_add_u32_e32 v7, 8, v1
	ds_read_b32 v6, v1 offset:8
	v_and_b32_e32 v1, 1, v0
	v_add_co_u32_e32 v2, vcc, -1, v1
	v_addc_co_u32_e64 v3, s[42:43], 0, -1, vcc
	v_cmp_ne_u32_e32 vcc, 0, v1
	v_lshlrev_b32_e32 v43, 30, v0
	v_xor_b32_e32 v1, vcc_hi, v3
	v_not_b32_e32 v3, v43
	v_xor_b32_e32 v2, vcc_lo, v2
	v_cmp_gt_i64_e32 vcc, 0, v[42:43]
	v_ashrrev_i32_e32 v3, 31, v3
	v_and_b32_e32 v2, exec_lo, v2
	v_xor_b32_e32 v8, vcc_hi, v3
	v_xor_b32_e32 v3, vcc_lo, v3
	v_lshlrev_b32_e32 v43, 29, v0
	v_and_b32_e32 v2, v2, v3
	v_not_b32_e32 v3, v43
	v_and_b32_e32 v1, exec_hi, v1
	v_cmp_gt_i64_e32 vcc, 0, v[42:43]
	v_ashrrev_i32_e32 v3, 31, v3
	v_and_b32_e32 v1, v1, v8
	v_xor_b32_e32 v8, vcc_hi, v3
	v_xor_b32_e32 v3, vcc_lo, v3
	v_lshlrev_b32_e32 v43, 28, v0
	v_and_b32_e32 v2, v2, v3
	v_not_b32_e32 v3, v43
	v_cmp_gt_i64_e32 vcc, 0, v[42:43]
	v_ashrrev_i32_e32 v3, 31, v3
	v_and_b32_e32 v1, v1, v8
	v_xor_b32_e32 v8, vcc_hi, v3
	v_xor_b32_e32 v3, vcc_lo, v3
	v_lshlrev_b32_e32 v43, 27, v0
	v_and_b32_e32 v2, v2, v3
	v_not_b32_e32 v3, v43
	;; [unrolled: 8-line block ×3, first 2 shown]
	v_cmp_gt_i64_e32 vcc, 0, v[42:43]
	v_ashrrev_i32_e32 v3, 31, v3
	v_and_b32_e32 v1, v1, v8
	v_xor_b32_e32 v8, vcc_hi, v3
	v_xor_b32_e32 v3, vcc_lo, v3
	v_lshlrev_b32_e32 v43, 25, v0
	v_and_b32_e32 v2, v2, v3
	v_cmp_gt_i64_e32 vcc, 0, v[42:43]
	v_not_b32_e32 v3, v43
	v_lshlrev_b32_e32 v43, 24, v0
	v_ashrrev_i32_e32 v3, 31, v3
	v_not_b32_e32 v0, v43
	v_and_b32_e32 v1, v1, v8
	v_xor_b32_e32 v8, vcc_hi, v3
	v_xor_b32_e32 v3, vcc_lo, v3
	v_cmp_gt_i64_e32 vcc, 0, v[42:43]
	v_ashrrev_i32_e32 v0, 31, v0
	v_and_b32_e32 v2, v2, v3
	v_xor_b32_e32 v3, vcc_hi, v0
	v_xor_b32_e32 v0, vcc_lo, v0
	v_and_b32_e32 v1, v1, v8
	v_and_b32_e32 v0, v2, v0
	;; [unrolled: 1-line block ×3, first 2 shown]
	v_mbcnt_lo_u32_b32 v2, v0, 0
	v_mbcnt_hi_u32_b32 v8, v1, v2
	v_cmp_eq_u32_e32 vcc, 0, v8
	v_cmp_ne_u64_e64 s[42:43], 0, v[0:1]
	s_and_b64 s[54:55], s[42:43], vcc
	; wave barrier
	s_and_saveexec_b64 s[42:43], s[54:55]
	s_cbranch_execz .LBB147_71
; %bb.70:                               ;   in Loop: Header=BB147_67 Depth=1
	v_bcnt_u32_b32 v0, v0, 0
	v_bcnt_u32_b32 v0, v1, v0
	s_waitcnt lgkmcnt(0)
	v_add_u32_e32 v0, v6, v0
	ds_write_b32 v7, v0
.LBB147_71:                             ;   in Loop: Header=BB147_67 Depth=1
	s_or_b64 exec, exec, s[42:43]
	v_lshrrev_b64 v[0:1], s44, v[60:61]
	v_and_b32_e32 v0, s53, v0
	v_lshlrev_b32_e32 v1, 1, v0
	v_add_lshl_u32 v1, v1, v73, 2
	; wave barrier
	v_add_u32_e32 v10, 8, v1
	ds_read_b32 v9, v1 offset:8
	v_and_b32_e32 v1, 1, v0
	v_add_co_u32_e32 v2, vcc, -1, v1
	v_addc_co_u32_e64 v3, s[42:43], 0, -1, vcc
	v_cmp_ne_u32_e32 vcc, 0, v1
	v_lshlrev_b32_e32 v43, 30, v0
	v_xor_b32_e32 v1, vcc_hi, v3
	v_not_b32_e32 v3, v43
	v_xor_b32_e32 v2, vcc_lo, v2
	v_cmp_gt_i64_e32 vcc, 0, v[42:43]
	v_ashrrev_i32_e32 v3, 31, v3
	v_and_b32_e32 v2, exec_lo, v2
	v_xor_b32_e32 v11, vcc_hi, v3
	v_xor_b32_e32 v3, vcc_lo, v3
	v_lshlrev_b32_e32 v43, 29, v0
	v_and_b32_e32 v2, v2, v3
	v_not_b32_e32 v3, v43
	v_and_b32_e32 v1, exec_hi, v1
	v_cmp_gt_i64_e32 vcc, 0, v[42:43]
	v_ashrrev_i32_e32 v3, 31, v3
	v_and_b32_e32 v1, v1, v11
	v_xor_b32_e32 v11, vcc_hi, v3
	v_xor_b32_e32 v3, vcc_lo, v3
	v_lshlrev_b32_e32 v43, 28, v0
	v_and_b32_e32 v2, v2, v3
	v_not_b32_e32 v3, v43
	v_cmp_gt_i64_e32 vcc, 0, v[42:43]
	v_ashrrev_i32_e32 v3, 31, v3
	v_and_b32_e32 v1, v1, v11
	v_xor_b32_e32 v11, vcc_hi, v3
	v_xor_b32_e32 v3, vcc_lo, v3
	v_lshlrev_b32_e32 v43, 27, v0
	v_and_b32_e32 v2, v2, v3
	v_not_b32_e32 v3, v43
	;; [unrolled: 8-line block ×3, first 2 shown]
	v_cmp_gt_i64_e32 vcc, 0, v[42:43]
	v_ashrrev_i32_e32 v3, 31, v3
	v_and_b32_e32 v1, v1, v11
	v_xor_b32_e32 v11, vcc_hi, v3
	v_xor_b32_e32 v3, vcc_lo, v3
	v_lshlrev_b32_e32 v43, 25, v0
	v_and_b32_e32 v2, v2, v3
	v_cmp_gt_i64_e32 vcc, 0, v[42:43]
	v_not_b32_e32 v3, v43
	v_lshlrev_b32_e32 v43, 24, v0
	v_ashrrev_i32_e32 v3, 31, v3
	v_not_b32_e32 v0, v43
	v_and_b32_e32 v1, v1, v11
	v_xor_b32_e32 v11, vcc_hi, v3
	v_xor_b32_e32 v3, vcc_lo, v3
	v_cmp_gt_i64_e32 vcc, 0, v[42:43]
	v_ashrrev_i32_e32 v0, 31, v0
	v_and_b32_e32 v2, v2, v3
	v_xor_b32_e32 v3, vcc_hi, v0
	v_xor_b32_e32 v0, vcc_lo, v0
	v_and_b32_e32 v1, v1, v11
	v_and_b32_e32 v0, v2, v0
	;; [unrolled: 1-line block ×3, first 2 shown]
	v_mbcnt_lo_u32_b32 v2, v0, 0
	v_mbcnt_hi_u32_b32 v11, v1, v2
	v_cmp_eq_u32_e32 vcc, 0, v11
	v_cmp_ne_u64_e64 s[42:43], 0, v[0:1]
	s_and_b64 s[54:55], s[42:43], vcc
	; wave barrier
	s_and_saveexec_b64 s[42:43], s[54:55]
	s_cbranch_execz .LBB147_73
; %bb.72:                               ;   in Loop: Header=BB147_67 Depth=1
	v_bcnt_u32_b32 v0, v0, 0
	v_bcnt_u32_b32 v0, v1, v0
	s_waitcnt lgkmcnt(0)
	v_add_u32_e32 v0, v9, v0
	ds_write_b32 v10, v0
.LBB147_73:                             ;   in Loop: Header=BB147_67 Depth=1
	s_or_b64 exec, exec, s[42:43]
	v_lshrrev_b64 v[0:1], s44, v[58:59]
	v_and_b32_e32 v0, s53, v0
	v_lshlrev_b32_e32 v1, 1, v0
	v_add_lshl_u32 v1, v1, v73, 2
	; wave barrier
	v_add_u32_e32 v13, 8, v1
	ds_read_b32 v12, v1 offset:8
	v_and_b32_e32 v1, 1, v0
	v_add_co_u32_e32 v2, vcc, -1, v1
	v_addc_co_u32_e64 v3, s[42:43], 0, -1, vcc
	v_cmp_ne_u32_e32 vcc, 0, v1
	v_lshlrev_b32_e32 v43, 30, v0
	v_xor_b32_e32 v1, vcc_hi, v3
	v_not_b32_e32 v3, v43
	v_xor_b32_e32 v2, vcc_lo, v2
	v_cmp_gt_i64_e32 vcc, 0, v[42:43]
	v_ashrrev_i32_e32 v3, 31, v3
	v_and_b32_e32 v2, exec_lo, v2
	v_xor_b32_e32 v14, vcc_hi, v3
	v_xor_b32_e32 v3, vcc_lo, v3
	v_lshlrev_b32_e32 v43, 29, v0
	v_and_b32_e32 v2, v2, v3
	v_not_b32_e32 v3, v43
	v_and_b32_e32 v1, exec_hi, v1
	v_cmp_gt_i64_e32 vcc, 0, v[42:43]
	v_ashrrev_i32_e32 v3, 31, v3
	v_and_b32_e32 v1, v1, v14
	v_xor_b32_e32 v14, vcc_hi, v3
	v_xor_b32_e32 v3, vcc_lo, v3
	v_lshlrev_b32_e32 v43, 28, v0
	v_and_b32_e32 v2, v2, v3
	v_not_b32_e32 v3, v43
	v_cmp_gt_i64_e32 vcc, 0, v[42:43]
	v_ashrrev_i32_e32 v3, 31, v3
	v_and_b32_e32 v1, v1, v14
	v_xor_b32_e32 v14, vcc_hi, v3
	v_xor_b32_e32 v3, vcc_lo, v3
	v_lshlrev_b32_e32 v43, 27, v0
	v_and_b32_e32 v2, v2, v3
	v_not_b32_e32 v3, v43
	;; [unrolled: 8-line block ×3, first 2 shown]
	v_cmp_gt_i64_e32 vcc, 0, v[42:43]
	v_ashrrev_i32_e32 v3, 31, v3
	v_and_b32_e32 v1, v1, v14
	v_xor_b32_e32 v14, vcc_hi, v3
	v_xor_b32_e32 v3, vcc_lo, v3
	v_lshlrev_b32_e32 v43, 25, v0
	v_and_b32_e32 v2, v2, v3
	v_cmp_gt_i64_e32 vcc, 0, v[42:43]
	v_not_b32_e32 v3, v43
	v_lshlrev_b32_e32 v43, 24, v0
	v_ashrrev_i32_e32 v3, 31, v3
	v_not_b32_e32 v0, v43
	v_and_b32_e32 v1, v1, v14
	v_xor_b32_e32 v14, vcc_hi, v3
	v_xor_b32_e32 v3, vcc_lo, v3
	v_cmp_gt_i64_e32 vcc, 0, v[42:43]
	v_ashrrev_i32_e32 v0, 31, v0
	v_and_b32_e32 v2, v2, v3
	v_xor_b32_e32 v3, vcc_hi, v0
	v_xor_b32_e32 v0, vcc_lo, v0
	v_and_b32_e32 v1, v1, v14
	v_and_b32_e32 v0, v2, v0
	;; [unrolled: 1-line block ×3, first 2 shown]
	v_mbcnt_lo_u32_b32 v2, v0, 0
	v_mbcnt_hi_u32_b32 v14, v1, v2
	v_cmp_eq_u32_e32 vcc, 0, v14
	v_cmp_ne_u64_e64 s[42:43], 0, v[0:1]
	s_and_b64 s[54:55], s[42:43], vcc
	; wave barrier
	s_and_saveexec_b64 s[42:43], s[54:55]
	s_cbranch_execz .LBB147_75
; %bb.74:                               ;   in Loop: Header=BB147_67 Depth=1
	v_bcnt_u32_b32 v0, v0, 0
	v_bcnt_u32_b32 v0, v1, v0
	s_waitcnt lgkmcnt(0)
	v_add_u32_e32 v0, v12, v0
	ds_write_b32 v13, v0
.LBB147_75:                             ;   in Loop: Header=BB147_67 Depth=1
	s_or_b64 exec, exec, s[42:43]
	v_lshrrev_b64 v[0:1], s44, v[56:57]
	v_and_b32_e32 v0, s53, v0
	v_lshlrev_b32_e32 v1, 1, v0
	v_add_lshl_u32 v1, v1, v73, 2
	; wave barrier
	v_add_u32_e32 v18, 8, v1
	ds_read_b32 v15, v1 offset:8
	v_and_b32_e32 v1, 1, v0
	v_add_co_u32_e32 v2, vcc, -1, v1
	v_addc_co_u32_e64 v3, s[42:43], 0, -1, vcc
	v_cmp_ne_u32_e32 vcc, 0, v1
	v_lshlrev_b32_e32 v43, 30, v0
	v_xor_b32_e32 v1, vcc_hi, v3
	v_not_b32_e32 v3, v43
	v_xor_b32_e32 v2, vcc_lo, v2
	v_cmp_gt_i64_e32 vcc, 0, v[42:43]
	v_ashrrev_i32_e32 v3, 31, v3
	v_and_b32_e32 v2, exec_lo, v2
	v_xor_b32_e32 v19, vcc_hi, v3
	v_xor_b32_e32 v3, vcc_lo, v3
	v_lshlrev_b32_e32 v43, 29, v0
	v_and_b32_e32 v2, v2, v3
	v_not_b32_e32 v3, v43
	v_and_b32_e32 v1, exec_hi, v1
	v_cmp_gt_i64_e32 vcc, 0, v[42:43]
	v_ashrrev_i32_e32 v3, 31, v3
	v_and_b32_e32 v1, v1, v19
	v_xor_b32_e32 v19, vcc_hi, v3
	v_xor_b32_e32 v3, vcc_lo, v3
	v_lshlrev_b32_e32 v43, 28, v0
	v_and_b32_e32 v2, v2, v3
	v_not_b32_e32 v3, v43
	v_cmp_gt_i64_e32 vcc, 0, v[42:43]
	v_ashrrev_i32_e32 v3, 31, v3
	v_and_b32_e32 v1, v1, v19
	v_xor_b32_e32 v19, vcc_hi, v3
	v_xor_b32_e32 v3, vcc_lo, v3
	v_lshlrev_b32_e32 v43, 27, v0
	v_and_b32_e32 v2, v2, v3
	v_not_b32_e32 v3, v43
	;; [unrolled: 8-line block ×3, first 2 shown]
	v_cmp_gt_i64_e32 vcc, 0, v[42:43]
	v_ashrrev_i32_e32 v3, 31, v3
	v_and_b32_e32 v1, v1, v19
	v_xor_b32_e32 v19, vcc_hi, v3
	v_xor_b32_e32 v3, vcc_lo, v3
	v_lshlrev_b32_e32 v43, 25, v0
	v_and_b32_e32 v2, v2, v3
	v_cmp_gt_i64_e32 vcc, 0, v[42:43]
	v_not_b32_e32 v3, v43
	v_lshlrev_b32_e32 v43, 24, v0
	v_ashrrev_i32_e32 v3, 31, v3
	v_not_b32_e32 v0, v43
	v_and_b32_e32 v1, v1, v19
	v_xor_b32_e32 v19, vcc_hi, v3
	v_xor_b32_e32 v3, vcc_lo, v3
	v_cmp_gt_i64_e32 vcc, 0, v[42:43]
	v_ashrrev_i32_e32 v0, 31, v0
	v_and_b32_e32 v2, v2, v3
	v_xor_b32_e32 v3, vcc_hi, v0
	v_xor_b32_e32 v0, vcc_lo, v0
	v_and_b32_e32 v1, v1, v19
	v_and_b32_e32 v0, v2, v0
	;; [unrolled: 1-line block ×3, first 2 shown]
	v_mbcnt_lo_u32_b32 v2, v0, 0
	v_mbcnt_hi_u32_b32 v19, v1, v2
	v_cmp_eq_u32_e32 vcc, 0, v19
	v_cmp_ne_u64_e64 s[42:43], 0, v[0:1]
	s_and_b64 s[54:55], s[42:43], vcc
	; wave barrier
	s_and_saveexec_b64 s[42:43], s[54:55]
	s_cbranch_execz .LBB147_77
; %bb.76:                               ;   in Loop: Header=BB147_67 Depth=1
	v_bcnt_u32_b32 v0, v0, 0
	v_bcnt_u32_b32 v0, v1, v0
	s_waitcnt lgkmcnt(0)
	v_add_u32_e32 v0, v15, v0
	ds_write_b32 v18, v0
.LBB147_77:                             ;   in Loop: Header=BB147_67 Depth=1
	s_or_b64 exec, exec, s[42:43]
	v_lshrrev_b64 v[0:1], s44, v[54:55]
	v_and_b32_e32 v0, s53, v0
	v_lshlrev_b32_e32 v1, 1, v0
	v_add_lshl_u32 v1, v1, v73, 2
	; wave barrier
	v_add_u32_e32 v21, 8, v1
	ds_read_b32 v20, v1 offset:8
	v_and_b32_e32 v1, 1, v0
	v_add_co_u32_e32 v2, vcc, -1, v1
	v_addc_co_u32_e64 v3, s[42:43], 0, -1, vcc
	v_cmp_ne_u32_e32 vcc, 0, v1
	v_lshlrev_b32_e32 v43, 30, v0
	v_xor_b32_e32 v1, vcc_hi, v3
	v_not_b32_e32 v3, v43
	v_xor_b32_e32 v2, vcc_lo, v2
	v_cmp_gt_i64_e32 vcc, 0, v[42:43]
	v_ashrrev_i32_e32 v3, 31, v3
	v_and_b32_e32 v2, exec_lo, v2
	v_xor_b32_e32 v22, vcc_hi, v3
	v_xor_b32_e32 v3, vcc_lo, v3
	v_lshlrev_b32_e32 v43, 29, v0
	v_and_b32_e32 v2, v2, v3
	v_not_b32_e32 v3, v43
	v_and_b32_e32 v1, exec_hi, v1
	v_cmp_gt_i64_e32 vcc, 0, v[42:43]
	v_ashrrev_i32_e32 v3, 31, v3
	v_and_b32_e32 v1, v1, v22
	v_xor_b32_e32 v22, vcc_hi, v3
	v_xor_b32_e32 v3, vcc_lo, v3
	v_lshlrev_b32_e32 v43, 28, v0
	v_and_b32_e32 v2, v2, v3
	v_not_b32_e32 v3, v43
	v_cmp_gt_i64_e32 vcc, 0, v[42:43]
	v_ashrrev_i32_e32 v3, 31, v3
	v_and_b32_e32 v1, v1, v22
	v_xor_b32_e32 v22, vcc_hi, v3
	v_xor_b32_e32 v3, vcc_lo, v3
	v_lshlrev_b32_e32 v43, 27, v0
	v_and_b32_e32 v2, v2, v3
	v_not_b32_e32 v3, v43
	;; [unrolled: 8-line block ×3, first 2 shown]
	v_cmp_gt_i64_e32 vcc, 0, v[42:43]
	v_ashrrev_i32_e32 v3, 31, v3
	v_and_b32_e32 v1, v1, v22
	v_xor_b32_e32 v22, vcc_hi, v3
	v_xor_b32_e32 v3, vcc_lo, v3
	v_lshlrev_b32_e32 v43, 25, v0
	v_and_b32_e32 v2, v2, v3
	v_cmp_gt_i64_e32 vcc, 0, v[42:43]
	v_not_b32_e32 v3, v43
	v_lshlrev_b32_e32 v43, 24, v0
	v_ashrrev_i32_e32 v3, 31, v3
	v_not_b32_e32 v0, v43
	v_and_b32_e32 v1, v1, v22
	v_xor_b32_e32 v22, vcc_hi, v3
	v_xor_b32_e32 v3, vcc_lo, v3
	v_cmp_gt_i64_e32 vcc, 0, v[42:43]
	v_ashrrev_i32_e32 v0, 31, v0
	v_and_b32_e32 v2, v2, v3
	v_xor_b32_e32 v3, vcc_hi, v0
	v_xor_b32_e32 v0, vcc_lo, v0
	v_and_b32_e32 v1, v1, v22
	v_and_b32_e32 v0, v2, v0
	;; [unrolled: 1-line block ×3, first 2 shown]
	v_mbcnt_lo_u32_b32 v2, v0, 0
	v_mbcnt_hi_u32_b32 v22, v1, v2
	v_cmp_eq_u32_e32 vcc, 0, v22
	v_cmp_ne_u64_e64 s[42:43], 0, v[0:1]
	s_and_b64 s[54:55], s[42:43], vcc
	; wave barrier
	s_and_saveexec_b64 s[42:43], s[54:55]
	s_cbranch_execz .LBB147_79
; %bb.78:                               ;   in Loop: Header=BB147_67 Depth=1
	v_bcnt_u32_b32 v0, v0, 0
	v_bcnt_u32_b32 v0, v1, v0
	s_waitcnt lgkmcnt(0)
	v_add_u32_e32 v0, v20, v0
	ds_write_b32 v21, v0
.LBB147_79:                             ;   in Loop: Header=BB147_67 Depth=1
	s_or_b64 exec, exec, s[42:43]
	v_lshrrev_b64 v[0:1], s44, v[52:53]
	v_and_b32_e32 v0, s53, v0
	v_lshlrev_b32_e32 v1, 1, v0
	v_add_lshl_u32 v1, v1, v73, 2
	; wave barrier
	v_add_u32_e32 v24, 8, v1
	ds_read_b32 v23, v1 offset:8
	v_and_b32_e32 v1, 1, v0
	v_add_co_u32_e32 v2, vcc, -1, v1
	v_addc_co_u32_e64 v3, s[42:43], 0, -1, vcc
	v_cmp_ne_u32_e32 vcc, 0, v1
	v_lshlrev_b32_e32 v43, 30, v0
	v_xor_b32_e32 v1, vcc_hi, v3
	v_not_b32_e32 v3, v43
	v_xor_b32_e32 v2, vcc_lo, v2
	v_cmp_gt_i64_e32 vcc, 0, v[42:43]
	v_ashrrev_i32_e32 v3, 31, v3
	v_and_b32_e32 v2, exec_lo, v2
	v_xor_b32_e32 v25, vcc_hi, v3
	v_xor_b32_e32 v3, vcc_lo, v3
	v_lshlrev_b32_e32 v43, 29, v0
	v_and_b32_e32 v2, v2, v3
	v_not_b32_e32 v3, v43
	v_and_b32_e32 v1, exec_hi, v1
	v_cmp_gt_i64_e32 vcc, 0, v[42:43]
	v_ashrrev_i32_e32 v3, 31, v3
	v_and_b32_e32 v1, v1, v25
	v_xor_b32_e32 v25, vcc_hi, v3
	v_xor_b32_e32 v3, vcc_lo, v3
	v_lshlrev_b32_e32 v43, 28, v0
	v_and_b32_e32 v2, v2, v3
	v_not_b32_e32 v3, v43
	v_cmp_gt_i64_e32 vcc, 0, v[42:43]
	v_ashrrev_i32_e32 v3, 31, v3
	v_and_b32_e32 v1, v1, v25
	v_xor_b32_e32 v25, vcc_hi, v3
	v_xor_b32_e32 v3, vcc_lo, v3
	v_lshlrev_b32_e32 v43, 27, v0
	v_and_b32_e32 v2, v2, v3
	v_not_b32_e32 v3, v43
	;; [unrolled: 8-line block ×3, first 2 shown]
	v_cmp_gt_i64_e32 vcc, 0, v[42:43]
	v_ashrrev_i32_e32 v3, 31, v3
	v_and_b32_e32 v1, v1, v25
	v_xor_b32_e32 v25, vcc_hi, v3
	v_xor_b32_e32 v3, vcc_lo, v3
	v_lshlrev_b32_e32 v43, 25, v0
	v_and_b32_e32 v2, v2, v3
	v_cmp_gt_i64_e32 vcc, 0, v[42:43]
	v_not_b32_e32 v3, v43
	v_lshlrev_b32_e32 v43, 24, v0
	v_ashrrev_i32_e32 v3, 31, v3
	v_not_b32_e32 v0, v43
	v_and_b32_e32 v1, v1, v25
	v_xor_b32_e32 v25, vcc_hi, v3
	v_xor_b32_e32 v3, vcc_lo, v3
	v_cmp_gt_i64_e32 vcc, 0, v[42:43]
	v_ashrrev_i32_e32 v0, 31, v0
	v_and_b32_e32 v2, v2, v3
	v_xor_b32_e32 v3, vcc_hi, v0
	v_xor_b32_e32 v0, vcc_lo, v0
	v_and_b32_e32 v1, v1, v25
	v_and_b32_e32 v0, v2, v0
	;; [unrolled: 1-line block ×3, first 2 shown]
	v_mbcnt_lo_u32_b32 v2, v0, 0
	v_mbcnt_hi_u32_b32 v25, v1, v2
	v_cmp_eq_u32_e32 vcc, 0, v25
	v_cmp_ne_u64_e64 s[42:43], 0, v[0:1]
	s_and_b64 s[54:55], s[42:43], vcc
	; wave barrier
	s_and_saveexec_b64 s[42:43], s[54:55]
	s_cbranch_execz .LBB147_81
; %bb.80:                               ;   in Loop: Header=BB147_67 Depth=1
	v_bcnt_u32_b32 v0, v0, 0
	v_bcnt_u32_b32 v0, v1, v0
	s_waitcnt lgkmcnt(0)
	v_add_u32_e32 v0, v23, v0
	ds_write_b32 v24, v0
.LBB147_81:                             ;   in Loop: Header=BB147_67 Depth=1
	s_or_b64 exec, exec, s[42:43]
	v_lshrrev_b64 v[0:1], s44, v[46:47]
	v_and_b32_e32 v0, s53, v0
	v_lshlrev_b32_e32 v1, 1, v0
	v_add_lshl_u32 v1, v1, v73, 2
	; wave barrier
	v_add_u32_e32 v27, 8, v1
	ds_read_b32 v26, v1 offset:8
	v_and_b32_e32 v1, 1, v0
	v_add_co_u32_e32 v2, vcc, -1, v1
	v_addc_co_u32_e64 v3, s[42:43], 0, -1, vcc
	v_cmp_ne_u32_e32 vcc, 0, v1
	v_lshlrev_b32_e32 v43, 30, v0
	v_xor_b32_e32 v1, vcc_hi, v3
	v_not_b32_e32 v3, v43
	v_xor_b32_e32 v2, vcc_lo, v2
	v_cmp_gt_i64_e32 vcc, 0, v[42:43]
	v_ashrrev_i32_e32 v3, 31, v3
	v_and_b32_e32 v2, exec_lo, v2
	v_xor_b32_e32 v28, vcc_hi, v3
	v_xor_b32_e32 v3, vcc_lo, v3
	v_lshlrev_b32_e32 v43, 29, v0
	v_and_b32_e32 v2, v2, v3
	v_not_b32_e32 v3, v43
	v_and_b32_e32 v1, exec_hi, v1
	v_cmp_gt_i64_e32 vcc, 0, v[42:43]
	v_ashrrev_i32_e32 v3, 31, v3
	v_and_b32_e32 v1, v1, v28
	v_xor_b32_e32 v28, vcc_hi, v3
	v_xor_b32_e32 v3, vcc_lo, v3
	v_lshlrev_b32_e32 v43, 28, v0
	v_and_b32_e32 v2, v2, v3
	v_not_b32_e32 v3, v43
	v_cmp_gt_i64_e32 vcc, 0, v[42:43]
	v_ashrrev_i32_e32 v3, 31, v3
	v_and_b32_e32 v1, v1, v28
	v_xor_b32_e32 v28, vcc_hi, v3
	v_xor_b32_e32 v3, vcc_lo, v3
	v_lshlrev_b32_e32 v43, 27, v0
	v_and_b32_e32 v2, v2, v3
	v_not_b32_e32 v3, v43
	v_cmp_gt_i64_e32 vcc, 0, v[42:43]
	v_ashrrev_i32_e32 v3, 31, v3
	v_and_b32_e32 v1, v1, v28
	v_xor_b32_e32 v28, vcc_hi, v3
	v_xor_b32_e32 v3, vcc_lo, v3
	v_lshlrev_b32_e32 v43, 26, v0
	v_and_b32_e32 v2, v2, v3
	v_not_b32_e32 v3, v43
	v_cmp_gt_i64_e32 vcc, 0, v[42:43]
	v_ashrrev_i32_e32 v3, 31, v3
	v_and_b32_e32 v1, v1, v28
	v_xor_b32_e32 v28, vcc_hi, v3
	v_xor_b32_e32 v3, vcc_lo, v3
	v_lshlrev_b32_e32 v43, 25, v0
	v_and_b32_e32 v2, v2, v3
	v_cmp_gt_i64_e32 vcc, 0, v[42:43]
	v_not_b32_e32 v3, v43
	v_lshlrev_b32_e32 v43, 24, v0
	v_ashrrev_i32_e32 v3, 31, v3
	v_not_b32_e32 v0, v43
	v_and_b32_e32 v1, v1, v28
	v_xor_b32_e32 v28, vcc_hi, v3
	v_xor_b32_e32 v3, vcc_lo, v3
	v_cmp_gt_i64_e32 vcc, 0, v[42:43]
	v_ashrrev_i32_e32 v0, 31, v0
	v_and_b32_e32 v2, v2, v3
	v_xor_b32_e32 v3, vcc_hi, v0
	v_xor_b32_e32 v0, vcc_lo, v0
	v_and_b32_e32 v1, v1, v28
	v_and_b32_e32 v0, v2, v0
	;; [unrolled: 1-line block ×3, first 2 shown]
	v_mbcnt_lo_u32_b32 v2, v0, 0
	v_mbcnt_hi_u32_b32 v28, v1, v2
	v_cmp_eq_u32_e32 vcc, 0, v28
	v_cmp_ne_u64_e64 s[42:43], 0, v[0:1]
	s_and_b64 s[54:55], s[42:43], vcc
	; wave barrier
	s_and_saveexec_b64 s[42:43], s[54:55]
	s_cbranch_execz .LBB147_83
; %bb.82:                               ;   in Loop: Header=BB147_67 Depth=1
	v_bcnt_u32_b32 v0, v0, 0
	v_bcnt_u32_b32 v0, v1, v0
	s_waitcnt lgkmcnt(0)
	v_add_u32_e32 v0, v26, v0
	ds_write_b32 v27, v0
.LBB147_83:                             ;   in Loop: Header=BB147_67 Depth=1
	s_or_b64 exec, exec, s[42:43]
	; wave barrier
	s_waitcnt lgkmcnt(0)
	s_barrier
	ds_read2_b32 v[2:3], v112 offset0:2 offset1:3
	ds_read2_b32 v[0:1], v72 offset0:2 offset1:3
	s_waitcnt lgkmcnt(1)
	v_add_u32_e32 v29, v3, v2
	s_waitcnt lgkmcnt(0)
	v_add3_u32 v1, v29, v0, v1
	s_nop 1
	v_mov_b32_dpp v29, v1 row_shr:1 row_mask:0xf bank_mask:0xf
	v_cndmask_b32_e64 v29, v29, 0, s[16:17]
	v_add_u32_e32 v1, v29, v1
	s_nop 1
	v_mov_b32_dpp v29, v1 row_shr:2 row_mask:0xf bank_mask:0xf
	v_cndmask_b32_e64 v29, 0, v29, s[18:19]
	v_add_u32_e32 v1, v1, v29
	;; [unrolled: 4-line block ×4, first 2 shown]
	s_nop 1
	v_mov_b32_dpp v29, v1 row_bcast:15 row_mask:0xf bank_mask:0xf
	v_cndmask_b32_e64 v29, v29, 0, s[24:25]
	v_add_u32_e32 v1, v1, v29
	s_nop 1
	v_mov_b32_dpp v29, v1 row_bcast:31 row_mask:0xf bank_mask:0xf
	v_cndmask_b32_e64 v29, 0, v29, s[26:27]
	v_add_u32_e32 v1, v1, v29
	s_and_saveexec_b64 s[42:43], s[28:29]
	s_cbranch_execz .LBB147_85
; %bb.84:                               ;   in Loop: Header=BB147_67 Depth=1
	ds_write_b32 v70, v1
.LBB147_85:                             ;   in Loop: Header=BB147_67 Depth=1
	s_or_b64 exec, exec, s[42:43]
	s_waitcnt lgkmcnt(0)
	s_barrier
	s_and_saveexec_b64 s[42:43], s[30:31]
	s_cbranch_execz .LBB147_87
; %bb.86:                               ;   in Loop: Header=BB147_67 Depth=1
	ds_read_b32 v29, v69
	s_waitcnt lgkmcnt(0)
	s_nop 0
	v_mov_b32_dpp v30, v29 row_shr:1 row_mask:0xf bank_mask:0xf
	v_cndmask_b32_e64 v30, v30, 0, s[40:41]
	v_add_u32_e32 v29, v30, v29
	ds_write_b32 v69, v29
.LBB147_87:                             ;   in Loop: Header=BB147_67 Depth=1
	s_or_b64 exec, exec, s[42:43]
	v_mov_b32_e32 v29, 0
	s_waitcnt lgkmcnt(0)
	s_barrier
	s_and_saveexec_b64 s[42:43], s[34:35]
	s_cbranch_execz .LBB147_89
; %bb.88:                               ;   in Loop: Header=BB147_67 Depth=1
	ds_read_b32 v29, v75
.LBB147_89:                             ;   in Loop: Header=BB147_67 Depth=1
	s_or_b64 exec, exec, s[42:43]
	s_waitcnt lgkmcnt(0)
	v_add_u32_e32 v1, v29, v1
	ds_bpermute_b32 v1, v74, v1
	s_cmp_gt_u32 s44, 55
	s_waitcnt lgkmcnt(0)
	v_cndmask_b32_e64 v1, v1, v29, s[36:37]
	v_cndmask_b32_e64 v1, v1, 0, s[38:39]
	v_add_u32_e32 v2, v1, v2
	v_add_u32_e32 v3, v2, v3
	;; [unrolled: 1-line block ×3, first 2 shown]
	ds_write2_b32 v112, v1, v2 offset0:2 offset1:3
	ds_write2_b32 v72, v3, v0 offset0:2 offset1:3
	s_waitcnt lgkmcnt(0)
	s_barrier
	ds_read_b32 v0, v4
	ds_read_b32 v1, v7
	;; [unrolled: 1-line block ×8, first 2 shown]
	s_waitcnt lgkmcnt(7)
	v_add_u32_e32 v83, v0, v5
	s_waitcnt lgkmcnt(6)
	v_add3_u32 v82, v8, v6, v1
	s_waitcnt lgkmcnt(5)
	v_add3_u32 v81, v11, v9, v2
	;; [unrolled: 2-line block ×7, first 2 shown]
	s_cbranch_scc0 .LBB147_66
; %bb.90:
                                        ; implicit-def: $vgpr32_vgpr33
                                        ; implicit-def: $vgpr28_vgpr29
                                        ; implicit-def: $vgpr24_vgpr25
                                        ; implicit-def: $vgpr20_vgpr21
                                        ; implicit-def: $vgpr14_vgpr15
                                        ; implicit-def: $vgpr10_vgpr11
                                        ; implicit-def: $vgpr6_vgpr7
                                        ; implicit-def: $vgpr2_vgpr3
                                        ; implicit-def: $sgpr44_sgpr45
                                        ; implicit-def: $sgpr51
.LBB147_91:
	v_lshlrev_b32_e32 v18, 3, v83
	v_lshlrev_b32_e32 v19, 3, v82
	;; [unrolled: 1-line block ×9, first 2 shown]
	s_barrier
	ds_write_b64 v18, v[64:65]
	ds_write_b64 v19, v[62:63]
	;; [unrolled: 1-line block ×8, first 2 shown]
	s_waitcnt lgkmcnt(0)
	s_barrier
	ds_read2_b64 v[0:3], v26 offset1:1
	ds_read2_b64 v[4:7], v26 offset0:2 offset1:3
	ds_read2_b64 v[8:11], v26 offset0:4 offset1:5
	;; [unrolled: 1-line block ×3, first 2 shown]
	s_waitcnt lgkmcnt(0)
	s_barrier
	ds_write_b64 v18, v[50:51]
	ds_write_b64 v19, v[48:49]
	;; [unrolled: 1-line block ×8, first 2 shown]
	s_waitcnt lgkmcnt(0)
	s_barrier
	ds_read2_b64 v[34:37], v26 offset1:1
	ds_read2_b64 v[38:41], v26 offset0:2 offset1:3
	ds_read2_b64 v[42:45], v26 offset0:4 offset1:5
	;; [unrolled: 1-line block ×3, first 2 shown]
	v_xor_b32_e32 v51, 0x7fffffff, v1
	v_xor_b32_e32 v50, -1, v0
	v_xor_b32_e32 v53, 0x7fffffff, v3
	v_xor_b32_e32 v52, -1, v2
	;; [unrolled: 2-line block ×8, first 2 shown]
.LBB147_92:
	s_waitcnt lgkmcnt(0)
	s_barrier
	ds_write2_b64 v111, v[50:51], v[52:53] offset1:1
	ds_write2_b64 v111, v[54:55], v[56:57] offset0:2 offset1:3
	ds_write2_b64 v111, v[58:59], v[60:61] offset0:4 offset1:5
	ds_write2_b64 v111, v[62:63], v[64:65] offset0:6 offset1:7
	s_waitcnt lgkmcnt(0)
	s_barrier
	ds_read_b64 v[14:15], v104 offset:1024
	ds_read_b64 v[12:13], v105 offset:2048
	;; [unrolled: 1-line block ×7, first 2 shown]
	v_mov_b32_e32 v67, 0
	v_lshlrev_b64 v[2:3], 3, v[66:67]
	v_mov_b32_e32 v16, s47
	v_add_co_u32_e32 v2, vcc, s33, v2
	v_addc_co_u32_e32 v3, vcc, v16, v3, vcc
	s_and_saveexec_b64 s[16:17], s[0:1]
	s_cbranch_execnz .LBB147_111
; %bb.93:
	s_or_b64 exec, exec, s[16:17]
	s_and_saveexec_b64 s[16:17], s[2:3]
	s_cbranch_execnz .LBB147_112
.LBB147_94:
	s_or_b64 exec, exec, s[16:17]
	s_and_saveexec_b64 s[16:17], s[4:5]
	s_cbranch_execnz .LBB147_113
.LBB147_95:
	s_or_b64 exec, exec, s[16:17]
	s_and_saveexec_b64 s[16:17], s[6:7]
	s_cbranch_execnz .LBB147_114
.LBB147_96:
	s_or_b64 exec, exec, s[16:17]
	s_and_saveexec_b64 s[16:17], s[8:9]
	s_cbranch_execnz .LBB147_115
.LBB147_97:
	s_or_b64 exec, exec, s[16:17]
	s_and_saveexec_b64 s[16:17], s[10:11]
	s_cbranch_execnz .LBB147_116
.LBB147_98:
	s_or_b64 exec, exec, s[16:17]
	s_and_saveexec_b64 s[16:17], s[12:13]
	s_cbranch_execnz .LBB147_117
.LBB147_99:
	s_or_b64 exec, exec, s[16:17]
	s_and_saveexec_b64 s[16:17], s[14:15]
	s_cbranch_execz .LBB147_101
.LBB147_100:
	s_mul_i32 s18, s46, 0x380
	s_mov_b32 s19, 0
	s_lshl_b64 s[18:19], s[18:19], 3
	s_waitcnt lgkmcnt(1)
	v_mov_b32_e32 v4, s19
	v_add_co_u32_e32 v2, vcc, s18, v2
	v_addc_co_u32_e32 v3, vcc, v3, v4, vcc
	s_waitcnt lgkmcnt(0)
	global_store_dwordx2 v[2:3], v[0:1], off
.LBB147_101:
	s_or_b64 exec, exec, s[16:17]
	s_waitcnt lgkmcnt(0)
	s_barrier
	ds_write2_b64 v111, v[34:35], v[36:37] offset1:1
	ds_write2_b64 v111, v[38:39], v[40:41] offset0:2 offset1:3
	ds_write2_b64 v111, v[42:43], v[44:45] offset0:4 offset1:5
	;; [unrolled: 1-line block ×3, first 2 shown]
	s_waitcnt lgkmcnt(0)
	s_barrier
	ds_read_b64 v[14:15], v104 offset:1024
	ds_read_b64 v[12:13], v105 offset:2048
	;; [unrolled: 1-line block ×7, first 2 shown]
	v_mov_b32_e32 v69, 0
	v_lshlrev_b64 v[2:3], 3, v[68:69]
	v_mov_b32_e32 v16, s52
	v_add_co_u32_e32 v2, vcc, s49, v2
	v_addc_co_u32_e32 v3, vcc, v16, v3, vcc
	s_and_saveexec_b64 s[16:17], s[0:1]
	s_cbranch_execnz .LBB147_118
; %bb.102:
	s_or_b64 exec, exec, s[16:17]
	s_and_saveexec_b64 s[0:1], s[2:3]
	s_cbranch_execnz .LBB147_119
.LBB147_103:
	s_or_b64 exec, exec, s[0:1]
	s_and_saveexec_b64 s[0:1], s[4:5]
	s_cbranch_execnz .LBB147_120
.LBB147_104:
	s_or_b64 exec, exec, s[0:1]
	s_and_saveexec_b64 s[0:1], s[6:7]
	s_cbranch_execnz .LBB147_121
.LBB147_105:
	s_or_b64 exec, exec, s[0:1]
	s_and_saveexec_b64 s[0:1], s[8:9]
	s_cbranch_execnz .LBB147_122
.LBB147_106:
	s_or_b64 exec, exec, s[0:1]
	s_and_saveexec_b64 s[0:1], s[10:11]
	s_cbranch_execnz .LBB147_123
.LBB147_107:
	s_or_b64 exec, exec, s[0:1]
	s_and_saveexec_b64 s[0:1], s[12:13]
	s_cbranch_execnz .LBB147_124
.LBB147_108:
	s_or_b64 exec, exec, s[0:1]
	s_and_saveexec_b64 s[0:1], s[14:15]
	s_cbranch_execz .LBB147_110
.LBB147_109:
	s_mul_i32 s0, s48, 0x380
	s_mov_b32 s1, 0
	s_lshl_b64 s[0:1], s[0:1], 3
	s_waitcnt lgkmcnt(1)
	v_mov_b32_e32 v4, s1
	v_add_co_u32_e32 v2, vcc, s0, v2
	v_addc_co_u32_e32 v3, vcc, v3, v4, vcc
	s_waitcnt lgkmcnt(0)
	global_store_dwordx2 v[2:3], v[0:1], off
.LBB147_110:
	s_endpgm
.LBB147_111:
	ds_read_b64 v[16:17], v71
	s_waitcnt lgkmcnt(0)
	global_store_dwordx2 v[2:3], v[16:17], off
	s_or_b64 exec, exec, s[16:17]
	s_and_saveexec_b64 s[16:17], s[2:3]
	s_cbranch_execz .LBB147_94
.LBB147_112:
	s_lshl_b32 s18, s46, 7
	s_mov_b32 s19, 0
	s_lshl_b64 s[18:19], s[18:19], 3
	v_mov_b32_e32 v17, s19
	v_add_co_u32_e32 v16, vcc, s18, v2
	v_addc_co_u32_e32 v17, vcc, v3, v17, vcc
	s_waitcnt lgkmcnt(6)
	global_store_dwordx2 v[16:17], v[14:15], off
	s_or_b64 exec, exec, s[16:17]
	s_and_saveexec_b64 s[16:17], s[4:5]
	s_cbranch_execz .LBB147_95
.LBB147_113:
	s_lshl_b32 s18, s46, 8
	s_mov_b32 s19, 0
	s_lshl_b64 s[18:19], s[18:19], 3
	s_waitcnt lgkmcnt(6)
	v_mov_b32_e32 v15, s19
	v_add_co_u32_e32 v14, vcc, s18, v2
	v_addc_co_u32_e32 v15, vcc, v3, v15, vcc
	s_waitcnt lgkmcnt(5)
	global_store_dwordx2 v[14:15], v[12:13], off
	s_or_b64 exec, exec, s[16:17]
	s_and_saveexec_b64 s[16:17], s[6:7]
	s_cbranch_execz .LBB147_96
.LBB147_114:
	s_mul_i32 s18, s46, 0x180
	s_mov_b32 s19, 0
	s_lshl_b64 s[18:19], s[18:19], 3
	s_waitcnt lgkmcnt(5)
	v_mov_b32_e32 v13, s19
	v_add_co_u32_e32 v12, vcc, s18, v2
	v_addc_co_u32_e32 v13, vcc, v3, v13, vcc
	s_waitcnt lgkmcnt(4)
	global_store_dwordx2 v[12:13], v[10:11], off
	s_or_b64 exec, exec, s[16:17]
	s_and_saveexec_b64 s[16:17], s[8:9]
	s_cbranch_execz .LBB147_97
.LBB147_115:
	s_lshl_b32 s18, s46, 9
	s_mov_b32 s19, 0
	s_lshl_b64 s[18:19], s[18:19], 3
	s_waitcnt lgkmcnt(4)
	v_mov_b32_e32 v11, s19
	v_add_co_u32_e32 v10, vcc, s18, v2
	v_addc_co_u32_e32 v11, vcc, v3, v11, vcc
	s_waitcnt lgkmcnt(3)
	global_store_dwordx2 v[10:11], v[8:9], off
	s_or_b64 exec, exec, s[16:17]
	s_and_saveexec_b64 s[16:17], s[10:11]
	s_cbranch_execz .LBB147_98
.LBB147_116:
	s_mul_i32 s18, s46, 0x280
	s_mov_b32 s19, 0
	s_lshl_b64 s[18:19], s[18:19], 3
	s_waitcnt lgkmcnt(3)
	v_mov_b32_e32 v9, s19
	v_add_co_u32_e32 v8, vcc, s18, v2
	v_addc_co_u32_e32 v9, vcc, v3, v9, vcc
	s_waitcnt lgkmcnt(2)
	global_store_dwordx2 v[8:9], v[6:7], off
	s_or_b64 exec, exec, s[16:17]
	s_and_saveexec_b64 s[16:17], s[12:13]
	s_cbranch_execz .LBB147_99
.LBB147_117:
	s_mul_i32 s18, s46, 0x300
	s_mov_b32 s19, 0
	s_lshl_b64 s[18:19], s[18:19], 3
	s_waitcnt lgkmcnt(2)
	v_mov_b32_e32 v7, s19
	v_add_co_u32_e32 v6, vcc, s18, v2
	v_addc_co_u32_e32 v7, vcc, v3, v7, vcc
	s_waitcnt lgkmcnt(1)
	global_store_dwordx2 v[6:7], v[4:5], off
	s_or_b64 exec, exec, s[16:17]
	s_and_saveexec_b64 s[16:17], s[14:15]
	s_cbranch_execnz .LBB147_100
	s_branch .LBB147_101
.LBB147_118:
	ds_read_b64 v[16:17], v71
	s_waitcnt lgkmcnt(0)
	global_store_dwordx2 v[2:3], v[16:17], off
	s_or_b64 exec, exec, s[16:17]
	s_and_saveexec_b64 s[0:1], s[2:3]
	s_cbranch_execz .LBB147_103
.LBB147_119:
	s_lshl_b32 s2, s48, 7
	s_mov_b32 s3, 0
	s_lshl_b64 s[2:3], s[2:3], 3
	v_mov_b32_e32 v17, s3
	v_add_co_u32_e32 v16, vcc, s2, v2
	v_addc_co_u32_e32 v17, vcc, v3, v17, vcc
	s_waitcnt lgkmcnt(6)
	global_store_dwordx2 v[16:17], v[14:15], off
	s_or_b64 exec, exec, s[0:1]
	s_and_saveexec_b64 s[0:1], s[4:5]
	s_cbranch_execz .LBB147_104
.LBB147_120:
	s_lshl_b32 s2, s48, 8
	s_mov_b32 s3, 0
	s_lshl_b64 s[2:3], s[2:3], 3
	s_waitcnt lgkmcnt(6)
	v_mov_b32_e32 v15, s3
	v_add_co_u32_e32 v14, vcc, s2, v2
	v_addc_co_u32_e32 v15, vcc, v3, v15, vcc
	s_waitcnt lgkmcnt(5)
	global_store_dwordx2 v[14:15], v[12:13], off
	s_or_b64 exec, exec, s[0:1]
	s_and_saveexec_b64 s[0:1], s[6:7]
	s_cbranch_execz .LBB147_105
.LBB147_121:
	s_mul_i32 s2, s48, 0x180
	s_mov_b32 s3, 0
	s_lshl_b64 s[2:3], s[2:3], 3
	s_waitcnt lgkmcnt(5)
	v_mov_b32_e32 v13, s3
	v_add_co_u32_e32 v12, vcc, s2, v2
	v_addc_co_u32_e32 v13, vcc, v3, v13, vcc
	s_waitcnt lgkmcnt(4)
	global_store_dwordx2 v[12:13], v[10:11], off
	s_or_b64 exec, exec, s[0:1]
	s_and_saveexec_b64 s[0:1], s[8:9]
	s_cbranch_execz .LBB147_106
.LBB147_122:
	s_lshl_b32 s2, s48, 9
	s_mov_b32 s3, 0
	s_lshl_b64 s[2:3], s[2:3], 3
	s_waitcnt lgkmcnt(4)
	v_mov_b32_e32 v11, s3
	v_add_co_u32_e32 v10, vcc, s2, v2
	v_addc_co_u32_e32 v11, vcc, v3, v11, vcc
	s_waitcnt lgkmcnt(3)
	global_store_dwordx2 v[10:11], v[8:9], off
	s_or_b64 exec, exec, s[0:1]
	s_and_saveexec_b64 s[0:1], s[10:11]
	s_cbranch_execz .LBB147_107
.LBB147_123:
	s_mul_i32 s2, s48, 0x280
	s_mov_b32 s3, 0
	s_lshl_b64 s[2:3], s[2:3], 3
	s_waitcnt lgkmcnt(3)
	v_mov_b32_e32 v9, s3
	v_add_co_u32_e32 v8, vcc, s2, v2
	v_addc_co_u32_e32 v9, vcc, v3, v9, vcc
	s_waitcnt lgkmcnt(2)
	global_store_dwordx2 v[8:9], v[6:7], off
	s_or_b64 exec, exec, s[0:1]
	s_and_saveexec_b64 s[0:1], s[12:13]
	s_cbranch_execz .LBB147_108
.LBB147_124:
	s_mul_i32 s2, s48, 0x300
	s_mov_b32 s3, 0
	s_lshl_b64 s[2:3], s[2:3], 3
	s_waitcnt lgkmcnt(2)
	v_mov_b32_e32 v7, s3
	v_add_co_u32_e32 v6, vcc, s2, v2
	v_addc_co_u32_e32 v7, vcc, v3, v7, vcc
	s_waitcnt lgkmcnt(1)
	global_store_dwordx2 v[6:7], v[4:5], off
	s_or_b64 exec, exec, s[0:1]
	s_and_saveexec_b64 s[0:1], s[14:15]
	s_cbranch_execnz .LBB147_109
	s_branch .LBB147_110
	.section	.rodata,"a",@progbits
	.p2align	6, 0x0
	.amdhsa_kernel _ZN2at6native18radixSortKVInPlaceILi2ELin1ELi128ELi8ElljEEvNS_4cuda6detail10TensorInfoIT3_T5_EES6_S6_S6_NS4_IT4_S6_EES6_b
		.amdhsa_group_segment_fixed_size 8448
		.amdhsa_private_segment_fixed_size 0
		.amdhsa_kernarg_size 712
		.amdhsa_user_sgpr_count 6
		.amdhsa_user_sgpr_private_segment_buffer 1
		.amdhsa_user_sgpr_dispatch_ptr 0
		.amdhsa_user_sgpr_queue_ptr 0
		.amdhsa_user_sgpr_kernarg_segment_ptr 1
		.amdhsa_user_sgpr_dispatch_id 0
		.amdhsa_user_sgpr_flat_scratch_init 0
		.amdhsa_user_sgpr_kernarg_preload_length 0
		.amdhsa_user_sgpr_kernarg_preload_offset 0
		.amdhsa_user_sgpr_private_segment_size 0
		.amdhsa_uses_dynamic_stack 0
		.amdhsa_system_sgpr_private_segment_wavefront_offset 0
		.amdhsa_system_sgpr_workgroup_id_x 1
		.amdhsa_system_sgpr_workgroup_id_y 1
		.amdhsa_system_sgpr_workgroup_id_z 1
		.amdhsa_system_sgpr_workgroup_info 0
		.amdhsa_system_vgpr_workitem_id 2
		.amdhsa_next_free_vgpr 139
		.amdhsa_next_free_sgpr 58
		.amdhsa_accum_offset 140
		.amdhsa_reserve_vcc 1
		.amdhsa_reserve_flat_scratch 0
		.amdhsa_float_round_mode_32 0
		.amdhsa_float_round_mode_16_64 0
		.amdhsa_float_denorm_mode_32 3
		.amdhsa_float_denorm_mode_16_64 3
		.amdhsa_dx10_clamp 1
		.amdhsa_ieee_mode 1
		.amdhsa_fp16_overflow 0
		.amdhsa_tg_split 0
		.amdhsa_exception_fp_ieee_invalid_op 0
		.amdhsa_exception_fp_denorm_src 0
		.amdhsa_exception_fp_ieee_div_zero 0
		.amdhsa_exception_fp_ieee_overflow 0
		.amdhsa_exception_fp_ieee_underflow 0
		.amdhsa_exception_fp_ieee_inexact 0
		.amdhsa_exception_int_div_zero 0
	.end_amdhsa_kernel
	.section	.text._ZN2at6native18radixSortKVInPlaceILi2ELin1ELi128ELi8ElljEEvNS_4cuda6detail10TensorInfoIT3_T5_EES6_S6_S6_NS4_IT4_S6_EES6_b,"axG",@progbits,_ZN2at6native18radixSortKVInPlaceILi2ELin1ELi128ELi8ElljEEvNS_4cuda6detail10TensorInfoIT3_T5_EES6_S6_S6_NS4_IT4_S6_EES6_b,comdat
.Lfunc_end147:
	.size	_ZN2at6native18radixSortKVInPlaceILi2ELin1ELi128ELi8ElljEEvNS_4cuda6detail10TensorInfoIT3_T5_EES6_S6_S6_NS4_IT4_S6_EES6_b, .Lfunc_end147-_ZN2at6native18radixSortKVInPlaceILi2ELin1ELi128ELi8ElljEEvNS_4cuda6detail10TensorInfoIT3_T5_EES6_S6_S6_NS4_IT4_S6_EES6_b
                                        ; -- End function
	.section	.AMDGPU.csdata,"",@progbits
; Kernel info:
; codeLenInByte = 13104
; NumSgprs: 62
; NumVgprs: 139
; NumAgprs: 0
; TotalNumVgprs: 139
; ScratchSize: 0
; MemoryBound: 0
; FloatMode: 240
; IeeeMode: 1
; LDSByteSize: 8448 bytes/workgroup (compile time only)
; SGPRBlocks: 7
; VGPRBlocks: 17
; NumSGPRsForWavesPerEU: 62
; NumVGPRsForWavesPerEU: 139
; AccumOffset: 140
; Occupancy: 3
; WaveLimiterHint : 1
; COMPUTE_PGM_RSRC2:SCRATCH_EN: 0
; COMPUTE_PGM_RSRC2:USER_SGPR: 6
; COMPUTE_PGM_RSRC2:TRAP_HANDLER: 0
; COMPUTE_PGM_RSRC2:TGID_X_EN: 1
; COMPUTE_PGM_RSRC2:TGID_Y_EN: 1
; COMPUTE_PGM_RSRC2:TGID_Z_EN: 1
; COMPUTE_PGM_RSRC2:TIDIG_COMP_CNT: 2
; COMPUTE_PGM_RSRC3_GFX90A:ACCUM_OFFSET: 34
; COMPUTE_PGM_RSRC3_GFX90A:TG_SPLIT: 0
	.section	.text._ZN2at6native18radixSortKVInPlaceILi2ELin1ELi32ELi4ElljEEvNS_4cuda6detail10TensorInfoIT3_T5_EES6_S6_S6_NS4_IT4_S6_EES6_b,"axG",@progbits,_ZN2at6native18radixSortKVInPlaceILi2ELin1ELi32ELi4ElljEEvNS_4cuda6detail10TensorInfoIT3_T5_EES6_S6_S6_NS4_IT4_S6_EES6_b,comdat
	.protected	_ZN2at6native18radixSortKVInPlaceILi2ELin1ELi32ELi4ElljEEvNS_4cuda6detail10TensorInfoIT3_T5_EES6_S6_S6_NS4_IT4_S6_EES6_b ; -- Begin function _ZN2at6native18radixSortKVInPlaceILi2ELin1ELi32ELi4ElljEEvNS_4cuda6detail10TensorInfoIT3_T5_EES6_S6_S6_NS4_IT4_S6_EES6_b
	.globl	_ZN2at6native18radixSortKVInPlaceILi2ELin1ELi32ELi4ElljEEvNS_4cuda6detail10TensorInfoIT3_T5_EES6_S6_S6_NS4_IT4_S6_EES6_b
	.p2align	8
	.type	_ZN2at6native18radixSortKVInPlaceILi2ELin1ELi32ELi4ElljEEvNS_4cuda6detail10TensorInfoIT3_T5_EES6_S6_S6_NS4_IT4_S6_EES6_b,@function
_ZN2at6native18radixSortKVInPlaceILi2ELin1ELi32ELi4ElljEEvNS_4cuda6detail10TensorInfoIT3_T5_EES6_S6_S6_NS4_IT4_S6_EES6_b: ; @_ZN2at6native18radixSortKVInPlaceILi2ELin1ELi32ELi4ElljEEvNS_4cuda6detail10TensorInfoIT3_T5_EES6_S6_S6_NS4_IT4_S6_EES6_b
; %bb.0:
	s_load_dwordx2 s[0:1], s[4:5], 0x1c8
	s_load_dwordx4 s[24:27], s[4:5], 0xd8
	s_waitcnt lgkmcnt(0)
	s_mul_i32 s1, s1, s8
	s_add_i32 s1, s1, s7
	s_mul_i32 s8, s1, s0
	s_add_i32 s8, s8, s6
	s_cmp_ge_u32 s8, s24
	s_cbranch_scc1 .LBB148_60
; %bb.1:
	s_load_dword s9, s[4:5], 0xc
	s_load_dwordx2 s[0:1], s[4:5], 0x6c
	s_load_dword s6, s[4:5], 0x1b8
	s_add_u32 s14, s4, 0xe8
	s_load_dwordx2 s[2:3], s[4:5], 0x0
	s_waitcnt lgkmcnt(0)
	v_cvt_f32_u32_e32 v1, s9
	s_addc_u32 s15, s5, 0
	s_sub_i32 s7, 0, s9
	s_mov_b32 s13, 0
	v_rcp_iflag_f32_e32 v1, v1
	s_mov_b32 s12, s8
	v_mul_f32_e32 v1, 0x4f7ffffe, v1
	v_cvt_u32_f32_e32 v1, v1
	v_readfirstlane_b32 s10, v1
	s_mul_i32 s7, s7, s10
	s_mul_hi_u32 s7, s10, s7
	s_add_i32 s10, s10, s7
	s_mul_hi_u32 s10, s8, s10
	s_cmp_lt_i32 s6, 2
	s_cbranch_scc1 .LBB148_4
; %bb.2:
	s_add_i32 s12, s6, -1
	s_add_i32 s11, s6, 1
	s_lshl_b64 s[6:7], s[12:13], 2
	s_add_u32 s6, s6, s14
	s_addc_u32 s7, s7, s15
	s_add_u32 s6, s6, 8
	s_addc_u32 s7, s7, 0
	s_mov_b32 s12, s8
.LBB148_3:                              ; =>This Inner Loop Header: Depth=1
	s_load_dword s16, s[6:7], 0x0
	s_load_dword s18, s[6:7], 0x64
	s_mov_b32 s17, s12
	s_waitcnt lgkmcnt(0)
	v_cvt_f32_u32_e32 v1, s16
	s_sub_i32 s12, 0, s16
	v_rcp_iflag_f32_e32 v1, v1
	v_mul_f32_e32 v1, 0x4f7ffffe, v1
	v_cvt_u32_f32_e32 v1, v1
	v_readfirstlane_b32 s19, v1
	s_mul_i32 s12, s12, s19
	s_mul_hi_u32 s12, s19, s12
	s_add_i32 s19, s19, s12
	s_mul_hi_u32 s12, s17, s19
	s_mul_i32 s19, s12, s16
	s_sub_i32 s19, s17, s19
	s_add_i32 s20, s12, 1
	s_sub_i32 s21, s19, s16
	s_cmp_ge_u32 s19, s16
	s_cselect_b32 s12, s20, s12
	s_cselect_b32 s19, s21, s19
	s_add_i32 s20, s12, 1
	s_cmp_ge_u32 s19, s16
	s_cselect_b32 s12, s20, s12
	s_mul_i32 s16, s12, s16
	s_sub_i32 s16, s17, s16
	s_mul_i32 s16, s18, s16
	s_add_i32 s11, s11, -1
	s_add_i32 s13, s16, s13
	s_add_u32 s6, s6, -4
	s_addc_u32 s7, s7, -1
	s_cmp_gt_u32 s11, 2
	s_cbranch_scc1 .LBB148_3
.LBB148_4:
	s_mul_i32 s6, s10, s9
	s_sub_i32 s6, s8, s6
	s_add_i32 s7, s10, 1
	s_sub_i32 s11, s6, s9
	s_cmp_ge_u32 s6, s9
	s_cselect_b32 s7, s7, s10
	s_cselect_b32 s6, s11, s6
	s_add_i32 s10, s7, 1
	s_cmp_ge_u32 s6, s9
	s_cselect_b32 s6, s10, s7
	s_load_dwordx2 s[28:29], s[4:5], 0x1c0
	s_mul_i32 s7, s6, s9
	s_sub_i32 s4, s8, s7
	s_mul_i32 s4, s4, s1
	s_mul_i32 s0, s6, s0
	s_add_i32 s0, s0, s4
	s_waitcnt lgkmcnt(0)
	s_bitcmp1_b32 s29, 0
	s_cselect_b64 s[16:17], -1, 0
	s_and_b64 s[4:5], s[16:17], exec
	s_mov_b32 s1, 0
	s_brev_b32 s5, 1
	s_cselect_b32 s4, 0, -1
	s_cselect_b32 s5, s5, 0x7fffffff
	s_lshl_b64 s[0:1], s[0:1], 3
	s_add_u32 s27, s2, s0
	s_mov_b32 s6, s4
	s_mov_b32 s7, s5
	;; [unrolled: 1-line block ×6, first 2 shown]
	v_pk_mov_b32 v[2:3], s[4:5], s[4:5] op_sel:[0,1]
	s_addc_u32 s29, s3, s1
	v_cmp_gt_u32_e64 s[0:1], s25, v0
	v_pk_mov_b32 v[4:5], s[6:7], s[6:7] op_sel:[0,1]
	v_pk_mov_b32 v[6:7], s[8:9], s[8:9] op_sel:[0,1]
	;; [unrolled: 1-line block ×4, first 2 shown]
	v_mul_lo_u32 v34, v0, s26
	s_and_saveexec_b64 s[2:3], s[0:1]
	s_cbranch_execz .LBB148_6
; %bb.5:
	v_mov_b32_e32 v35, 0
	v_lshlrev_b64 v[2:3], 3, v[34:35]
	v_mov_b32_e32 v1, s29
	v_add_co_u32_e32 v2, vcc, s27, v2
	v_addc_co_u32_e32 v3, vcc, v1, v3, vcc
	global_load_dwordx2 v[10:11], v[2:3], off
	v_pk_mov_b32 v[2:3], s[4:5], s[4:5] op_sel:[0,1]
	v_pk_mov_b32 v[4:5], s[6:7], s[6:7] op_sel:[0,1]
	;; [unrolled: 1-line block ×4, first 2 shown]
.LBB148_6:
	s_or_b64 exec, exec, s[2:3]
	v_or_b32_e32 v1, 32, v0
	v_cmp_gt_u32_e64 s[2:3], s25, v1
	s_and_saveexec_b64 s[4:5], s[2:3]
	s_cbranch_execz .LBB148_8
; %bb.7:
	v_mul_lo_u32 v2, v1, s26
	v_mov_b32_e32 v3, 0
	v_lshlrev_b64 v[2:3], 3, v[2:3]
	v_mov_b32_e32 v4, s29
	v_add_co_u32_e32 v2, vcc, s27, v2
	v_addc_co_u32_e32 v3, vcc, v4, v3, vcc
	global_load_dwordx2 v[4:5], v[2:3], off
.LBB148_8:
	s_or_b64 exec, exec, s[4:5]
	s_load_dwordx2 s[10:11], s[14:15], 0x0
	v_or_b32_e32 v19, 64, v0
	v_cmp_gt_u32_e64 s[4:5], s25, v19
	s_and_saveexec_b64 s[6:7], s[4:5]
	s_cbranch_execz .LBB148_10
; %bb.9:
	v_mul_lo_u32 v2, v19, s26
	v_mov_b32_e32 v3, 0
	v_lshlrev_b64 v[2:3], 3, v[2:3]
	v_mov_b32_e32 v6, s29
	v_add_co_u32_e32 v2, vcc, s27, v2
	v_addc_co_u32_e32 v3, vcc, v6, v3, vcc
	global_load_dwordx2 v[6:7], v[2:3], off
.LBB148_10:
	s_or_b64 exec, exec, s[6:7]
	s_load_dword s14, s[14:15], 0x6c
	v_or_b32_e32 v20, 0x60, v0
	v_cmp_gt_u32_e64 s[6:7], s25, v20
	s_and_saveexec_b64 s[8:9], s[6:7]
	s_cbranch_execz .LBB148_12
; %bb.11:
	v_mul_lo_u32 v2, v20, s26
	v_mov_b32_e32 v3, 0
	v_lshlrev_b64 v[2:3], 3, v[2:3]
	v_mov_b32_e32 v8, s29
	v_add_co_u32_e32 v2, vcc, s27, v2
	v_addc_co_u32_e32 v3, vcc, v8, v3, vcc
	global_load_dwordx2 v[8:9], v[2:3], off
.LBB148_12:
	s_or_b64 exec, exec, s[8:9]
	v_lshrrev_b32_e32 v2, 5, v1
	v_add_lshl_u32 v55, v2, v0, 3
	v_lshrrev_b32_e32 v2, 5, v19
	v_add_lshl_u32 v56, v2, v0, 3
	;; [unrolled: 2-line block ×3, first 2 shown]
	v_lshlrev_b32_e32 v18, 2, v0
	v_lshrrev_b32_e32 v2, 3, v0
	v_or_b32_e32 v2, v2, v18
	s_waitcnt lgkmcnt(0)
	s_mul_i32 s8, s14, s12
	v_lshlrev_b32_e32 v54, 3, v0
	v_lshlrev_b32_e32 v58, 3, v2
	s_add_i32 s8, s8, s13
	s_mov_b32 s9, 0
	s_waitcnt vmcnt(0)
	ds_write_b64 v54, v[10:11]
	ds_write_b64 v55, v[4:5] offset:256
	ds_write_b64 v56, v[6:7] offset:512
	;; [unrolled: 1-line block ×3, first 2 shown]
	s_waitcnt lgkmcnt(0)
	; wave barrier
	s_waitcnt lgkmcnt(0)
	ds_read2_b64 v[14:17], v58 offset1:1
	ds_read2_b64 v[10:13], v58 offset0:2 offset1:3
	s_lshl_b64 s[12:13], s[8:9], 3
	s_add_u32 s33, s10, s12
	s_mov_b32 s8, s9
	s_addc_u32 s38, s11, s13
	s_mov_b32 s10, s9
	s_mov_b32 s11, s9
	;; [unrolled: 1-line block ×6, first 2 shown]
	v_pk_mov_b32 v[2:3], s[8:9], s[8:9] op_sel:[0,1]
	v_pk_mov_b32 v[4:5], s[10:11], s[10:11] op_sel:[0,1]
	;; [unrolled: 1-line block ×4, first 2 shown]
	v_pk_mov_b32 v[2:3], 0, 0
	v_mul_lo_u32 v36, v0, s28
	s_waitcnt lgkmcnt(0)
	; wave barrier
	s_waitcnt lgkmcnt(0)
	s_and_saveexec_b64 s[8:9], s[0:1]
	s_cbranch_execnz .LBB148_32
; %bb.13:
	s_or_b64 exec, exec, s[8:9]
	s_and_saveexec_b64 s[8:9], s[2:3]
	s_cbranch_execnz .LBB148_33
.LBB148_14:
	s_or_b64 exec, exec, s[8:9]
	s_and_saveexec_b64 s[8:9], s[4:5]
	s_cbranch_execnz .LBB148_34
.LBB148_15:
	s_or_b64 exec, exec, s[8:9]
	s_xor_b64 s[24:25], s[16:17], -1
	s_and_saveexec_b64 s[8:9], s[6:7]
	s_cbranch_execz .LBB148_17
.LBB148_16:
	v_mul_lo_u32 v8, v20, s28
	v_mov_b32_e32 v9, 0
	v_lshlrev_b64 v[8:9], 3, v[8:9]
	v_mov_b32_e32 v19, s38
	v_add_co_u32_e32 v8, vcc, s33, v8
	v_addc_co_u32_e32 v9, vcc, v19, v9, vcc
	global_load_dwordx2 v[8:9], v[8:9], off
.LBB148_17:
	s_or_b64 exec, exec, s[8:9]
	v_mbcnt_lo_u32_b32 v19, -1, 0
	v_mbcnt_hi_u32_b32 v19, -1, v19
	s_getpc_b64 s[8:9]
	s_add_u32 s8, s8, _ZN7rocprim17ROCPRIM_400000_NS16block_radix_sortIlLj32ELj4ElLj1ELj1ELj0ELNS0_26block_radix_rank_algorithmE1ELNS0_18block_padding_hintE2ELNS0_4arch9wavefront6targetE1EE19radix_bits_per_passE@rel32@lo+4
	s_addc_u32 s9, s9, _ZN7rocprim17ROCPRIM_400000_NS16block_radix_sortIlLj32ELj4ElLj1ELj1ELj0ELNS0_26block_radix_rank_algorithmE1ELNS0_18block_padding_hintE2ELNS0_4arch9wavefront6targetE1EE19radix_bits_per_passE@rel32@hi+12
	v_and_b32_e32 v20, 15, v19
	s_waitcnt vmcnt(0)
	ds_write_b64 v54, v[2:3]
	ds_write_b64 v55, v[4:5] offset:256
	ds_write_b64 v56, v[6:7] offset:512
	;; [unrolled: 1-line block ×3, first 2 shown]
	s_waitcnt lgkmcnt(0)
	; wave barrier
	s_waitcnt lgkmcnt(0)
	ds_read2_b64 v[2:5], v58 offset1:1
	ds_read2_b64 v[6:9], v58 offset0:2 offset1:3
	s_load_dword s39, s[8:9], 0x0
	v_cmp_eq_u32_e64 s[10:11], 0, v20
	v_cmp_lt_u32_e64 s[12:13], 1, v20
	v_cmp_lt_u32_e64 s[14:15], 3, v20
	;; [unrolled: 1-line block ×3, first 2 shown]
	v_and_b32_e32 v20, 16, v19
	v_cmp_eq_u32_e64 s[18:19], 0, v20
	v_add_u32_e32 v20, -1, v19
	v_and_b32_e32 v21, 0x60, v19
	v_cmp_lt_i32_e32 vcc, v20, v21
	s_movk_i32 s8, 0x100
	v_cndmask_b32_e32 v20, v20, v19, vcc
	v_cmp_gt_u32_e64 s[8:9], s8, v0
	v_lshlrev_b32_e32 v37, 5, v0
	s_mov_b32 s40, 0
	v_cmp_eq_u32_e64 s[20:21], 31, v0
	v_lshlrev_b32_e32 v59, 2, v20
	v_cmp_eq_u32_e64 s[22:23], 0, v19
	v_lshlrev_b32_e32 v35, 3, v18
	s_and_b64 vcc, exec, s[24:25]
	v_add_u32_e64 v60, 7, 2
	s_waitcnt lgkmcnt(0)
	; wave barrier
	s_waitcnt lgkmcnt(0)
	s_cbranch_vccz .LBB148_35
; %bb.18:
	v_xor_b32_e32 v19, 0x80000000, v15
	v_mov_b32_e32 v18, v14
	v_xor_b32_e32 v21, 0x80000000, v17
	v_mov_b32_e32 v20, v16
	v_xor_b32_e32 v23, 0x80000000, v11
	v_mov_b32_e32 v22, v10
	v_xor_b32_e32 v25, 0x80000000, v13
	v_mov_b32_e32 v24, v12
	v_and_b32_e32 v61, 14, v60
	v_mov_b32_e32 v62, 0
	s_movk_i32 s41, 0xe0
	v_pk_mov_b32 v[26:27], v[2:3], v[2:3] op_sel:[0,1]
	v_pk_mov_b32 v[28:29], v[4:5], v[4:5] op_sel:[0,1]
	;; [unrolled: 1-line block ×4, first 2 shown]
	s_branch .LBB148_20
.LBB148_19:                             ;   in Loop: Header=BB148_20 Depth=1
	v_lshlrev_b32_e32 v26, 3, v66
	v_lshlrev_b32_e32 v27, 3, v64
	;; [unrolled: 1-line block ×4, first 2 shown]
	s_waitcnt lgkmcnt(0)
	; wave barrier
	ds_write_b64 v26, v[52:53]
	ds_write_b64 v27, v[50:51]
	;; [unrolled: 1-line block ×4, first 2 shown]
	s_waitcnt lgkmcnt(0)
	; wave barrier
	s_waitcnt lgkmcnt(0)
	ds_read2_b64 v[18:21], v35 offset1:1
	ds_read2_b64 v[22:25], v35 offset0:2 offset1:3
	s_waitcnt lgkmcnt(0)
	; wave barrier
	s_waitcnt lgkmcnt(0)
	ds_write_b64 v26, v[44:45]
	ds_write_b64 v27, v[42:43]
	;; [unrolled: 1-line block ×4, first 2 shown]
	s_waitcnt lgkmcnt(0)
	; wave barrier
	s_waitcnt lgkmcnt(0)
	ds_read2_b64 v[26:29], v35 offset1:1
	ds_read2_b64 v[30:33], v35 offset0:2 offset1:3
	s_add_i32 s40, s40, 4
	s_waitcnt lgkmcnt(0)
	; wave barrier
	s_waitcnt lgkmcnt(0)
	s_cbranch_execz .LBB148_31
.LBB148_20:                             ; =>This Loop Header: Depth=1
                                        ;     Child Loop BB148_23 Depth 2
	v_pk_mov_b32 v[46:47], v[24:25], v[24:25] op_sel:[0,1]
	v_pk_mov_b32 v[48:49], v[22:23], v[22:23] op_sel:[0,1]
	v_pk_mov_b32 v[50:51], v[20:21], v[20:21] op_sel:[0,1]
	v_pk_mov_b32 v[52:53], v[18:19], v[18:19] op_sel:[0,1]
	v_pk_mov_b32 v[38:39], v[32:33], v[32:33] op_sel:[0,1]
	v_pk_mov_b32 v[40:41], v[30:31], v[30:31] op_sel:[0,1]
	v_pk_mov_b32 v[42:43], v[28:29], v[28:29] op_sel:[0,1]
	v_pk_mov_b32 v[44:45], v[26:27], v[26:27] op_sel:[0,1]
	s_and_saveexec_b64 s[24:25], s[8:9]
	s_cbranch_execz .LBB148_27
; %bb.21:                               ;   in Loop: Header=BB148_20 Depth=1
	s_mov_b32 s42, 0
	s_mov_b64 s[30:31], 0
	v_pk_mov_b32 v[18:19], v[0:1], v[0:1] op_sel:[0,1]
	s_branch .LBB148_23
.LBB148_22:                             ;   in Loop: Header=BB148_23 Depth=2
	s_or_b64 exec, exec, s[36:37]
	s_add_i32 s42, s42, 2
	v_cmp_eq_u32_e32 vcc, s42, v61
	v_add_u32_e32 v19, 64, v19
	s_or_b64 s[30:31], vcc, s[30:31]
	v_add_u32_e32 v18, 64, v18
	s_andn2_b64 exec, exec, s[30:31]
	s_cbranch_execz .LBB148_27
.LBB148_23:                             ;   Parent Loop BB148_20 Depth=1
                                        ; =>  This Inner Loop Header: Depth=2
	s_or_b32 s34, s42, 1
	v_cmp_le_u32_e64 s[34:35], s34, 7
	v_cmp_le_u32_e64 s[44:45], s42, 7
	s_and_saveexec_b64 s[36:37], s[44:45]
	s_cbranch_execz .LBB148_25
; %bb.24:                               ;   in Loop: Header=BB148_23 Depth=2
	v_lshlrev_b32_e32 v20, 2, v18
	ds_write_b32 v20, v62
.LBB148_25:                             ;   in Loop: Header=BB148_23 Depth=2
	s_or_b64 exec, exec, s[36:37]
	s_and_saveexec_b64 s[36:37], s[34:35]
	s_cbranch_execz .LBB148_22
; %bb.26:                               ;   in Loop: Header=BB148_23 Depth=2
	v_lshlrev_b32_e32 v20, 2, v19
	ds_write_b32 v20, v62
	s_branch .LBB148_22
.LBB148_27:                             ;   in Loop: Header=BB148_20 Depth=1
	s_or_b64 exec, exec, s[24:25]
	s_sub_i32 s24, 64, s40
	s_min_u32 s24, s39, s24
	s_lshl_b32 s24, -1, s24
	s_not_b32 s24, s24
	v_lshrrev_b64 v[18:19], s40, v[52:53]
	v_and_b32_e32 v18, s24, v18
	v_lshrrev_b32_e32 v19, 3, v18
	v_lshlrev_b32_e32 v18, 5, v18
	v_and_or_b32 v18, v18, s41, v0
	v_lshlrev_b32_e32 v18, 1, v18
	v_add_lshl_u32 v27, v18, v19, 1
	ds_read_u16 v26, v27
	v_lshrrev_b64 v[18:19], s40, v[50:51]
	v_and_b32_e32 v18, s24, v18
	s_waitcnt lgkmcnt(0)
	v_add_u16_e32 v19, 1, v26
	ds_write_b16 v27, v19
	v_lshrrev_b32_e32 v19, 3, v18
	v_lshlrev_b32_e32 v18, 5, v18
	v_and_or_b32 v18, v18, s41, v0
	v_lshlrev_b32_e32 v18, 1, v18
	v_add_lshl_u32 v29, v18, v19, 1
	ds_read_u16 v28, v29
	s_waitcnt lgkmcnt(0)
	v_add_u16_e32 v18, 1, v28
	ds_write_b16 v29, v18
	v_lshrrev_b64 v[18:19], s40, v[48:49]
	v_and_b32_e32 v18, s24, v18
	v_lshrrev_b32_e32 v19, 3, v18
	v_lshlrev_b32_e32 v18, 5, v18
	v_and_or_b32 v18, v18, s41, v0
	v_lshlrev_b32_e32 v18, 1, v18
	v_add_lshl_u32 v31, v18, v19, 1
	ds_read_u16 v30, v31
	s_waitcnt lgkmcnt(0)
	v_add_u16_e32 v18, 1, v30
	ds_write_b16 v31, v18
	v_lshrrev_b64 v[18:19], s40, v[46:47]
	v_and_b32_e32 v18, s24, v18
	v_lshrrev_b32_e32 v19, 3, v18
	v_lshlrev_b32_e32 v18, 5, v18
	v_and_or_b32 v18, v18, s41, v0
	v_lshlrev_b32_e32 v18, 1, v18
	v_add_lshl_u32 v33, v18, v19, 1
	ds_read_u16 v32, v33
	s_waitcnt lgkmcnt(0)
	v_add_u16_e32 v18, 1, v32
	ds_write_b16 v33, v18
	s_waitcnt lgkmcnt(0)
	; wave barrier
	s_waitcnt lgkmcnt(0)
	ds_read2_b32 v[24:25], v37 offset1:1
	ds_read2_b32 v[22:23], v37 offset0:2 offset1:3
	ds_read2_b32 v[18:19], v37 offset0:4 offset1:5
	;; [unrolled: 1-line block ×3, first 2 shown]
	s_waitcnt lgkmcnt(3)
	v_add_u32_e32 v63, v25, v24
	s_waitcnt lgkmcnt(2)
	v_add3_u32 v63, v63, v22, v23
	s_waitcnt lgkmcnt(1)
	v_add3_u32 v63, v63, v18, v19
	;; [unrolled: 2-line block ×3, first 2 shown]
	s_nop 1
	v_mov_b32_dpp v63, v21 row_shr:1 row_mask:0xf bank_mask:0xf
	v_cndmask_b32_e64 v63, v63, 0, s[10:11]
	v_add_u32_e32 v21, v63, v21
	s_nop 1
	v_mov_b32_dpp v63, v21 row_shr:2 row_mask:0xf bank_mask:0xf
	v_cndmask_b32_e64 v63, 0, v63, s[12:13]
	v_add_u32_e32 v21, v21, v63
	;; [unrolled: 4-line block ×4, first 2 shown]
	s_nop 1
	v_mov_b32_dpp v63, v21 row_bcast:15 row_mask:0xf bank_mask:0xf
	v_cndmask_b32_e64 v63, v63, 0, s[18:19]
	v_add_u32_e32 v21, v21, v63
	s_and_saveexec_b64 s[24:25], s[20:21]
	s_cbranch_execz .LBB148_29
; %bb.28:                               ;   in Loop: Header=BB148_20 Depth=1
	ds_write_b32 v62, v21 offset:1024
.LBB148_29:                             ;   in Loop: Header=BB148_20 Depth=1
	s_or_b64 exec, exec, s[24:25]
	ds_bpermute_b32 v21, v59, v21
	s_waitcnt lgkmcnt(0)
	; wave barrier
	s_waitcnt lgkmcnt(0)
	ds_read_b32 v63, v62 offset:1024
	s_cmp_gt_u32 s40, 59
	v_cndmask_b32_e64 v21, v21, 0, s[22:23]
	s_waitcnt lgkmcnt(0)
	v_lshl_add_u32 v21, v63, 16, v21
	v_add_u32_e32 v24, v21, v24
	v_add_u32_e32 v25, v24, v25
	ds_write2_b32 v37, v21, v24 offset1:1
	v_add_u32_e32 v21, v25, v22
	v_add_u32_e32 v22, v21, v23
	;; [unrolled: 1-line block ×5, first 2 shown]
	ds_write2_b32 v37, v25, v21 offset0:2 offset1:3
	ds_write2_b32 v37, v22, v18 offset0:4 offset1:5
	;; [unrolled: 1-line block ×3, first 2 shown]
	s_waitcnt lgkmcnt(0)
	; wave barrier
	s_waitcnt lgkmcnt(0)
	ds_read_u16 v18, v27
	ds_read_u16 v19, v29
	;; [unrolled: 1-line block ×4, first 2 shown]
	s_waitcnt lgkmcnt(3)
	v_add_u32_sdwa v66, v18, v26 dst_sel:DWORD dst_unused:UNUSED_PAD src0_sel:DWORD src1_sel:WORD_0
	s_waitcnt lgkmcnt(2)
	v_add_u32_sdwa v64, v19, v28 dst_sel:DWORD dst_unused:UNUSED_PAD src0_sel:DWORD src1_sel:WORD_0
	;; [unrolled: 2-line block ×4, first 2 shown]
	s_cbranch_scc0 .LBB148_19
; %bb.30:
                                        ; implicit-def: $vgpr24_vgpr25
                                        ; implicit-def: $vgpr20_vgpr21
                                        ; implicit-def: $vgpr32_vgpr33
                                        ; implicit-def: $vgpr28_vgpr29
                                        ; implicit-def: $sgpr40
.LBB148_31:
	v_lshlrev_b32_e32 v18, 3, v66
	v_lshlrev_b32_e32 v19, 3, v64
	;; [unrolled: 1-line block ×4, first 2 shown]
	s_waitcnt lgkmcnt(0)
	; wave barrier
	ds_write_b64 v18, v[52:53]
	ds_write_b64 v19, v[50:51]
	;; [unrolled: 1-line block ×4, first 2 shown]
	s_waitcnt lgkmcnt(0)
	; wave barrier
	s_waitcnt lgkmcnt(0)
	ds_read2_b64 v[26:29], v35 offset1:1
	ds_read2_b64 v[30:33], v35 offset0:2 offset1:3
	s_waitcnt lgkmcnt(0)
	; wave barrier
	s_waitcnt lgkmcnt(0)
	ds_write_b64 v18, v[44:45]
	ds_write_b64 v19, v[42:43]
	;; [unrolled: 1-line block ×4, first 2 shown]
	s_waitcnt lgkmcnt(0)
	; wave barrier
	s_waitcnt lgkmcnt(0)
	ds_read2_b64 v[18:21], v35 offset1:1
	ds_read2_b64 v[22:25], v35 offset0:2 offset1:3
	v_xor_b32_e32 v27, 0x80000000, v27
	v_xor_b32_e32 v29, 0x80000000, v29
	;; [unrolled: 1-line block ×4, first 2 shown]
	s_branch .LBB148_50
.LBB148_32:
	v_mov_b32_e32 v37, 0
	v_lshlrev_b64 v[2:3], 3, v[36:37]
	v_mov_b32_e32 v4, s38
	v_add_co_u32_e32 v2, vcc, s33, v2
	v_addc_co_u32_e32 v3, vcc, v4, v3, vcc
	global_load_dwordx2 v[2:3], v[2:3], off
	v_mov_b32_e32 v4, v37
	v_mov_b32_e32 v5, v37
	;; [unrolled: 1-line block ×6, first 2 shown]
	s_or_b64 exec, exec, s[8:9]
	s_and_saveexec_b64 s[8:9], s[2:3]
	s_cbranch_execz .LBB148_14
.LBB148_33:
	v_mul_lo_u32 v4, v1, s28
	v_mov_b32_e32 v5, 0
	v_lshlrev_b64 v[4:5], 3, v[4:5]
	v_mov_b32_e32 v21, s38
	v_add_co_u32_e32 v4, vcc, s33, v4
	v_addc_co_u32_e32 v5, vcc, v21, v5, vcc
	global_load_dwordx2 v[4:5], v[4:5], off
	s_or_b64 exec, exec, s[8:9]
	s_and_saveexec_b64 s[8:9], s[4:5]
	s_cbranch_execz .LBB148_15
.LBB148_34:
	v_mul_lo_u32 v6, v19, s28
	v_mov_b32_e32 v7, 0
	v_lshlrev_b64 v[6:7], 3, v[6:7]
	v_mov_b32_e32 v19, s38
	v_add_co_u32_e32 v6, vcc, s33, v6
	v_addc_co_u32_e32 v7, vcc, v19, v7, vcc
	global_load_dwordx2 v[6:7], v[6:7], off
	s_or_b64 exec, exec, s[8:9]
	s_xor_b64 s[24:25], s[16:17], -1
	s_and_saveexec_b64 s[8:9], s[6:7]
	s_cbranch_execnz .LBB148_16
	s_branch .LBB148_17
.LBB148_35:
                                        ; implicit-def: $vgpr32_vgpr33
                                        ; implicit-def: $vgpr28_vgpr29
                                        ; implicit-def: $vgpr24_vgpr25
                                        ; implicit-def: $vgpr20_vgpr21
	s_cbranch_execz .LBB148_50
; %bb.36:
	v_xor_b32_e32 v15, 0x7fffffff, v15
	v_xor_b32_e32 v14, -1, v14
	v_xor_b32_e32 v17, 0x7fffffff, v17
	v_xor_b32_e32 v16, -1, v16
	;; [unrolled: 2-line block ×4, first 2 shown]
	v_and_b32_e32 v38, 14, v60
	s_mov_b32 s41, 0
	v_mov_b32_e32 v39, 0
	s_movk_i32 s40, 0xe0
	s_branch .LBB148_38
.LBB148_37:                             ;   in Loop: Header=BB148_38 Depth=1
	v_lshlrev_b32_e32 v2, 3, v43
	v_lshlrev_b32_e32 v3, 3, v41
	;; [unrolled: 1-line block ×4, first 2 shown]
	s_waitcnt lgkmcnt(0)
	; wave barrier
	ds_write_b64 v2, v[32:33]
	ds_write_b64 v3, v[30:31]
	;; [unrolled: 1-line block ×4, first 2 shown]
	s_waitcnt lgkmcnt(0)
	; wave barrier
	s_waitcnt lgkmcnt(0)
	ds_read2_b64 v[14:17], v35 offset1:1
	ds_read2_b64 v[10:13], v35 offset0:2 offset1:3
	s_waitcnt lgkmcnt(0)
	; wave barrier
	s_waitcnt lgkmcnt(0)
	ds_write_b64 v2, v[24:25]
	ds_write_b64 v3, v[22:23]
	;; [unrolled: 1-line block ×4, first 2 shown]
	s_waitcnt lgkmcnt(0)
	; wave barrier
	s_waitcnt lgkmcnt(0)
	ds_read2_b64 v[2:5], v35 offset1:1
	ds_read2_b64 v[6:9], v35 offset0:2 offset1:3
	s_add_i32 s41, s41, 4
	s_waitcnt lgkmcnt(0)
	; wave barrier
	s_waitcnt lgkmcnt(0)
	s_cbranch_execz .LBB148_49
.LBB148_38:                             ; =>This Loop Header: Depth=1
                                        ;     Child Loop BB148_41 Depth 2
	v_pk_mov_b32 v[26:27], v[12:13], v[12:13] op_sel:[0,1]
	v_pk_mov_b32 v[28:29], v[10:11], v[10:11] op_sel:[0,1]
	;; [unrolled: 1-line block ×4, first 2 shown]
	s_waitcnt lgkmcnt(1)
	v_pk_mov_b32 v[18:19], v[8:9], v[8:9] op_sel:[0,1]
	v_pk_mov_b32 v[20:21], v[6:7], v[6:7] op_sel:[0,1]
	s_waitcnt lgkmcnt(0)
	v_pk_mov_b32 v[22:23], v[4:5], v[4:5] op_sel:[0,1]
	v_pk_mov_b32 v[24:25], v[2:3], v[2:3] op_sel:[0,1]
	s_and_saveexec_b64 s[24:25], s[8:9]
	s_cbranch_execz .LBB148_45
; %bb.39:                               ;   in Loop: Header=BB148_38 Depth=1
	s_mov_b32 s42, 0
	s_mov_b64 s[30:31], 0
	v_pk_mov_b32 v[2:3], v[0:1], v[0:1] op_sel:[0,1]
	s_branch .LBB148_41
.LBB148_40:                             ;   in Loop: Header=BB148_41 Depth=2
	s_or_b64 exec, exec, s[36:37]
	s_add_i32 s42, s42, 2
	v_cmp_eq_u32_e32 vcc, s42, v38
	v_add_u32_e32 v3, 64, v3
	s_or_b64 s[30:31], vcc, s[30:31]
	v_add_u32_e32 v2, 64, v2
	s_andn2_b64 exec, exec, s[30:31]
	s_cbranch_execz .LBB148_45
.LBB148_41:                             ;   Parent Loop BB148_38 Depth=1
                                        ; =>  This Inner Loop Header: Depth=2
	s_or_b32 s34, s42, 1
	v_cmp_le_u32_e64 s[34:35], s34, 7
	v_cmp_le_u32_e64 s[44:45], s42, 7
	s_and_saveexec_b64 s[36:37], s[44:45]
	s_cbranch_execz .LBB148_43
; %bb.42:                               ;   in Loop: Header=BB148_41 Depth=2
	v_lshlrev_b32_e32 v4, 2, v2
	ds_write_b32 v4, v39
.LBB148_43:                             ;   in Loop: Header=BB148_41 Depth=2
	s_or_b64 exec, exec, s[36:37]
	s_and_saveexec_b64 s[36:37], s[34:35]
	s_cbranch_execz .LBB148_40
; %bb.44:                               ;   in Loop: Header=BB148_41 Depth=2
	v_lshlrev_b32_e32 v4, 2, v3
	ds_write_b32 v4, v39
	s_branch .LBB148_40
.LBB148_45:                             ;   in Loop: Header=BB148_38 Depth=1
	s_or_b64 exec, exec, s[24:25]
	s_sub_i32 s24, 64, s41
	s_min_u32 s24, s39, s24
	s_lshl_b32 s24, -1, s24
	s_not_b32 s24, s24
	v_lshrrev_b64 v[2:3], s41, v[32:33]
	v_and_b32_e32 v2, s24, v2
	v_lshrrev_b32_e32 v3, 3, v2
	v_lshlrev_b32_e32 v2, 5, v2
	v_and_or_b32 v2, v2, s40, v0
	v_lshlrev_b32_e32 v2, 1, v2
	v_add_lshl_u32 v11, v2, v3, 1
	ds_read_u16 v10, v11
	v_lshrrev_b64 v[2:3], s41, v[30:31]
	v_and_b32_e32 v2, s24, v2
	s_waitcnt lgkmcnt(0)
	v_add_u16_e32 v3, 1, v10
	ds_write_b16 v11, v3
	v_lshrrev_b32_e32 v3, 3, v2
	v_lshlrev_b32_e32 v2, 5, v2
	v_and_or_b32 v2, v2, s40, v0
	v_lshlrev_b32_e32 v2, 1, v2
	v_add_lshl_u32 v13, v2, v3, 1
	ds_read_u16 v12, v13
	s_waitcnt lgkmcnt(0)
	v_add_u16_e32 v2, 1, v12
	ds_write_b16 v13, v2
	v_lshrrev_b64 v[2:3], s41, v[28:29]
	v_and_b32_e32 v2, s24, v2
	v_lshrrev_b32_e32 v3, 3, v2
	v_lshlrev_b32_e32 v2, 5, v2
	v_and_or_b32 v2, v2, s40, v0
	v_lshlrev_b32_e32 v2, 1, v2
	v_add_lshl_u32 v15, v2, v3, 1
	ds_read_u16 v14, v15
	s_waitcnt lgkmcnt(0)
	v_add_u16_e32 v2, 1, v14
	ds_write_b16 v15, v2
	v_lshrrev_b64 v[2:3], s41, v[26:27]
	v_and_b32_e32 v2, s24, v2
	v_lshrrev_b32_e32 v3, 3, v2
	v_lshlrev_b32_e32 v2, 5, v2
	v_and_or_b32 v2, v2, s40, v0
	v_lshlrev_b32_e32 v2, 1, v2
	v_add_lshl_u32 v17, v2, v3, 1
	ds_read_u16 v16, v17
	s_waitcnt lgkmcnt(0)
	v_add_u16_e32 v2, 1, v16
	ds_write_b16 v17, v2
	s_waitcnt lgkmcnt(0)
	; wave barrier
	s_waitcnt lgkmcnt(0)
	ds_read2_b32 v[8:9], v37 offset1:1
	ds_read2_b32 v[6:7], v37 offset0:2 offset1:3
	ds_read2_b32 v[2:3], v37 offset0:4 offset1:5
	;; [unrolled: 1-line block ×3, first 2 shown]
	s_waitcnt lgkmcnt(3)
	v_add_u32_e32 v40, v9, v8
	s_waitcnt lgkmcnt(2)
	v_add3_u32 v40, v40, v6, v7
	s_waitcnt lgkmcnt(1)
	v_add3_u32 v40, v40, v2, v3
	;; [unrolled: 2-line block ×3, first 2 shown]
	s_nop 1
	v_mov_b32_dpp v40, v5 row_shr:1 row_mask:0xf bank_mask:0xf
	v_cndmask_b32_e64 v40, v40, 0, s[10:11]
	v_add_u32_e32 v5, v40, v5
	s_nop 1
	v_mov_b32_dpp v40, v5 row_shr:2 row_mask:0xf bank_mask:0xf
	v_cndmask_b32_e64 v40, 0, v40, s[12:13]
	v_add_u32_e32 v5, v5, v40
	;; [unrolled: 4-line block ×4, first 2 shown]
	s_nop 1
	v_mov_b32_dpp v40, v5 row_bcast:15 row_mask:0xf bank_mask:0xf
	v_cndmask_b32_e64 v40, v40, 0, s[18:19]
	v_add_u32_e32 v5, v5, v40
	s_and_saveexec_b64 s[24:25], s[20:21]
	s_cbranch_execz .LBB148_47
; %bb.46:                               ;   in Loop: Header=BB148_38 Depth=1
	ds_write_b32 v39, v5 offset:1024
.LBB148_47:                             ;   in Loop: Header=BB148_38 Depth=1
	s_or_b64 exec, exec, s[24:25]
	ds_bpermute_b32 v5, v59, v5
	s_waitcnt lgkmcnt(0)
	; wave barrier
	s_waitcnt lgkmcnt(0)
	ds_read_b32 v40, v39 offset:1024
	s_cmp_gt_u32 s41, 59
	v_cndmask_b32_e64 v5, v5, 0, s[22:23]
	s_waitcnt lgkmcnt(0)
	v_lshl_add_u32 v5, v40, 16, v5
	v_add_u32_e32 v8, v5, v8
	v_add_u32_e32 v9, v8, v9
	ds_write2_b32 v37, v5, v8 offset1:1
	v_add_u32_e32 v5, v9, v6
	v_add_u32_e32 v6, v5, v7
	;; [unrolled: 1-line block ×5, first 2 shown]
	ds_write2_b32 v37, v9, v5 offset0:2 offset1:3
	ds_write2_b32 v37, v6, v2 offset0:4 offset1:5
	;; [unrolled: 1-line block ×3, first 2 shown]
	s_waitcnt lgkmcnt(0)
	; wave barrier
	s_waitcnt lgkmcnt(0)
	ds_read_u16 v2, v11
	ds_read_u16 v3, v13
	;; [unrolled: 1-line block ×4, first 2 shown]
	s_waitcnt lgkmcnt(3)
	v_add_u32_sdwa v43, v2, v10 dst_sel:DWORD dst_unused:UNUSED_PAD src0_sel:DWORD src1_sel:WORD_0
	s_waitcnt lgkmcnt(2)
	v_add_u32_sdwa v41, v3, v12 dst_sel:DWORD dst_unused:UNUSED_PAD src0_sel:DWORD src1_sel:WORD_0
	;; [unrolled: 2-line block ×4, first 2 shown]
	s_cbranch_scc0 .LBB148_37
; %bb.48:
                                        ; implicit-def: $vgpr12_vgpr13
                                        ; implicit-def: $vgpr16_vgpr17
                                        ; implicit-def: $vgpr8_vgpr9
                                        ; implicit-def: $vgpr4_vgpr5
                                        ; implicit-def: $sgpr41
.LBB148_49:
	v_lshlrev_b32_e32 v8, 3, v43
	v_lshlrev_b32_e32 v9, 3, v41
	;; [unrolled: 1-line block ×4, first 2 shown]
	s_waitcnt lgkmcnt(0)
	; wave barrier
	ds_write_b64 v8, v[32:33]
	ds_write_b64 v9, v[30:31]
	;; [unrolled: 1-line block ×4, first 2 shown]
	s_waitcnt lgkmcnt(0)
	; wave barrier
	s_waitcnt lgkmcnt(0)
	ds_read2_b64 v[0:3], v35 offset1:1
	ds_read2_b64 v[4:7], v35 offset0:2 offset1:3
	s_waitcnt lgkmcnt(0)
	; wave barrier
	s_waitcnt lgkmcnt(0)
	ds_write_b64 v8, v[24:25]
	ds_write_b64 v9, v[22:23]
	;; [unrolled: 1-line block ×4, first 2 shown]
	s_waitcnt lgkmcnt(0)
	; wave barrier
	s_waitcnt lgkmcnt(0)
	ds_read2_b64 v[18:21], v35 offset1:1
	ds_read2_b64 v[22:25], v35 offset0:2 offset1:3
	v_xor_b32_e32 v27, 0x7fffffff, v1
	v_xor_b32_e32 v26, -1, v0
	v_xor_b32_e32 v29, 0x7fffffff, v3
	v_xor_b32_e32 v28, -1, v2
	;; [unrolled: 2-line block ×4, first 2 shown]
.LBB148_50:
	s_waitcnt lgkmcnt(0)
	; wave barrier
	s_waitcnt lgkmcnt(0)
	ds_write2_b64 v58, v[26:27], v[28:29] offset1:1
	ds_write2_b64 v58, v[30:31], v[32:33] offset0:2 offset1:3
	s_waitcnt lgkmcnt(0)
	; wave barrier
	s_waitcnt lgkmcnt(0)
	ds_read_b64 v[6:7], v55 offset:256
	ds_read_b64 v[4:5], v56 offset:512
	ds_read_b64 v[0:1], v57 offset:768
	v_mov_b32_e32 v35, 0
	v_lshlrev_b64 v[2:3], 3, v[34:35]
	v_mov_b32_e32 v8, s29
	v_add_co_u32_e32 v2, vcc, s27, v2
	v_addc_co_u32_e32 v3, vcc, v8, v3, vcc
	s_and_saveexec_b64 s[8:9], s[0:1]
	s_cbranch_execnz .LBB148_61
; %bb.51:
	s_or_b64 exec, exec, s[8:9]
	s_and_saveexec_b64 s[8:9], s[2:3]
	s_cbranch_execnz .LBB148_62
.LBB148_52:
	s_or_b64 exec, exec, s[8:9]
	s_and_saveexec_b64 s[8:9], s[4:5]
	s_cbranch_execnz .LBB148_63
.LBB148_53:
	s_or_b64 exec, exec, s[8:9]
	s_and_saveexec_b64 s[8:9], s[6:7]
	s_cbranch_execz .LBB148_55
.LBB148_54:
	s_mul_i32 s10, s26, 0x60
	s_mov_b32 s11, 0
	s_lshl_b64 s[10:11], s[10:11], 3
	s_waitcnt lgkmcnt(1)
	v_mov_b32_e32 v4, s11
	v_add_co_u32_e32 v2, vcc, s10, v2
	v_addc_co_u32_e32 v3, vcc, v3, v4, vcc
	s_waitcnt lgkmcnt(0)
	global_store_dwordx2 v[2:3], v[0:1], off
.LBB148_55:
	s_or_b64 exec, exec, s[8:9]
	s_waitcnt lgkmcnt(0)
	; wave barrier
	s_waitcnt lgkmcnt(0)
	ds_write2_b64 v58, v[18:19], v[20:21] offset1:1
	ds_write2_b64 v58, v[22:23], v[24:25] offset0:2 offset1:3
	s_waitcnt lgkmcnt(0)
	; wave barrier
	s_waitcnt lgkmcnt(0)
	ds_read_b64 v[6:7], v55 offset:256
	ds_read_b64 v[4:5], v56 offset:512
	;; [unrolled: 1-line block ×3, first 2 shown]
	v_mov_b32_e32 v37, 0
	v_lshlrev_b64 v[2:3], 3, v[36:37]
	v_mov_b32_e32 v8, s38
	v_add_co_u32_e32 v2, vcc, s33, v2
	v_addc_co_u32_e32 v3, vcc, v8, v3, vcc
	s_and_saveexec_b64 s[8:9], s[0:1]
	s_cbranch_execnz .LBB148_64
; %bb.56:
	s_or_b64 exec, exec, s[8:9]
	s_and_saveexec_b64 s[0:1], s[2:3]
	s_cbranch_execnz .LBB148_65
.LBB148_57:
	s_or_b64 exec, exec, s[0:1]
	s_and_saveexec_b64 s[0:1], s[4:5]
	s_cbranch_execnz .LBB148_66
.LBB148_58:
	s_or_b64 exec, exec, s[0:1]
	s_and_saveexec_b64 s[0:1], s[6:7]
	s_cbranch_execz .LBB148_60
.LBB148_59:
	s_mul_i32 s0, s28, 0x60
	s_mov_b32 s1, 0
	s_lshl_b64 s[0:1], s[0:1], 3
	s_waitcnt lgkmcnt(1)
	v_mov_b32_e32 v4, s1
	v_add_co_u32_e32 v2, vcc, s0, v2
	v_addc_co_u32_e32 v3, vcc, v3, v4, vcc
	s_waitcnt lgkmcnt(0)
	global_store_dwordx2 v[2:3], v[0:1], off
.LBB148_60:
	s_endpgm
.LBB148_61:
	ds_read_b64 v[8:9], v54
	s_waitcnt lgkmcnt(0)
	global_store_dwordx2 v[2:3], v[8:9], off
	s_or_b64 exec, exec, s[8:9]
	s_and_saveexec_b64 s[8:9], s[2:3]
	s_cbranch_execz .LBB148_52
.LBB148_62:
	s_lshl_b32 s10, s26, 5
	s_mov_b32 s11, 0
	s_lshl_b64 s[10:11], s[10:11], 3
	v_mov_b32_e32 v9, s11
	v_add_co_u32_e32 v8, vcc, s10, v2
	v_addc_co_u32_e32 v9, vcc, v3, v9, vcc
	s_waitcnt lgkmcnt(2)
	global_store_dwordx2 v[8:9], v[6:7], off
	s_or_b64 exec, exec, s[8:9]
	s_and_saveexec_b64 s[8:9], s[4:5]
	s_cbranch_execz .LBB148_53
.LBB148_63:
	s_lshl_b32 s10, s26, 6
	s_mov_b32 s11, 0
	s_lshl_b64 s[10:11], s[10:11], 3
	s_waitcnt lgkmcnt(2)
	v_mov_b32_e32 v7, s11
	v_add_co_u32_e32 v6, vcc, s10, v2
	v_addc_co_u32_e32 v7, vcc, v3, v7, vcc
	s_waitcnt lgkmcnt(1)
	global_store_dwordx2 v[6:7], v[4:5], off
	s_or_b64 exec, exec, s[8:9]
	s_and_saveexec_b64 s[8:9], s[6:7]
	s_cbranch_execnz .LBB148_54
	s_branch .LBB148_55
.LBB148_64:
	ds_read_b64 v[8:9], v54
	s_waitcnt lgkmcnt(0)
	global_store_dwordx2 v[2:3], v[8:9], off
	s_or_b64 exec, exec, s[8:9]
	s_and_saveexec_b64 s[0:1], s[2:3]
	s_cbranch_execz .LBB148_57
.LBB148_65:
	s_lshl_b32 s2, s28, 5
	s_mov_b32 s3, 0
	s_lshl_b64 s[2:3], s[2:3], 3
	v_mov_b32_e32 v9, s3
	v_add_co_u32_e32 v8, vcc, s2, v2
	v_addc_co_u32_e32 v9, vcc, v3, v9, vcc
	s_waitcnt lgkmcnt(2)
	global_store_dwordx2 v[8:9], v[6:7], off
	s_or_b64 exec, exec, s[0:1]
	s_and_saveexec_b64 s[0:1], s[4:5]
	s_cbranch_execz .LBB148_58
.LBB148_66:
	s_lshl_b32 s2, s28, 6
	s_mov_b32 s3, 0
	s_lshl_b64 s[2:3], s[2:3], 3
	s_waitcnt lgkmcnt(2)
	v_mov_b32_e32 v7, s3
	v_add_co_u32_e32 v6, vcc, s2, v2
	v_addc_co_u32_e32 v7, vcc, v3, v7, vcc
	s_waitcnt lgkmcnt(1)
	global_store_dwordx2 v[6:7], v[4:5], off
	s_or_b64 exec, exec, s[0:1]
	s_and_saveexec_b64 s[0:1], s[6:7]
	s_cbranch_execnz .LBB148_59
	s_branch .LBB148_60
	.section	.rodata,"a",@progbits
	.p2align	6, 0x0
	.amdhsa_kernel _ZN2at6native18radixSortKVInPlaceILi2ELin1ELi32ELi4ElljEEvNS_4cuda6detail10TensorInfoIT3_T5_EES6_S6_S6_NS4_IT4_S6_EES6_b
		.amdhsa_group_segment_fixed_size 1056
		.amdhsa_private_segment_fixed_size 0
		.amdhsa_kernarg_size 712
		.amdhsa_user_sgpr_count 6
		.amdhsa_user_sgpr_private_segment_buffer 1
		.amdhsa_user_sgpr_dispatch_ptr 0
		.amdhsa_user_sgpr_queue_ptr 0
		.amdhsa_user_sgpr_kernarg_segment_ptr 1
		.amdhsa_user_sgpr_dispatch_id 0
		.amdhsa_user_sgpr_flat_scratch_init 0
		.amdhsa_user_sgpr_kernarg_preload_length 0
		.amdhsa_user_sgpr_kernarg_preload_offset 0
		.amdhsa_user_sgpr_private_segment_size 0
		.amdhsa_uses_dynamic_stack 0
		.amdhsa_system_sgpr_private_segment_wavefront_offset 0
		.amdhsa_system_sgpr_workgroup_id_x 1
		.amdhsa_system_sgpr_workgroup_id_y 1
		.amdhsa_system_sgpr_workgroup_id_z 1
		.amdhsa_system_sgpr_workgroup_info 0
		.amdhsa_system_vgpr_workitem_id 0
		.amdhsa_next_free_vgpr 67
		.amdhsa_next_free_sgpr 46
		.amdhsa_accum_offset 68
		.amdhsa_reserve_vcc 1
		.amdhsa_reserve_flat_scratch 0
		.amdhsa_float_round_mode_32 0
		.amdhsa_float_round_mode_16_64 0
		.amdhsa_float_denorm_mode_32 3
		.amdhsa_float_denorm_mode_16_64 3
		.amdhsa_dx10_clamp 1
		.amdhsa_ieee_mode 1
		.amdhsa_fp16_overflow 0
		.amdhsa_tg_split 0
		.amdhsa_exception_fp_ieee_invalid_op 0
		.amdhsa_exception_fp_denorm_src 0
		.amdhsa_exception_fp_ieee_div_zero 0
		.amdhsa_exception_fp_ieee_overflow 0
		.amdhsa_exception_fp_ieee_underflow 0
		.amdhsa_exception_fp_ieee_inexact 0
		.amdhsa_exception_int_div_zero 0
	.end_amdhsa_kernel
	.section	.text._ZN2at6native18radixSortKVInPlaceILi2ELin1ELi32ELi4ElljEEvNS_4cuda6detail10TensorInfoIT3_T5_EES6_S6_S6_NS4_IT4_S6_EES6_b,"axG",@progbits,_ZN2at6native18radixSortKVInPlaceILi2ELin1ELi32ELi4ElljEEvNS_4cuda6detail10TensorInfoIT3_T5_EES6_S6_S6_NS4_IT4_S6_EES6_b,comdat
.Lfunc_end148:
	.size	_ZN2at6native18radixSortKVInPlaceILi2ELin1ELi32ELi4ElljEEvNS_4cuda6detail10TensorInfoIT3_T5_EES6_S6_S6_NS4_IT4_S6_EES6_b, .Lfunc_end148-_ZN2at6native18radixSortKVInPlaceILi2ELin1ELi32ELi4ElljEEvNS_4cuda6detail10TensorInfoIT3_T5_EES6_S6_S6_NS4_IT4_S6_EES6_b
                                        ; -- End function
	.section	.AMDGPU.csdata,"",@progbits
; Kernel info:
; codeLenInByte = 4804
; NumSgprs: 50
; NumVgprs: 67
; NumAgprs: 0
; TotalNumVgprs: 67
; ScratchSize: 0
; MemoryBound: 0
; FloatMode: 240
; IeeeMode: 1
; LDSByteSize: 1056 bytes/workgroup (compile time only)
; SGPRBlocks: 6
; VGPRBlocks: 8
; NumSGPRsForWavesPerEU: 50
; NumVGPRsForWavesPerEU: 67
; AccumOffset: 68
; Occupancy: 7
; WaveLimiterHint : 1
; COMPUTE_PGM_RSRC2:SCRATCH_EN: 0
; COMPUTE_PGM_RSRC2:USER_SGPR: 6
; COMPUTE_PGM_RSRC2:TRAP_HANDLER: 0
; COMPUTE_PGM_RSRC2:TGID_X_EN: 1
; COMPUTE_PGM_RSRC2:TGID_Y_EN: 1
; COMPUTE_PGM_RSRC2:TGID_Z_EN: 1
; COMPUTE_PGM_RSRC2:TIDIG_COMP_CNT: 0
; COMPUTE_PGM_RSRC3_GFX90A:ACCUM_OFFSET: 16
; COMPUTE_PGM_RSRC3_GFX90A:TG_SPLIT: 0
	.section	.text._ZN2at6native18radixSortKVInPlaceILi2ELin1ELi16ELi2ElljEEvNS_4cuda6detail10TensorInfoIT3_T5_EES6_S6_S6_NS4_IT4_S6_EES6_b,"axG",@progbits,_ZN2at6native18radixSortKVInPlaceILi2ELin1ELi16ELi2ElljEEvNS_4cuda6detail10TensorInfoIT3_T5_EES6_S6_S6_NS4_IT4_S6_EES6_b,comdat
	.protected	_ZN2at6native18radixSortKVInPlaceILi2ELin1ELi16ELi2ElljEEvNS_4cuda6detail10TensorInfoIT3_T5_EES6_S6_S6_NS4_IT4_S6_EES6_b ; -- Begin function _ZN2at6native18radixSortKVInPlaceILi2ELin1ELi16ELi2ElljEEvNS_4cuda6detail10TensorInfoIT3_T5_EES6_S6_S6_NS4_IT4_S6_EES6_b
	.globl	_ZN2at6native18radixSortKVInPlaceILi2ELin1ELi16ELi2ElljEEvNS_4cuda6detail10TensorInfoIT3_T5_EES6_S6_S6_NS4_IT4_S6_EES6_b
	.p2align	8
	.type	_ZN2at6native18radixSortKVInPlaceILi2ELin1ELi16ELi2ElljEEvNS_4cuda6detail10TensorInfoIT3_T5_EES6_S6_S6_NS4_IT4_S6_EES6_b,@function
_ZN2at6native18radixSortKVInPlaceILi2ELin1ELi16ELi2ElljEEvNS_4cuda6detail10TensorInfoIT3_T5_EES6_S6_S6_NS4_IT4_S6_EES6_b: ; @_ZN2at6native18radixSortKVInPlaceILi2ELin1ELi16ELi2ElljEEvNS_4cuda6detail10TensorInfoIT3_T5_EES6_S6_S6_NS4_IT4_S6_EES6_b
; %bb.0:
	s_load_dwordx2 s[0:1], s[4:5], 0x1c8
	s_load_dwordx4 s[16:19], s[4:5], 0xd8
	s_waitcnt lgkmcnt(0)
	s_mul_i32 s1, s1, s8
	s_add_i32 s1, s1, s7
	s_mul_i32 s12, s1, s0
	s_add_i32 s12, s12, s6
	s_cmp_ge_u32 s12, s16
	s_cbranch_scc1 .LBB149_50
; %bb.1:
	s_load_dword s13, s[4:5], 0xc
	s_load_dwordx2 s[6:7], s[4:5], 0x6c
	s_load_dword s10, s[4:5], 0x1b8
	s_add_u32 s2, s4, 0xe8
	s_load_dwordx2 s[0:1], s[4:5], 0x0
	s_waitcnt lgkmcnt(0)
	v_cvt_f32_u32_e32 v1, s13
	s_addc_u32 s3, s5, 0
	s_sub_i32 s8, 0, s13
	s_mov_b32 s9, 0
	v_rcp_iflag_f32_e32 v1, v1
	v_mul_f32_e32 v1, 0x4f7ffffe, v1
	v_cvt_u32_f32_e32 v1, v1
	v_readfirstlane_b32 s11, v1
	s_mul_i32 s8, s8, s11
	s_mul_hi_u32 s8, s11, s8
	s_add_i32 s11, s11, s8
	s_mul_hi_u32 s14, s12, s11
	s_cmp_lt_i32 s10, 2
	s_mov_b32 s8, s12
	s_cbranch_scc1 .LBB149_4
; %bb.2:
	s_add_i32 s8, s10, -1
	s_add_i32 s15, s10, 1
	s_lshl_b64 s[10:11], s[8:9], 2
	s_add_u32 s8, s10, s2
	s_addc_u32 s11, s11, s3
	s_add_u32 s10, s8, 8
	s_addc_u32 s11, s11, 0
	s_mov_b32 s8, s12
.LBB149_3:                              ; =>This Inner Loop Header: Depth=1
	s_load_dword s16, s[10:11], 0x0
	s_load_dword s20, s[10:11], 0x64
	s_mov_b32 s19, s8
	s_waitcnt lgkmcnt(0)
	v_cvt_f32_u32_e32 v1, s16
	s_sub_i32 s8, 0, s16
	v_rcp_iflag_f32_e32 v1, v1
	v_mul_f32_e32 v1, 0x4f7ffffe, v1
	v_cvt_u32_f32_e32 v1, v1
	v_readfirstlane_b32 s21, v1
	s_mul_i32 s8, s8, s21
	s_mul_hi_u32 s8, s21, s8
	s_add_i32 s21, s21, s8
	s_mul_hi_u32 s8, s19, s21
	s_mul_i32 s21, s8, s16
	s_sub_i32 s21, s19, s21
	s_add_i32 s22, s8, 1
	s_sub_i32 s23, s21, s16
	s_cmp_ge_u32 s21, s16
	s_cselect_b32 s8, s22, s8
	s_cselect_b32 s21, s23, s21
	s_add_i32 s22, s8, 1
	s_cmp_ge_u32 s21, s16
	s_cselect_b32 s8, s22, s8
	s_mul_i32 s16, s8, s16
	s_sub_i32 s16, s19, s16
	s_mul_i32 s16, s20, s16
	s_add_i32 s15, s15, -1
	s_add_i32 s9, s16, s9
	s_add_u32 s10, s10, -4
	s_addc_u32 s11, s11, -1
	s_cmp_gt_u32 s15, 2
	s_cbranch_scc1 .LBB149_3
.LBB149_4:
	s_mul_i32 s10, s14, s13
	s_sub_i32 s10, s12, s10
	s_add_i32 s11, s14, 1
	s_sub_i32 s15, s10, s13
	s_cmp_ge_u32 s10, s13
	s_cselect_b32 s11, s11, s14
	s_cselect_b32 s10, s15, s10
	s_add_i32 s14, s11, 1
	s_cmp_ge_u32 s10, s13
	s_cselect_b32 s10, s14, s11
	s_load_dwordx2 s[20:21], s[4:5], 0x1c0
	s_mul_i32 s11, s10, s13
	s_sub_i32 s11, s12, s11
	s_load_dwordx2 s[12:13], s[2:3], 0x0
	s_mul_i32 s11, s11, s7
	s_mul_i32 s4, s10, s6
	s_add_i32 s6, s4, s11
	s_waitcnt lgkmcnt(0)
	s_bitcmp1_b32 s21, 0
	s_cselect_b64 s[10:11], -1, 0
	s_and_b64 s[4:5], s[10:11], exec
	s_mov_b32 s7, 0
	s_brev_b32 s5, 1
	s_cselect_b32 s4, 0, -1
	s_cselect_b32 s5, s5, 0x7fffffff
	s_lshl_b64 s[6:7], s[6:7], 3
	s_add_u32 s19, s0, s6
	s_addc_u32 s21, s1, s7
	s_mov_b32 s6, s4
	s_mov_b32 s7, s5
	v_pk_mov_b32 v[2:3], s[4:5], s[4:5] op_sel:[0,1]
	v_cmp_gt_u32_e64 s[0:1], s17, v0
	v_pk_mov_b32 v[4:5], s[6:7], s[6:7] op_sel:[0,1]
	v_pk_mov_b32 v[6:7], s[4:5], s[4:5] op_sel:[0,1]
	v_mul_lo_u32 v18, v0, s18
	s_and_saveexec_b64 s[14:15], s[0:1]
	s_cbranch_execz .LBB149_6
; %bb.5:
	v_mov_b32_e32 v19, 0
	v_lshlrev_b64 v[2:3], 3, v[18:19]
	v_mov_b32_e32 v1, s21
	v_add_co_u32_e32 v2, vcc, s19, v2
	v_addc_co_u32_e32 v3, vcc, v1, v3, vcc
	global_load_dwordx2 v[6:7], v[2:3], off
	v_pk_mov_b32 v[2:3], s[4:5], s[4:5] op_sel:[0,1]
	v_pk_mov_b32 v[4:5], s[6:7], s[6:7] op_sel:[0,1]
.LBB149_6:
	s_or_b64 exec, exec, s[14:15]
	s_load_dword s6, s[2:3], 0x6c
	v_or_b32_e32 v1, 16, v0
	v_cmp_gt_u32_e64 s[2:3], s17, v1
	s_and_saveexec_b64 s[4:5], s[2:3]
	s_cbranch_execz .LBB149_8
; %bb.7:
	v_mul_lo_u32 v2, v1, s18
	v_mov_b32_e32 v3, 0
	v_lshlrev_b64 v[2:3], 3, v[2:3]
	v_mov_b32_e32 v4, s21
	v_add_co_u32_e32 v2, vcc, s19, v2
	v_addc_co_u32_e32 v3, vcc, v4, v3, vcc
	global_load_dwordx2 v[4:5], v[2:3], off
.LBB149_8:
	s_or_b64 exec, exec, s[4:5]
	s_waitcnt lgkmcnt(0)
	s_mul_i32 s4, s6, s8
	s_add_i32 s4, s4, s9
	s_mov_b32 s5, 0
	s_lshl_b64 s[6:7], s[4:5], 3
	v_lshlrev_b32_e32 v30, 3, v0
	v_lshlrev_b32_e32 v31, 4, v0
	s_add_u32 s30, s12, s6
	s_waitcnt vmcnt(0)
	ds_write2_b64 v30, v[6:7], v[4:5] offset1:16
	s_waitcnt lgkmcnt(0)
	; wave barrier
	s_waitcnt lgkmcnt(0)
	ds_read2_b64 v[2:5], v31 offset1:1
	s_addc_u32 s31, s13, s7
	s_mov_b32 s6, s5
	s_mov_b32 s7, s5
	;; [unrolled: 1-line block ×3, first 2 shown]
	v_pk_mov_b32 v[8:9], s[6:7], s[6:7] op_sel:[0,1]
	v_pk_mov_b32 v[6:7], s[4:5], s[4:5] op_sel:[0,1]
	v_pk_mov_b32 v[6:7], 0, 0
	v_mul_lo_u32 v20, v0, s20
	s_waitcnt lgkmcnt(0)
	; wave barrier
	s_waitcnt lgkmcnt(0)
	s_and_saveexec_b64 s[4:5], s[0:1]
	s_cbranch_execz .LBB149_10
; %bb.9:
	v_mov_b32_e32 v21, 0
	v_lshlrev_b64 v[6:7], 3, v[20:21]
	v_mov_b32_e32 v8, s31
	v_add_co_u32_e32 v6, vcc, s30, v6
	v_addc_co_u32_e32 v7, vcc, v8, v7, vcc
	global_load_dwordx2 v[6:7], v[6:7], off
	v_mov_b32_e32 v8, v21
	v_mov_b32_e32 v9, v21
.LBB149_10:
	s_or_b64 exec, exec, s[4:5]
	s_xor_b64 s[22:23], s[10:11], -1
	v_lshlrev_b32_e32 v10, 1, v0
	s_and_saveexec_b64 s[4:5], s[2:3]
	s_cbranch_execz .LBB149_12
; %bb.11:
	v_mul_lo_u32 v8, v1, s20
	v_mov_b32_e32 v9, 0
	v_lshlrev_b64 v[8:9], 3, v[8:9]
	v_mov_b32_e32 v11, s31
	v_add_co_u32_e32 v8, vcc, s30, v8
	v_addc_co_u32_e32 v9, vcc, v11, v9, vcc
	global_load_dwordx2 v[8:9], v[8:9], off
.LBB149_12:
	s_or_b64 exec, exec, s[4:5]
	v_mbcnt_lo_u32_b32 v11, -1, 0
	s_getpc_b64 s[4:5]
	s_add_u32 s4, s4, _ZN7rocprim17ROCPRIM_400000_NS16block_radix_sortIlLj16ELj2ElLj1ELj1ELj0ELNS0_26block_radix_rank_algorithmE1ELNS0_18block_padding_hintE2ELNS0_4arch9wavefront6targetE1EE19radix_bits_per_passE@rel32@lo+4
	s_addc_u32 s5, s5, _ZN7rocprim17ROCPRIM_400000_NS16block_radix_sortIlLj16ELj2ElLj1ELj1ELj0ELNS0_26block_radix_rank_algorithmE1ELNS0_18block_padding_hintE2ELNS0_4arch9wavefront6targetE1EE19radix_bits_per_passE@rel32@hi+12
	v_mbcnt_hi_u32_b32 v11, -1, v11
	s_waitcnt vmcnt(0)
	ds_write2_b64 v30, v[6:7], v[8:9] offset1:16
	s_waitcnt lgkmcnt(0)
	; wave barrier
	s_waitcnt lgkmcnt(0)
	ds_read2_b64 v[6:9], v31 offset1:1
	s_load_dword s33, s[4:5], 0x0
	v_and_b32_e32 v12, 15, v11
	v_cmp_eq_u32_e64 s[6:7], 0, v12
	v_cmp_lt_u32_e64 s[8:9], 1, v12
	v_cmp_lt_u32_e64 s[10:11], 3, v12
	;; [unrolled: 1-line block ×3, first 2 shown]
	v_add_u32_e32 v12, -1, v11
	v_and_b32_e32 v13, 0x70, v11
	v_cmp_lt_i32_e32 vcc, v12, v13
	s_movk_i32 s4, 0x80
	v_cndmask_b32_e32 v12, v12, v11, vcc
	v_cmp_gt_u32_e64 s[4:5], s4, v0
	v_lshlrev_b32_e32 v21, 5, v0
	s_mov_b32 s34, 0
	v_cmp_eq_u32_e64 s[14:15], 15, v0
	s_movk_i32 s35, 0x70
	v_lshlrev_b32_e32 v32, 2, v12
	v_cmp_eq_u32_e64 s[16:17], 0, v11
	v_lshlrev_b32_e32 v19, 3, v10
	s_and_b64 vcc, exec, s[22:23]
	v_add_u32_e64 v33, 7, 2
	s_waitcnt lgkmcnt(0)
	; wave barrier
	s_waitcnt lgkmcnt(0)
	s_cbranch_vccz .LBB149_27
; %bb.13:
	v_xor_b32_e32 v11, 0x80000000, v3
	v_mov_b32_e32 v10, v2
	v_xor_b32_e32 v13, 0x80000000, v5
	v_mov_b32_e32 v12, v4
	v_and_b32_e32 v34, 14, v33
	v_mov_b32_e32 v35, 0
	v_pk_mov_b32 v[14:15], v[6:7], v[6:7] op_sel:[0,1]
	v_pk_mov_b32 v[16:17], v[8:9], v[8:9] op_sel:[0,1]
	s_branch .LBB149_15
.LBB149_14:                             ;   in Loop: Header=BB149_15 Depth=1
	v_lshlrev_b32_e32 v14, 3, v36
	v_lshlrev_b32_e32 v15, 3, v37
	s_waitcnt lgkmcnt(0)
	; wave barrier
	ds_write_b64 v14, v[28:29]
	ds_write_b64 v15, v[26:27]
	s_waitcnt lgkmcnt(0)
	; wave barrier
	s_waitcnt lgkmcnt(0)
	ds_read2_b64 v[10:13], v19 offset1:1
	s_waitcnt lgkmcnt(0)
	; wave barrier
	s_waitcnt lgkmcnt(0)
	ds_write_b64 v14, v[24:25]
	ds_write_b64 v15, v[22:23]
	s_waitcnt lgkmcnt(0)
	; wave barrier
	s_waitcnt lgkmcnt(0)
	ds_read2_b64 v[14:17], v19 offset1:1
	s_add_i32 s34, s34, 4
	s_waitcnt lgkmcnt(0)
	; wave barrier
	s_waitcnt lgkmcnt(0)
	s_cbranch_execz .LBB149_26
.LBB149_15:                             ; =>This Loop Header: Depth=1
                                        ;     Child Loop BB149_18 Depth 2
	v_pk_mov_b32 v[26:27], v[12:13], v[12:13] op_sel:[0,1]
	v_pk_mov_b32 v[28:29], v[10:11], v[10:11] op_sel:[0,1]
	;; [unrolled: 1-line block ×4, first 2 shown]
	s_and_saveexec_b64 s[22:23], s[4:5]
	s_cbranch_execz .LBB149_22
; %bb.16:                               ;   in Loop: Header=BB149_15 Depth=1
	s_mov_b32 s36, 0
	s_mov_b64 s[24:25], 0
	v_pk_mov_b32 v[10:11], v[0:1], v[0:1] op_sel:[0,1]
	s_branch .LBB149_18
.LBB149_17:                             ;   in Loop: Header=BB149_18 Depth=2
	s_or_b64 exec, exec, s[28:29]
	s_add_i32 s36, s36, 2
	v_cmp_eq_u32_e32 vcc, s36, v34
	v_add_u32_e32 v11, 32, v11
	s_or_b64 s[24:25], vcc, s[24:25]
	v_add_u32_e32 v10, 32, v10
	s_andn2_b64 exec, exec, s[24:25]
	s_cbranch_execz .LBB149_22
.LBB149_18:                             ;   Parent Loop BB149_15 Depth=1
                                        ; =>  This Inner Loop Header: Depth=2
	s_or_b32 s26, s36, 1
	v_cmp_le_u32_e64 s[26:27], s26, 7
	v_cmp_le_u32_e64 s[38:39], s36, 7
	s_and_saveexec_b64 s[28:29], s[38:39]
	s_cbranch_execz .LBB149_20
; %bb.19:                               ;   in Loop: Header=BB149_18 Depth=2
	v_lshlrev_b32_e32 v12, 2, v10
	ds_write_b32 v12, v35
.LBB149_20:                             ;   in Loop: Header=BB149_18 Depth=2
	s_or_b64 exec, exec, s[28:29]
	s_and_saveexec_b64 s[28:29], s[26:27]
	s_cbranch_execz .LBB149_17
; %bb.21:                               ;   in Loop: Header=BB149_18 Depth=2
	v_lshlrev_b32_e32 v12, 2, v11
	ds_write_b32 v12, v35
	s_branch .LBB149_17
.LBB149_22:                             ;   in Loop: Header=BB149_15 Depth=1
	s_or_b64 exec, exec, s[22:23]
	s_sub_i32 s22, 64, s34
	s_min_u32 s22, s33, s22
	s_lshl_b32 s22, -1, s22
	s_not_b32 s22, s22
	v_lshrrev_b64 v[10:11], s34, v[28:29]
	v_and_b32_e32 v10, s22, v10
	v_lshrrev_b32_e32 v11, 3, v10
	v_lshlrev_b32_e32 v10, 4, v10
	v_and_or_b32 v10, v10, s35, v0
	v_lshlrev_b32_e32 v10, 1, v10
	v_add_lshl_u32 v37, v10, v11, 1
	ds_read_u16 v36, v37
	v_lshrrev_b64 v[10:11], s34, v[26:27]
	v_and_b32_e32 v10, s22, v10
	s_waitcnt lgkmcnt(0)
	v_add_u16_e32 v11, 1, v36
	ds_write_b16 v37, v11
	v_lshrrev_b32_e32 v11, 3, v10
	v_lshlrev_b32_e32 v10, 4, v10
	v_and_or_b32 v10, v10, s35, v0
	v_lshlrev_b32_e32 v10, 1, v10
	v_add_lshl_u32 v39, v10, v11, 1
	ds_read_u16 v38, v39
	s_waitcnt lgkmcnt(0)
	v_add_u16_e32 v10, 1, v38
	ds_write_b16 v39, v10
	s_waitcnt lgkmcnt(0)
	; wave barrier
	s_waitcnt lgkmcnt(0)
	ds_read2_b32 v[16:17], v21 offset1:1
	ds_read2_b32 v[14:15], v21 offset0:2 offset1:3
	ds_read2_b32 v[10:11], v21 offset0:4 offset1:5
	;; [unrolled: 1-line block ×3, first 2 shown]
	s_waitcnt lgkmcnt(3)
	v_add_u32_e32 v40, v17, v16
	s_waitcnt lgkmcnt(2)
	v_add3_u32 v40, v40, v14, v15
	s_waitcnt lgkmcnt(1)
	v_add3_u32 v40, v40, v10, v11
	;; [unrolled: 2-line block ×3, first 2 shown]
	s_nop 1
	v_mov_b32_dpp v40, v13 row_shr:1 row_mask:0xf bank_mask:0xf
	v_cndmask_b32_e64 v40, v40, 0, s[6:7]
	v_add_u32_e32 v13, v40, v13
	s_nop 1
	v_mov_b32_dpp v40, v13 row_shr:2 row_mask:0xf bank_mask:0xf
	v_cndmask_b32_e64 v40, 0, v40, s[8:9]
	v_add_u32_e32 v13, v13, v40
	;; [unrolled: 4-line block ×4, first 2 shown]
	s_and_saveexec_b64 s[22:23], s[14:15]
	s_cbranch_execz .LBB149_24
; %bb.23:                               ;   in Loop: Header=BB149_15 Depth=1
	ds_write_b32 v35, v13 offset:512
.LBB149_24:                             ;   in Loop: Header=BB149_15 Depth=1
	s_or_b64 exec, exec, s[22:23]
	ds_bpermute_b32 v13, v32, v13
	s_waitcnt lgkmcnt(0)
	; wave barrier
	s_waitcnt lgkmcnt(0)
	ds_read_b32 v40, v35 offset:512
	s_cmp_gt_u32 s34, 59
	v_cndmask_b32_e64 v13, v13, 0, s[16:17]
	s_waitcnt lgkmcnt(0)
	v_lshl_add_u32 v13, v40, 16, v13
	v_add_u32_e32 v16, v13, v16
	v_add_u32_e32 v17, v16, v17
	ds_write2_b32 v21, v13, v16 offset1:1
	v_add_u32_e32 v13, v17, v14
	v_add_u32_e32 v14, v13, v15
	;; [unrolled: 1-line block ×5, first 2 shown]
	ds_write2_b32 v21, v17, v13 offset0:2 offset1:3
	ds_write2_b32 v21, v14, v10 offset0:4 offset1:5
	;; [unrolled: 1-line block ×3, first 2 shown]
	s_waitcnt lgkmcnt(0)
	; wave barrier
	s_waitcnt lgkmcnt(0)
	ds_read_u16 v10, v37
	ds_read_u16 v11, v39
	s_waitcnt lgkmcnt(1)
	v_add_u32_sdwa v36, v10, v36 dst_sel:DWORD dst_unused:UNUSED_PAD src0_sel:DWORD src1_sel:WORD_0
	s_waitcnt lgkmcnt(0)
	v_add_u32_sdwa v37, v11, v38 dst_sel:DWORD dst_unused:UNUSED_PAD src0_sel:DWORD src1_sel:WORD_0
	s_cbranch_scc0 .LBB149_14
; %bb.25:
                                        ; implicit-def: $vgpr12_vgpr13
                                        ; implicit-def: $vgpr16_vgpr17
                                        ; implicit-def: $sgpr34
.LBB149_26:
	v_lshlrev_b32_e32 v10, 3, v36
	v_lshlrev_b32_e32 v11, 3, v37
	s_waitcnt lgkmcnt(0)
	; wave barrier
	ds_write_b64 v10, v[28:29]
	ds_write_b64 v11, v[26:27]
	s_waitcnt lgkmcnt(0)
	; wave barrier
	s_waitcnt lgkmcnt(0)
	ds_read2_b64 v[14:17], v19 offset1:1
	s_waitcnt lgkmcnt(0)
	; wave barrier
	s_waitcnt lgkmcnt(0)
	ds_write_b64 v10, v[24:25]
	ds_write_b64 v11, v[22:23]
	s_waitcnt lgkmcnt(0)
	; wave barrier
	s_waitcnt lgkmcnt(0)
	ds_read2_b64 v[10:13], v19 offset1:1
	v_xor_b32_e32 v15, 0x80000000, v15
	v_xor_b32_e32 v17, 0x80000000, v17
	s_branch .LBB149_42
.LBB149_27:
                                        ; implicit-def: $vgpr16_vgpr17
                                        ; implicit-def: $vgpr12_vgpr13
	s_cbranch_execz .LBB149_42
; %bb.28:
	v_xor_b32_e32 v3, 0x7fffffff, v3
	v_xor_b32_e32 v2, -1, v2
	v_xor_b32_e32 v5, 0x7fffffff, v5
	v_xor_b32_e32 v4, -1, v4
	v_and_b32_e32 v22, 14, v33
	s_mov_b32 s35, 0
	v_mov_b32_e32 v23, 0
	s_movk_i32 s34, 0x70
	s_branch .LBB149_30
.LBB149_29:                             ;   in Loop: Header=BB149_30 Depth=1
	v_lshlrev_b32_e32 v6, 3, v24
	v_lshlrev_b32_e32 v7, 3, v25
	s_waitcnt lgkmcnt(0)
	; wave barrier
	ds_write_b64 v6, v[16:17]
	ds_write_b64 v7, v[14:15]
	s_waitcnt lgkmcnt(0)
	; wave barrier
	s_waitcnt lgkmcnt(0)
	ds_read2_b64 v[2:5], v19 offset1:1
	s_waitcnt lgkmcnt(0)
	; wave barrier
	s_waitcnt lgkmcnt(0)
	ds_write_b64 v6, v[12:13]
	ds_write_b64 v7, v[10:11]
	s_waitcnt lgkmcnt(0)
	; wave barrier
	s_waitcnt lgkmcnt(0)
	ds_read2_b64 v[6:9], v19 offset1:1
	s_add_i32 s35, s35, 4
	s_waitcnt lgkmcnt(0)
	; wave barrier
	s_waitcnt lgkmcnt(0)
	s_cbranch_execz .LBB149_41
.LBB149_30:                             ; =>This Loop Header: Depth=1
                                        ;     Child Loop BB149_33 Depth 2
	v_pk_mov_b32 v[14:15], v[4:5], v[4:5] op_sel:[0,1]
	v_pk_mov_b32 v[16:17], v[2:3], v[2:3] op_sel:[0,1]
	s_waitcnt lgkmcnt(0)
	v_pk_mov_b32 v[10:11], v[8:9], v[8:9] op_sel:[0,1]
	v_pk_mov_b32 v[12:13], v[6:7], v[6:7] op_sel:[0,1]
	s_and_saveexec_b64 s[22:23], s[4:5]
	s_cbranch_execz .LBB149_37
; %bb.31:                               ;   in Loop: Header=BB149_30 Depth=1
	s_mov_b32 s36, 0
	s_mov_b64 s[24:25], 0
	v_pk_mov_b32 v[2:3], v[0:1], v[0:1] op_sel:[0,1]
	s_branch .LBB149_33
.LBB149_32:                             ;   in Loop: Header=BB149_33 Depth=2
	s_or_b64 exec, exec, s[28:29]
	s_add_i32 s36, s36, 2
	v_cmp_eq_u32_e32 vcc, s36, v22
	v_add_u32_e32 v3, 32, v3
	s_or_b64 s[24:25], vcc, s[24:25]
	v_add_u32_e32 v2, 32, v2
	s_andn2_b64 exec, exec, s[24:25]
	s_cbranch_execz .LBB149_37
.LBB149_33:                             ;   Parent Loop BB149_30 Depth=1
                                        ; =>  This Inner Loop Header: Depth=2
	s_or_b32 s26, s36, 1
	v_cmp_le_u32_e64 s[26:27], s26, 7
	v_cmp_le_u32_e64 s[38:39], s36, 7
	s_and_saveexec_b64 s[28:29], s[38:39]
	s_cbranch_execz .LBB149_35
; %bb.34:                               ;   in Loop: Header=BB149_33 Depth=2
	v_lshlrev_b32_e32 v4, 2, v2
	ds_write_b32 v4, v23
.LBB149_35:                             ;   in Loop: Header=BB149_33 Depth=2
	s_or_b64 exec, exec, s[28:29]
	s_and_saveexec_b64 s[28:29], s[26:27]
	s_cbranch_execz .LBB149_32
; %bb.36:                               ;   in Loop: Header=BB149_33 Depth=2
	v_lshlrev_b32_e32 v4, 2, v3
	ds_write_b32 v4, v23
	s_branch .LBB149_32
.LBB149_37:                             ;   in Loop: Header=BB149_30 Depth=1
	s_or_b64 exec, exec, s[22:23]
	s_sub_i32 s22, 64, s35
	s_min_u32 s22, s33, s22
	s_lshl_b32 s22, -1, s22
	s_not_b32 s22, s22
	v_lshrrev_b64 v[2:3], s35, v[16:17]
	v_and_b32_e32 v2, s22, v2
	v_lshrrev_b32_e32 v3, 3, v2
	v_lshlrev_b32_e32 v2, 4, v2
	v_and_or_b32 v2, v2, s34, v0
	v_lshlrev_b32_e32 v2, 1, v2
	v_add_lshl_u32 v25, v2, v3, 1
	ds_read_u16 v24, v25
	v_lshrrev_b64 v[2:3], s35, v[14:15]
	v_and_b32_e32 v2, s22, v2
	s_waitcnt lgkmcnt(0)
	v_add_u16_e32 v3, 1, v24
	ds_write_b16 v25, v3
	v_lshrrev_b32_e32 v3, 3, v2
	v_lshlrev_b32_e32 v2, 4, v2
	v_and_or_b32 v2, v2, s34, v0
	v_lshlrev_b32_e32 v2, 1, v2
	v_add_lshl_u32 v27, v2, v3, 1
	ds_read_u16 v26, v27
	s_waitcnt lgkmcnt(0)
	v_add_u16_e32 v2, 1, v26
	ds_write_b16 v27, v2
	s_waitcnt lgkmcnt(0)
	; wave barrier
	s_waitcnt lgkmcnt(0)
	ds_read2_b32 v[8:9], v21 offset1:1
	ds_read2_b32 v[6:7], v21 offset0:2 offset1:3
	ds_read2_b32 v[2:3], v21 offset0:4 offset1:5
	;; [unrolled: 1-line block ×3, first 2 shown]
	s_waitcnt lgkmcnt(3)
	v_add_u32_e32 v28, v9, v8
	s_waitcnt lgkmcnt(2)
	v_add3_u32 v28, v28, v6, v7
	s_waitcnt lgkmcnt(1)
	v_add3_u32 v28, v28, v2, v3
	;; [unrolled: 2-line block ×3, first 2 shown]
	s_nop 1
	v_mov_b32_dpp v28, v5 row_shr:1 row_mask:0xf bank_mask:0xf
	v_cndmask_b32_e64 v28, v28, 0, s[6:7]
	v_add_u32_e32 v5, v28, v5
	s_nop 1
	v_mov_b32_dpp v28, v5 row_shr:2 row_mask:0xf bank_mask:0xf
	v_cndmask_b32_e64 v28, 0, v28, s[8:9]
	v_add_u32_e32 v5, v5, v28
	;; [unrolled: 4-line block ×4, first 2 shown]
	s_and_saveexec_b64 s[22:23], s[14:15]
	s_cbranch_execz .LBB149_39
; %bb.38:                               ;   in Loop: Header=BB149_30 Depth=1
	ds_write_b32 v23, v5 offset:512
.LBB149_39:                             ;   in Loop: Header=BB149_30 Depth=1
	s_or_b64 exec, exec, s[22:23]
	ds_bpermute_b32 v5, v32, v5
	s_waitcnt lgkmcnt(0)
	; wave barrier
	s_waitcnt lgkmcnt(0)
	ds_read_b32 v28, v23 offset:512
	s_cmp_gt_u32 s35, 59
	v_cndmask_b32_e64 v5, v5, 0, s[16:17]
	s_waitcnt lgkmcnt(0)
	v_lshl_add_u32 v5, v28, 16, v5
	v_add_u32_e32 v8, v5, v8
	v_add_u32_e32 v9, v8, v9
	ds_write2_b32 v21, v5, v8 offset1:1
	v_add_u32_e32 v5, v9, v6
	v_add_u32_e32 v6, v5, v7
	v_add_u32_e32 v2, v6, v2
	v_add_u32_e32 v3, v2, v3
	v_add_u32_e32 v4, v3, v4
	ds_write2_b32 v21, v9, v5 offset0:2 offset1:3
	ds_write2_b32 v21, v6, v2 offset0:4 offset1:5
	;; [unrolled: 1-line block ×3, first 2 shown]
	s_waitcnt lgkmcnt(0)
	; wave barrier
	s_waitcnt lgkmcnt(0)
	ds_read_u16 v2, v25
	ds_read_u16 v3, v27
	s_waitcnt lgkmcnt(1)
	v_add_u32_sdwa v24, v2, v24 dst_sel:DWORD dst_unused:UNUSED_PAD src0_sel:DWORD src1_sel:WORD_0
	s_waitcnt lgkmcnt(0)
	v_add_u32_sdwa v25, v3, v26 dst_sel:DWORD dst_unused:UNUSED_PAD src0_sel:DWORD src1_sel:WORD_0
	s_cbranch_scc0 .LBB149_29
; %bb.40:
                                        ; implicit-def: $vgpr4_vgpr5
                                        ; implicit-def: $vgpr8_vgpr9
                                        ; implicit-def: $sgpr35
.LBB149_41:
	v_lshlrev_b32_e32 v4, 3, v24
	v_lshlrev_b32_e32 v5, 3, v25
	s_waitcnt lgkmcnt(0)
	; wave barrier
	ds_write_b64 v4, v[16:17]
	ds_write_b64 v5, v[14:15]
	s_waitcnt lgkmcnt(0)
	; wave barrier
	s_waitcnt lgkmcnt(0)
	ds_read2_b64 v[0:3], v19 offset1:1
	s_waitcnt lgkmcnt(0)
	; wave barrier
	s_waitcnt lgkmcnt(0)
	ds_write_b64 v4, v[12:13]
	ds_write_b64 v5, v[10:11]
	s_waitcnt lgkmcnt(0)
	; wave barrier
	s_waitcnt lgkmcnt(0)
	ds_read2_b64 v[10:13], v19 offset1:1
	v_xor_b32_e32 v15, 0x7fffffff, v1
	v_xor_b32_e32 v14, -1, v0
	v_xor_b32_e32 v17, 0x7fffffff, v3
	v_xor_b32_e32 v16, -1, v2
.LBB149_42:
	s_waitcnt lgkmcnt(0)
	; wave barrier
	s_waitcnt lgkmcnt(0)
	ds_write2_b64 v31, v[14:15], v[16:17] offset1:1
	s_waitcnt lgkmcnt(0)
	; wave barrier
	s_waitcnt lgkmcnt(0)
	ds_read_b64 v[0:1], v30 offset:128
	v_mov_b32_e32 v19, 0
	v_lshlrev_b64 v[2:3], 3, v[18:19]
	v_mov_b32_e32 v4, s21
	v_add_co_u32_e32 v2, vcc, s19, v2
	v_addc_co_u32_e32 v3, vcc, v4, v3, vcc
	s_and_saveexec_b64 s[4:5], s[0:1]
	s_cbranch_execz .LBB149_44
; %bb.43:
	ds_read_b64 v[4:5], v30
	s_waitcnt lgkmcnt(0)
	global_store_dwordx2 v[2:3], v[4:5], off
.LBB149_44:
	s_or_b64 exec, exec, s[4:5]
	s_and_saveexec_b64 s[4:5], s[2:3]
	s_cbranch_execz .LBB149_46
; %bb.45:
	s_lshl_b32 s6, s18, 4
	s_mov_b32 s7, 0
	s_lshl_b64 s[6:7], s[6:7], 3
	v_mov_b32_e32 v4, s7
	v_add_co_u32_e32 v2, vcc, s6, v2
	v_addc_co_u32_e32 v3, vcc, v3, v4, vcc
	s_waitcnt lgkmcnt(0)
	global_store_dwordx2 v[2:3], v[0:1], off
.LBB149_46:
	s_or_b64 exec, exec, s[4:5]
	s_waitcnt lgkmcnt(0)
	; wave barrier
	s_waitcnt lgkmcnt(0)
	ds_write2_b64 v31, v[10:11], v[12:13] offset1:1
	s_waitcnt lgkmcnt(0)
	; wave barrier
	s_waitcnt lgkmcnt(0)
	ds_read_b64 v[0:1], v30 offset:128
	v_mov_b32_e32 v21, 0
	v_lshlrev_b64 v[2:3], 3, v[20:21]
	v_mov_b32_e32 v4, s31
	v_add_co_u32_e32 v2, vcc, s30, v2
	v_addc_co_u32_e32 v3, vcc, v4, v3, vcc
	s_and_saveexec_b64 s[4:5], s[0:1]
	s_cbranch_execz .LBB149_48
; %bb.47:
	ds_read_b64 v[4:5], v30
	s_waitcnt lgkmcnt(0)
	global_store_dwordx2 v[2:3], v[4:5], off
.LBB149_48:
	s_or_b64 exec, exec, s[4:5]
	s_and_saveexec_b64 s[0:1], s[2:3]
	s_cbranch_execz .LBB149_50
; %bb.49:
	s_lshl_b32 s0, s20, 4
	s_mov_b32 s1, 0
	s_lshl_b64 s[0:1], s[0:1], 3
	v_mov_b32_e32 v4, s1
	v_add_co_u32_e32 v2, vcc, s0, v2
	v_addc_co_u32_e32 v3, vcc, v3, v4, vcc
	s_waitcnt lgkmcnt(0)
	global_store_dwordx2 v[2:3], v[0:1], off
.LBB149_50:
	s_endpgm
	.section	.rodata,"a",@progbits
	.p2align	6, 0x0
	.amdhsa_kernel _ZN2at6native18radixSortKVInPlaceILi2ELin1ELi16ELi2ElljEEvNS_4cuda6detail10TensorInfoIT3_T5_EES6_S6_S6_NS4_IT4_S6_EES6_b
		.amdhsa_group_segment_fixed_size 528
		.amdhsa_private_segment_fixed_size 0
		.amdhsa_kernarg_size 712
		.amdhsa_user_sgpr_count 6
		.amdhsa_user_sgpr_private_segment_buffer 1
		.amdhsa_user_sgpr_dispatch_ptr 0
		.amdhsa_user_sgpr_queue_ptr 0
		.amdhsa_user_sgpr_kernarg_segment_ptr 1
		.amdhsa_user_sgpr_dispatch_id 0
		.amdhsa_user_sgpr_flat_scratch_init 0
		.amdhsa_user_sgpr_kernarg_preload_length 0
		.amdhsa_user_sgpr_kernarg_preload_offset 0
		.amdhsa_user_sgpr_private_segment_size 0
		.amdhsa_uses_dynamic_stack 0
		.amdhsa_system_sgpr_private_segment_wavefront_offset 0
		.amdhsa_system_sgpr_workgroup_id_x 1
		.amdhsa_system_sgpr_workgroup_id_y 1
		.amdhsa_system_sgpr_workgroup_id_z 1
		.amdhsa_system_sgpr_workgroup_info 0
		.amdhsa_system_vgpr_workitem_id 0
		.amdhsa_next_free_vgpr 41
		.amdhsa_next_free_sgpr 40
		.amdhsa_accum_offset 44
		.amdhsa_reserve_vcc 1
		.amdhsa_reserve_flat_scratch 0
		.amdhsa_float_round_mode_32 0
		.amdhsa_float_round_mode_16_64 0
		.amdhsa_float_denorm_mode_32 3
		.amdhsa_float_denorm_mode_16_64 3
		.amdhsa_dx10_clamp 1
		.amdhsa_ieee_mode 1
		.amdhsa_fp16_overflow 0
		.amdhsa_tg_split 0
		.amdhsa_exception_fp_ieee_invalid_op 0
		.amdhsa_exception_fp_denorm_src 0
		.amdhsa_exception_fp_ieee_div_zero 0
		.amdhsa_exception_fp_ieee_overflow 0
		.amdhsa_exception_fp_ieee_underflow 0
		.amdhsa_exception_fp_ieee_inexact 0
		.amdhsa_exception_int_div_zero 0
	.end_amdhsa_kernel
	.section	.text._ZN2at6native18radixSortKVInPlaceILi2ELin1ELi16ELi2ElljEEvNS_4cuda6detail10TensorInfoIT3_T5_EES6_S6_S6_NS4_IT4_S6_EES6_b,"axG",@progbits,_ZN2at6native18radixSortKVInPlaceILi2ELin1ELi16ELi2ElljEEvNS_4cuda6detail10TensorInfoIT3_T5_EES6_S6_S6_NS4_IT4_S6_EES6_b,comdat
.Lfunc_end149:
	.size	_ZN2at6native18radixSortKVInPlaceILi2ELin1ELi16ELi2ElljEEvNS_4cuda6detail10TensorInfoIT3_T5_EES6_S6_S6_NS4_IT4_S6_EES6_b, .Lfunc_end149-_ZN2at6native18radixSortKVInPlaceILi2ELin1ELi16ELi2ElljEEvNS_4cuda6detail10TensorInfoIT3_T5_EES6_S6_S6_NS4_IT4_S6_EES6_b
                                        ; -- End function
	.section	.AMDGPU.csdata,"",@progbits
; Kernel info:
; codeLenInByte = 3184
; NumSgprs: 44
; NumVgprs: 41
; NumAgprs: 0
; TotalNumVgprs: 41
; ScratchSize: 0
; MemoryBound: 0
; FloatMode: 240
; IeeeMode: 1
; LDSByteSize: 528 bytes/workgroup (compile time only)
; SGPRBlocks: 5
; VGPRBlocks: 5
; NumSGPRsForWavesPerEU: 44
; NumVGPRsForWavesPerEU: 41
; AccumOffset: 44
; Occupancy: 8
; WaveLimiterHint : 1
; COMPUTE_PGM_RSRC2:SCRATCH_EN: 0
; COMPUTE_PGM_RSRC2:USER_SGPR: 6
; COMPUTE_PGM_RSRC2:TRAP_HANDLER: 0
; COMPUTE_PGM_RSRC2:TGID_X_EN: 1
; COMPUTE_PGM_RSRC2:TGID_Y_EN: 1
; COMPUTE_PGM_RSRC2:TGID_Z_EN: 1
; COMPUTE_PGM_RSRC2:TIDIG_COMP_CNT: 0
; COMPUTE_PGM_RSRC3_GFX90A:ACCUM_OFFSET: 10
; COMPUTE_PGM_RSRC3_GFX90A:TG_SPLIT: 0
	.section	.text._ZN2at6native18radixSortKVInPlaceILin1ELin1ELi512ELi8ElljEEvNS_4cuda6detail10TensorInfoIT3_T5_EES6_S6_S6_NS4_IT4_S6_EES6_b,"axG",@progbits,_ZN2at6native18radixSortKVInPlaceILin1ELin1ELi512ELi8ElljEEvNS_4cuda6detail10TensorInfoIT3_T5_EES6_S6_S6_NS4_IT4_S6_EES6_b,comdat
	.protected	_ZN2at6native18radixSortKVInPlaceILin1ELin1ELi512ELi8ElljEEvNS_4cuda6detail10TensorInfoIT3_T5_EES6_S6_S6_NS4_IT4_S6_EES6_b ; -- Begin function _ZN2at6native18radixSortKVInPlaceILin1ELin1ELi512ELi8ElljEEvNS_4cuda6detail10TensorInfoIT3_T5_EES6_S6_S6_NS4_IT4_S6_EES6_b
	.globl	_ZN2at6native18radixSortKVInPlaceILin1ELin1ELi512ELi8ElljEEvNS_4cuda6detail10TensorInfoIT3_T5_EES6_S6_S6_NS4_IT4_S6_EES6_b
	.p2align	8
	.type	_ZN2at6native18radixSortKVInPlaceILin1ELin1ELi512ELi8ElljEEvNS_4cuda6detail10TensorInfoIT3_T5_EES6_S6_S6_NS4_IT4_S6_EES6_b,@function
_ZN2at6native18radixSortKVInPlaceILin1ELin1ELi512ELi8ElljEEvNS_4cuda6detail10TensorInfoIT3_T5_EES6_S6_S6_NS4_IT4_S6_EES6_b: ; @_ZN2at6native18radixSortKVInPlaceILin1ELin1ELi512ELi8ElljEEvNS_4cuda6detail10TensorInfoIT3_T5_EES6_S6_S6_NS4_IT4_S6_EES6_b
; %bb.0:
	s_load_dwordx2 s[0:1], s[4:5], 0x1c8
	s_load_dwordx4 s[48:51], s[4:5], 0xd8
	s_add_u32 s54, s4, 0x1c8
	s_addc_u32 s55, s5, 0
	s_waitcnt lgkmcnt(0)
	s_mul_i32 s1, s1, s8
	s_add_i32 s1, s1, s7
	s_mul_i32 s0, s1, s0
	s_add_i32 s26, s0, s6
	s_cmp_ge_u32 s26, s48
	s_cbranch_scc1 .LBB150_113
; %bb.1:
	s_load_dword s2, s[4:5], 0xd0
	s_mov_b32 s1, 0
	s_mov_b32 s0, s26
	s_waitcnt lgkmcnt(0)
	s_cmp_lt_i32 s2, 2
	s_cbranch_scc1 .LBB150_4
; %bb.2:
	s_add_i32 s0, s2, -1
	s_add_i32 s6, s2, 1
	s_lshl_b64 s[2:3], s[0:1], 2
	s_add_u32 s0, s2, s4
	s_addc_u32 s3, s3, s5
	s_add_u32 s2, s0, 8
	s_addc_u32 s3, s3, 0
	s_mov_b32 s0, s26
.LBB150_3:                              ; =>This Inner Loop Header: Depth=1
	s_load_dword s7, s[2:3], 0x0
	s_load_dword s9, s[2:3], 0x64
	s_mov_b32 s8, s0
	s_waitcnt lgkmcnt(0)
	v_cvt_f32_u32_e32 v1, s7
	s_sub_i32 s0, 0, s7
	v_rcp_iflag_f32_e32 v1, v1
	v_mul_f32_e32 v1, 0x4f7ffffe, v1
	v_cvt_u32_f32_e32 v1, v1
	v_readfirstlane_b32 s10, v1
	s_mul_i32 s0, s0, s10
	s_mul_hi_u32 s0, s10, s0
	s_add_i32 s10, s10, s0
	s_mul_hi_u32 s0, s8, s10
	s_mul_i32 s10, s0, s7
	s_sub_i32 s10, s8, s10
	s_add_i32 s11, s0, 1
	s_sub_i32 s12, s10, s7
	s_cmp_ge_u32 s10, s7
	s_cselect_b32 s0, s11, s0
	s_cselect_b32 s10, s12, s10
	s_add_i32 s11, s0, 1
	s_cmp_ge_u32 s10, s7
	s_cselect_b32 s0, s11, s0
	s_mul_i32 s7, s0, s7
	s_sub_i32 s7, s8, s7
	s_mul_i32 s7, s9, s7
	s_add_i32 s6, s6, -1
	s_add_i32 s1, s7, s1
	s_add_u32 s2, s2, -4
	s_addc_u32 s3, s3, -1
	s_cmp_gt_u32 s6, 2
	s_cbranch_scc1 .LBB150_3
.LBB150_4:
	s_load_dword s2, s[4:5], 0x1b8
	s_mov_b32 s25, 0
	s_waitcnt lgkmcnt(0)
	s_cmp_lt_i32 s2, 2
	s_cbranch_scc1 .LBB150_7
; %bb.5:
	s_add_i32 s24, s2, -1
	s_add_i32 s6, s2, 1
	s_lshl_b64 s[2:3], s[24:25], 2
	s_add_u32 s2, s2, s4
	s_addc_u32 s3, s3, s5
	s_add_u32 s2, s2, 0xf0
	s_addc_u32 s3, s3, 0
.LBB150_6:                              ; =>This Inner Loop Header: Depth=1
	s_load_dword s7, s[2:3], 0x0
	s_load_dword s9, s[2:3], 0x64
	s_mov_b32 s8, s26
	s_waitcnt lgkmcnt(0)
	v_cvt_f32_u32_e32 v1, s7
	s_sub_i32 s10, 0, s7
	v_rcp_iflag_f32_e32 v1, v1
	v_mul_f32_e32 v1, 0x4f7ffffe, v1
	v_cvt_u32_f32_e32 v1, v1
	v_readfirstlane_b32 s11, v1
	s_mul_i32 s10, s10, s11
	s_mul_hi_u32 s10, s11, s10
	s_add_i32 s11, s11, s10
	s_mul_hi_u32 s10, s26, s11
	s_mul_i32 s11, s10, s7
	s_sub_i32 s11, s26, s11
	s_add_i32 s12, s10, 1
	s_sub_i32 s13, s11, s7
	s_cmp_ge_u32 s11, s7
	s_cselect_b32 s10, s12, s10
	s_cselect_b32 s11, s13, s11
	s_add_i32 s12, s10, 1
	s_cmp_ge_u32 s11, s7
	s_cselect_b32 s26, s12, s10
	s_mul_i32 s7, s26, s7
	s_sub_i32 s7, s8, s7
	s_mul_i32 s7, s9, s7
	s_add_i32 s6, s6, -1
	s_add_i32 s25, s7, s25
	s_add_u32 s2, s2, -4
	s_addc_u32 s3, s3, -1
	s_cmp_gt_u32 s6, 2
	s_cbranch_scc1 .LBB150_6
.LBB150_7:
	s_load_dword s2, s[4:5], 0x6c
	s_load_dwordx2 s[52:53], s[4:5], 0x1c0
	s_load_dwordx2 s[6:7], s[4:5], 0x0
	s_mov_b32 s3, 0
	v_and_b32_e32 v70, 0x3ff, v0
	s_waitcnt lgkmcnt(0)
	s_mul_i32 s0, s2, s0
	s_add_i32 s2, s0, s1
	s_bitcmp1_b32 s53, 0
	s_cselect_b64 s[34:35], -1, 0
	s_and_b64 s[0:1], s[34:35], exec
	s_brev_b32 s0, 1
	s_cselect_b32 s8, 0, -1
	s_cselect_b32 s9, s0, 0x7fffffff
	s_lshl_b64 s[0:1], s[2:3], 3
	s_add_u32 s33, s6, s0
	s_mov_b32 s10, s8
	s_mov_b32 s11, s9
	;; [unrolled: 1-line block ×14, first 2 shown]
	v_pk_mov_b32 v[2:3], s[8:9], s[8:9] op_sel:[0,1]
	s_addc_u32 s51, s7, s1
	v_cmp_gt_u32_e64 s[0:1], s49, v70
	v_pk_mov_b32 v[4:5], s[10:11], s[10:11] op_sel:[0,1]
	v_pk_mov_b32 v[6:7], s[12:13], s[12:13] op_sel:[0,1]
	v_pk_mov_b32 v[8:9], s[14:15], s[14:15] op_sel:[0,1]
	v_pk_mov_b32 v[10:11], s[16:17], s[16:17] op_sel:[0,1]
	v_pk_mov_b32 v[12:13], s[18:19], s[18:19] op_sel:[0,1]
	v_pk_mov_b32 v[14:15], s[20:21], s[20:21] op_sel:[0,1]
	v_pk_mov_b32 v[16:17], s[22:23], s[22:23] op_sel:[0,1]
	v_pk_mov_b32 v[18:19], s[8:9], s[8:9] op_sel:[0,1]
	v_mul_lo_u32 v66, v70, s50
	s_and_saveexec_b64 s[2:3], s[0:1]
	s_cbranch_execz .LBB150_9
; %bb.8:
	v_mov_b32_e32 v67, 0
	v_lshlrev_b64 v[2:3], 3, v[66:67]
	v_mov_b32_e32 v1, s51
	v_add_co_u32_e32 v2, vcc, s33, v2
	v_addc_co_u32_e32 v3, vcc, v1, v3, vcc
	global_load_dwordx2 v[18:19], v[2:3], off
	v_pk_mov_b32 v[2:3], s[8:9], s[8:9] op_sel:[0,1]
	v_pk_mov_b32 v[4:5], s[10:11], s[10:11] op_sel:[0,1]
	;; [unrolled: 1-line block ×8, first 2 shown]
.LBB150_9:
	s_or_b64 exec, exec, s[2:3]
	v_add_u32_e32 v1, 0x200, v70
	v_cmp_gt_u32_e64 s[2:3], s49, v1
	s_and_saveexec_b64 s[6:7], s[2:3]
	s_cbranch_execz .LBB150_11
; %bb.10:
	v_mul_lo_u32 v2, v1, s50
	v_mov_b32_e32 v3, 0
	v_lshlrev_b64 v[2:3], 3, v[2:3]
	v_mov_b32_e32 v4, s51
	v_add_co_u32_e32 v2, vcc, s33, v2
	v_addc_co_u32_e32 v3, vcc, v4, v3, vcc
	global_load_dwordx2 v[4:5], v[2:3], off
.LBB150_11:
	s_or_b64 exec, exec, s[6:7]
	v_or_b32_e32 v34, 0x400, v70
	v_cmp_gt_u32_e64 s[46:47], s49, v34
	s_and_saveexec_b64 s[6:7], s[46:47]
	s_cbranch_execz .LBB150_13
; %bb.12:
	v_mul_lo_u32 v2, v34, s50
	v_mov_b32_e32 v3, 0
	v_lshlrev_b64 v[2:3], 3, v[2:3]
	v_mov_b32_e32 v6, s51
	v_add_co_u32_e32 v2, vcc, s33, v2
	v_addc_co_u32_e32 v3, vcc, v6, v3, vcc
	global_load_dwordx2 v[6:7], v[2:3], off
.LBB150_13:
	s_or_b64 exec, exec, s[6:7]
	v_add_u32_e32 v35, 0x600, v70
	v_cmp_gt_u32_e64 s[6:7], s49, v35
	s_and_saveexec_b64 s[8:9], s[6:7]
	s_cbranch_execz .LBB150_15
; %bb.14:
	v_mul_lo_u32 v2, v35, s50
	v_mov_b32_e32 v3, 0
	v_lshlrev_b64 v[2:3], 3, v[2:3]
	v_mov_b32_e32 v8, s51
	v_add_co_u32_e32 v2, vcc, s33, v2
	v_addc_co_u32_e32 v3, vcc, v8, v3, vcc
	global_load_dwordx2 v[8:9], v[2:3], off
.LBB150_15:
	s_or_b64 exec, exec, s[8:9]
	v_or_b32_e32 v36, 0x800, v70
	v_cmp_gt_u32_e64 s[8:9], s49, v36
	s_and_saveexec_b64 s[10:11], s[8:9]
	s_cbranch_execz .LBB150_17
; %bb.16:
	v_mul_lo_u32 v2, v36, s50
	v_mov_b32_e32 v3, 0
	v_lshlrev_b64 v[2:3], 3, v[2:3]
	v_mov_b32_e32 v10, s51
	v_add_co_u32_e32 v2, vcc, s33, v2
	v_addc_co_u32_e32 v3, vcc, v10, v3, vcc
	global_load_dwordx2 v[10:11], v[2:3], off
.LBB150_17:
	s_or_b64 exec, exec, s[10:11]
	v_add_u32_e32 v37, 0xa00, v70
	v_cmp_gt_u32_e64 s[10:11], s49, v37
	s_and_saveexec_b64 s[12:13], s[10:11]
	s_cbranch_execz .LBB150_19
; %bb.18:
	v_mul_lo_u32 v2, v37, s50
	v_mov_b32_e32 v3, 0
	v_lshlrev_b64 v[2:3], 3, v[2:3]
	v_mov_b32_e32 v12, s51
	v_add_co_u32_e32 v2, vcc, s33, v2
	v_addc_co_u32_e32 v3, vcc, v12, v3, vcc
	global_load_dwordx2 v[12:13], v[2:3], off
.LBB150_19:
	s_or_b64 exec, exec, s[12:13]
	s_load_dwordx2 s[18:19], s[4:5], 0xe8
	v_or_b32_e32 v38, 0xc00, v70
	v_cmp_gt_u32_e64 s[12:13], s49, v38
	s_and_saveexec_b64 s[14:15], s[12:13]
	s_cbranch_execz .LBB150_21
; %bb.20:
	v_mul_lo_u32 v2, v38, s50
	v_mov_b32_e32 v3, 0
	v_lshlrev_b64 v[2:3], 3, v[2:3]
	v_mov_b32_e32 v14, s51
	v_add_co_u32_e32 v2, vcc, s33, v2
	v_addc_co_u32_e32 v3, vcc, v14, v3, vcc
	global_load_dwordx2 v[14:15], v[2:3], off
.LBB150_21:
	s_or_b64 exec, exec, s[14:15]
	s_load_dword s16, s[4:5], 0x154
	v_add_u32_e32 v39, 0xe00, v70
	v_cmp_gt_u32_e64 s[14:15], s49, v39
	s_and_saveexec_b64 s[4:5], s[14:15]
	s_cbranch_execz .LBB150_23
; %bb.22:
	v_mul_lo_u32 v2, v39, s50
	v_mov_b32_e32 v3, 0
	v_lshlrev_b64 v[2:3], 3, v[2:3]
	v_mov_b32_e32 v16, s51
	v_add_co_u32_e32 v2, vcc, s33, v2
	v_addc_co_u32_e32 v3, vcc, v16, v3, vcc
	global_load_dwordx2 v[16:17], v[2:3], off
.LBB150_23:
	s_or_b64 exec, exec, s[4:5]
	v_lshrrev_b32_e32 v2, 5, v70
	v_add_lshl_u32 v71, v2, v70, 3
	v_lshrrev_b32_e32 v2, 5, v1
	v_add_lshl_u32 v104, v2, v70, 3
	;; [unrolled: 2-line block ×8, first 2 shown]
	v_lshlrev_b32_e32 v67, 3, v70
	v_lshrrev_b32_e32 v2, 2, v70
	v_add_lshl_u32 v111, v2, v67, 3
	s_waitcnt vmcnt(0)
	ds_write_b64 v71, v[18:19]
	ds_write_b64 v104, v[4:5] offset:4096
	ds_write_b64 v105, v[6:7] offset:8192
	;; [unrolled: 1-line block ×7, first 2 shown]
	s_waitcnt lgkmcnt(0)
	s_barrier
	ds_read2_b64 v[30:33], v111 offset1:1
	ds_read2_b64 v[26:29], v111 offset0:2 offset1:3
	ds_read2_b64 v[22:25], v111 offset0:4 offset1:5
	;; [unrolled: 1-line block ×3, first 2 shown]
	s_mul_i32 s4, s16, s26
	s_add_i32 s16, s4, s25
	s_mov_b32 s17, 0
	s_lshl_b64 s[4:5], s[16:17], 3
	s_add_u32 s53, s18, s4
	s_mov_b32 s16, s17
	s_addc_u32 s56, s19, s5
	s_mov_b32 s18, s17
	s_mov_b32 s19, s17
	;; [unrolled: 1-line block ×14, first 2 shown]
	v_pk_mov_b32 v[2:3], s[16:17], s[16:17] op_sel:[0,1]
	v_pk_mov_b32 v[4:5], s[18:19], s[18:19] op_sel:[0,1]
	;; [unrolled: 1-line block ×8, first 2 shown]
	v_pk_mov_b32 v[2:3], 0, 0
	v_mul_lo_u32 v68, v70, s52
	s_waitcnt lgkmcnt(0)
	s_barrier
	s_and_saveexec_b64 s[4:5], s[0:1]
	s_cbranch_execnz .LBB150_60
; %bb.24:
	s_or_b64 exec, exec, s[4:5]
	s_and_saveexec_b64 s[4:5], s[2:3]
	s_cbranch_execnz .LBB150_61
.LBB150_25:
	s_or_b64 exec, exec, s[4:5]
	s_and_saveexec_b64 s[4:5], s[46:47]
	s_cbranch_execnz .LBB150_62
.LBB150_26:
	s_or_b64 exec, exec, s[4:5]
	s_and_saveexec_b64 s[4:5], s[6:7]
	s_cbranch_execnz .LBB150_63
.LBB150_27:
	s_or_b64 exec, exec, s[4:5]
	s_and_saveexec_b64 s[4:5], s[8:9]
	s_cbranch_execnz .LBB150_64
.LBB150_28:
	s_or_b64 exec, exec, s[4:5]
	s_and_saveexec_b64 s[4:5], s[10:11]
	s_cbranch_execnz .LBB150_65
.LBB150_29:
	s_or_b64 exec, exec, s[4:5]
	s_and_saveexec_b64 s[4:5], s[12:13]
	s_cbranch_execnz .LBB150_66
.LBB150_30:
	s_or_b64 exec, exec, s[4:5]
	s_xor_b64 s[4:5], s[34:35], -1
	s_and_saveexec_b64 s[16:17], s[14:15]
	s_cbranch_execz .LBB150_32
.LBB150_31:
	v_mul_lo_u32 v16, v39, s52
	v_mov_b32_e32 v17, 0
	v_lshlrev_b64 v[16:17], 3, v[16:17]
	v_mov_b32_e32 v1, s56
	v_add_co_u32_e32 v16, vcc, s53, v16
	v_addc_co_u32_e32 v17, vcc, v1, v17, vcc
	global_load_dwordx2 v[16:17], v[16:17], off
.LBB150_32:
	s_or_b64 exec, exec, s[16:17]
	s_waitcnt vmcnt(0)
	ds_write_b64 v71, v[2:3]
	ds_write_b64 v104, v[4:5] offset:4096
	ds_write_b64 v105, v[6:7] offset:8192
	;; [unrolled: 1-line block ×7, first 2 shown]
	s_waitcnt lgkmcnt(0)
	s_barrier
	ds_read2_b64 v[14:17], v111 offset1:1
	ds_read2_b64 v[10:13], v111 offset0:2 offset1:3
	ds_read2_b64 v[6:9], v111 offset0:4 offset1:5
	;; [unrolled: 1-line block ×3, first 2 shown]
	v_mbcnt_lo_u32_b32 v1, -1, 0
	v_mbcnt_hi_u32_b32 v113, -1, v1
	v_and_b32_e32 v1, 0x1e00, v67
	v_and_b32_e32 v114, 0x3c0, v70
	v_or_b32_e32 v34, v113, v1
	v_add_lshl_u32 v125, v113, v114, 6
	v_lshlrev_b32_e32 v124, 3, v34
	s_and_b64 vcc, exec, s[4:5]
	v_bfe_u32 v122, v0, 10, 10
	v_bfe_u32 v123, v0, 20, 10
	v_lshlrev_b32_e32 v69, 2, v70
	v_lshlrev_b32_e32 v112, 4, v70
	v_and_b32_e32 v120, 15, v113
	v_and_b32_e32 v121, 16, v113
	v_cmp_lt_u32_e64 s[16:17], 31, v113
	v_cmp_gt_u32_e64 s[18:19], 8, v70
	v_cmp_lt_u32_e64 s[20:21], 63, v70
	v_add_u32_e32 v117, -1, v113
	v_and_b32_e32 v119, 64, v113
	v_cmp_eq_u32_e64 s[22:23], 0, v113
	v_cmp_eq_u32_e64 s[24:25], 0, v70
	v_lshrrev_b32_e32 v118, 4, v70
	v_and_b32_e32 v116, 7, v113
	v_and_or_b32 v115, v113, 63, v1
	s_waitcnt lgkmcnt(0)
	s_barrier
	s_cbranch_vccz .LBB150_67
; %bb.33:
	v_xor_b32_e32 v1, 0x80000000, v31
	v_xor_b32_e32 v35, 0x80000000, v33
	v_xor_b32_e32 v37, 0x80000000, v27
	v_xor_b32_e32 v39, 0x80000000, v29
	v_xor_b32_e32 v41, 0x80000000, v23
	v_xor_b32_e32 v43, 0x80000000, v25
	v_xor_b32_e32 v45, 0x80000000, v19
	v_xor_b32_e32 v47, 0x80000000, v21
	v_mov_b32_e32 v0, v30
	v_mov_b32_e32 v34, v32
	;; [unrolled: 1-line block ×8, first 2 shown]
	ds_write2_b64 v125, v[0:1], v[34:35] offset1:1
	ds_write2_b64 v125, v[36:37], v[38:39] offset0:2 offset1:3
	ds_write2_b64 v125, v[40:41], v[42:43] offset0:4 offset1:5
	;; [unrolled: 1-line block ×3, first 2 shown]
	; wave barrier
	ds_read2st64_b64 v[34:37], v124 offset1:1
	ds_read2st64_b64 v[38:41], v124 offset0:2 offset1:3
	ds_read2st64_b64 v[42:45], v124 offset0:4 offset1:5
	;; [unrolled: 1-line block ×3, first 2 shown]
	; wave barrier
	ds_write2_b64 v125, v[14:15], v[16:17] offset1:1
	ds_write2_b64 v125, v[10:11], v[12:13] offset0:2 offset1:3
	ds_write2_b64 v125, v[6:7], v[8:9] offset0:4 offset1:5
	;; [unrolled: 1-line block ×3, first 2 shown]
	; wave barrier
	ds_read2st64_b64 v[50:53], v124 offset1:1
	ds_read2st64_b64 v[54:57], v124 offset0:2 offset1:3
	ds_read2st64_b64 v[58:61], v124 offset0:4 offset1:5
	;; [unrolled: 1-line block ×3, first 2 shown]
	s_waitcnt lgkmcnt(0)
	s_barrier
	s_load_dword s26, s[54:55], 0xc
	s_getpc_b64 s[4:5]
	s_add_u32 s4, s4, _ZN7rocprim17ROCPRIM_400000_NS16block_radix_sortIlLj512ELj8ElLj1ELj1ELj0ELNS0_26block_radix_rank_algorithmE1ELNS0_18block_padding_hintE2ELNS0_4arch9wavefront6targetE1EE19radix_bits_per_passE@rel32@lo+4
	s_addc_u32 s5, s5, _ZN7rocprim17ROCPRIM_400000_NS16block_radix_sortIlLj512ELj8ElLj1ELj1ELj0ELNS0_26block_radix_rank_algorithmE1ELNS0_18block_padding_hintE2ELNS0_4arch9wavefront6targetE1EE19radix_bits_per_passE@rel32@hi+12
	s_load_dword s57, s[4:5], 0x0
	v_cmp_lt_i32_e32 vcc, v117, v119
	v_and_b32_e32 v129, 60, v118
	s_waitcnt lgkmcnt(0)
	s_lshr_b32 s4, s26, 16
	s_and_b32 s5, s26, 0xffff
	v_mad_u32_u24 v0, v123, s4, v122
	v_mad_u64_u32 v[0:1], s[4:5], v0, s5, v[70:71]
	v_lshrrev_b32_e32 v127, 6, v0
	v_min_u32_e32 v0, 0x1c0, v114
	v_or_b32_e32 v0, 63, v0
	v_cmp_eq_u32_e64 s[38:39], v0, v70
	v_cndmask_b32_e32 v0, v117, v113, vcc
	v_add_u32_e32 v126, 32, v112
	v_cmp_eq_u32_e64 s[26:27], 0, v120
	v_cmp_lt_u32_e64 s[28:29], 1, v120
	v_cmp_lt_u32_e64 s[30:31], 3, v120
	;; [unrolled: 1-line block ×3, first 2 shown]
	v_cmp_eq_u32_e64 s[36:37], 0, v121
	s_mov_b32 s58, 64
	v_lshlrev_b32_e32 v128, 2, v0
	v_cmp_eq_u32_e64 s[40:41], 0, v116
	v_cmp_lt_u32_e64 s[42:43], 1, v116
	v_cmp_lt_u32_e64 s[44:45], 3, v116
	v_add_u32_e32 v130, -4, v129
	v_lshlrev_b32_e32 v131, 3, v115
	s_mov_b64 s[48:49], 0
	v_mov_b32_e32 v86, 0
	s_branch .LBB150_35
.LBB150_34:                             ;   in Loop: Header=BB150_35 Depth=1
	v_lshlrev_b32_e32 v50, 3, v138
	v_lshlrev_b32_e32 v51, 3, v137
	;; [unrolled: 1-line block ×8, first 2 shown]
	s_barrier
	ds_write_b64 v50, v[102:103]
	ds_write_b64 v51, v[100:101]
	;; [unrolled: 1-line block ×8, first 2 shown]
	s_waitcnt lgkmcnt(0)
	s_barrier
	ds_read2st64_b64 v[34:37], v131 offset1:1
	ds_read2st64_b64 v[38:41], v131 offset0:2 offset1:3
	ds_read2st64_b64 v[42:45], v131 offset0:4 offset1:5
	;; [unrolled: 1-line block ×3, first 2 shown]
	s_waitcnt lgkmcnt(0)
	s_barrier
	ds_write_b64 v50, v[84:85]
	ds_write_b64 v51, v[82:83]
	;; [unrolled: 1-line block ×8, first 2 shown]
	s_waitcnt lgkmcnt(0)
	s_barrier
	ds_read2st64_b64 v[50:53], v131 offset1:1
	ds_read2st64_b64 v[54:57], v131 offset0:2 offset1:3
	ds_read2st64_b64 v[58:61], v131 offset0:4 offset1:5
	;; [unrolled: 1-line block ×3, first 2 shown]
	s_add_u32 s48, s48, 8
	s_addc_u32 s49, s49, 0
	s_add_i32 s58, s58, -8
	s_waitcnt lgkmcnt(0)
	s_barrier
	s_cbranch_execz .LBB150_59
.LBB150_35:                             ; =>This Inner Loop Header: Depth=1
	s_min_u32 s4, s57, s58
	v_pk_mov_b32 v[102:103], v[34:35], v[34:35] op_sel:[0,1]
	s_lshl_b32 s4, -1, s4
	s_not_b32 s59, s4
	v_lshrrev_b64 v[34:35], s48, v[102:103]
	v_and_b32_e32 v34, s59, v34
	v_lshl_add_u32 v35, v34, 3, v127
	v_pk_mov_b32 v[98:99], v[38:39], v[38:39] op_sel:[0,1]
	v_lshl_add_u32 v38, v35, 2, 32
	v_and_b32_e32 v35, 1, v34
	v_pk_mov_b32 v[100:101], v[36:37], v[36:37] op_sel:[0,1]
	v_add_co_u32_e32 v36, vcc, -1, v35
	v_addc_co_u32_e64 v37, s[4:5], 0, -1, vcc
	v_cmp_ne_u32_e32 vcc, 0, v35
	v_lshlrev_b32_e32 v87, 30, v34
	v_xor_b32_e32 v35, vcc_hi, v37
	v_not_b32_e32 v37, v87
	v_xor_b32_e32 v36, vcc_lo, v36
	v_cmp_gt_i64_e32 vcc, 0, v[86:87]
	v_ashrrev_i32_e32 v37, 31, v37
	v_and_b32_e32 v36, exec_lo, v36
	v_xor_b32_e32 v39, vcc_hi, v37
	v_xor_b32_e32 v37, vcc_lo, v37
	v_lshlrev_b32_e32 v87, 29, v34
	v_and_b32_e32 v36, v36, v37
	v_not_b32_e32 v37, v87
	v_and_b32_e32 v35, exec_hi, v35
	v_cmp_gt_i64_e32 vcc, 0, v[86:87]
	v_ashrrev_i32_e32 v37, 31, v37
	v_and_b32_e32 v35, v35, v39
	v_xor_b32_e32 v39, vcc_hi, v37
	v_xor_b32_e32 v37, vcc_lo, v37
	v_lshlrev_b32_e32 v87, 28, v34
	v_and_b32_e32 v36, v36, v37
	v_not_b32_e32 v37, v87
	v_cmp_gt_i64_e32 vcc, 0, v[86:87]
	v_ashrrev_i32_e32 v37, 31, v37
	v_and_b32_e32 v35, v35, v39
	v_xor_b32_e32 v39, vcc_hi, v37
	v_xor_b32_e32 v37, vcc_lo, v37
	v_lshlrev_b32_e32 v87, 27, v34
	v_and_b32_e32 v36, v36, v37
	v_not_b32_e32 v37, v87
	;; [unrolled: 8-line block ×3, first 2 shown]
	v_cmp_gt_i64_e32 vcc, 0, v[86:87]
	v_ashrrev_i32_e32 v37, 31, v37
	v_and_b32_e32 v35, v35, v39
	v_xor_b32_e32 v39, vcc_hi, v37
	v_xor_b32_e32 v37, vcc_lo, v37
	v_lshlrev_b32_e32 v87, 25, v34
	v_and_b32_e32 v36, v36, v37
	v_cmp_gt_i64_e32 vcc, 0, v[86:87]
	v_not_b32_e32 v37, v87
	v_lshlrev_b32_e32 v87, 24, v34
	v_ashrrev_i32_e32 v37, 31, v37
	v_not_b32_e32 v34, v87
	v_and_b32_e32 v35, v35, v39
	v_xor_b32_e32 v39, vcc_hi, v37
	v_xor_b32_e32 v37, vcc_lo, v37
	v_cmp_gt_i64_e32 vcc, 0, v[86:87]
	v_ashrrev_i32_e32 v34, 31, v34
	v_and_b32_e32 v36, v36, v37
	v_xor_b32_e32 v37, vcc_hi, v34
	v_xor_b32_e32 v34, vcc_lo, v34
	v_and_b32_e32 v35, v35, v39
	v_and_b32_e32 v34, v36, v34
	;; [unrolled: 1-line block ×3, first 2 shown]
	v_mbcnt_lo_u32_b32 v36, v34, 0
	v_mbcnt_hi_u32_b32 v39, v35, v36
	v_cmp_eq_u32_e32 vcc, 0, v39
	v_cmp_ne_u64_e64 s[4:5], 0, v[34:35]
	v_pk_mov_b32 v[88:89], v[48:49], v[48:49] op_sel:[0,1]
	v_pk_mov_b32 v[90:91], v[46:47], v[46:47] op_sel:[0,1]
	v_pk_mov_b32 v[92:93], v[44:45], v[44:45] op_sel:[0,1]
	v_pk_mov_b32 v[94:95], v[42:43], v[42:43] op_sel:[0,1]
	v_pk_mov_b32 v[96:97], v[40:41], v[40:41] op_sel:[0,1]
	v_pk_mov_b32 v[0:1], v[64:65], v[64:65] op_sel:[0,1]
	v_pk_mov_b32 v[72:73], v[62:63], v[62:63] op_sel:[0,1]
	v_pk_mov_b32 v[74:75], v[60:61], v[60:61] op_sel:[0,1]
	v_pk_mov_b32 v[76:77], v[58:59], v[58:59] op_sel:[0,1]
	v_pk_mov_b32 v[78:79], v[56:57], v[56:57] op_sel:[0,1]
	v_pk_mov_b32 v[80:81], v[54:55], v[54:55] op_sel:[0,1]
	v_pk_mov_b32 v[82:83], v[52:53], v[52:53] op_sel:[0,1]
	v_pk_mov_b32 v[84:85], v[50:51], v[50:51] op_sel:[0,1]
	s_and_b64 s[60:61], s[4:5], vcc
	ds_write2_b32 v112, v86, v86 offset0:8 offset1:9
	ds_write2_b32 v126, v86, v86 offset0:2 offset1:3
	s_waitcnt lgkmcnt(0)
	s_barrier
	s_waitcnt lgkmcnt(0)
	; wave barrier
	s_and_saveexec_b64 s[4:5], s[60:61]
	s_cbranch_execz .LBB150_37
; %bb.36:                               ;   in Loop: Header=BB150_35 Depth=1
	v_bcnt_u32_b32 v34, v34, 0
	v_bcnt_u32_b32 v34, v35, v34
	ds_write_b32 v38, v34
.LBB150_37:                             ;   in Loop: Header=BB150_35 Depth=1
	s_or_b64 exec, exec, s[4:5]
	v_lshrrev_b64 v[34:35], s48, v[100:101]
	v_and_b32_e32 v34, s59, v34
	v_lshlrev_b32_e32 v35, 3, v34
	v_add_lshl_u32 v35, v35, v127, 2
	; wave barrier
	v_add_u32_e32 v41, 32, v35
	ds_read_b32 v40, v35 offset:32
	v_and_b32_e32 v35, 1, v34
	v_add_co_u32_e32 v36, vcc, -1, v35
	v_addc_co_u32_e64 v37, s[4:5], 0, -1, vcc
	v_cmp_ne_u32_e32 vcc, 0, v35
	v_lshlrev_b32_e32 v87, 30, v34
	v_xor_b32_e32 v35, vcc_hi, v37
	v_not_b32_e32 v37, v87
	v_xor_b32_e32 v36, vcc_lo, v36
	v_cmp_gt_i64_e32 vcc, 0, v[86:87]
	v_ashrrev_i32_e32 v37, 31, v37
	v_and_b32_e32 v36, exec_lo, v36
	v_xor_b32_e32 v42, vcc_hi, v37
	v_xor_b32_e32 v37, vcc_lo, v37
	v_lshlrev_b32_e32 v87, 29, v34
	v_and_b32_e32 v36, v36, v37
	v_not_b32_e32 v37, v87
	v_and_b32_e32 v35, exec_hi, v35
	v_cmp_gt_i64_e32 vcc, 0, v[86:87]
	v_ashrrev_i32_e32 v37, 31, v37
	v_and_b32_e32 v35, v35, v42
	v_xor_b32_e32 v42, vcc_hi, v37
	v_xor_b32_e32 v37, vcc_lo, v37
	v_lshlrev_b32_e32 v87, 28, v34
	v_and_b32_e32 v36, v36, v37
	v_not_b32_e32 v37, v87
	v_cmp_gt_i64_e32 vcc, 0, v[86:87]
	v_ashrrev_i32_e32 v37, 31, v37
	v_and_b32_e32 v35, v35, v42
	v_xor_b32_e32 v42, vcc_hi, v37
	v_xor_b32_e32 v37, vcc_lo, v37
	v_lshlrev_b32_e32 v87, 27, v34
	v_and_b32_e32 v36, v36, v37
	v_not_b32_e32 v37, v87
	;; [unrolled: 8-line block ×3, first 2 shown]
	v_cmp_gt_i64_e32 vcc, 0, v[86:87]
	v_ashrrev_i32_e32 v37, 31, v37
	v_and_b32_e32 v35, v35, v42
	v_xor_b32_e32 v42, vcc_hi, v37
	v_xor_b32_e32 v37, vcc_lo, v37
	v_lshlrev_b32_e32 v87, 25, v34
	v_and_b32_e32 v36, v36, v37
	v_cmp_gt_i64_e32 vcc, 0, v[86:87]
	v_not_b32_e32 v37, v87
	v_lshlrev_b32_e32 v87, 24, v34
	v_ashrrev_i32_e32 v37, 31, v37
	v_not_b32_e32 v34, v87
	v_and_b32_e32 v35, v35, v42
	v_xor_b32_e32 v42, vcc_hi, v37
	v_xor_b32_e32 v37, vcc_lo, v37
	v_cmp_gt_i64_e32 vcc, 0, v[86:87]
	v_ashrrev_i32_e32 v34, 31, v34
	v_and_b32_e32 v36, v36, v37
	v_xor_b32_e32 v37, vcc_hi, v34
	v_xor_b32_e32 v34, vcc_lo, v34
	v_and_b32_e32 v35, v35, v42
	v_and_b32_e32 v34, v36, v34
	;; [unrolled: 1-line block ×3, first 2 shown]
	v_mbcnt_lo_u32_b32 v36, v34, 0
	v_mbcnt_hi_u32_b32 v42, v35, v36
	v_cmp_eq_u32_e32 vcc, 0, v42
	v_cmp_ne_u64_e64 s[4:5], 0, v[34:35]
	s_and_b64 s[60:61], s[4:5], vcc
	; wave barrier
	s_and_saveexec_b64 s[4:5], s[60:61]
	s_cbranch_execz .LBB150_39
; %bb.38:                               ;   in Loop: Header=BB150_35 Depth=1
	v_bcnt_u32_b32 v34, v34, 0
	v_bcnt_u32_b32 v34, v35, v34
	s_waitcnt lgkmcnt(0)
	v_add_u32_e32 v34, v40, v34
	ds_write_b32 v41, v34
.LBB150_39:                             ;   in Loop: Header=BB150_35 Depth=1
	s_or_b64 exec, exec, s[4:5]
	v_lshrrev_b64 v[34:35], s48, v[98:99]
	v_and_b32_e32 v34, s59, v34
	v_lshlrev_b32_e32 v35, 3, v34
	v_add_lshl_u32 v35, v35, v127, 2
	; wave barrier
	v_add_u32_e32 v44, 32, v35
	ds_read_b32 v43, v35 offset:32
	v_and_b32_e32 v35, 1, v34
	v_add_co_u32_e32 v36, vcc, -1, v35
	v_addc_co_u32_e64 v37, s[4:5], 0, -1, vcc
	v_cmp_ne_u32_e32 vcc, 0, v35
	v_lshlrev_b32_e32 v87, 30, v34
	v_xor_b32_e32 v35, vcc_hi, v37
	v_not_b32_e32 v37, v87
	v_xor_b32_e32 v36, vcc_lo, v36
	v_cmp_gt_i64_e32 vcc, 0, v[86:87]
	v_ashrrev_i32_e32 v37, 31, v37
	v_and_b32_e32 v36, exec_lo, v36
	v_xor_b32_e32 v45, vcc_hi, v37
	v_xor_b32_e32 v37, vcc_lo, v37
	v_lshlrev_b32_e32 v87, 29, v34
	v_and_b32_e32 v36, v36, v37
	v_not_b32_e32 v37, v87
	v_and_b32_e32 v35, exec_hi, v35
	v_cmp_gt_i64_e32 vcc, 0, v[86:87]
	v_ashrrev_i32_e32 v37, 31, v37
	v_and_b32_e32 v35, v35, v45
	v_xor_b32_e32 v45, vcc_hi, v37
	v_xor_b32_e32 v37, vcc_lo, v37
	v_lshlrev_b32_e32 v87, 28, v34
	v_and_b32_e32 v36, v36, v37
	v_not_b32_e32 v37, v87
	v_cmp_gt_i64_e32 vcc, 0, v[86:87]
	v_ashrrev_i32_e32 v37, 31, v37
	v_and_b32_e32 v35, v35, v45
	v_xor_b32_e32 v45, vcc_hi, v37
	v_xor_b32_e32 v37, vcc_lo, v37
	v_lshlrev_b32_e32 v87, 27, v34
	v_and_b32_e32 v36, v36, v37
	v_not_b32_e32 v37, v87
	;; [unrolled: 8-line block ×3, first 2 shown]
	v_cmp_gt_i64_e32 vcc, 0, v[86:87]
	v_ashrrev_i32_e32 v37, 31, v37
	v_and_b32_e32 v35, v35, v45
	v_xor_b32_e32 v45, vcc_hi, v37
	v_xor_b32_e32 v37, vcc_lo, v37
	v_lshlrev_b32_e32 v87, 25, v34
	v_and_b32_e32 v36, v36, v37
	v_cmp_gt_i64_e32 vcc, 0, v[86:87]
	v_not_b32_e32 v37, v87
	v_lshlrev_b32_e32 v87, 24, v34
	v_ashrrev_i32_e32 v37, 31, v37
	v_not_b32_e32 v34, v87
	v_and_b32_e32 v35, v35, v45
	v_xor_b32_e32 v45, vcc_hi, v37
	v_xor_b32_e32 v37, vcc_lo, v37
	v_cmp_gt_i64_e32 vcc, 0, v[86:87]
	v_ashrrev_i32_e32 v34, 31, v34
	v_and_b32_e32 v36, v36, v37
	v_xor_b32_e32 v37, vcc_hi, v34
	v_xor_b32_e32 v34, vcc_lo, v34
	v_and_b32_e32 v35, v35, v45
	v_and_b32_e32 v34, v36, v34
	;; [unrolled: 1-line block ×3, first 2 shown]
	v_mbcnt_lo_u32_b32 v36, v34, 0
	v_mbcnt_hi_u32_b32 v45, v35, v36
	v_cmp_eq_u32_e32 vcc, 0, v45
	v_cmp_ne_u64_e64 s[4:5], 0, v[34:35]
	s_and_b64 s[60:61], s[4:5], vcc
	; wave barrier
	s_and_saveexec_b64 s[4:5], s[60:61]
	s_cbranch_execz .LBB150_41
; %bb.40:                               ;   in Loop: Header=BB150_35 Depth=1
	v_bcnt_u32_b32 v34, v34, 0
	v_bcnt_u32_b32 v34, v35, v34
	s_waitcnt lgkmcnt(0)
	v_add_u32_e32 v34, v43, v34
	ds_write_b32 v44, v34
.LBB150_41:                             ;   in Loop: Header=BB150_35 Depth=1
	s_or_b64 exec, exec, s[4:5]
	v_lshrrev_b64 v[34:35], s48, v[96:97]
	v_and_b32_e32 v34, s59, v34
	v_lshlrev_b32_e32 v35, 3, v34
	v_add_lshl_u32 v35, v35, v127, 2
	; wave barrier
	v_add_u32_e32 v47, 32, v35
	ds_read_b32 v46, v35 offset:32
	v_and_b32_e32 v35, 1, v34
	v_add_co_u32_e32 v36, vcc, -1, v35
	v_addc_co_u32_e64 v37, s[4:5], 0, -1, vcc
	v_cmp_ne_u32_e32 vcc, 0, v35
	v_lshlrev_b32_e32 v87, 30, v34
	v_xor_b32_e32 v35, vcc_hi, v37
	v_not_b32_e32 v37, v87
	v_xor_b32_e32 v36, vcc_lo, v36
	v_cmp_gt_i64_e32 vcc, 0, v[86:87]
	v_ashrrev_i32_e32 v37, 31, v37
	v_and_b32_e32 v36, exec_lo, v36
	v_xor_b32_e32 v48, vcc_hi, v37
	v_xor_b32_e32 v37, vcc_lo, v37
	v_lshlrev_b32_e32 v87, 29, v34
	v_and_b32_e32 v36, v36, v37
	v_not_b32_e32 v37, v87
	v_and_b32_e32 v35, exec_hi, v35
	v_cmp_gt_i64_e32 vcc, 0, v[86:87]
	v_ashrrev_i32_e32 v37, 31, v37
	v_and_b32_e32 v35, v35, v48
	v_xor_b32_e32 v48, vcc_hi, v37
	v_xor_b32_e32 v37, vcc_lo, v37
	v_lshlrev_b32_e32 v87, 28, v34
	v_and_b32_e32 v36, v36, v37
	v_not_b32_e32 v37, v87
	v_cmp_gt_i64_e32 vcc, 0, v[86:87]
	v_ashrrev_i32_e32 v37, 31, v37
	v_and_b32_e32 v35, v35, v48
	v_xor_b32_e32 v48, vcc_hi, v37
	v_xor_b32_e32 v37, vcc_lo, v37
	v_lshlrev_b32_e32 v87, 27, v34
	v_and_b32_e32 v36, v36, v37
	v_not_b32_e32 v37, v87
	;; [unrolled: 8-line block ×3, first 2 shown]
	v_cmp_gt_i64_e32 vcc, 0, v[86:87]
	v_ashrrev_i32_e32 v37, 31, v37
	v_and_b32_e32 v35, v35, v48
	v_xor_b32_e32 v48, vcc_hi, v37
	v_xor_b32_e32 v37, vcc_lo, v37
	v_lshlrev_b32_e32 v87, 25, v34
	v_and_b32_e32 v36, v36, v37
	v_cmp_gt_i64_e32 vcc, 0, v[86:87]
	v_not_b32_e32 v37, v87
	v_lshlrev_b32_e32 v87, 24, v34
	v_ashrrev_i32_e32 v37, 31, v37
	v_not_b32_e32 v34, v87
	v_and_b32_e32 v35, v35, v48
	v_xor_b32_e32 v48, vcc_hi, v37
	v_xor_b32_e32 v37, vcc_lo, v37
	v_cmp_gt_i64_e32 vcc, 0, v[86:87]
	v_ashrrev_i32_e32 v34, 31, v34
	v_and_b32_e32 v36, v36, v37
	v_xor_b32_e32 v37, vcc_hi, v34
	v_xor_b32_e32 v34, vcc_lo, v34
	v_and_b32_e32 v35, v35, v48
	v_and_b32_e32 v34, v36, v34
	;; [unrolled: 1-line block ×3, first 2 shown]
	v_mbcnt_lo_u32_b32 v36, v34, 0
	v_mbcnt_hi_u32_b32 v48, v35, v36
	v_cmp_eq_u32_e32 vcc, 0, v48
	v_cmp_ne_u64_e64 s[4:5], 0, v[34:35]
	s_and_b64 s[60:61], s[4:5], vcc
	; wave barrier
	s_and_saveexec_b64 s[4:5], s[60:61]
	s_cbranch_execz .LBB150_43
; %bb.42:                               ;   in Loop: Header=BB150_35 Depth=1
	v_bcnt_u32_b32 v34, v34, 0
	v_bcnt_u32_b32 v34, v35, v34
	s_waitcnt lgkmcnt(0)
	v_add_u32_e32 v34, v46, v34
	ds_write_b32 v47, v34
.LBB150_43:                             ;   in Loop: Header=BB150_35 Depth=1
	s_or_b64 exec, exec, s[4:5]
	v_lshrrev_b64 v[34:35], s48, v[94:95]
	v_and_b32_e32 v34, s59, v34
	v_lshlrev_b32_e32 v35, 3, v34
	v_add_lshl_u32 v35, v35, v127, 2
	; wave barrier
	v_add_u32_e32 v50, 32, v35
	ds_read_b32 v49, v35 offset:32
	v_and_b32_e32 v35, 1, v34
	v_add_co_u32_e32 v36, vcc, -1, v35
	v_addc_co_u32_e64 v37, s[4:5], 0, -1, vcc
	v_cmp_ne_u32_e32 vcc, 0, v35
	v_lshlrev_b32_e32 v87, 30, v34
	v_xor_b32_e32 v35, vcc_hi, v37
	v_not_b32_e32 v37, v87
	v_xor_b32_e32 v36, vcc_lo, v36
	v_cmp_gt_i64_e32 vcc, 0, v[86:87]
	v_ashrrev_i32_e32 v37, 31, v37
	v_and_b32_e32 v36, exec_lo, v36
	v_xor_b32_e32 v51, vcc_hi, v37
	v_xor_b32_e32 v37, vcc_lo, v37
	v_lshlrev_b32_e32 v87, 29, v34
	v_and_b32_e32 v36, v36, v37
	v_not_b32_e32 v37, v87
	v_and_b32_e32 v35, exec_hi, v35
	v_cmp_gt_i64_e32 vcc, 0, v[86:87]
	v_ashrrev_i32_e32 v37, 31, v37
	v_and_b32_e32 v35, v35, v51
	v_xor_b32_e32 v51, vcc_hi, v37
	v_xor_b32_e32 v37, vcc_lo, v37
	v_lshlrev_b32_e32 v87, 28, v34
	v_and_b32_e32 v36, v36, v37
	v_not_b32_e32 v37, v87
	v_cmp_gt_i64_e32 vcc, 0, v[86:87]
	v_ashrrev_i32_e32 v37, 31, v37
	v_and_b32_e32 v35, v35, v51
	v_xor_b32_e32 v51, vcc_hi, v37
	v_xor_b32_e32 v37, vcc_lo, v37
	v_lshlrev_b32_e32 v87, 27, v34
	v_and_b32_e32 v36, v36, v37
	v_not_b32_e32 v37, v87
	;; [unrolled: 8-line block ×3, first 2 shown]
	v_cmp_gt_i64_e32 vcc, 0, v[86:87]
	v_ashrrev_i32_e32 v37, 31, v37
	v_and_b32_e32 v35, v35, v51
	v_xor_b32_e32 v51, vcc_hi, v37
	v_xor_b32_e32 v37, vcc_lo, v37
	v_lshlrev_b32_e32 v87, 25, v34
	v_and_b32_e32 v36, v36, v37
	v_cmp_gt_i64_e32 vcc, 0, v[86:87]
	v_not_b32_e32 v37, v87
	v_lshlrev_b32_e32 v87, 24, v34
	v_ashrrev_i32_e32 v37, 31, v37
	v_not_b32_e32 v34, v87
	v_and_b32_e32 v35, v35, v51
	v_xor_b32_e32 v51, vcc_hi, v37
	v_xor_b32_e32 v37, vcc_lo, v37
	v_cmp_gt_i64_e32 vcc, 0, v[86:87]
	v_ashrrev_i32_e32 v34, 31, v34
	v_and_b32_e32 v36, v36, v37
	v_xor_b32_e32 v37, vcc_hi, v34
	v_xor_b32_e32 v34, vcc_lo, v34
	v_and_b32_e32 v35, v35, v51
	v_and_b32_e32 v34, v36, v34
	;; [unrolled: 1-line block ×3, first 2 shown]
	v_mbcnt_lo_u32_b32 v36, v34, 0
	v_mbcnt_hi_u32_b32 v51, v35, v36
	v_cmp_eq_u32_e32 vcc, 0, v51
	v_cmp_ne_u64_e64 s[4:5], 0, v[34:35]
	s_and_b64 s[60:61], s[4:5], vcc
	; wave barrier
	s_and_saveexec_b64 s[4:5], s[60:61]
	s_cbranch_execz .LBB150_45
; %bb.44:                               ;   in Loop: Header=BB150_35 Depth=1
	v_bcnt_u32_b32 v34, v34, 0
	v_bcnt_u32_b32 v34, v35, v34
	s_waitcnt lgkmcnt(0)
	v_add_u32_e32 v34, v49, v34
	ds_write_b32 v50, v34
.LBB150_45:                             ;   in Loop: Header=BB150_35 Depth=1
	s_or_b64 exec, exec, s[4:5]
	v_lshrrev_b64 v[34:35], s48, v[92:93]
	v_and_b32_e32 v34, s59, v34
	v_lshlrev_b32_e32 v35, 3, v34
	v_add_lshl_u32 v35, v35, v127, 2
	; wave barrier
	v_add_u32_e32 v53, 32, v35
	ds_read_b32 v52, v35 offset:32
	v_and_b32_e32 v35, 1, v34
	v_add_co_u32_e32 v36, vcc, -1, v35
	v_addc_co_u32_e64 v37, s[4:5], 0, -1, vcc
	v_cmp_ne_u32_e32 vcc, 0, v35
	v_lshlrev_b32_e32 v87, 30, v34
	v_xor_b32_e32 v35, vcc_hi, v37
	v_not_b32_e32 v37, v87
	v_xor_b32_e32 v36, vcc_lo, v36
	v_cmp_gt_i64_e32 vcc, 0, v[86:87]
	v_ashrrev_i32_e32 v37, 31, v37
	v_and_b32_e32 v36, exec_lo, v36
	v_xor_b32_e32 v54, vcc_hi, v37
	v_xor_b32_e32 v37, vcc_lo, v37
	v_lshlrev_b32_e32 v87, 29, v34
	v_and_b32_e32 v36, v36, v37
	v_not_b32_e32 v37, v87
	v_and_b32_e32 v35, exec_hi, v35
	v_cmp_gt_i64_e32 vcc, 0, v[86:87]
	v_ashrrev_i32_e32 v37, 31, v37
	v_and_b32_e32 v35, v35, v54
	v_xor_b32_e32 v54, vcc_hi, v37
	v_xor_b32_e32 v37, vcc_lo, v37
	v_lshlrev_b32_e32 v87, 28, v34
	v_and_b32_e32 v36, v36, v37
	v_not_b32_e32 v37, v87
	v_cmp_gt_i64_e32 vcc, 0, v[86:87]
	v_ashrrev_i32_e32 v37, 31, v37
	v_and_b32_e32 v35, v35, v54
	v_xor_b32_e32 v54, vcc_hi, v37
	v_xor_b32_e32 v37, vcc_lo, v37
	v_lshlrev_b32_e32 v87, 27, v34
	v_and_b32_e32 v36, v36, v37
	v_not_b32_e32 v37, v87
	;; [unrolled: 8-line block ×3, first 2 shown]
	v_cmp_gt_i64_e32 vcc, 0, v[86:87]
	v_ashrrev_i32_e32 v37, 31, v37
	v_and_b32_e32 v35, v35, v54
	v_xor_b32_e32 v54, vcc_hi, v37
	v_xor_b32_e32 v37, vcc_lo, v37
	v_lshlrev_b32_e32 v87, 25, v34
	v_and_b32_e32 v36, v36, v37
	v_cmp_gt_i64_e32 vcc, 0, v[86:87]
	v_not_b32_e32 v37, v87
	v_lshlrev_b32_e32 v87, 24, v34
	v_ashrrev_i32_e32 v37, 31, v37
	v_not_b32_e32 v34, v87
	v_and_b32_e32 v35, v35, v54
	v_xor_b32_e32 v54, vcc_hi, v37
	v_xor_b32_e32 v37, vcc_lo, v37
	v_cmp_gt_i64_e32 vcc, 0, v[86:87]
	v_ashrrev_i32_e32 v34, 31, v34
	v_and_b32_e32 v36, v36, v37
	v_xor_b32_e32 v37, vcc_hi, v34
	v_xor_b32_e32 v34, vcc_lo, v34
	v_and_b32_e32 v35, v35, v54
	v_and_b32_e32 v34, v36, v34
	;; [unrolled: 1-line block ×3, first 2 shown]
	v_mbcnt_lo_u32_b32 v36, v34, 0
	v_mbcnt_hi_u32_b32 v54, v35, v36
	v_cmp_eq_u32_e32 vcc, 0, v54
	v_cmp_ne_u64_e64 s[4:5], 0, v[34:35]
	s_and_b64 s[60:61], s[4:5], vcc
	; wave barrier
	s_and_saveexec_b64 s[4:5], s[60:61]
	s_cbranch_execz .LBB150_47
; %bb.46:                               ;   in Loop: Header=BB150_35 Depth=1
	v_bcnt_u32_b32 v34, v34, 0
	v_bcnt_u32_b32 v34, v35, v34
	s_waitcnt lgkmcnt(0)
	v_add_u32_e32 v34, v52, v34
	ds_write_b32 v53, v34
.LBB150_47:                             ;   in Loop: Header=BB150_35 Depth=1
	s_or_b64 exec, exec, s[4:5]
	v_lshrrev_b64 v[34:35], s48, v[90:91]
	v_and_b32_e32 v34, s59, v34
	v_lshlrev_b32_e32 v35, 3, v34
	v_add_lshl_u32 v35, v35, v127, 2
	; wave barrier
	v_add_u32_e32 v56, 32, v35
	ds_read_b32 v55, v35 offset:32
	v_and_b32_e32 v35, 1, v34
	v_add_co_u32_e32 v36, vcc, -1, v35
	v_addc_co_u32_e64 v37, s[4:5], 0, -1, vcc
	v_cmp_ne_u32_e32 vcc, 0, v35
	v_lshlrev_b32_e32 v87, 30, v34
	v_xor_b32_e32 v35, vcc_hi, v37
	v_not_b32_e32 v37, v87
	v_xor_b32_e32 v36, vcc_lo, v36
	v_cmp_gt_i64_e32 vcc, 0, v[86:87]
	v_ashrrev_i32_e32 v37, 31, v37
	v_and_b32_e32 v36, exec_lo, v36
	v_xor_b32_e32 v57, vcc_hi, v37
	v_xor_b32_e32 v37, vcc_lo, v37
	v_lshlrev_b32_e32 v87, 29, v34
	v_and_b32_e32 v36, v36, v37
	v_not_b32_e32 v37, v87
	v_and_b32_e32 v35, exec_hi, v35
	v_cmp_gt_i64_e32 vcc, 0, v[86:87]
	v_ashrrev_i32_e32 v37, 31, v37
	v_and_b32_e32 v35, v35, v57
	v_xor_b32_e32 v57, vcc_hi, v37
	v_xor_b32_e32 v37, vcc_lo, v37
	v_lshlrev_b32_e32 v87, 28, v34
	v_and_b32_e32 v36, v36, v37
	v_not_b32_e32 v37, v87
	v_cmp_gt_i64_e32 vcc, 0, v[86:87]
	v_ashrrev_i32_e32 v37, 31, v37
	v_and_b32_e32 v35, v35, v57
	v_xor_b32_e32 v57, vcc_hi, v37
	v_xor_b32_e32 v37, vcc_lo, v37
	v_lshlrev_b32_e32 v87, 27, v34
	v_and_b32_e32 v36, v36, v37
	v_not_b32_e32 v37, v87
	;; [unrolled: 8-line block ×3, first 2 shown]
	v_cmp_gt_i64_e32 vcc, 0, v[86:87]
	v_ashrrev_i32_e32 v37, 31, v37
	v_and_b32_e32 v35, v35, v57
	v_xor_b32_e32 v57, vcc_hi, v37
	v_xor_b32_e32 v37, vcc_lo, v37
	v_lshlrev_b32_e32 v87, 25, v34
	v_and_b32_e32 v36, v36, v37
	v_cmp_gt_i64_e32 vcc, 0, v[86:87]
	v_not_b32_e32 v37, v87
	v_lshlrev_b32_e32 v87, 24, v34
	v_ashrrev_i32_e32 v37, 31, v37
	v_not_b32_e32 v34, v87
	v_and_b32_e32 v35, v35, v57
	v_xor_b32_e32 v57, vcc_hi, v37
	v_xor_b32_e32 v37, vcc_lo, v37
	v_cmp_gt_i64_e32 vcc, 0, v[86:87]
	v_ashrrev_i32_e32 v34, 31, v34
	v_and_b32_e32 v36, v36, v37
	v_xor_b32_e32 v37, vcc_hi, v34
	v_xor_b32_e32 v34, vcc_lo, v34
	v_and_b32_e32 v35, v35, v57
	v_and_b32_e32 v34, v36, v34
	;; [unrolled: 1-line block ×3, first 2 shown]
	v_mbcnt_lo_u32_b32 v36, v34, 0
	v_mbcnt_hi_u32_b32 v57, v35, v36
	v_cmp_eq_u32_e32 vcc, 0, v57
	v_cmp_ne_u64_e64 s[4:5], 0, v[34:35]
	s_and_b64 s[60:61], s[4:5], vcc
	; wave barrier
	s_and_saveexec_b64 s[4:5], s[60:61]
	s_cbranch_execz .LBB150_49
; %bb.48:                               ;   in Loop: Header=BB150_35 Depth=1
	v_bcnt_u32_b32 v34, v34, 0
	v_bcnt_u32_b32 v34, v35, v34
	s_waitcnt lgkmcnt(0)
	v_add_u32_e32 v34, v55, v34
	ds_write_b32 v56, v34
.LBB150_49:                             ;   in Loop: Header=BB150_35 Depth=1
	s_or_b64 exec, exec, s[4:5]
	v_lshrrev_b64 v[34:35], s48, v[88:89]
	v_and_b32_e32 v34, s59, v34
	v_lshlrev_b32_e32 v35, 3, v34
	v_add_lshl_u32 v35, v35, v127, 2
	; wave barrier
	v_add_u32_e32 v59, 32, v35
	ds_read_b32 v58, v35 offset:32
	v_and_b32_e32 v35, 1, v34
	v_add_co_u32_e32 v36, vcc, -1, v35
	v_addc_co_u32_e64 v37, s[4:5], 0, -1, vcc
	v_cmp_ne_u32_e32 vcc, 0, v35
	v_lshlrev_b32_e32 v87, 30, v34
	v_xor_b32_e32 v35, vcc_hi, v37
	v_not_b32_e32 v37, v87
	v_xor_b32_e32 v36, vcc_lo, v36
	v_cmp_gt_i64_e32 vcc, 0, v[86:87]
	v_ashrrev_i32_e32 v37, 31, v37
	v_and_b32_e32 v36, exec_lo, v36
	v_xor_b32_e32 v60, vcc_hi, v37
	v_xor_b32_e32 v37, vcc_lo, v37
	v_lshlrev_b32_e32 v87, 29, v34
	v_and_b32_e32 v36, v36, v37
	v_not_b32_e32 v37, v87
	v_and_b32_e32 v35, exec_hi, v35
	v_cmp_gt_i64_e32 vcc, 0, v[86:87]
	v_ashrrev_i32_e32 v37, 31, v37
	v_and_b32_e32 v35, v35, v60
	v_xor_b32_e32 v60, vcc_hi, v37
	v_xor_b32_e32 v37, vcc_lo, v37
	v_lshlrev_b32_e32 v87, 28, v34
	v_and_b32_e32 v36, v36, v37
	v_not_b32_e32 v37, v87
	v_cmp_gt_i64_e32 vcc, 0, v[86:87]
	v_ashrrev_i32_e32 v37, 31, v37
	v_and_b32_e32 v35, v35, v60
	v_xor_b32_e32 v60, vcc_hi, v37
	v_xor_b32_e32 v37, vcc_lo, v37
	v_lshlrev_b32_e32 v87, 27, v34
	v_and_b32_e32 v36, v36, v37
	v_not_b32_e32 v37, v87
	;; [unrolled: 8-line block ×3, first 2 shown]
	v_cmp_gt_i64_e32 vcc, 0, v[86:87]
	v_ashrrev_i32_e32 v37, 31, v37
	v_and_b32_e32 v35, v35, v60
	v_xor_b32_e32 v60, vcc_hi, v37
	v_xor_b32_e32 v37, vcc_lo, v37
	v_lshlrev_b32_e32 v87, 25, v34
	v_and_b32_e32 v36, v36, v37
	v_cmp_gt_i64_e32 vcc, 0, v[86:87]
	v_not_b32_e32 v37, v87
	v_lshlrev_b32_e32 v87, 24, v34
	v_ashrrev_i32_e32 v37, 31, v37
	v_not_b32_e32 v34, v87
	v_and_b32_e32 v35, v35, v60
	v_xor_b32_e32 v60, vcc_hi, v37
	v_xor_b32_e32 v37, vcc_lo, v37
	v_cmp_gt_i64_e32 vcc, 0, v[86:87]
	v_ashrrev_i32_e32 v34, 31, v34
	v_and_b32_e32 v36, v36, v37
	v_xor_b32_e32 v37, vcc_hi, v34
	v_xor_b32_e32 v34, vcc_lo, v34
	v_and_b32_e32 v35, v35, v60
	v_and_b32_e32 v34, v36, v34
	;; [unrolled: 1-line block ×3, first 2 shown]
	v_mbcnt_lo_u32_b32 v36, v34, 0
	v_mbcnt_hi_u32_b32 v60, v35, v36
	v_cmp_eq_u32_e32 vcc, 0, v60
	v_cmp_ne_u64_e64 s[4:5], 0, v[34:35]
	s_and_b64 s[60:61], s[4:5], vcc
	; wave barrier
	s_and_saveexec_b64 s[4:5], s[60:61]
	s_cbranch_execz .LBB150_51
; %bb.50:                               ;   in Loop: Header=BB150_35 Depth=1
	v_bcnt_u32_b32 v34, v34, 0
	v_bcnt_u32_b32 v34, v35, v34
	s_waitcnt lgkmcnt(0)
	v_add_u32_e32 v34, v58, v34
	ds_write_b32 v59, v34
.LBB150_51:                             ;   in Loop: Header=BB150_35 Depth=1
	s_or_b64 exec, exec, s[4:5]
	; wave barrier
	s_waitcnt lgkmcnt(0)
	s_barrier
	ds_read2_b32 v[36:37], v112 offset0:8 offset1:9
	ds_read2_b32 v[34:35], v126 offset0:2 offset1:3
	s_waitcnt lgkmcnt(1)
	v_add_u32_e32 v61, v37, v36
	s_waitcnt lgkmcnt(0)
	v_add3_u32 v35, v61, v34, v35
	s_nop 1
	v_mov_b32_dpp v61, v35 row_shr:1 row_mask:0xf bank_mask:0xf
	v_cndmask_b32_e64 v61, v61, 0, s[26:27]
	v_add_u32_e32 v35, v61, v35
	s_nop 1
	v_mov_b32_dpp v61, v35 row_shr:2 row_mask:0xf bank_mask:0xf
	v_cndmask_b32_e64 v61, 0, v61, s[28:29]
	v_add_u32_e32 v35, v35, v61
	;; [unrolled: 4-line block ×4, first 2 shown]
	s_nop 1
	v_mov_b32_dpp v61, v35 row_bcast:15 row_mask:0xf bank_mask:0xf
	v_cndmask_b32_e64 v61, v61, 0, s[36:37]
	v_add_u32_e32 v35, v35, v61
	s_nop 1
	v_mov_b32_dpp v61, v35 row_bcast:31 row_mask:0xf bank_mask:0xf
	v_cndmask_b32_e64 v61, 0, v61, s[16:17]
	v_add_u32_e32 v35, v35, v61
	s_and_saveexec_b64 s[4:5], s[38:39]
	s_cbranch_execz .LBB150_53
; %bb.52:                               ;   in Loop: Header=BB150_35 Depth=1
	ds_write_b32 v129, v35
.LBB150_53:                             ;   in Loop: Header=BB150_35 Depth=1
	s_or_b64 exec, exec, s[4:5]
	s_waitcnt lgkmcnt(0)
	s_barrier
	s_and_saveexec_b64 s[4:5], s[18:19]
	s_cbranch_execz .LBB150_55
; %bb.54:                               ;   in Loop: Header=BB150_35 Depth=1
	ds_read_b32 v61, v69
	s_waitcnt lgkmcnt(0)
	s_nop 0
	v_mov_b32_dpp v62, v61 row_shr:1 row_mask:0xf bank_mask:0xf
	v_cndmask_b32_e64 v62, v62, 0, s[40:41]
	v_add_u32_e32 v61, v62, v61
	s_nop 1
	v_mov_b32_dpp v62, v61 row_shr:2 row_mask:0xf bank_mask:0xf
	v_cndmask_b32_e64 v62, 0, v62, s[42:43]
	v_add_u32_e32 v61, v61, v62
	;; [unrolled: 4-line block ×3, first 2 shown]
	ds_write_b32 v69, v61
.LBB150_55:                             ;   in Loop: Header=BB150_35 Depth=1
	s_or_b64 exec, exec, s[4:5]
	v_mov_b32_e32 v61, 0
	s_waitcnt lgkmcnt(0)
	s_barrier
	s_and_saveexec_b64 s[4:5], s[20:21]
	s_cbranch_execz .LBB150_57
; %bb.56:                               ;   in Loop: Header=BB150_35 Depth=1
	ds_read_b32 v61, v130
.LBB150_57:                             ;   in Loop: Header=BB150_35 Depth=1
	s_or_b64 exec, exec, s[4:5]
	s_waitcnt lgkmcnt(0)
	v_add_u32_e32 v35, v61, v35
	ds_bpermute_b32 v35, v128, v35
	s_cmp_gt_u32 s48, 55
	s_waitcnt lgkmcnt(0)
	v_cndmask_b32_e64 v35, v35, v61, s[22:23]
	v_cndmask_b32_e64 v35, v35, 0, s[24:25]
	v_add_u32_e32 v36, v35, v36
	v_add_u32_e32 v37, v36, v37
	;; [unrolled: 1-line block ×3, first 2 shown]
	ds_write2_b32 v112, v35, v36 offset0:8 offset1:9
	ds_write2_b32 v126, v37, v34 offset0:2 offset1:3
	s_waitcnt lgkmcnt(0)
	s_barrier
	ds_read_b32 v34, v38
	ds_read_b32 v35, v41
	;; [unrolled: 1-line block ×8, first 2 shown]
	s_waitcnt lgkmcnt(7)
	v_add_u32_e32 v138, v34, v39
	s_waitcnt lgkmcnt(6)
	v_add3_u32 v137, v42, v40, v35
	s_waitcnt lgkmcnt(5)
	v_add3_u32 v136, v45, v43, v36
	;; [unrolled: 2-line block ×7, first 2 shown]
	s_cbranch_scc0 .LBB150_34
; %bb.58:
                                        ; implicit-def: $vgpr48_vgpr49
                                        ; implicit-def: $vgpr44_vgpr45
                                        ; implicit-def: $vgpr40_vgpr41
                                        ; implicit-def: $vgpr36_vgpr37
                                        ; implicit-def: $vgpr64_vgpr65
                                        ; implicit-def: $vgpr60_vgpr61
                                        ; implicit-def: $vgpr56_vgpr57
                                        ; implicit-def: $vgpr52_vgpr53
                                        ; implicit-def: $sgpr48_sgpr49
                                        ; implicit-def: $sgpr58
.LBB150_59:
	v_lshlrev_b32_e32 v34, 3, v138
	v_lshlrev_b32_e32 v35, 3, v137
	;; [unrolled: 1-line block ×9, first 2 shown]
	s_barrier
	ds_write_b64 v34, v[102:103]
	ds_write_b64 v35, v[100:101]
	ds_write_b64 v36, v[98:99]
	ds_write_b64 v37, v[96:97]
	ds_write_b64 v38, v[94:95]
	ds_write_b64 v39, v[92:93]
	ds_write_b64 v40, v[90:91]
	ds_write_b64 v41, v[88:89]
	s_waitcnt lgkmcnt(0)
	s_barrier
	ds_read2_b64 v[50:53], v46 offset1:1
	ds_read2_b64 v[54:57], v46 offset0:2 offset1:3
	ds_read2_b64 v[58:61], v46 offset0:4 offset1:5
	;; [unrolled: 1-line block ×3, first 2 shown]
	s_waitcnt lgkmcnt(0)
	s_barrier
	ds_write_b64 v34, v[84:85]
	ds_write_b64 v35, v[82:83]
	ds_write_b64 v36, v[80:81]
	ds_write_b64 v37, v[78:79]
	ds_write_b64 v38, v[76:77]
	ds_write_b64 v39, v[74:75]
	ds_write_b64 v40, v[72:73]
	ds_write_b64 v41, v[0:1]
	s_waitcnt lgkmcnt(0)
	s_barrier
	ds_read2_b64 v[34:37], v46 offset1:1
	ds_read2_b64 v[38:41], v46 offset0:2 offset1:3
	ds_read2_b64 v[42:45], v46 offset0:4 offset1:5
	;; [unrolled: 1-line block ×3, first 2 shown]
	v_xor_b32_e32 v51, 0x80000000, v51
	v_xor_b32_e32 v53, 0x80000000, v53
	;; [unrolled: 1-line block ×8, first 2 shown]
	s_branch .LBB150_95
.LBB150_60:
	v_mov_b32_e32 v69, 0
	v_lshlrev_b64 v[2:3], 3, v[68:69]
	v_mov_b32_e32 v4, s56
	v_add_co_u32_e32 v2, vcc, s53, v2
	v_addc_co_u32_e32 v3, vcc, v4, v3, vcc
	global_load_dwordx2 v[2:3], v[2:3], off
	v_mov_b32_e32 v4, v69
	v_mov_b32_e32 v5, v69
	;; [unrolled: 1-line block ×14, first 2 shown]
	s_or_b64 exec, exec, s[4:5]
	s_and_saveexec_b64 s[4:5], s[2:3]
	s_cbranch_execz .LBB150_25
.LBB150_61:
	v_mul_lo_u32 v4, v1, s52
	v_mov_b32_e32 v5, 0
	v_lshlrev_b64 v[4:5], 3, v[4:5]
	v_mov_b32_e32 v1, s56
	v_add_co_u32_e32 v4, vcc, s53, v4
	v_addc_co_u32_e32 v5, vcc, v1, v5, vcc
	global_load_dwordx2 v[4:5], v[4:5], off
	s_or_b64 exec, exec, s[4:5]
	s_and_saveexec_b64 s[4:5], s[46:47]
	s_cbranch_execz .LBB150_26
.LBB150_62:
	v_mul_lo_u32 v6, v34, s52
	v_mov_b32_e32 v7, 0
	v_lshlrev_b64 v[6:7], 3, v[6:7]
	v_mov_b32_e32 v1, s56
	v_add_co_u32_e32 v6, vcc, s53, v6
	v_addc_co_u32_e32 v7, vcc, v1, v7, vcc
	global_load_dwordx2 v[6:7], v[6:7], off
	s_or_b64 exec, exec, s[4:5]
	s_and_saveexec_b64 s[4:5], s[6:7]
	s_cbranch_execz .LBB150_27
.LBB150_63:
	v_mul_lo_u32 v8, v35, s52
	v_mov_b32_e32 v9, 0
	v_lshlrev_b64 v[8:9], 3, v[8:9]
	v_mov_b32_e32 v1, s56
	v_add_co_u32_e32 v8, vcc, s53, v8
	v_addc_co_u32_e32 v9, vcc, v1, v9, vcc
	global_load_dwordx2 v[8:9], v[8:9], off
	s_or_b64 exec, exec, s[4:5]
	s_and_saveexec_b64 s[4:5], s[8:9]
	s_cbranch_execz .LBB150_28
.LBB150_64:
	v_mul_lo_u32 v10, v36, s52
	v_mov_b32_e32 v11, 0
	v_lshlrev_b64 v[10:11], 3, v[10:11]
	v_mov_b32_e32 v1, s56
	v_add_co_u32_e32 v10, vcc, s53, v10
	v_addc_co_u32_e32 v11, vcc, v1, v11, vcc
	global_load_dwordx2 v[10:11], v[10:11], off
	s_or_b64 exec, exec, s[4:5]
	s_and_saveexec_b64 s[4:5], s[10:11]
	s_cbranch_execz .LBB150_29
.LBB150_65:
	v_mul_lo_u32 v12, v37, s52
	v_mov_b32_e32 v13, 0
	v_lshlrev_b64 v[12:13], 3, v[12:13]
	v_mov_b32_e32 v1, s56
	v_add_co_u32_e32 v12, vcc, s53, v12
	v_addc_co_u32_e32 v13, vcc, v1, v13, vcc
	global_load_dwordx2 v[12:13], v[12:13], off
	s_or_b64 exec, exec, s[4:5]
	s_and_saveexec_b64 s[4:5], s[12:13]
	s_cbranch_execz .LBB150_30
.LBB150_66:
	v_mul_lo_u32 v14, v38, s52
	v_mov_b32_e32 v15, 0
	v_lshlrev_b64 v[14:15], 3, v[14:15]
	v_mov_b32_e32 v1, s56
	v_add_co_u32_e32 v14, vcc, s53, v14
	v_addc_co_u32_e32 v15, vcc, v1, v15, vcc
	global_load_dwordx2 v[14:15], v[14:15], off
	s_or_b64 exec, exec, s[4:5]
	s_xor_b64 s[4:5], s[34:35], -1
	s_and_saveexec_b64 s[16:17], s[14:15]
	s_cbranch_execnz .LBB150_31
	s_branch .LBB150_32
.LBB150_67:
                                        ; implicit-def: $vgpr64_vgpr65
                                        ; implicit-def: $vgpr60_vgpr61
                                        ; implicit-def: $vgpr56_vgpr57
                                        ; implicit-def: $vgpr52_vgpr53
                                        ; implicit-def: $vgpr48_vgpr49
                                        ; implicit-def: $vgpr44_vgpr45
                                        ; implicit-def: $vgpr40_vgpr41
                                        ; implicit-def: $vgpr36_vgpr37
	s_cbranch_execz .LBB150_95
; %bb.68:
	v_xor_b32_e32 v1, 0x7fffffff, v31
	v_xor_b32_e32 v0, -1, v30
	v_xor_b32_e32 v31, 0x7fffffff, v33
	v_xor_b32_e32 v30, -1, v32
	;; [unrolled: 2-line block ×8, first 2 shown]
	ds_write2_b64 v125, v[0:1], v[30:31] offset1:1
	ds_write2_b64 v125, v[26:27], v[28:29] offset0:2 offset1:3
	ds_write2_b64 v125, v[22:23], v[24:25] offset0:4 offset1:5
	;; [unrolled: 1-line block ×3, first 2 shown]
	; wave barrier
	ds_read2st64_b64 v[18:21], v124 offset1:1
	ds_read2st64_b64 v[22:25], v124 offset0:2 offset1:3
	ds_read2st64_b64 v[26:29], v124 offset0:4 offset1:5
	;; [unrolled: 1-line block ×3, first 2 shown]
	; wave barrier
	ds_write2_b64 v125, v[14:15], v[16:17] offset1:1
	ds_write2_b64 v125, v[10:11], v[12:13] offset0:2 offset1:3
	ds_write2_b64 v125, v[6:7], v[8:9] offset0:4 offset1:5
	;; [unrolled: 1-line block ×3, first 2 shown]
	; wave barrier
	ds_read2st64_b64 v[0:3], v124 offset1:1
	ds_read2st64_b64 v[4:7], v124 offset0:2 offset1:3
	ds_read2st64_b64 v[8:11], v124 offset0:4 offset1:5
	;; [unrolled: 1-line block ×3, first 2 shown]
	s_waitcnt lgkmcnt(0)
	s_barrier
	s_load_dword s16, s[54:55], 0xc
	s_getpc_b64 s[4:5]
	s_add_u32 s4, s4, _ZN7rocprim17ROCPRIM_400000_NS16block_radix_sortIlLj512ELj8ElLj1ELj1ELj0ELNS0_26block_radix_rank_algorithmE1ELNS0_18block_padding_hintE2ELNS0_4arch9wavefront6targetE1EE19radix_bits_per_passE@rel32@lo+4
	s_addc_u32 s5, s5, _ZN7rocprim17ROCPRIM_400000_NS16block_radix_sortIlLj512ELj8ElLj1ELj1ELj0ELNS0_26block_radix_rank_algorithmE1ELNS0_18block_padding_hintE2ELNS0_4arch9wavefront6targetE1EE19radix_bits_per_passE@rel32@hi+12
	s_load_dword s54, s[4:5], 0x0
	v_cmp_lt_i32_e32 vcc, v117, v119
	v_cmp_gt_u32_e64 s[30:31], 8, v70
	s_waitcnt lgkmcnt(0)
	s_lshr_b32 s4, s16, 16
	s_and_b32 s5, s16, 0xffff
	v_mad_u32_u24 v16, v123, s4, v122
	v_mad_u64_u32 v[16:17], s[4:5], v16, s5, v[70:71]
	v_lshrrev_b32_e32 v73, 6, v16
	v_min_u32_e32 v16, 0x1c0, v114
	v_or_b32_e32 v16, 63, v16
	v_cmp_eq_u32_e64 s[28:29], v16, v70
	v_cmp_lt_u32_e64 s[34:35], 63, v70
	v_cndmask_b32_e32 v16, v117, v113, vcc
	v_cmp_eq_u32_e64 s[38:39], 0, v70
	v_and_b32_e32 v70, 60, v118
	v_add_u32_e32 v72, 32, v112
	v_cmp_eq_u32_e64 s[16:17], 0, v120
	v_cmp_lt_u32_e64 s[18:19], 1, v120
	v_cmp_lt_u32_e64 s[20:21], 3, v120
	;; [unrolled: 1-line block ×3, first 2 shown]
	v_cmp_eq_u32_e64 s[24:25], 0, v121
	v_cmp_lt_u32_e64 s[26:27], 31, v113
	s_mov_b32 s55, 64
	v_lshlrev_b32_e32 v74, 2, v16
	v_cmp_eq_u32_e64 s[36:37], 0, v113
	v_cmp_eq_u32_e64 s[40:41], 0, v116
	v_cmp_lt_u32_e64 s[42:43], 1, v116
	v_cmp_lt_u32_e64 s[44:45], 3, v116
	v_add_u32_e32 v75, -4, v70
	v_lshlrev_b32_e32 v76, 3, v115
	s_mov_b64 s[48:49], 0
	v_mov_b32_e32 v42, 0
	s_branch .LBB150_70
.LBB150_69:                             ;   in Loop: Header=BB150_70 Depth=1
	v_lshlrev_b32_e32 v0, 3, v83
	v_lshlrev_b32_e32 v1, 3, v82
	;; [unrolled: 1-line block ×8, first 2 shown]
	s_barrier
	ds_write_b64 v0, v[64:65]
	ds_write_b64 v1, v[62:63]
	;; [unrolled: 1-line block ×8, first 2 shown]
	s_waitcnt lgkmcnt(0)
	s_barrier
	ds_read2st64_b64 v[18:21], v76 offset1:1
	ds_read2st64_b64 v[22:25], v76 offset0:2 offset1:3
	ds_read2st64_b64 v[26:29], v76 offset0:4 offset1:5
	;; [unrolled: 1-line block ×3, first 2 shown]
	s_waitcnt lgkmcnt(0)
	s_barrier
	ds_write_b64 v0, v[50:51]
	ds_write_b64 v1, v[48:49]
	;; [unrolled: 1-line block ×8, first 2 shown]
	s_waitcnt lgkmcnt(0)
	s_barrier
	ds_read2st64_b64 v[0:3], v76 offset1:1
	ds_read2st64_b64 v[4:7], v76 offset0:2 offset1:3
	ds_read2st64_b64 v[8:11], v76 offset0:4 offset1:5
	;; [unrolled: 1-line block ×3, first 2 shown]
	s_add_u32 s48, s48, 8
	s_addc_u32 s49, s49, 0
	s_add_i32 s55, s55, -8
	s_waitcnt lgkmcnt(0)
	s_barrier
	s_cbranch_execz .LBB150_94
.LBB150_70:                             ; =>This Inner Loop Header: Depth=1
	s_min_u32 s4, s54, s55
	v_pk_mov_b32 v[64:65], v[18:19], v[18:19] op_sel:[0,1]
	s_lshl_b32 s4, -1, s4
	v_pk_mov_b32 v[50:51], v[0:1], v[0:1] op_sel:[0,1]
	s_not_b32 s57, s4
	v_lshrrev_b64 v[0:1], s48, v[64:65]
	v_and_b32_e32 v0, s57, v0
	v_lshl_add_u32 v1, v0, 3, v73
	v_pk_mov_b32 v[44:45], v[4:5], v[4:5] op_sel:[0,1]
	v_lshl_add_u32 v4, v1, 2, 32
	v_and_b32_e32 v1, 1, v0
	v_pk_mov_b32 v[48:49], v[2:3], v[2:3] op_sel:[0,1]
	v_add_co_u32_e32 v2, vcc, -1, v1
	v_addc_co_u32_e64 v3, s[4:5], 0, -1, vcc
	v_cmp_ne_u32_e32 vcc, 0, v1
	v_lshlrev_b32_e32 v43, 30, v0
	v_xor_b32_e32 v1, vcc_hi, v3
	v_not_b32_e32 v3, v43
	v_xor_b32_e32 v2, vcc_lo, v2
	v_cmp_gt_i64_e32 vcc, 0, v[42:43]
	v_ashrrev_i32_e32 v3, 31, v3
	v_and_b32_e32 v2, exec_lo, v2
	v_xor_b32_e32 v5, vcc_hi, v3
	v_xor_b32_e32 v3, vcc_lo, v3
	v_lshlrev_b32_e32 v43, 29, v0
	v_and_b32_e32 v2, v2, v3
	v_not_b32_e32 v3, v43
	v_and_b32_e32 v1, exec_hi, v1
	v_cmp_gt_i64_e32 vcc, 0, v[42:43]
	v_ashrrev_i32_e32 v3, 31, v3
	v_and_b32_e32 v1, v1, v5
	v_xor_b32_e32 v5, vcc_hi, v3
	v_xor_b32_e32 v3, vcc_lo, v3
	v_lshlrev_b32_e32 v43, 28, v0
	v_and_b32_e32 v2, v2, v3
	v_not_b32_e32 v3, v43
	v_cmp_gt_i64_e32 vcc, 0, v[42:43]
	v_ashrrev_i32_e32 v3, 31, v3
	v_and_b32_e32 v1, v1, v5
	v_xor_b32_e32 v5, vcc_hi, v3
	v_xor_b32_e32 v3, vcc_lo, v3
	v_lshlrev_b32_e32 v43, 27, v0
	v_and_b32_e32 v2, v2, v3
	v_not_b32_e32 v3, v43
	;; [unrolled: 8-line block ×3, first 2 shown]
	v_cmp_gt_i64_e32 vcc, 0, v[42:43]
	v_ashrrev_i32_e32 v3, 31, v3
	v_and_b32_e32 v1, v1, v5
	v_xor_b32_e32 v5, vcc_hi, v3
	v_xor_b32_e32 v3, vcc_lo, v3
	v_lshlrev_b32_e32 v43, 25, v0
	v_and_b32_e32 v2, v2, v3
	v_cmp_gt_i64_e32 vcc, 0, v[42:43]
	v_not_b32_e32 v3, v43
	v_lshlrev_b32_e32 v43, 24, v0
	v_ashrrev_i32_e32 v3, 31, v3
	v_not_b32_e32 v0, v43
	v_and_b32_e32 v1, v1, v5
	v_xor_b32_e32 v5, vcc_hi, v3
	v_xor_b32_e32 v3, vcc_lo, v3
	v_cmp_gt_i64_e32 vcc, 0, v[42:43]
	v_ashrrev_i32_e32 v0, 31, v0
	v_and_b32_e32 v2, v2, v3
	v_xor_b32_e32 v3, vcc_hi, v0
	v_xor_b32_e32 v0, vcc_lo, v0
	v_and_b32_e32 v1, v1, v5
	v_and_b32_e32 v0, v2, v0
	;; [unrolled: 1-line block ×3, first 2 shown]
	v_mbcnt_lo_u32_b32 v2, v0, 0
	v_mbcnt_hi_u32_b32 v5, v1, v2
	v_cmp_eq_u32_e32 vcc, 0, v5
	v_cmp_ne_u64_e64 s[4:5], 0, v[0:1]
	v_pk_mov_b32 v[46:47], v[32:33], v[32:33] op_sel:[0,1]
	v_pk_mov_b32 v[52:53], v[30:31], v[30:31] op_sel:[0,1]
	;; [unrolled: 1-line block ×12, first 2 shown]
	s_and_b64 s[58:59], s[4:5], vcc
	ds_write2_b32 v112, v42, v42 offset0:8 offset1:9
	ds_write2_b32 v72, v42, v42 offset0:2 offset1:3
	s_waitcnt lgkmcnt(0)
	s_barrier
	s_waitcnt lgkmcnt(0)
	; wave barrier
	s_and_saveexec_b64 s[4:5], s[58:59]
	s_cbranch_execz .LBB150_72
; %bb.71:                               ;   in Loop: Header=BB150_70 Depth=1
	v_bcnt_u32_b32 v0, v0, 0
	v_bcnt_u32_b32 v0, v1, v0
	ds_write_b32 v4, v0
.LBB150_72:                             ;   in Loop: Header=BB150_70 Depth=1
	s_or_b64 exec, exec, s[4:5]
	v_lshrrev_b64 v[0:1], s48, v[62:63]
	v_and_b32_e32 v0, s57, v0
	v_lshlrev_b32_e32 v1, 3, v0
	v_add_lshl_u32 v1, v1, v73, 2
	; wave barrier
	v_add_u32_e32 v7, 32, v1
	ds_read_b32 v6, v1 offset:32
	v_and_b32_e32 v1, 1, v0
	v_add_co_u32_e32 v2, vcc, -1, v1
	v_addc_co_u32_e64 v3, s[4:5], 0, -1, vcc
	v_cmp_ne_u32_e32 vcc, 0, v1
	v_lshlrev_b32_e32 v43, 30, v0
	v_xor_b32_e32 v1, vcc_hi, v3
	v_not_b32_e32 v3, v43
	v_xor_b32_e32 v2, vcc_lo, v2
	v_cmp_gt_i64_e32 vcc, 0, v[42:43]
	v_ashrrev_i32_e32 v3, 31, v3
	v_and_b32_e32 v2, exec_lo, v2
	v_xor_b32_e32 v8, vcc_hi, v3
	v_xor_b32_e32 v3, vcc_lo, v3
	v_lshlrev_b32_e32 v43, 29, v0
	v_and_b32_e32 v2, v2, v3
	v_not_b32_e32 v3, v43
	v_and_b32_e32 v1, exec_hi, v1
	v_cmp_gt_i64_e32 vcc, 0, v[42:43]
	v_ashrrev_i32_e32 v3, 31, v3
	v_and_b32_e32 v1, v1, v8
	v_xor_b32_e32 v8, vcc_hi, v3
	v_xor_b32_e32 v3, vcc_lo, v3
	v_lshlrev_b32_e32 v43, 28, v0
	v_and_b32_e32 v2, v2, v3
	v_not_b32_e32 v3, v43
	v_cmp_gt_i64_e32 vcc, 0, v[42:43]
	v_ashrrev_i32_e32 v3, 31, v3
	v_and_b32_e32 v1, v1, v8
	v_xor_b32_e32 v8, vcc_hi, v3
	v_xor_b32_e32 v3, vcc_lo, v3
	v_lshlrev_b32_e32 v43, 27, v0
	v_and_b32_e32 v2, v2, v3
	v_not_b32_e32 v3, v43
	;; [unrolled: 8-line block ×3, first 2 shown]
	v_cmp_gt_i64_e32 vcc, 0, v[42:43]
	v_ashrrev_i32_e32 v3, 31, v3
	v_and_b32_e32 v1, v1, v8
	v_xor_b32_e32 v8, vcc_hi, v3
	v_xor_b32_e32 v3, vcc_lo, v3
	v_lshlrev_b32_e32 v43, 25, v0
	v_and_b32_e32 v2, v2, v3
	v_cmp_gt_i64_e32 vcc, 0, v[42:43]
	v_not_b32_e32 v3, v43
	v_lshlrev_b32_e32 v43, 24, v0
	v_ashrrev_i32_e32 v3, 31, v3
	v_not_b32_e32 v0, v43
	v_and_b32_e32 v1, v1, v8
	v_xor_b32_e32 v8, vcc_hi, v3
	v_xor_b32_e32 v3, vcc_lo, v3
	v_cmp_gt_i64_e32 vcc, 0, v[42:43]
	v_ashrrev_i32_e32 v0, 31, v0
	v_and_b32_e32 v2, v2, v3
	v_xor_b32_e32 v3, vcc_hi, v0
	v_xor_b32_e32 v0, vcc_lo, v0
	v_and_b32_e32 v1, v1, v8
	v_and_b32_e32 v0, v2, v0
	;; [unrolled: 1-line block ×3, first 2 shown]
	v_mbcnt_lo_u32_b32 v2, v0, 0
	v_mbcnt_hi_u32_b32 v8, v1, v2
	v_cmp_eq_u32_e32 vcc, 0, v8
	v_cmp_ne_u64_e64 s[4:5], 0, v[0:1]
	s_and_b64 s[58:59], s[4:5], vcc
	; wave barrier
	s_and_saveexec_b64 s[4:5], s[58:59]
	s_cbranch_execz .LBB150_74
; %bb.73:                               ;   in Loop: Header=BB150_70 Depth=1
	v_bcnt_u32_b32 v0, v0, 0
	v_bcnt_u32_b32 v0, v1, v0
	s_waitcnt lgkmcnt(0)
	v_add_u32_e32 v0, v6, v0
	ds_write_b32 v7, v0
.LBB150_74:                             ;   in Loop: Header=BB150_70 Depth=1
	s_or_b64 exec, exec, s[4:5]
	v_lshrrev_b64 v[0:1], s48, v[60:61]
	v_and_b32_e32 v0, s57, v0
	v_lshlrev_b32_e32 v1, 3, v0
	v_add_lshl_u32 v1, v1, v73, 2
	; wave barrier
	v_add_u32_e32 v10, 32, v1
	ds_read_b32 v9, v1 offset:32
	v_and_b32_e32 v1, 1, v0
	v_add_co_u32_e32 v2, vcc, -1, v1
	v_addc_co_u32_e64 v3, s[4:5], 0, -1, vcc
	v_cmp_ne_u32_e32 vcc, 0, v1
	v_lshlrev_b32_e32 v43, 30, v0
	v_xor_b32_e32 v1, vcc_hi, v3
	v_not_b32_e32 v3, v43
	v_xor_b32_e32 v2, vcc_lo, v2
	v_cmp_gt_i64_e32 vcc, 0, v[42:43]
	v_ashrrev_i32_e32 v3, 31, v3
	v_and_b32_e32 v2, exec_lo, v2
	v_xor_b32_e32 v11, vcc_hi, v3
	v_xor_b32_e32 v3, vcc_lo, v3
	v_lshlrev_b32_e32 v43, 29, v0
	v_and_b32_e32 v2, v2, v3
	v_not_b32_e32 v3, v43
	v_and_b32_e32 v1, exec_hi, v1
	v_cmp_gt_i64_e32 vcc, 0, v[42:43]
	v_ashrrev_i32_e32 v3, 31, v3
	v_and_b32_e32 v1, v1, v11
	v_xor_b32_e32 v11, vcc_hi, v3
	v_xor_b32_e32 v3, vcc_lo, v3
	v_lshlrev_b32_e32 v43, 28, v0
	v_and_b32_e32 v2, v2, v3
	v_not_b32_e32 v3, v43
	v_cmp_gt_i64_e32 vcc, 0, v[42:43]
	v_ashrrev_i32_e32 v3, 31, v3
	v_and_b32_e32 v1, v1, v11
	v_xor_b32_e32 v11, vcc_hi, v3
	v_xor_b32_e32 v3, vcc_lo, v3
	v_lshlrev_b32_e32 v43, 27, v0
	v_and_b32_e32 v2, v2, v3
	v_not_b32_e32 v3, v43
	;; [unrolled: 8-line block ×3, first 2 shown]
	v_cmp_gt_i64_e32 vcc, 0, v[42:43]
	v_ashrrev_i32_e32 v3, 31, v3
	v_and_b32_e32 v1, v1, v11
	v_xor_b32_e32 v11, vcc_hi, v3
	v_xor_b32_e32 v3, vcc_lo, v3
	v_lshlrev_b32_e32 v43, 25, v0
	v_and_b32_e32 v2, v2, v3
	v_cmp_gt_i64_e32 vcc, 0, v[42:43]
	v_not_b32_e32 v3, v43
	v_lshlrev_b32_e32 v43, 24, v0
	v_ashrrev_i32_e32 v3, 31, v3
	v_not_b32_e32 v0, v43
	v_and_b32_e32 v1, v1, v11
	v_xor_b32_e32 v11, vcc_hi, v3
	v_xor_b32_e32 v3, vcc_lo, v3
	v_cmp_gt_i64_e32 vcc, 0, v[42:43]
	v_ashrrev_i32_e32 v0, 31, v0
	v_and_b32_e32 v2, v2, v3
	v_xor_b32_e32 v3, vcc_hi, v0
	v_xor_b32_e32 v0, vcc_lo, v0
	v_and_b32_e32 v1, v1, v11
	v_and_b32_e32 v0, v2, v0
	;; [unrolled: 1-line block ×3, first 2 shown]
	v_mbcnt_lo_u32_b32 v2, v0, 0
	v_mbcnt_hi_u32_b32 v11, v1, v2
	v_cmp_eq_u32_e32 vcc, 0, v11
	v_cmp_ne_u64_e64 s[4:5], 0, v[0:1]
	s_and_b64 s[58:59], s[4:5], vcc
	; wave barrier
	s_and_saveexec_b64 s[4:5], s[58:59]
	s_cbranch_execz .LBB150_76
; %bb.75:                               ;   in Loop: Header=BB150_70 Depth=1
	v_bcnt_u32_b32 v0, v0, 0
	v_bcnt_u32_b32 v0, v1, v0
	s_waitcnt lgkmcnt(0)
	v_add_u32_e32 v0, v9, v0
	ds_write_b32 v10, v0
.LBB150_76:                             ;   in Loop: Header=BB150_70 Depth=1
	s_or_b64 exec, exec, s[4:5]
	v_lshrrev_b64 v[0:1], s48, v[58:59]
	v_and_b32_e32 v0, s57, v0
	v_lshlrev_b32_e32 v1, 3, v0
	v_add_lshl_u32 v1, v1, v73, 2
	; wave barrier
	v_add_u32_e32 v13, 32, v1
	ds_read_b32 v12, v1 offset:32
	v_and_b32_e32 v1, 1, v0
	v_add_co_u32_e32 v2, vcc, -1, v1
	v_addc_co_u32_e64 v3, s[4:5], 0, -1, vcc
	v_cmp_ne_u32_e32 vcc, 0, v1
	v_lshlrev_b32_e32 v43, 30, v0
	v_xor_b32_e32 v1, vcc_hi, v3
	v_not_b32_e32 v3, v43
	v_xor_b32_e32 v2, vcc_lo, v2
	v_cmp_gt_i64_e32 vcc, 0, v[42:43]
	v_ashrrev_i32_e32 v3, 31, v3
	v_and_b32_e32 v2, exec_lo, v2
	v_xor_b32_e32 v14, vcc_hi, v3
	v_xor_b32_e32 v3, vcc_lo, v3
	v_lshlrev_b32_e32 v43, 29, v0
	v_and_b32_e32 v2, v2, v3
	v_not_b32_e32 v3, v43
	v_and_b32_e32 v1, exec_hi, v1
	v_cmp_gt_i64_e32 vcc, 0, v[42:43]
	v_ashrrev_i32_e32 v3, 31, v3
	v_and_b32_e32 v1, v1, v14
	v_xor_b32_e32 v14, vcc_hi, v3
	v_xor_b32_e32 v3, vcc_lo, v3
	v_lshlrev_b32_e32 v43, 28, v0
	v_and_b32_e32 v2, v2, v3
	v_not_b32_e32 v3, v43
	v_cmp_gt_i64_e32 vcc, 0, v[42:43]
	v_ashrrev_i32_e32 v3, 31, v3
	v_and_b32_e32 v1, v1, v14
	v_xor_b32_e32 v14, vcc_hi, v3
	v_xor_b32_e32 v3, vcc_lo, v3
	v_lshlrev_b32_e32 v43, 27, v0
	v_and_b32_e32 v2, v2, v3
	v_not_b32_e32 v3, v43
	;; [unrolled: 8-line block ×3, first 2 shown]
	v_cmp_gt_i64_e32 vcc, 0, v[42:43]
	v_ashrrev_i32_e32 v3, 31, v3
	v_and_b32_e32 v1, v1, v14
	v_xor_b32_e32 v14, vcc_hi, v3
	v_xor_b32_e32 v3, vcc_lo, v3
	v_lshlrev_b32_e32 v43, 25, v0
	v_and_b32_e32 v2, v2, v3
	v_cmp_gt_i64_e32 vcc, 0, v[42:43]
	v_not_b32_e32 v3, v43
	v_lshlrev_b32_e32 v43, 24, v0
	v_ashrrev_i32_e32 v3, 31, v3
	v_not_b32_e32 v0, v43
	v_and_b32_e32 v1, v1, v14
	v_xor_b32_e32 v14, vcc_hi, v3
	v_xor_b32_e32 v3, vcc_lo, v3
	v_cmp_gt_i64_e32 vcc, 0, v[42:43]
	v_ashrrev_i32_e32 v0, 31, v0
	v_and_b32_e32 v2, v2, v3
	v_xor_b32_e32 v3, vcc_hi, v0
	v_xor_b32_e32 v0, vcc_lo, v0
	v_and_b32_e32 v1, v1, v14
	v_and_b32_e32 v0, v2, v0
	;; [unrolled: 1-line block ×3, first 2 shown]
	v_mbcnt_lo_u32_b32 v2, v0, 0
	v_mbcnt_hi_u32_b32 v14, v1, v2
	v_cmp_eq_u32_e32 vcc, 0, v14
	v_cmp_ne_u64_e64 s[4:5], 0, v[0:1]
	s_and_b64 s[58:59], s[4:5], vcc
	; wave barrier
	s_and_saveexec_b64 s[4:5], s[58:59]
	s_cbranch_execz .LBB150_78
; %bb.77:                               ;   in Loop: Header=BB150_70 Depth=1
	v_bcnt_u32_b32 v0, v0, 0
	v_bcnt_u32_b32 v0, v1, v0
	s_waitcnt lgkmcnt(0)
	v_add_u32_e32 v0, v12, v0
	ds_write_b32 v13, v0
.LBB150_78:                             ;   in Loop: Header=BB150_70 Depth=1
	s_or_b64 exec, exec, s[4:5]
	v_lshrrev_b64 v[0:1], s48, v[56:57]
	v_and_b32_e32 v0, s57, v0
	v_lshlrev_b32_e32 v1, 3, v0
	v_add_lshl_u32 v1, v1, v73, 2
	; wave barrier
	v_add_u32_e32 v18, 32, v1
	ds_read_b32 v15, v1 offset:32
	v_and_b32_e32 v1, 1, v0
	v_add_co_u32_e32 v2, vcc, -1, v1
	v_addc_co_u32_e64 v3, s[4:5], 0, -1, vcc
	v_cmp_ne_u32_e32 vcc, 0, v1
	v_lshlrev_b32_e32 v43, 30, v0
	v_xor_b32_e32 v1, vcc_hi, v3
	v_not_b32_e32 v3, v43
	v_xor_b32_e32 v2, vcc_lo, v2
	v_cmp_gt_i64_e32 vcc, 0, v[42:43]
	v_ashrrev_i32_e32 v3, 31, v3
	v_and_b32_e32 v2, exec_lo, v2
	v_xor_b32_e32 v19, vcc_hi, v3
	v_xor_b32_e32 v3, vcc_lo, v3
	v_lshlrev_b32_e32 v43, 29, v0
	v_and_b32_e32 v2, v2, v3
	v_not_b32_e32 v3, v43
	v_and_b32_e32 v1, exec_hi, v1
	v_cmp_gt_i64_e32 vcc, 0, v[42:43]
	v_ashrrev_i32_e32 v3, 31, v3
	v_and_b32_e32 v1, v1, v19
	v_xor_b32_e32 v19, vcc_hi, v3
	v_xor_b32_e32 v3, vcc_lo, v3
	v_lshlrev_b32_e32 v43, 28, v0
	v_and_b32_e32 v2, v2, v3
	v_not_b32_e32 v3, v43
	v_cmp_gt_i64_e32 vcc, 0, v[42:43]
	v_ashrrev_i32_e32 v3, 31, v3
	v_and_b32_e32 v1, v1, v19
	v_xor_b32_e32 v19, vcc_hi, v3
	v_xor_b32_e32 v3, vcc_lo, v3
	v_lshlrev_b32_e32 v43, 27, v0
	v_and_b32_e32 v2, v2, v3
	v_not_b32_e32 v3, v43
	;; [unrolled: 8-line block ×3, first 2 shown]
	v_cmp_gt_i64_e32 vcc, 0, v[42:43]
	v_ashrrev_i32_e32 v3, 31, v3
	v_and_b32_e32 v1, v1, v19
	v_xor_b32_e32 v19, vcc_hi, v3
	v_xor_b32_e32 v3, vcc_lo, v3
	v_lshlrev_b32_e32 v43, 25, v0
	v_and_b32_e32 v2, v2, v3
	v_cmp_gt_i64_e32 vcc, 0, v[42:43]
	v_not_b32_e32 v3, v43
	v_lshlrev_b32_e32 v43, 24, v0
	v_ashrrev_i32_e32 v3, 31, v3
	v_not_b32_e32 v0, v43
	v_and_b32_e32 v1, v1, v19
	v_xor_b32_e32 v19, vcc_hi, v3
	v_xor_b32_e32 v3, vcc_lo, v3
	v_cmp_gt_i64_e32 vcc, 0, v[42:43]
	v_ashrrev_i32_e32 v0, 31, v0
	v_and_b32_e32 v2, v2, v3
	v_xor_b32_e32 v3, vcc_hi, v0
	v_xor_b32_e32 v0, vcc_lo, v0
	v_and_b32_e32 v1, v1, v19
	v_and_b32_e32 v0, v2, v0
	;; [unrolled: 1-line block ×3, first 2 shown]
	v_mbcnt_lo_u32_b32 v2, v0, 0
	v_mbcnt_hi_u32_b32 v19, v1, v2
	v_cmp_eq_u32_e32 vcc, 0, v19
	v_cmp_ne_u64_e64 s[4:5], 0, v[0:1]
	s_and_b64 s[58:59], s[4:5], vcc
	; wave barrier
	s_and_saveexec_b64 s[4:5], s[58:59]
	s_cbranch_execz .LBB150_80
; %bb.79:                               ;   in Loop: Header=BB150_70 Depth=1
	v_bcnt_u32_b32 v0, v0, 0
	v_bcnt_u32_b32 v0, v1, v0
	s_waitcnt lgkmcnt(0)
	v_add_u32_e32 v0, v15, v0
	ds_write_b32 v18, v0
.LBB150_80:                             ;   in Loop: Header=BB150_70 Depth=1
	s_or_b64 exec, exec, s[4:5]
	v_lshrrev_b64 v[0:1], s48, v[54:55]
	v_and_b32_e32 v0, s57, v0
	v_lshlrev_b32_e32 v1, 3, v0
	v_add_lshl_u32 v1, v1, v73, 2
	; wave barrier
	v_add_u32_e32 v21, 32, v1
	ds_read_b32 v20, v1 offset:32
	v_and_b32_e32 v1, 1, v0
	v_add_co_u32_e32 v2, vcc, -1, v1
	v_addc_co_u32_e64 v3, s[4:5], 0, -1, vcc
	v_cmp_ne_u32_e32 vcc, 0, v1
	v_lshlrev_b32_e32 v43, 30, v0
	v_xor_b32_e32 v1, vcc_hi, v3
	v_not_b32_e32 v3, v43
	v_xor_b32_e32 v2, vcc_lo, v2
	v_cmp_gt_i64_e32 vcc, 0, v[42:43]
	v_ashrrev_i32_e32 v3, 31, v3
	v_and_b32_e32 v2, exec_lo, v2
	v_xor_b32_e32 v22, vcc_hi, v3
	v_xor_b32_e32 v3, vcc_lo, v3
	v_lshlrev_b32_e32 v43, 29, v0
	v_and_b32_e32 v2, v2, v3
	v_not_b32_e32 v3, v43
	v_and_b32_e32 v1, exec_hi, v1
	v_cmp_gt_i64_e32 vcc, 0, v[42:43]
	v_ashrrev_i32_e32 v3, 31, v3
	v_and_b32_e32 v1, v1, v22
	v_xor_b32_e32 v22, vcc_hi, v3
	v_xor_b32_e32 v3, vcc_lo, v3
	v_lshlrev_b32_e32 v43, 28, v0
	v_and_b32_e32 v2, v2, v3
	v_not_b32_e32 v3, v43
	v_cmp_gt_i64_e32 vcc, 0, v[42:43]
	v_ashrrev_i32_e32 v3, 31, v3
	v_and_b32_e32 v1, v1, v22
	v_xor_b32_e32 v22, vcc_hi, v3
	v_xor_b32_e32 v3, vcc_lo, v3
	v_lshlrev_b32_e32 v43, 27, v0
	v_and_b32_e32 v2, v2, v3
	v_not_b32_e32 v3, v43
	;; [unrolled: 8-line block ×3, first 2 shown]
	v_cmp_gt_i64_e32 vcc, 0, v[42:43]
	v_ashrrev_i32_e32 v3, 31, v3
	v_and_b32_e32 v1, v1, v22
	v_xor_b32_e32 v22, vcc_hi, v3
	v_xor_b32_e32 v3, vcc_lo, v3
	v_lshlrev_b32_e32 v43, 25, v0
	v_and_b32_e32 v2, v2, v3
	v_cmp_gt_i64_e32 vcc, 0, v[42:43]
	v_not_b32_e32 v3, v43
	v_lshlrev_b32_e32 v43, 24, v0
	v_ashrrev_i32_e32 v3, 31, v3
	v_not_b32_e32 v0, v43
	v_and_b32_e32 v1, v1, v22
	v_xor_b32_e32 v22, vcc_hi, v3
	v_xor_b32_e32 v3, vcc_lo, v3
	v_cmp_gt_i64_e32 vcc, 0, v[42:43]
	v_ashrrev_i32_e32 v0, 31, v0
	v_and_b32_e32 v2, v2, v3
	v_xor_b32_e32 v3, vcc_hi, v0
	v_xor_b32_e32 v0, vcc_lo, v0
	v_and_b32_e32 v1, v1, v22
	v_and_b32_e32 v0, v2, v0
	;; [unrolled: 1-line block ×3, first 2 shown]
	v_mbcnt_lo_u32_b32 v2, v0, 0
	v_mbcnt_hi_u32_b32 v22, v1, v2
	v_cmp_eq_u32_e32 vcc, 0, v22
	v_cmp_ne_u64_e64 s[4:5], 0, v[0:1]
	s_and_b64 s[58:59], s[4:5], vcc
	; wave barrier
	s_and_saveexec_b64 s[4:5], s[58:59]
	s_cbranch_execz .LBB150_82
; %bb.81:                               ;   in Loop: Header=BB150_70 Depth=1
	v_bcnt_u32_b32 v0, v0, 0
	v_bcnt_u32_b32 v0, v1, v0
	s_waitcnt lgkmcnt(0)
	v_add_u32_e32 v0, v20, v0
	ds_write_b32 v21, v0
.LBB150_82:                             ;   in Loop: Header=BB150_70 Depth=1
	s_or_b64 exec, exec, s[4:5]
	v_lshrrev_b64 v[0:1], s48, v[52:53]
	v_and_b32_e32 v0, s57, v0
	v_lshlrev_b32_e32 v1, 3, v0
	v_add_lshl_u32 v1, v1, v73, 2
	; wave barrier
	v_add_u32_e32 v24, 32, v1
	ds_read_b32 v23, v1 offset:32
	v_and_b32_e32 v1, 1, v0
	v_add_co_u32_e32 v2, vcc, -1, v1
	v_addc_co_u32_e64 v3, s[4:5], 0, -1, vcc
	v_cmp_ne_u32_e32 vcc, 0, v1
	v_lshlrev_b32_e32 v43, 30, v0
	v_xor_b32_e32 v1, vcc_hi, v3
	v_not_b32_e32 v3, v43
	v_xor_b32_e32 v2, vcc_lo, v2
	v_cmp_gt_i64_e32 vcc, 0, v[42:43]
	v_ashrrev_i32_e32 v3, 31, v3
	v_and_b32_e32 v2, exec_lo, v2
	v_xor_b32_e32 v25, vcc_hi, v3
	v_xor_b32_e32 v3, vcc_lo, v3
	v_lshlrev_b32_e32 v43, 29, v0
	v_and_b32_e32 v2, v2, v3
	v_not_b32_e32 v3, v43
	v_and_b32_e32 v1, exec_hi, v1
	v_cmp_gt_i64_e32 vcc, 0, v[42:43]
	v_ashrrev_i32_e32 v3, 31, v3
	v_and_b32_e32 v1, v1, v25
	v_xor_b32_e32 v25, vcc_hi, v3
	v_xor_b32_e32 v3, vcc_lo, v3
	v_lshlrev_b32_e32 v43, 28, v0
	v_and_b32_e32 v2, v2, v3
	v_not_b32_e32 v3, v43
	v_cmp_gt_i64_e32 vcc, 0, v[42:43]
	v_ashrrev_i32_e32 v3, 31, v3
	v_and_b32_e32 v1, v1, v25
	v_xor_b32_e32 v25, vcc_hi, v3
	v_xor_b32_e32 v3, vcc_lo, v3
	v_lshlrev_b32_e32 v43, 27, v0
	v_and_b32_e32 v2, v2, v3
	v_not_b32_e32 v3, v43
	v_cmp_gt_i64_e32 vcc, 0, v[42:43]
	v_ashrrev_i32_e32 v3, 31, v3
	v_and_b32_e32 v1, v1, v25
	v_xor_b32_e32 v25, vcc_hi, v3
	v_xor_b32_e32 v3, vcc_lo, v3
	v_lshlrev_b32_e32 v43, 26, v0
	v_and_b32_e32 v2, v2, v3
	v_not_b32_e32 v3, v43
	v_cmp_gt_i64_e32 vcc, 0, v[42:43]
	v_ashrrev_i32_e32 v3, 31, v3
	v_and_b32_e32 v1, v1, v25
	v_xor_b32_e32 v25, vcc_hi, v3
	v_xor_b32_e32 v3, vcc_lo, v3
	v_lshlrev_b32_e32 v43, 25, v0
	v_and_b32_e32 v2, v2, v3
	v_cmp_gt_i64_e32 vcc, 0, v[42:43]
	v_not_b32_e32 v3, v43
	v_lshlrev_b32_e32 v43, 24, v0
	v_ashrrev_i32_e32 v3, 31, v3
	v_not_b32_e32 v0, v43
	v_and_b32_e32 v1, v1, v25
	v_xor_b32_e32 v25, vcc_hi, v3
	v_xor_b32_e32 v3, vcc_lo, v3
	v_cmp_gt_i64_e32 vcc, 0, v[42:43]
	v_ashrrev_i32_e32 v0, 31, v0
	v_and_b32_e32 v2, v2, v3
	v_xor_b32_e32 v3, vcc_hi, v0
	v_xor_b32_e32 v0, vcc_lo, v0
	v_and_b32_e32 v1, v1, v25
	v_and_b32_e32 v0, v2, v0
	;; [unrolled: 1-line block ×3, first 2 shown]
	v_mbcnt_lo_u32_b32 v2, v0, 0
	v_mbcnt_hi_u32_b32 v25, v1, v2
	v_cmp_eq_u32_e32 vcc, 0, v25
	v_cmp_ne_u64_e64 s[4:5], 0, v[0:1]
	s_and_b64 s[58:59], s[4:5], vcc
	; wave barrier
	s_and_saveexec_b64 s[4:5], s[58:59]
	s_cbranch_execz .LBB150_84
; %bb.83:                               ;   in Loop: Header=BB150_70 Depth=1
	v_bcnt_u32_b32 v0, v0, 0
	v_bcnt_u32_b32 v0, v1, v0
	s_waitcnt lgkmcnt(0)
	v_add_u32_e32 v0, v23, v0
	ds_write_b32 v24, v0
.LBB150_84:                             ;   in Loop: Header=BB150_70 Depth=1
	s_or_b64 exec, exec, s[4:5]
	v_lshrrev_b64 v[0:1], s48, v[46:47]
	v_and_b32_e32 v0, s57, v0
	v_lshlrev_b32_e32 v1, 3, v0
	v_add_lshl_u32 v1, v1, v73, 2
	; wave barrier
	v_add_u32_e32 v27, 32, v1
	ds_read_b32 v26, v1 offset:32
	v_and_b32_e32 v1, 1, v0
	v_add_co_u32_e32 v2, vcc, -1, v1
	v_addc_co_u32_e64 v3, s[4:5], 0, -1, vcc
	v_cmp_ne_u32_e32 vcc, 0, v1
	v_lshlrev_b32_e32 v43, 30, v0
	v_xor_b32_e32 v1, vcc_hi, v3
	v_not_b32_e32 v3, v43
	v_xor_b32_e32 v2, vcc_lo, v2
	v_cmp_gt_i64_e32 vcc, 0, v[42:43]
	v_ashrrev_i32_e32 v3, 31, v3
	v_and_b32_e32 v2, exec_lo, v2
	v_xor_b32_e32 v28, vcc_hi, v3
	v_xor_b32_e32 v3, vcc_lo, v3
	v_lshlrev_b32_e32 v43, 29, v0
	v_and_b32_e32 v2, v2, v3
	v_not_b32_e32 v3, v43
	v_and_b32_e32 v1, exec_hi, v1
	v_cmp_gt_i64_e32 vcc, 0, v[42:43]
	v_ashrrev_i32_e32 v3, 31, v3
	v_and_b32_e32 v1, v1, v28
	v_xor_b32_e32 v28, vcc_hi, v3
	v_xor_b32_e32 v3, vcc_lo, v3
	v_lshlrev_b32_e32 v43, 28, v0
	v_and_b32_e32 v2, v2, v3
	v_not_b32_e32 v3, v43
	v_cmp_gt_i64_e32 vcc, 0, v[42:43]
	v_ashrrev_i32_e32 v3, 31, v3
	v_and_b32_e32 v1, v1, v28
	v_xor_b32_e32 v28, vcc_hi, v3
	v_xor_b32_e32 v3, vcc_lo, v3
	v_lshlrev_b32_e32 v43, 27, v0
	v_and_b32_e32 v2, v2, v3
	v_not_b32_e32 v3, v43
	;; [unrolled: 8-line block ×3, first 2 shown]
	v_cmp_gt_i64_e32 vcc, 0, v[42:43]
	v_ashrrev_i32_e32 v3, 31, v3
	v_and_b32_e32 v1, v1, v28
	v_xor_b32_e32 v28, vcc_hi, v3
	v_xor_b32_e32 v3, vcc_lo, v3
	v_lshlrev_b32_e32 v43, 25, v0
	v_and_b32_e32 v2, v2, v3
	v_cmp_gt_i64_e32 vcc, 0, v[42:43]
	v_not_b32_e32 v3, v43
	v_lshlrev_b32_e32 v43, 24, v0
	v_ashrrev_i32_e32 v3, 31, v3
	v_not_b32_e32 v0, v43
	v_and_b32_e32 v1, v1, v28
	v_xor_b32_e32 v28, vcc_hi, v3
	v_xor_b32_e32 v3, vcc_lo, v3
	v_cmp_gt_i64_e32 vcc, 0, v[42:43]
	v_ashrrev_i32_e32 v0, 31, v0
	v_and_b32_e32 v2, v2, v3
	v_xor_b32_e32 v3, vcc_hi, v0
	v_xor_b32_e32 v0, vcc_lo, v0
	v_and_b32_e32 v1, v1, v28
	v_and_b32_e32 v0, v2, v0
	;; [unrolled: 1-line block ×3, first 2 shown]
	v_mbcnt_lo_u32_b32 v2, v0, 0
	v_mbcnt_hi_u32_b32 v28, v1, v2
	v_cmp_eq_u32_e32 vcc, 0, v28
	v_cmp_ne_u64_e64 s[4:5], 0, v[0:1]
	s_and_b64 s[58:59], s[4:5], vcc
	; wave barrier
	s_and_saveexec_b64 s[4:5], s[58:59]
	s_cbranch_execz .LBB150_86
; %bb.85:                               ;   in Loop: Header=BB150_70 Depth=1
	v_bcnt_u32_b32 v0, v0, 0
	v_bcnt_u32_b32 v0, v1, v0
	s_waitcnt lgkmcnt(0)
	v_add_u32_e32 v0, v26, v0
	ds_write_b32 v27, v0
.LBB150_86:                             ;   in Loop: Header=BB150_70 Depth=1
	s_or_b64 exec, exec, s[4:5]
	; wave barrier
	s_waitcnt lgkmcnt(0)
	s_barrier
	ds_read2_b32 v[2:3], v112 offset0:8 offset1:9
	ds_read2_b32 v[0:1], v72 offset0:2 offset1:3
	s_waitcnt lgkmcnt(1)
	v_add_u32_e32 v29, v3, v2
	s_waitcnt lgkmcnt(0)
	v_add3_u32 v1, v29, v0, v1
	s_nop 1
	v_mov_b32_dpp v29, v1 row_shr:1 row_mask:0xf bank_mask:0xf
	v_cndmask_b32_e64 v29, v29, 0, s[16:17]
	v_add_u32_e32 v1, v29, v1
	s_nop 1
	v_mov_b32_dpp v29, v1 row_shr:2 row_mask:0xf bank_mask:0xf
	v_cndmask_b32_e64 v29, 0, v29, s[18:19]
	v_add_u32_e32 v1, v1, v29
	;; [unrolled: 4-line block ×4, first 2 shown]
	s_nop 1
	v_mov_b32_dpp v29, v1 row_bcast:15 row_mask:0xf bank_mask:0xf
	v_cndmask_b32_e64 v29, v29, 0, s[24:25]
	v_add_u32_e32 v1, v1, v29
	s_nop 1
	v_mov_b32_dpp v29, v1 row_bcast:31 row_mask:0xf bank_mask:0xf
	v_cndmask_b32_e64 v29, 0, v29, s[26:27]
	v_add_u32_e32 v1, v1, v29
	s_and_saveexec_b64 s[4:5], s[28:29]
	s_cbranch_execz .LBB150_88
; %bb.87:                               ;   in Loop: Header=BB150_70 Depth=1
	ds_write_b32 v70, v1
.LBB150_88:                             ;   in Loop: Header=BB150_70 Depth=1
	s_or_b64 exec, exec, s[4:5]
	s_waitcnt lgkmcnt(0)
	s_barrier
	s_and_saveexec_b64 s[4:5], s[30:31]
	s_cbranch_execz .LBB150_90
; %bb.89:                               ;   in Loop: Header=BB150_70 Depth=1
	ds_read_b32 v29, v69
	s_waitcnt lgkmcnt(0)
	s_nop 0
	v_mov_b32_dpp v30, v29 row_shr:1 row_mask:0xf bank_mask:0xf
	v_cndmask_b32_e64 v30, v30, 0, s[40:41]
	v_add_u32_e32 v29, v30, v29
	s_nop 1
	v_mov_b32_dpp v30, v29 row_shr:2 row_mask:0xf bank_mask:0xf
	v_cndmask_b32_e64 v30, 0, v30, s[42:43]
	v_add_u32_e32 v29, v29, v30
	;; [unrolled: 4-line block ×3, first 2 shown]
	ds_write_b32 v69, v29
.LBB150_90:                             ;   in Loop: Header=BB150_70 Depth=1
	s_or_b64 exec, exec, s[4:5]
	v_mov_b32_e32 v29, 0
	s_waitcnt lgkmcnt(0)
	s_barrier
	s_and_saveexec_b64 s[4:5], s[34:35]
	s_cbranch_execz .LBB150_92
; %bb.91:                               ;   in Loop: Header=BB150_70 Depth=1
	ds_read_b32 v29, v75
.LBB150_92:                             ;   in Loop: Header=BB150_70 Depth=1
	s_or_b64 exec, exec, s[4:5]
	s_waitcnt lgkmcnt(0)
	v_add_u32_e32 v1, v29, v1
	ds_bpermute_b32 v1, v74, v1
	s_cmp_gt_u32 s48, 55
	s_waitcnt lgkmcnt(0)
	v_cndmask_b32_e64 v1, v1, v29, s[36:37]
	v_cndmask_b32_e64 v1, v1, 0, s[38:39]
	v_add_u32_e32 v2, v1, v2
	v_add_u32_e32 v3, v2, v3
	;; [unrolled: 1-line block ×3, first 2 shown]
	ds_write2_b32 v112, v1, v2 offset0:8 offset1:9
	ds_write2_b32 v72, v3, v0 offset0:2 offset1:3
	s_waitcnt lgkmcnt(0)
	s_barrier
	ds_read_b32 v0, v4
	ds_read_b32 v1, v7
	;; [unrolled: 1-line block ×8, first 2 shown]
	s_waitcnt lgkmcnt(7)
	v_add_u32_e32 v83, v0, v5
	s_waitcnt lgkmcnt(6)
	v_add3_u32 v82, v8, v6, v1
	s_waitcnt lgkmcnt(5)
	v_add3_u32 v81, v11, v9, v2
	;; [unrolled: 2-line block ×7, first 2 shown]
	s_cbranch_scc0 .LBB150_69
; %bb.93:
                                        ; implicit-def: $vgpr32_vgpr33
                                        ; implicit-def: $vgpr28_vgpr29
                                        ; implicit-def: $vgpr24_vgpr25
                                        ; implicit-def: $vgpr20_vgpr21
                                        ; implicit-def: $vgpr14_vgpr15
                                        ; implicit-def: $vgpr10_vgpr11
                                        ; implicit-def: $vgpr6_vgpr7
                                        ; implicit-def: $vgpr2_vgpr3
                                        ; implicit-def: $sgpr48_sgpr49
                                        ; implicit-def: $sgpr55
.LBB150_94:
	v_lshlrev_b32_e32 v18, 3, v83
	v_lshlrev_b32_e32 v19, 3, v82
	;; [unrolled: 1-line block ×9, first 2 shown]
	s_barrier
	ds_write_b64 v18, v[64:65]
	ds_write_b64 v19, v[62:63]
	;; [unrolled: 1-line block ×8, first 2 shown]
	s_waitcnt lgkmcnt(0)
	s_barrier
	ds_read2_b64 v[0:3], v26 offset1:1
	ds_read2_b64 v[4:7], v26 offset0:2 offset1:3
	ds_read2_b64 v[8:11], v26 offset0:4 offset1:5
	;; [unrolled: 1-line block ×3, first 2 shown]
	s_waitcnt lgkmcnt(0)
	s_barrier
	ds_write_b64 v18, v[50:51]
	ds_write_b64 v19, v[48:49]
	;; [unrolled: 1-line block ×8, first 2 shown]
	s_waitcnt lgkmcnt(0)
	s_barrier
	ds_read2_b64 v[34:37], v26 offset1:1
	ds_read2_b64 v[38:41], v26 offset0:2 offset1:3
	ds_read2_b64 v[42:45], v26 offset0:4 offset1:5
	;; [unrolled: 1-line block ×3, first 2 shown]
	v_xor_b32_e32 v51, 0x7fffffff, v1
	v_xor_b32_e32 v50, -1, v0
	v_xor_b32_e32 v53, 0x7fffffff, v3
	v_xor_b32_e32 v52, -1, v2
	;; [unrolled: 2-line block ×8, first 2 shown]
.LBB150_95:
	s_waitcnt lgkmcnt(0)
	s_barrier
	ds_write2_b64 v111, v[50:51], v[52:53] offset1:1
	ds_write2_b64 v111, v[54:55], v[56:57] offset0:2 offset1:3
	ds_write2_b64 v111, v[58:59], v[60:61] offset0:4 offset1:5
	;; [unrolled: 1-line block ×3, first 2 shown]
	s_waitcnt lgkmcnt(0)
	s_barrier
	ds_read_b64 v[14:15], v104 offset:4096
	ds_read_b64 v[12:13], v105 offset:8192
	ds_read_b64 v[10:11], v106 offset:12288
	ds_read_b64 v[8:9], v107 offset:16384
	ds_read_b64 v[6:7], v108 offset:20480
	ds_read_b64 v[4:5], v109 offset:24576
	ds_read_b64 v[0:1], v110 offset:28672
	v_mov_b32_e32 v67, 0
	v_lshlrev_b64 v[2:3], 3, v[66:67]
	v_mov_b32_e32 v16, s51
	v_add_co_u32_e32 v2, vcc, s33, v2
	v_addc_co_u32_e32 v3, vcc, v16, v3, vcc
	s_and_saveexec_b64 s[4:5], s[0:1]
	s_cbranch_execnz .LBB150_114
; %bb.96:
	s_or_b64 exec, exec, s[4:5]
	s_and_saveexec_b64 s[4:5], s[2:3]
	s_cbranch_execnz .LBB150_115
.LBB150_97:
	s_or_b64 exec, exec, s[4:5]
	s_and_saveexec_b64 s[4:5], s[46:47]
	s_cbranch_execnz .LBB150_116
.LBB150_98:
	s_or_b64 exec, exec, s[4:5]
	s_and_saveexec_b64 s[4:5], s[6:7]
	s_cbranch_execnz .LBB150_117
.LBB150_99:
	s_or_b64 exec, exec, s[4:5]
	s_and_saveexec_b64 s[4:5], s[8:9]
	s_cbranch_execnz .LBB150_118
.LBB150_100:
	s_or_b64 exec, exec, s[4:5]
	s_and_saveexec_b64 s[4:5], s[10:11]
	s_cbranch_execnz .LBB150_119
.LBB150_101:
	s_or_b64 exec, exec, s[4:5]
	s_and_saveexec_b64 s[4:5], s[12:13]
	s_cbranch_execnz .LBB150_120
.LBB150_102:
	s_or_b64 exec, exec, s[4:5]
	s_and_saveexec_b64 s[4:5], s[14:15]
	s_cbranch_execz .LBB150_104
.LBB150_103:
	s_mul_i32 s16, s50, 0xe00
	s_mov_b32 s17, 0
	s_lshl_b64 s[16:17], s[16:17], 3
	s_waitcnt lgkmcnt(1)
	v_mov_b32_e32 v4, s17
	v_add_co_u32_e32 v2, vcc, s16, v2
	v_addc_co_u32_e32 v3, vcc, v3, v4, vcc
	s_waitcnt lgkmcnt(0)
	global_store_dwordx2 v[2:3], v[0:1], off
.LBB150_104:
	s_or_b64 exec, exec, s[4:5]
	s_waitcnt lgkmcnt(0)
	s_barrier
	ds_write2_b64 v111, v[34:35], v[36:37] offset1:1
	ds_write2_b64 v111, v[38:39], v[40:41] offset0:2 offset1:3
	ds_write2_b64 v111, v[42:43], v[44:45] offset0:4 offset1:5
	ds_write2_b64 v111, v[46:47], v[48:49] offset0:6 offset1:7
	s_waitcnt lgkmcnt(0)
	s_barrier
	ds_read_b64 v[14:15], v104 offset:4096
	ds_read_b64 v[12:13], v105 offset:8192
	ds_read_b64 v[10:11], v106 offset:12288
	ds_read_b64 v[8:9], v107 offset:16384
	ds_read_b64 v[6:7], v108 offset:20480
	ds_read_b64 v[4:5], v109 offset:24576
	ds_read_b64 v[0:1], v110 offset:28672
	v_mov_b32_e32 v69, 0
	v_lshlrev_b64 v[2:3], 3, v[68:69]
	v_mov_b32_e32 v16, s56
	v_add_co_u32_e32 v2, vcc, s53, v2
	v_addc_co_u32_e32 v3, vcc, v16, v3, vcc
	s_and_saveexec_b64 s[4:5], s[0:1]
	s_cbranch_execnz .LBB150_121
; %bb.105:
	s_or_b64 exec, exec, s[4:5]
	s_and_saveexec_b64 s[0:1], s[2:3]
	s_cbranch_execnz .LBB150_122
.LBB150_106:
	s_or_b64 exec, exec, s[0:1]
	s_and_saveexec_b64 s[0:1], s[46:47]
	s_cbranch_execnz .LBB150_123
.LBB150_107:
	s_or_b64 exec, exec, s[0:1]
	s_and_saveexec_b64 s[0:1], s[6:7]
	s_cbranch_execnz .LBB150_124
.LBB150_108:
	s_or_b64 exec, exec, s[0:1]
	s_and_saveexec_b64 s[0:1], s[8:9]
	s_cbranch_execnz .LBB150_125
.LBB150_109:
	s_or_b64 exec, exec, s[0:1]
	s_and_saveexec_b64 s[0:1], s[10:11]
	s_cbranch_execnz .LBB150_126
.LBB150_110:
	s_or_b64 exec, exec, s[0:1]
	s_and_saveexec_b64 s[0:1], s[12:13]
	s_cbranch_execnz .LBB150_127
.LBB150_111:
	s_or_b64 exec, exec, s[0:1]
	s_and_saveexec_b64 s[0:1], s[14:15]
	s_cbranch_execz .LBB150_113
.LBB150_112:
	s_mul_i32 s0, s52, 0xe00
	s_mov_b32 s1, 0
	s_lshl_b64 s[0:1], s[0:1], 3
	s_waitcnt lgkmcnt(1)
	v_mov_b32_e32 v4, s1
	v_add_co_u32_e32 v2, vcc, s0, v2
	v_addc_co_u32_e32 v3, vcc, v3, v4, vcc
	s_waitcnt lgkmcnt(0)
	global_store_dwordx2 v[2:3], v[0:1], off
.LBB150_113:
	s_endpgm
.LBB150_114:
	ds_read_b64 v[16:17], v71
	s_waitcnt lgkmcnt(0)
	global_store_dwordx2 v[2:3], v[16:17], off
	s_or_b64 exec, exec, s[4:5]
	s_and_saveexec_b64 s[4:5], s[2:3]
	s_cbranch_execz .LBB150_97
.LBB150_115:
	s_lshl_b32 s16, s50, 9
	s_mov_b32 s17, 0
	s_lshl_b64 s[16:17], s[16:17], 3
	v_mov_b32_e32 v17, s17
	v_add_co_u32_e32 v16, vcc, s16, v2
	v_addc_co_u32_e32 v17, vcc, v3, v17, vcc
	s_waitcnt lgkmcnt(6)
	global_store_dwordx2 v[16:17], v[14:15], off
	s_or_b64 exec, exec, s[4:5]
	s_and_saveexec_b64 s[4:5], s[46:47]
	s_cbranch_execz .LBB150_98
.LBB150_116:
	s_lshl_b32 s16, s50, 10
	s_mov_b32 s17, 0
	s_lshl_b64 s[16:17], s[16:17], 3
	s_waitcnt lgkmcnt(6)
	v_mov_b32_e32 v15, s17
	v_add_co_u32_e32 v14, vcc, s16, v2
	v_addc_co_u32_e32 v15, vcc, v3, v15, vcc
	s_waitcnt lgkmcnt(5)
	global_store_dwordx2 v[14:15], v[12:13], off
	s_or_b64 exec, exec, s[4:5]
	s_and_saveexec_b64 s[4:5], s[6:7]
	s_cbranch_execz .LBB150_99
.LBB150_117:
	s_mul_i32 s16, s50, 0x600
	s_mov_b32 s17, 0
	s_lshl_b64 s[16:17], s[16:17], 3
	s_waitcnt lgkmcnt(5)
	v_mov_b32_e32 v13, s17
	v_add_co_u32_e32 v12, vcc, s16, v2
	v_addc_co_u32_e32 v13, vcc, v3, v13, vcc
	s_waitcnt lgkmcnt(4)
	global_store_dwordx2 v[12:13], v[10:11], off
	s_or_b64 exec, exec, s[4:5]
	s_and_saveexec_b64 s[4:5], s[8:9]
	s_cbranch_execz .LBB150_100
.LBB150_118:
	s_lshl_b32 s16, s50, 11
	s_mov_b32 s17, 0
	s_lshl_b64 s[16:17], s[16:17], 3
	s_waitcnt lgkmcnt(4)
	v_mov_b32_e32 v11, s17
	v_add_co_u32_e32 v10, vcc, s16, v2
	v_addc_co_u32_e32 v11, vcc, v3, v11, vcc
	s_waitcnt lgkmcnt(3)
	global_store_dwordx2 v[10:11], v[8:9], off
	s_or_b64 exec, exec, s[4:5]
	s_and_saveexec_b64 s[4:5], s[10:11]
	s_cbranch_execz .LBB150_101
.LBB150_119:
	s_mul_i32 s16, s50, 0xa00
	s_mov_b32 s17, 0
	s_lshl_b64 s[16:17], s[16:17], 3
	s_waitcnt lgkmcnt(3)
	v_mov_b32_e32 v9, s17
	v_add_co_u32_e32 v8, vcc, s16, v2
	v_addc_co_u32_e32 v9, vcc, v3, v9, vcc
	s_waitcnt lgkmcnt(2)
	global_store_dwordx2 v[8:9], v[6:7], off
	s_or_b64 exec, exec, s[4:5]
	s_and_saveexec_b64 s[4:5], s[12:13]
	s_cbranch_execz .LBB150_102
.LBB150_120:
	s_mul_i32 s16, s50, 0xc00
	s_mov_b32 s17, 0
	s_lshl_b64 s[16:17], s[16:17], 3
	s_waitcnt lgkmcnt(2)
	v_mov_b32_e32 v7, s17
	v_add_co_u32_e32 v6, vcc, s16, v2
	v_addc_co_u32_e32 v7, vcc, v3, v7, vcc
	s_waitcnt lgkmcnt(1)
	global_store_dwordx2 v[6:7], v[4:5], off
	s_or_b64 exec, exec, s[4:5]
	s_and_saveexec_b64 s[4:5], s[14:15]
	s_cbranch_execnz .LBB150_103
	s_branch .LBB150_104
.LBB150_121:
	ds_read_b64 v[16:17], v71
	s_waitcnt lgkmcnt(0)
	global_store_dwordx2 v[2:3], v[16:17], off
	s_or_b64 exec, exec, s[4:5]
	s_and_saveexec_b64 s[0:1], s[2:3]
	s_cbranch_execz .LBB150_106
.LBB150_122:
	s_lshl_b32 s2, s52, 9
	s_mov_b32 s3, 0
	s_lshl_b64 s[2:3], s[2:3], 3
	v_mov_b32_e32 v17, s3
	v_add_co_u32_e32 v16, vcc, s2, v2
	v_addc_co_u32_e32 v17, vcc, v3, v17, vcc
	s_waitcnt lgkmcnt(6)
	global_store_dwordx2 v[16:17], v[14:15], off
	s_or_b64 exec, exec, s[0:1]
	s_and_saveexec_b64 s[0:1], s[46:47]
	s_cbranch_execz .LBB150_107
.LBB150_123:
	s_lshl_b32 s2, s52, 10
	s_mov_b32 s3, 0
	s_lshl_b64 s[2:3], s[2:3], 3
	s_waitcnt lgkmcnt(6)
	v_mov_b32_e32 v15, s3
	v_add_co_u32_e32 v14, vcc, s2, v2
	v_addc_co_u32_e32 v15, vcc, v3, v15, vcc
	s_waitcnt lgkmcnt(5)
	global_store_dwordx2 v[14:15], v[12:13], off
	s_or_b64 exec, exec, s[0:1]
	s_and_saveexec_b64 s[0:1], s[6:7]
	s_cbranch_execz .LBB150_108
.LBB150_124:
	s_mul_i32 s2, s52, 0x600
	s_mov_b32 s3, 0
	s_lshl_b64 s[2:3], s[2:3], 3
	s_waitcnt lgkmcnt(5)
	v_mov_b32_e32 v13, s3
	v_add_co_u32_e32 v12, vcc, s2, v2
	v_addc_co_u32_e32 v13, vcc, v3, v13, vcc
	s_waitcnt lgkmcnt(4)
	global_store_dwordx2 v[12:13], v[10:11], off
	s_or_b64 exec, exec, s[0:1]
	s_and_saveexec_b64 s[0:1], s[8:9]
	s_cbranch_execz .LBB150_109
.LBB150_125:
	s_lshl_b32 s2, s52, 11
	s_mov_b32 s3, 0
	s_lshl_b64 s[2:3], s[2:3], 3
	s_waitcnt lgkmcnt(4)
	v_mov_b32_e32 v11, s3
	v_add_co_u32_e32 v10, vcc, s2, v2
	v_addc_co_u32_e32 v11, vcc, v3, v11, vcc
	s_waitcnt lgkmcnt(3)
	global_store_dwordx2 v[10:11], v[8:9], off
	s_or_b64 exec, exec, s[0:1]
	s_and_saveexec_b64 s[0:1], s[10:11]
	s_cbranch_execz .LBB150_110
.LBB150_126:
	s_mul_i32 s2, s52, 0xa00
	s_mov_b32 s3, 0
	s_lshl_b64 s[2:3], s[2:3], 3
	s_waitcnt lgkmcnt(3)
	v_mov_b32_e32 v9, s3
	v_add_co_u32_e32 v8, vcc, s2, v2
	v_addc_co_u32_e32 v9, vcc, v3, v9, vcc
	s_waitcnt lgkmcnt(2)
	global_store_dwordx2 v[8:9], v[6:7], off
	s_or_b64 exec, exec, s[0:1]
	s_and_saveexec_b64 s[0:1], s[12:13]
	s_cbranch_execz .LBB150_111
.LBB150_127:
	s_mul_i32 s2, s52, 0xc00
	s_mov_b32 s3, 0
	s_lshl_b64 s[2:3], s[2:3], 3
	s_waitcnt lgkmcnt(2)
	v_mov_b32_e32 v7, s3
	v_add_co_u32_e32 v6, vcc, s2, v2
	v_addc_co_u32_e32 v7, vcc, v3, v7, vcc
	s_waitcnt lgkmcnt(1)
	global_store_dwordx2 v[6:7], v[4:5], off
	s_or_b64 exec, exec, s[0:1]
	s_and_saveexec_b64 s[0:1], s[14:15]
	s_cbranch_execnz .LBB150_112
	s_branch .LBB150_113
	.section	.rodata,"a",@progbits
	.p2align	6, 0x0
	.amdhsa_kernel _ZN2at6native18radixSortKVInPlaceILin1ELin1ELi512ELi8ElljEEvNS_4cuda6detail10TensorInfoIT3_T5_EES6_S6_S6_NS4_IT4_S6_EES6_b
		.amdhsa_group_segment_fixed_size 33792
		.amdhsa_private_segment_fixed_size 0
		.amdhsa_kernarg_size 712
		.amdhsa_user_sgpr_count 6
		.amdhsa_user_sgpr_private_segment_buffer 1
		.amdhsa_user_sgpr_dispatch_ptr 0
		.amdhsa_user_sgpr_queue_ptr 0
		.amdhsa_user_sgpr_kernarg_segment_ptr 1
		.amdhsa_user_sgpr_dispatch_id 0
		.amdhsa_user_sgpr_flat_scratch_init 0
		.amdhsa_user_sgpr_kernarg_preload_length 0
		.amdhsa_user_sgpr_kernarg_preload_offset 0
		.amdhsa_user_sgpr_private_segment_size 0
		.amdhsa_uses_dynamic_stack 0
		.amdhsa_system_sgpr_private_segment_wavefront_offset 0
		.amdhsa_system_sgpr_workgroup_id_x 1
		.amdhsa_system_sgpr_workgroup_id_y 1
		.amdhsa_system_sgpr_workgroup_id_z 1
		.amdhsa_system_sgpr_workgroup_info 0
		.amdhsa_system_vgpr_workitem_id 2
		.amdhsa_next_free_vgpr 139
		.amdhsa_next_free_sgpr 62
		.amdhsa_accum_offset 140
		.amdhsa_reserve_vcc 1
		.amdhsa_reserve_flat_scratch 0
		.amdhsa_float_round_mode_32 0
		.amdhsa_float_round_mode_16_64 0
		.amdhsa_float_denorm_mode_32 3
		.amdhsa_float_denorm_mode_16_64 3
		.amdhsa_dx10_clamp 1
		.amdhsa_ieee_mode 1
		.amdhsa_fp16_overflow 0
		.amdhsa_tg_split 0
		.amdhsa_exception_fp_ieee_invalid_op 0
		.amdhsa_exception_fp_denorm_src 0
		.amdhsa_exception_fp_ieee_div_zero 0
		.amdhsa_exception_fp_ieee_overflow 0
		.amdhsa_exception_fp_ieee_underflow 0
		.amdhsa_exception_fp_ieee_inexact 0
		.amdhsa_exception_int_div_zero 0
	.end_amdhsa_kernel
	.section	.text._ZN2at6native18radixSortKVInPlaceILin1ELin1ELi512ELi8ElljEEvNS_4cuda6detail10TensorInfoIT3_T5_EES6_S6_S6_NS4_IT4_S6_EES6_b,"axG",@progbits,_ZN2at6native18radixSortKVInPlaceILin1ELin1ELi512ELi8ElljEEvNS_4cuda6detail10TensorInfoIT3_T5_EES6_S6_S6_NS4_IT4_S6_EES6_b,comdat
.Lfunc_end150:
	.size	_ZN2at6native18radixSortKVInPlaceILin1ELin1ELi512ELi8ElljEEvNS_4cuda6detail10TensorInfoIT3_T5_EES6_S6_S6_NS4_IT4_S6_EES6_b, .Lfunc_end150-_ZN2at6native18radixSortKVInPlaceILin1ELin1ELi512ELi8ElljEEvNS_4cuda6detail10TensorInfoIT3_T5_EES6_S6_S6_NS4_IT4_S6_EES6_b
                                        ; -- End function
	.section	.AMDGPU.csdata,"",@progbits
; Kernel info:
; codeLenInByte = 13328
; NumSgprs: 66
; NumVgprs: 139
; NumAgprs: 0
; TotalNumVgprs: 139
; ScratchSize: 0
; MemoryBound: 0
; FloatMode: 240
; IeeeMode: 1
; LDSByteSize: 33792 bytes/workgroup (compile time only)
; SGPRBlocks: 8
; VGPRBlocks: 17
; NumSGPRsForWavesPerEU: 66
; NumVGPRsForWavesPerEU: 139
; AccumOffset: 140
; Occupancy: 2
; WaveLimiterHint : 1
; COMPUTE_PGM_RSRC2:SCRATCH_EN: 0
; COMPUTE_PGM_RSRC2:USER_SGPR: 6
; COMPUTE_PGM_RSRC2:TRAP_HANDLER: 0
; COMPUTE_PGM_RSRC2:TGID_X_EN: 1
; COMPUTE_PGM_RSRC2:TGID_Y_EN: 1
; COMPUTE_PGM_RSRC2:TGID_Z_EN: 1
; COMPUTE_PGM_RSRC2:TIDIG_COMP_CNT: 2
; COMPUTE_PGM_RSRC3_GFX90A:ACCUM_OFFSET: 34
; COMPUTE_PGM_RSRC3_GFX90A:TG_SPLIT: 0
	.section	.text._ZN2at6native18radixSortKVInPlaceILin1ELin1ELi256ELi8ElljEEvNS_4cuda6detail10TensorInfoIT3_T5_EES6_S6_S6_NS4_IT4_S6_EES6_b,"axG",@progbits,_ZN2at6native18radixSortKVInPlaceILin1ELin1ELi256ELi8ElljEEvNS_4cuda6detail10TensorInfoIT3_T5_EES6_S6_S6_NS4_IT4_S6_EES6_b,comdat
	.protected	_ZN2at6native18radixSortKVInPlaceILin1ELin1ELi256ELi8ElljEEvNS_4cuda6detail10TensorInfoIT3_T5_EES6_S6_S6_NS4_IT4_S6_EES6_b ; -- Begin function _ZN2at6native18radixSortKVInPlaceILin1ELin1ELi256ELi8ElljEEvNS_4cuda6detail10TensorInfoIT3_T5_EES6_S6_S6_NS4_IT4_S6_EES6_b
	.globl	_ZN2at6native18radixSortKVInPlaceILin1ELin1ELi256ELi8ElljEEvNS_4cuda6detail10TensorInfoIT3_T5_EES6_S6_S6_NS4_IT4_S6_EES6_b
	.p2align	8
	.type	_ZN2at6native18radixSortKVInPlaceILin1ELin1ELi256ELi8ElljEEvNS_4cuda6detail10TensorInfoIT3_T5_EES6_S6_S6_NS4_IT4_S6_EES6_b,@function
_ZN2at6native18radixSortKVInPlaceILin1ELin1ELi256ELi8ElljEEvNS_4cuda6detail10TensorInfoIT3_T5_EES6_S6_S6_NS4_IT4_S6_EES6_b: ; @_ZN2at6native18radixSortKVInPlaceILin1ELin1ELi256ELi8ElljEEvNS_4cuda6detail10TensorInfoIT3_T5_EES6_S6_S6_NS4_IT4_S6_EES6_b
; %bb.0:
	s_load_dwordx2 s[0:1], s[4:5], 0x1c8
	s_load_dwordx4 s[48:51], s[4:5], 0xd8
	s_add_u32 s52, s4, 0x1c8
	s_addc_u32 s53, s5, 0
	s_waitcnt lgkmcnt(0)
	s_mul_i32 s1, s1, s8
	s_add_i32 s1, s1, s7
	s_mul_i32 s0, s1, s0
	s_add_i32 s26, s0, s6
	s_cmp_ge_u32 s26, s48
	s_cbranch_scc1 .LBB151_113
; %bb.1:
	s_load_dword s2, s[4:5], 0xd0
	s_mov_b32 s1, 0
	s_mov_b32 s0, s26
	s_waitcnt lgkmcnt(0)
	s_cmp_lt_i32 s2, 2
	s_cbranch_scc1 .LBB151_4
; %bb.2:
	s_add_i32 s0, s2, -1
	s_add_i32 s6, s2, 1
	s_lshl_b64 s[2:3], s[0:1], 2
	s_add_u32 s0, s2, s4
	s_addc_u32 s3, s3, s5
	s_add_u32 s2, s0, 8
	s_addc_u32 s3, s3, 0
	s_mov_b32 s0, s26
.LBB151_3:                              ; =>This Inner Loop Header: Depth=1
	s_load_dword s7, s[2:3], 0x0
	s_load_dword s9, s[2:3], 0x64
	s_mov_b32 s8, s0
	s_waitcnt lgkmcnt(0)
	v_cvt_f32_u32_e32 v1, s7
	s_sub_i32 s0, 0, s7
	v_rcp_iflag_f32_e32 v1, v1
	v_mul_f32_e32 v1, 0x4f7ffffe, v1
	v_cvt_u32_f32_e32 v1, v1
	v_readfirstlane_b32 s10, v1
	s_mul_i32 s0, s0, s10
	s_mul_hi_u32 s0, s10, s0
	s_add_i32 s10, s10, s0
	s_mul_hi_u32 s0, s8, s10
	s_mul_i32 s10, s0, s7
	s_sub_i32 s10, s8, s10
	s_add_i32 s11, s0, 1
	s_sub_i32 s12, s10, s7
	s_cmp_ge_u32 s10, s7
	s_cselect_b32 s0, s11, s0
	s_cselect_b32 s10, s12, s10
	s_add_i32 s11, s0, 1
	s_cmp_ge_u32 s10, s7
	s_cselect_b32 s0, s11, s0
	s_mul_i32 s7, s0, s7
	s_sub_i32 s7, s8, s7
	s_mul_i32 s7, s9, s7
	s_add_i32 s6, s6, -1
	s_add_i32 s1, s7, s1
	s_add_u32 s2, s2, -4
	s_addc_u32 s3, s3, -1
	s_cmp_gt_u32 s6, 2
	s_cbranch_scc1 .LBB151_3
.LBB151_4:
	s_load_dword s2, s[4:5], 0x1b8
	s_mov_b32 s25, 0
	s_waitcnt lgkmcnt(0)
	s_cmp_lt_i32 s2, 2
	s_cbranch_scc1 .LBB151_7
; %bb.5:
	s_add_i32 s24, s2, -1
	s_add_i32 s6, s2, 1
	s_lshl_b64 s[2:3], s[24:25], 2
	s_add_u32 s2, s2, s4
	s_addc_u32 s3, s3, s5
	s_add_u32 s2, s2, 0xf0
	s_addc_u32 s3, s3, 0
.LBB151_6:                              ; =>This Inner Loop Header: Depth=1
	s_load_dword s7, s[2:3], 0x0
	s_load_dword s9, s[2:3], 0x64
	s_mov_b32 s8, s26
	s_waitcnt lgkmcnt(0)
	v_cvt_f32_u32_e32 v1, s7
	s_sub_i32 s10, 0, s7
	v_rcp_iflag_f32_e32 v1, v1
	v_mul_f32_e32 v1, 0x4f7ffffe, v1
	v_cvt_u32_f32_e32 v1, v1
	v_readfirstlane_b32 s11, v1
	s_mul_i32 s10, s10, s11
	s_mul_hi_u32 s10, s11, s10
	s_add_i32 s11, s11, s10
	s_mul_hi_u32 s10, s26, s11
	s_mul_i32 s11, s10, s7
	s_sub_i32 s11, s26, s11
	s_add_i32 s12, s10, 1
	s_sub_i32 s13, s11, s7
	s_cmp_ge_u32 s11, s7
	s_cselect_b32 s10, s12, s10
	s_cselect_b32 s11, s13, s11
	s_add_i32 s12, s10, 1
	s_cmp_ge_u32 s11, s7
	s_cselect_b32 s26, s12, s10
	s_mul_i32 s7, s26, s7
	s_sub_i32 s7, s8, s7
	s_mul_i32 s7, s9, s7
	s_add_i32 s6, s6, -1
	s_add_i32 s25, s7, s25
	s_add_u32 s2, s2, -4
	s_addc_u32 s3, s3, -1
	s_cmp_gt_u32 s6, 2
	s_cbranch_scc1 .LBB151_6
.LBB151_7:
	s_load_dword s2, s[4:5], 0x6c
	s_load_dwordx2 s[46:47], s[4:5], 0x1c0
	s_load_dwordx2 s[6:7], s[4:5], 0x0
	s_mov_b32 s3, 0
	v_and_b32_e32 v70, 0x3ff, v0
	s_waitcnt lgkmcnt(0)
	s_mul_i32 s0, s2, s0
	s_add_i32 s2, s0, s1
	s_bitcmp1_b32 s47, 0
	s_cselect_b64 s[34:35], -1, 0
	s_and_b64 s[0:1], s[34:35], exec
	s_brev_b32 s0, 1
	s_cselect_b32 s8, 0, -1
	s_cselect_b32 s9, s0, 0x7fffffff
	s_lshl_b64 s[0:1], s[2:3], 3
	s_add_u32 s33, s6, s0
	s_mov_b32 s10, s8
	s_mov_b32 s11, s9
	;; [unrolled: 1-line block ×14, first 2 shown]
	v_pk_mov_b32 v[2:3], s[8:9], s[8:9] op_sel:[0,1]
	s_addc_u32 s47, s7, s1
	v_cmp_gt_u32_e64 s[0:1], s49, v70
	v_pk_mov_b32 v[4:5], s[10:11], s[10:11] op_sel:[0,1]
	v_pk_mov_b32 v[6:7], s[12:13], s[12:13] op_sel:[0,1]
	;; [unrolled: 1-line block ×8, first 2 shown]
	v_mul_lo_u32 v66, v70, s50
	s_and_saveexec_b64 s[2:3], s[0:1]
	s_cbranch_execz .LBB151_9
; %bb.8:
	v_mov_b32_e32 v67, 0
	v_lshlrev_b64 v[2:3], 3, v[66:67]
	v_mov_b32_e32 v1, s47
	v_add_co_u32_e32 v2, vcc, s33, v2
	v_addc_co_u32_e32 v3, vcc, v1, v3, vcc
	global_load_dwordx2 v[18:19], v[2:3], off
	v_pk_mov_b32 v[2:3], s[8:9], s[8:9] op_sel:[0,1]
	v_pk_mov_b32 v[4:5], s[10:11], s[10:11] op_sel:[0,1]
	;; [unrolled: 1-line block ×8, first 2 shown]
.LBB151_9:
	s_or_b64 exec, exec, s[2:3]
	v_add_u32_e32 v1, 0x100, v70
	v_cmp_gt_u32_e64 s[2:3], s49, v1
	s_and_saveexec_b64 s[6:7], s[2:3]
	s_cbranch_execz .LBB151_11
; %bb.10:
	v_mul_lo_u32 v2, v1, s50
	v_mov_b32_e32 v3, 0
	v_lshlrev_b64 v[2:3], 3, v[2:3]
	v_mov_b32_e32 v4, s47
	v_add_co_u32_e32 v2, vcc, s33, v2
	v_addc_co_u32_e32 v3, vcc, v4, v3, vcc
	global_load_dwordx2 v[4:5], v[2:3], off
.LBB151_11:
	s_or_b64 exec, exec, s[6:7]
	v_add_u32_e32 v34, 0x200, v70
	v_cmp_gt_u32_e64 s[44:45], s49, v34
	s_and_saveexec_b64 s[6:7], s[44:45]
	s_cbranch_execz .LBB151_13
; %bb.12:
	v_mul_lo_u32 v2, v34, s50
	v_mov_b32_e32 v3, 0
	v_lshlrev_b64 v[2:3], 3, v[2:3]
	v_mov_b32_e32 v6, s47
	v_add_co_u32_e32 v2, vcc, s33, v2
	v_addc_co_u32_e32 v3, vcc, v6, v3, vcc
	global_load_dwordx2 v[6:7], v[2:3], off
.LBB151_13:
	;; [unrolled: 14-line block ×3, first 2 shown]
	s_or_b64 exec, exec, s[8:9]
	v_or_b32_e32 v36, 0x400, v70
	v_cmp_gt_u32_e64 s[8:9], s49, v36
	s_and_saveexec_b64 s[10:11], s[8:9]
	s_cbranch_execz .LBB151_17
; %bb.16:
	v_mul_lo_u32 v2, v36, s50
	v_mov_b32_e32 v3, 0
	v_lshlrev_b64 v[2:3], 3, v[2:3]
	v_mov_b32_e32 v10, s47
	v_add_co_u32_e32 v2, vcc, s33, v2
	v_addc_co_u32_e32 v3, vcc, v10, v3, vcc
	global_load_dwordx2 v[10:11], v[2:3], off
.LBB151_17:
	s_or_b64 exec, exec, s[10:11]
	v_add_u32_e32 v37, 0x500, v70
	v_cmp_gt_u32_e64 s[10:11], s49, v37
	s_and_saveexec_b64 s[12:13], s[10:11]
	s_cbranch_execz .LBB151_19
; %bb.18:
	v_mul_lo_u32 v2, v37, s50
	v_mov_b32_e32 v3, 0
	v_lshlrev_b64 v[2:3], 3, v[2:3]
	v_mov_b32_e32 v12, s47
	v_add_co_u32_e32 v2, vcc, s33, v2
	v_addc_co_u32_e32 v3, vcc, v12, v3, vcc
	global_load_dwordx2 v[12:13], v[2:3], off
.LBB151_19:
	s_or_b64 exec, exec, s[12:13]
	s_load_dwordx2 s[18:19], s[4:5], 0xe8
	v_add_u32_e32 v38, 0x600, v70
	v_cmp_gt_u32_e64 s[12:13], s49, v38
	s_and_saveexec_b64 s[14:15], s[12:13]
	s_cbranch_execz .LBB151_21
; %bb.20:
	v_mul_lo_u32 v2, v38, s50
	v_mov_b32_e32 v3, 0
	v_lshlrev_b64 v[2:3], 3, v[2:3]
	v_mov_b32_e32 v14, s47
	v_add_co_u32_e32 v2, vcc, s33, v2
	v_addc_co_u32_e32 v3, vcc, v14, v3, vcc
	global_load_dwordx2 v[14:15], v[2:3], off
.LBB151_21:
	s_or_b64 exec, exec, s[14:15]
	s_load_dword s16, s[4:5], 0x154
	v_add_u32_e32 v39, 0x700, v70
	v_cmp_gt_u32_e64 s[14:15], s49, v39
	s_and_saveexec_b64 s[4:5], s[14:15]
	s_cbranch_execz .LBB151_23
; %bb.22:
	v_mul_lo_u32 v2, v39, s50
	v_mov_b32_e32 v3, 0
	v_lshlrev_b64 v[2:3], 3, v[2:3]
	v_mov_b32_e32 v16, s47
	v_add_co_u32_e32 v2, vcc, s33, v2
	v_addc_co_u32_e32 v3, vcc, v16, v3, vcc
	global_load_dwordx2 v[16:17], v[2:3], off
.LBB151_23:
	s_or_b64 exec, exec, s[4:5]
	v_lshrrev_b32_e32 v2, 5, v70
	v_add_lshl_u32 v71, v2, v70, 3
	v_lshrrev_b32_e32 v2, 5, v1
	v_add_lshl_u32 v104, v2, v70, 3
	;; [unrolled: 2-line block ×8, first 2 shown]
	v_lshlrev_b32_e32 v67, 3, v70
	v_lshrrev_b32_e32 v2, 2, v70
	v_add_lshl_u32 v111, v2, v67, 3
	s_waitcnt vmcnt(0)
	ds_write_b64 v71, v[18:19]
	ds_write_b64 v104, v[4:5] offset:2048
	ds_write_b64 v105, v[6:7] offset:4096
	ds_write_b64 v106, v[8:9] offset:6144
	ds_write_b64 v107, v[10:11] offset:8192
	ds_write_b64 v108, v[12:13] offset:10240
	ds_write_b64 v109, v[14:15] offset:12288
	ds_write_b64 v110, v[16:17] offset:14336
	s_waitcnt lgkmcnt(0)
	s_barrier
	ds_read2_b64 v[30:33], v111 offset1:1
	ds_read2_b64 v[26:29], v111 offset0:2 offset1:3
	ds_read2_b64 v[22:25], v111 offset0:4 offset1:5
	;; [unrolled: 1-line block ×3, first 2 shown]
	s_mul_i32 s4, s16, s26
	s_add_i32 s16, s4, s25
	s_mov_b32 s17, 0
	s_lshl_b64 s[4:5], s[16:17], 3
	s_add_u32 s51, s18, s4
	s_mov_b32 s16, s17
	s_addc_u32 s54, s19, s5
	s_mov_b32 s18, s17
	s_mov_b32 s19, s17
	;; [unrolled: 1-line block ×14, first 2 shown]
	v_pk_mov_b32 v[2:3], s[16:17], s[16:17] op_sel:[0,1]
	v_pk_mov_b32 v[4:5], s[18:19], s[18:19] op_sel:[0,1]
	;; [unrolled: 1-line block ×8, first 2 shown]
	v_pk_mov_b32 v[2:3], 0, 0
	v_mul_lo_u32 v68, v70, s46
	s_waitcnt lgkmcnt(0)
	s_barrier
	s_and_saveexec_b64 s[4:5], s[0:1]
	s_cbranch_execnz .LBB151_60
; %bb.24:
	s_or_b64 exec, exec, s[4:5]
	s_and_saveexec_b64 s[4:5], s[2:3]
	s_cbranch_execnz .LBB151_61
.LBB151_25:
	s_or_b64 exec, exec, s[4:5]
	s_and_saveexec_b64 s[4:5], s[44:45]
	s_cbranch_execnz .LBB151_62
.LBB151_26:
	s_or_b64 exec, exec, s[4:5]
	s_and_saveexec_b64 s[4:5], s[6:7]
	s_cbranch_execnz .LBB151_63
.LBB151_27:
	s_or_b64 exec, exec, s[4:5]
	s_and_saveexec_b64 s[4:5], s[8:9]
	s_cbranch_execnz .LBB151_64
.LBB151_28:
	s_or_b64 exec, exec, s[4:5]
	s_and_saveexec_b64 s[4:5], s[10:11]
	s_cbranch_execnz .LBB151_65
.LBB151_29:
	s_or_b64 exec, exec, s[4:5]
	s_and_saveexec_b64 s[4:5], s[12:13]
	s_cbranch_execnz .LBB151_66
.LBB151_30:
	s_or_b64 exec, exec, s[4:5]
	s_xor_b64 s[4:5], s[34:35], -1
	s_and_saveexec_b64 s[16:17], s[14:15]
	s_cbranch_execz .LBB151_32
.LBB151_31:
	v_mul_lo_u32 v16, v39, s46
	v_mov_b32_e32 v17, 0
	v_lshlrev_b64 v[16:17], 3, v[16:17]
	v_mov_b32_e32 v1, s54
	v_add_co_u32_e32 v16, vcc, s51, v16
	v_addc_co_u32_e32 v17, vcc, v1, v17, vcc
	global_load_dwordx2 v[16:17], v[16:17], off
.LBB151_32:
	s_or_b64 exec, exec, s[16:17]
	s_waitcnt vmcnt(0)
	ds_write_b64 v71, v[2:3]
	ds_write_b64 v104, v[4:5] offset:2048
	ds_write_b64 v105, v[6:7] offset:4096
	;; [unrolled: 1-line block ×7, first 2 shown]
	s_waitcnt lgkmcnt(0)
	s_barrier
	ds_read2_b64 v[14:17], v111 offset1:1
	ds_read2_b64 v[10:13], v111 offset0:2 offset1:3
	ds_read2_b64 v[6:9], v111 offset0:4 offset1:5
	ds_read2_b64 v[2:5], v111 offset0:6 offset1:7
	v_mbcnt_lo_u32_b32 v1, -1, 0
	v_mbcnt_hi_u32_b32 v113, -1, v1
	v_and_b32_e32 v1, 0x1e00, v67
	v_and_b32_e32 v114, 0x3c0, v70
	v_or_b32_e32 v34, v113, v1
	v_add_lshl_u32 v125, v113, v114, 6
	v_lshlrev_b32_e32 v124, 3, v34
	s_and_b64 vcc, exec, s[4:5]
	v_bfe_u32 v122, v0, 10, 10
	v_bfe_u32 v123, v0, 20, 10
	v_lshlrev_b32_e32 v69, 2, v70
	v_lshlrev_b32_e32 v112, 4, v70
	v_and_b32_e32 v120, 15, v113
	v_and_b32_e32 v121, 16, v113
	v_cmp_lt_u32_e64 s[16:17], 31, v113
	v_cmp_gt_u32_e64 s[18:19], 4, v70
	v_cmp_lt_u32_e64 s[20:21], 63, v70
	v_add_u32_e32 v117, -1, v113
	v_and_b32_e32 v119, 64, v113
	v_cmp_eq_u32_e64 s[22:23], 0, v113
	v_cmp_eq_u32_e64 s[24:25], 0, v70
	v_lshrrev_b32_e32 v118, 4, v70
	v_and_b32_e32 v116, 3, v113
	v_and_or_b32 v115, v113, 63, v1
	s_waitcnt lgkmcnt(0)
	s_barrier
	s_cbranch_vccz .LBB151_67
; %bb.33:
	v_xor_b32_e32 v1, 0x80000000, v31
	v_xor_b32_e32 v35, 0x80000000, v33
	;; [unrolled: 1-line block ×8, first 2 shown]
	v_mov_b32_e32 v0, v30
	v_mov_b32_e32 v34, v32
	;; [unrolled: 1-line block ×8, first 2 shown]
	ds_write2_b64 v125, v[0:1], v[34:35] offset1:1
	ds_write2_b64 v125, v[36:37], v[38:39] offset0:2 offset1:3
	ds_write2_b64 v125, v[40:41], v[42:43] offset0:4 offset1:5
	;; [unrolled: 1-line block ×3, first 2 shown]
	; wave barrier
	ds_read2st64_b64 v[34:37], v124 offset1:1
	ds_read2st64_b64 v[38:41], v124 offset0:2 offset1:3
	ds_read2st64_b64 v[42:45], v124 offset0:4 offset1:5
	;; [unrolled: 1-line block ×3, first 2 shown]
	; wave barrier
	ds_write2_b64 v125, v[14:15], v[16:17] offset1:1
	ds_write2_b64 v125, v[10:11], v[12:13] offset0:2 offset1:3
	ds_write2_b64 v125, v[6:7], v[8:9] offset0:4 offset1:5
	;; [unrolled: 1-line block ×3, first 2 shown]
	; wave barrier
	ds_read2st64_b64 v[50:53], v124 offset1:1
	ds_read2st64_b64 v[54:57], v124 offset0:2 offset1:3
	ds_read2st64_b64 v[58:61], v124 offset0:4 offset1:5
	;; [unrolled: 1-line block ×3, first 2 shown]
	s_waitcnt lgkmcnt(0)
	s_barrier
	s_load_dword s26, s[52:53], 0xc
	s_getpc_b64 s[4:5]
	s_add_u32 s4, s4, _ZN7rocprim17ROCPRIM_400000_NS16block_radix_sortIlLj256ELj8ElLj1ELj1ELj0ELNS0_26block_radix_rank_algorithmE1ELNS0_18block_padding_hintE2ELNS0_4arch9wavefront6targetE1EE19radix_bits_per_passE@rel32@lo+4
	s_addc_u32 s5, s5, _ZN7rocprim17ROCPRIM_400000_NS16block_radix_sortIlLj256ELj8ElLj1ELj1ELj0ELNS0_26block_radix_rank_algorithmE1ELNS0_18block_padding_hintE2ELNS0_4arch9wavefront6targetE1EE19radix_bits_per_passE@rel32@hi+12
	s_load_dword s55, s[4:5], 0x0
	v_cmp_lt_i32_e32 vcc, v117, v119
	v_and_b32_e32 v129, 60, v118
	s_waitcnt lgkmcnt(0)
	s_lshr_b32 s4, s26, 16
	s_and_b32 s5, s26, 0xffff
	v_mad_u32_u24 v0, v123, s4, v122
	v_mad_u64_u32 v[0:1], s[4:5], v0, s5, v[70:71]
	v_lshrrev_b32_e32 v127, 6, v0
	v_min_u32_e32 v0, 0xc0, v114
	v_or_b32_e32 v0, 63, v0
	v_cmp_eq_u32_e64 s[38:39], v0, v70
	v_cndmask_b32_e32 v0, v117, v113, vcc
	v_add_u32_e32 v126, 16, v112
	v_cmp_eq_u32_e64 s[26:27], 0, v120
	v_cmp_lt_u32_e64 s[28:29], 1, v120
	v_cmp_lt_u32_e64 s[30:31], 3, v120
	;; [unrolled: 1-line block ×3, first 2 shown]
	v_cmp_eq_u32_e64 s[36:37], 0, v121
	s_mov_b32 s56, 64
	v_lshlrev_b32_e32 v128, 2, v0
	v_cmp_eq_u32_e64 s[40:41], 0, v116
	v_cmp_lt_u32_e64 s[42:43], 1, v116
	v_add_u32_e32 v130, -4, v129
	v_lshlrev_b32_e32 v131, 3, v115
	s_mov_b64 s[48:49], 0
	v_mov_b32_e32 v86, 0
	s_branch .LBB151_35
.LBB151_34:                             ;   in Loop: Header=BB151_35 Depth=1
	v_lshlrev_b32_e32 v50, 3, v138
	v_lshlrev_b32_e32 v51, 3, v137
	;; [unrolled: 1-line block ×8, first 2 shown]
	s_barrier
	ds_write_b64 v50, v[102:103]
	ds_write_b64 v51, v[100:101]
	;; [unrolled: 1-line block ×8, first 2 shown]
	s_waitcnt lgkmcnt(0)
	s_barrier
	ds_read2st64_b64 v[34:37], v131 offset1:1
	ds_read2st64_b64 v[38:41], v131 offset0:2 offset1:3
	ds_read2st64_b64 v[42:45], v131 offset0:4 offset1:5
	ds_read2st64_b64 v[46:49], v131 offset0:6 offset1:7
	s_waitcnt lgkmcnt(0)
	s_barrier
	ds_write_b64 v50, v[84:85]
	ds_write_b64 v51, v[82:83]
	;; [unrolled: 1-line block ×8, first 2 shown]
	s_waitcnt lgkmcnt(0)
	s_barrier
	ds_read2st64_b64 v[50:53], v131 offset1:1
	ds_read2st64_b64 v[54:57], v131 offset0:2 offset1:3
	ds_read2st64_b64 v[58:61], v131 offset0:4 offset1:5
	;; [unrolled: 1-line block ×3, first 2 shown]
	s_add_u32 s48, s48, 8
	s_addc_u32 s49, s49, 0
	s_add_i32 s56, s56, -8
	s_waitcnt lgkmcnt(0)
	s_barrier
	s_cbranch_execz .LBB151_59
.LBB151_35:                             ; =>This Inner Loop Header: Depth=1
	s_min_u32 s4, s55, s56
	v_pk_mov_b32 v[102:103], v[34:35], v[34:35] op_sel:[0,1]
	s_lshl_b32 s4, -1, s4
	s_not_b32 s57, s4
	v_lshrrev_b64 v[34:35], s48, v[102:103]
	v_and_b32_e32 v34, s57, v34
	v_lshl_add_u32 v35, v34, 2, v127
	v_pk_mov_b32 v[98:99], v[38:39], v[38:39] op_sel:[0,1]
	v_lshl_add_u32 v38, v35, 2, 16
	v_and_b32_e32 v35, 1, v34
	v_pk_mov_b32 v[100:101], v[36:37], v[36:37] op_sel:[0,1]
	v_add_co_u32_e32 v36, vcc, -1, v35
	v_addc_co_u32_e64 v37, s[4:5], 0, -1, vcc
	v_cmp_ne_u32_e32 vcc, 0, v35
	v_lshlrev_b32_e32 v87, 30, v34
	v_xor_b32_e32 v35, vcc_hi, v37
	v_not_b32_e32 v37, v87
	v_xor_b32_e32 v36, vcc_lo, v36
	v_cmp_gt_i64_e32 vcc, 0, v[86:87]
	v_ashrrev_i32_e32 v37, 31, v37
	v_and_b32_e32 v36, exec_lo, v36
	v_xor_b32_e32 v39, vcc_hi, v37
	v_xor_b32_e32 v37, vcc_lo, v37
	v_lshlrev_b32_e32 v87, 29, v34
	v_and_b32_e32 v36, v36, v37
	v_not_b32_e32 v37, v87
	v_and_b32_e32 v35, exec_hi, v35
	v_cmp_gt_i64_e32 vcc, 0, v[86:87]
	v_ashrrev_i32_e32 v37, 31, v37
	v_and_b32_e32 v35, v35, v39
	v_xor_b32_e32 v39, vcc_hi, v37
	v_xor_b32_e32 v37, vcc_lo, v37
	v_lshlrev_b32_e32 v87, 28, v34
	v_and_b32_e32 v36, v36, v37
	v_not_b32_e32 v37, v87
	v_cmp_gt_i64_e32 vcc, 0, v[86:87]
	v_ashrrev_i32_e32 v37, 31, v37
	v_and_b32_e32 v35, v35, v39
	v_xor_b32_e32 v39, vcc_hi, v37
	v_xor_b32_e32 v37, vcc_lo, v37
	v_lshlrev_b32_e32 v87, 27, v34
	v_and_b32_e32 v36, v36, v37
	v_not_b32_e32 v37, v87
	;; [unrolled: 8-line block ×3, first 2 shown]
	v_cmp_gt_i64_e32 vcc, 0, v[86:87]
	v_ashrrev_i32_e32 v37, 31, v37
	v_and_b32_e32 v35, v35, v39
	v_xor_b32_e32 v39, vcc_hi, v37
	v_xor_b32_e32 v37, vcc_lo, v37
	v_lshlrev_b32_e32 v87, 25, v34
	v_and_b32_e32 v36, v36, v37
	v_cmp_gt_i64_e32 vcc, 0, v[86:87]
	v_not_b32_e32 v37, v87
	v_lshlrev_b32_e32 v87, 24, v34
	v_ashrrev_i32_e32 v37, 31, v37
	v_not_b32_e32 v34, v87
	v_and_b32_e32 v35, v35, v39
	v_xor_b32_e32 v39, vcc_hi, v37
	v_xor_b32_e32 v37, vcc_lo, v37
	v_cmp_gt_i64_e32 vcc, 0, v[86:87]
	v_ashrrev_i32_e32 v34, 31, v34
	v_and_b32_e32 v36, v36, v37
	v_xor_b32_e32 v37, vcc_hi, v34
	v_xor_b32_e32 v34, vcc_lo, v34
	v_and_b32_e32 v35, v35, v39
	v_and_b32_e32 v34, v36, v34
	;; [unrolled: 1-line block ×3, first 2 shown]
	v_mbcnt_lo_u32_b32 v36, v34, 0
	v_mbcnt_hi_u32_b32 v39, v35, v36
	v_cmp_eq_u32_e32 vcc, 0, v39
	v_cmp_ne_u64_e64 s[4:5], 0, v[34:35]
	v_pk_mov_b32 v[88:89], v[48:49], v[48:49] op_sel:[0,1]
	v_pk_mov_b32 v[90:91], v[46:47], v[46:47] op_sel:[0,1]
	;; [unrolled: 1-line block ×13, first 2 shown]
	s_and_b64 s[58:59], s[4:5], vcc
	ds_write2_b32 v112, v86, v86 offset0:4 offset1:5
	ds_write2_b32 v126, v86, v86 offset0:2 offset1:3
	s_waitcnt lgkmcnt(0)
	s_barrier
	s_waitcnt lgkmcnt(0)
	; wave barrier
	s_and_saveexec_b64 s[4:5], s[58:59]
	s_cbranch_execz .LBB151_37
; %bb.36:                               ;   in Loop: Header=BB151_35 Depth=1
	v_bcnt_u32_b32 v34, v34, 0
	v_bcnt_u32_b32 v34, v35, v34
	ds_write_b32 v38, v34
.LBB151_37:                             ;   in Loop: Header=BB151_35 Depth=1
	s_or_b64 exec, exec, s[4:5]
	v_lshrrev_b64 v[34:35], s48, v[100:101]
	v_and_b32_e32 v34, s57, v34
	v_lshlrev_b32_e32 v35, 2, v34
	v_add_lshl_u32 v35, v35, v127, 2
	; wave barrier
	v_add_u32_e32 v41, 16, v35
	ds_read_b32 v40, v35 offset:16
	v_and_b32_e32 v35, 1, v34
	v_add_co_u32_e32 v36, vcc, -1, v35
	v_addc_co_u32_e64 v37, s[4:5], 0, -1, vcc
	v_cmp_ne_u32_e32 vcc, 0, v35
	v_lshlrev_b32_e32 v87, 30, v34
	v_xor_b32_e32 v35, vcc_hi, v37
	v_not_b32_e32 v37, v87
	v_xor_b32_e32 v36, vcc_lo, v36
	v_cmp_gt_i64_e32 vcc, 0, v[86:87]
	v_ashrrev_i32_e32 v37, 31, v37
	v_and_b32_e32 v36, exec_lo, v36
	v_xor_b32_e32 v42, vcc_hi, v37
	v_xor_b32_e32 v37, vcc_lo, v37
	v_lshlrev_b32_e32 v87, 29, v34
	v_and_b32_e32 v36, v36, v37
	v_not_b32_e32 v37, v87
	v_and_b32_e32 v35, exec_hi, v35
	v_cmp_gt_i64_e32 vcc, 0, v[86:87]
	v_ashrrev_i32_e32 v37, 31, v37
	v_and_b32_e32 v35, v35, v42
	v_xor_b32_e32 v42, vcc_hi, v37
	v_xor_b32_e32 v37, vcc_lo, v37
	v_lshlrev_b32_e32 v87, 28, v34
	v_and_b32_e32 v36, v36, v37
	v_not_b32_e32 v37, v87
	v_cmp_gt_i64_e32 vcc, 0, v[86:87]
	v_ashrrev_i32_e32 v37, 31, v37
	v_and_b32_e32 v35, v35, v42
	v_xor_b32_e32 v42, vcc_hi, v37
	v_xor_b32_e32 v37, vcc_lo, v37
	v_lshlrev_b32_e32 v87, 27, v34
	v_and_b32_e32 v36, v36, v37
	v_not_b32_e32 v37, v87
	;; [unrolled: 8-line block ×3, first 2 shown]
	v_cmp_gt_i64_e32 vcc, 0, v[86:87]
	v_ashrrev_i32_e32 v37, 31, v37
	v_and_b32_e32 v35, v35, v42
	v_xor_b32_e32 v42, vcc_hi, v37
	v_xor_b32_e32 v37, vcc_lo, v37
	v_lshlrev_b32_e32 v87, 25, v34
	v_and_b32_e32 v36, v36, v37
	v_cmp_gt_i64_e32 vcc, 0, v[86:87]
	v_not_b32_e32 v37, v87
	v_lshlrev_b32_e32 v87, 24, v34
	v_ashrrev_i32_e32 v37, 31, v37
	v_not_b32_e32 v34, v87
	v_and_b32_e32 v35, v35, v42
	v_xor_b32_e32 v42, vcc_hi, v37
	v_xor_b32_e32 v37, vcc_lo, v37
	v_cmp_gt_i64_e32 vcc, 0, v[86:87]
	v_ashrrev_i32_e32 v34, 31, v34
	v_and_b32_e32 v36, v36, v37
	v_xor_b32_e32 v37, vcc_hi, v34
	v_xor_b32_e32 v34, vcc_lo, v34
	v_and_b32_e32 v35, v35, v42
	v_and_b32_e32 v34, v36, v34
	v_and_b32_e32 v35, v35, v37
	v_mbcnt_lo_u32_b32 v36, v34, 0
	v_mbcnt_hi_u32_b32 v42, v35, v36
	v_cmp_eq_u32_e32 vcc, 0, v42
	v_cmp_ne_u64_e64 s[4:5], 0, v[34:35]
	s_and_b64 s[58:59], s[4:5], vcc
	; wave barrier
	s_and_saveexec_b64 s[4:5], s[58:59]
	s_cbranch_execz .LBB151_39
; %bb.38:                               ;   in Loop: Header=BB151_35 Depth=1
	v_bcnt_u32_b32 v34, v34, 0
	v_bcnt_u32_b32 v34, v35, v34
	s_waitcnt lgkmcnt(0)
	v_add_u32_e32 v34, v40, v34
	ds_write_b32 v41, v34
.LBB151_39:                             ;   in Loop: Header=BB151_35 Depth=1
	s_or_b64 exec, exec, s[4:5]
	v_lshrrev_b64 v[34:35], s48, v[98:99]
	v_and_b32_e32 v34, s57, v34
	v_lshlrev_b32_e32 v35, 2, v34
	v_add_lshl_u32 v35, v35, v127, 2
	; wave barrier
	v_add_u32_e32 v44, 16, v35
	ds_read_b32 v43, v35 offset:16
	v_and_b32_e32 v35, 1, v34
	v_add_co_u32_e32 v36, vcc, -1, v35
	v_addc_co_u32_e64 v37, s[4:5], 0, -1, vcc
	v_cmp_ne_u32_e32 vcc, 0, v35
	v_lshlrev_b32_e32 v87, 30, v34
	v_xor_b32_e32 v35, vcc_hi, v37
	v_not_b32_e32 v37, v87
	v_xor_b32_e32 v36, vcc_lo, v36
	v_cmp_gt_i64_e32 vcc, 0, v[86:87]
	v_ashrrev_i32_e32 v37, 31, v37
	v_and_b32_e32 v36, exec_lo, v36
	v_xor_b32_e32 v45, vcc_hi, v37
	v_xor_b32_e32 v37, vcc_lo, v37
	v_lshlrev_b32_e32 v87, 29, v34
	v_and_b32_e32 v36, v36, v37
	v_not_b32_e32 v37, v87
	v_and_b32_e32 v35, exec_hi, v35
	v_cmp_gt_i64_e32 vcc, 0, v[86:87]
	v_ashrrev_i32_e32 v37, 31, v37
	v_and_b32_e32 v35, v35, v45
	v_xor_b32_e32 v45, vcc_hi, v37
	v_xor_b32_e32 v37, vcc_lo, v37
	v_lshlrev_b32_e32 v87, 28, v34
	v_and_b32_e32 v36, v36, v37
	v_not_b32_e32 v37, v87
	v_cmp_gt_i64_e32 vcc, 0, v[86:87]
	v_ashrrev_i32_e32 v37, 31, v37
	v_and_b32_e32 v35, v35, v45
	v_xor_b32_e32 v45, vcc_hi, v37
	v_xor_b32_e32 v37, vcc_lo, v37
	v_lshlrev_b32_e32 v87, 27, v34
	v_and_b32_e32 v36, v36, v37
	v_not_b32_e32 v37, v87
	;; [unrolled: 8-line block ×3, first 2 shown]
	v_cmp_gt_i64_e32 vcc, 0, v[86:87]
	v_ashrrev_i32_e32 v37, 31, v37
	v_and_b32_e32 v35, v35, v45
	v_xor_b32_e32 v45, vcc_hi, v37
	v_xor_b32_e32 v37, vcc_lo, v37
	v_lshlrev_b32_e32 v87, 25, v34
	v_and_b32_e32 v36, v36, v37
	v_cmp_gt_i64_e32 vcc, 0, v[86:87]
	v_not_b32_e32 v37, v87
	v_lshlrev_b32_e32 v87, 24, v34
	v_ashrrev_i32_e32 v37, 31, v37
	v_not_b32_e32 v34, v87
	v_and_b32_e32 v35, v35, v45
	v_xor_b32_e32 v45, vcc_hi, v37
	v_xor_b32_e32 v37, vcc_lo, v37
	v_cmp_gt_i64_e32 vcc, 0, v[86:87]
	v_ashrrev_i32_e32 v34, 31, v34
	v_and_b32_e32 v36, v36, v37
	v_xor_b32_e32 v37, vcc_hi, v34
	v_xor_b32_e32 v34, vcc_lo, v34
	v_and_b32_e32 v35, v35, v45
	v_and_b32_e32 v34, v36, v34
	;; [unrolled: 1-line block ×3, first 2 shown]
	v_mbcnt_lo_u32_b32 v36, v34, 0
	v_mbcnt_hi_u32_b32 v45, v35, v36
	v_cmp_eq_u32_e32 vcc, 0, v45
	v_cmp_ne_u64_e64 s[4:5], 0, v[34:35]
	s_and_b64 s[58:59], s[4:5], vcc
	; wave barrier
	s_and_saveexec_b64 s[4:5], s[58:59]
	s_cbranch_execz .LBB151_41
; %bb.40:                               ;   in Loop: Header=BB151_35 Depth=1
	v_bcnt_u32_b32 v34, v34, 0
	v_bcnt_u32_b32 v34, v35, v34
	s_waitcnt lgkmcnt(0)
	v_add_u32_e32 v34, v43, v34
	ds_write_b32 v44, v34
.LBB151_41:                             ;   in Loop: Header=BB151_35 Depth=1
	s_or_b64 exec, exec, s[4:5]
	v_lshrrev_b64 v[34:35], s48, v[96:97]
	v_and_b32_e32 v34, s57, v34
	v_lshlrev_b32_e32 v35, 2, v34
	v_add_lshl_u32 v35, v35, v127, 2
	; wave barrier
	v_add_u32_e32 v47, 16, v35
	ds_read_b32 v46, v35 offset:16
	v_and_b32_e32 v35, 1, v34
	v_add_co_u32_e32 v36, vcc, -1, v35
	v_addc_co_u32_e64 v37, s[4:5], 0, -1, vcc
	v_cmp_ne_u32_e32 vcc, 0, v35
	v_lshlrev_b32_e32 v87, 30, v34
	v_xor_b32_e32 v35, vcc_hi, v37
	v_not_b32_e32 v37, v87
	v_xor_b32_e32 v36, vcc_lo, v36
	v_cmp_gt_i64_e32 vcc, 0, v[86:87]
	v_ashrrev_i32_e32 v37, 31, v37
	v_and_b32_e32 v36, exec_lo, v36
	v_xor_b32_e32 v48, vcc_hi, v37
	v_xor_b32_e32 v37, vcc_lo, v37
	v_lshlrev_b32_e32 v87, 29, v34
	v_and_b32_e32 v36, v36, v37
	v_not_b32_e32 v37, v87
	v_and_b32_e32 v35, exec_hi, v35
	v_cmp_gt_i64_e32 vcc, 0, v[86:87]
	v_ashrrev_i32_e32 v37, 31, v37
	v_and_b32_e32 v35, v35, v48
	v_xor_b32_e32 v48, vcc_hi, v37
	v_xor_b32_e32 v37, vcc_lo, v37
	v_lshlrev_b32_e32 v87, 28, v34
	v_and_b32_e32 v36, v36, v37
	v_not_b32_e32 v37, v87
	v_cmp_gt_i64_e32 vcc, 0, v[86:87]
	v_ashrrev_i32_e32 v37, 31, v37
	v_and_b32_e32 v35, v35, v48
	v_xor_b32_e32 v48, vcc_hi, v37
	v_xor_b32_e32 v37, vcc_lo, v37
	v_lshlrev_b32_e32 v87, 27, v34
	v_and_b32_e32 v36, v36, v37
	v_not_b32_e32 v37, v87
	;; [unrolled: 8-line block ×3, first 2 shown]
	v_cmp_gt_i64_e32 vcc, 0, v[86:87]
	v_ashrrev_i32_e32 v37, 31, v37
	v_and_b32_e32 v35, v35, v48
	v_xor_b32_e32 v48, vcc_hi, v37
	v_xor_b32_e32 v37, vcc_lo, v37
	v_lshlrev_b32_e32 v87, 25, v34
	v_and_b32_e32 v36, v36, v37
	v_cmp_gt_i64_e32 vcc, 0, v[86:87]
	v_not_b32_e32 v37, v87
	v_lshlrev_b32_e32 v87, 24, v34
	v_ashrrev_i32_e32 v37, 31, v37
	v_not_b32_e32 v34, v87
	v_and_b32_e32 v35, v35, v48
	v_xor_b32_e32 v48, vcc_hi, v37
	v_xor_b32_e32 v37, vcc_lo, v37
	v_cmp_gt_i64_e32 vcc, 0, v[86:87]
	v_ashrrev_i32_e32 v34, 31, v34
	v_and_b32_e32 v36, v36, v37
	v_xor_b32_e32 v37, vcc_hi, v34
	v_xor_b32_e32 v34, vcc_lo, v34
	v_and_b32_e32 v35, v35, v48
	v_and_b32_e32 v34, v36, v34
	;; [unrolled: 1-line block ×3, first 2 shown]
	v_mbcnt_lo_u32_b32 v36, v34, 0
	v_mbcnt_hi_u32_b32 v48, v35, v36
	v_cmp_eq_u32_e32 vcc, 0, v48
	v_cmp_ne_u64_e64 s[4:5], 0, v[34:35]
	s_and_b64 s[58:59], s[4:5], vcc
	; wave barrier
	s_and_saveexec_b64 s[4:5], s[58:59]
	s_cbranch_execz .LBB151_43
; %bb.42:                               ;   in Loop: Header=BB151_35 Depth=1
	v_bcnt_u32_b32 v34, v34, 0
	v_bcnt_u32_b32 v34, v35, v34
	s_waitcnt lgkmcnt(0)
	v_add_u32_e32 v34, v46, v34
	ds_write_b32 v47, v34
.LBB151_43:                             ;   in Loop: Header=BB151_35 Depth=1
	s_or_b64 exec, exec, s[4:5]
	v_lshrrev_b64 v[34:35], s48, v[94:95]
	v_and_b32_e32 v34, s57, v34
	v_lshlrev_b32_e32 v35, 2, v34
	v_add_lshl_u32 v35, v35, v127, 2
	; wave barrier
	v_add_u32_e32 v50, 16, v35
	ds_read_b32 v49, v35 offset:16
	v_and_b32_e32 v35, 1, v34
	v_add_co_u32_e32 v36, vcc, -1, v35
	v_addc_co_u32_e64 v37, s[4:5], 0, -1, vcc
	v_cmp_ne_u32_e32 vcc, 0, v35
	v_lshlrev_b32_e32 v87, 30, v34
	v_xor_b32_e32 v35, vcc_hi, v37
	v_not_b32_e32 v37, v87
	v_xor_b32_e32 v36, vcc_lo, v36
	v_cmp_gt_i64_e32 vcc, 0, v[86:87]
	v_ashrrev_i32_e32 v37, 31, v37
	v_and_b32_e32 v36, exec_lo, v36
	v_xor_b32_e32 v51, vcc_hi, v37
	v_xor_b32_e32 v37, vcc_lo, v37
	v_lshlrev_b32_e32 v87, 29, v34
	v_and_b32_e32 v36, v36, v37
	v_not_b32_e32 v37, v87
	v_and_b32_e32 v35, exec_hi, v35
	v_cmp_gt_i64_e32 vcc, 0, v[86:87]
	v_ashrrev_i32_e32 v37, 31, v37
	v_and_b32_e32 v35, v35, v51
	v_xor_b32_e32 v51, vcc_hi, v37
	v_xor_b32_e32 v37, vcc_lo, v37
	v_lshlrev_b32_e32 v87, 28, v34
	v_and_b32_e32 v36, v36, v37
	v_not_b32_e32 v37, v87
	v_cmp_gt_i64_e32 vcc, 0, v[86:87]
	v_ashrrev_i32_e32 v37, 31, v37
	v_and_b32_e32 v35, v35, v51
	v_xor_b32_e32 v51, vcc_hi, v37
	v_xor_b32_e32 v37, vcc_lo, v37
	v_lshlrev_b32_e32 v87, 27, v34
	v_and_b32_e32 v36, v36, v37
	v_not_b32_e32 v37, v87
	;; [unrolled: 8-line block ×3, first 2 shown]
	v_cmp_gt_i64_e32 vcc, 0, v[86:87]
	v_ashrrev_i32_e32 v37, 31, v37
	v_and_b32_e32 v35, v35, v51
	v_xor_b32_e32 v51, vcc_hi, v37
	v_xor_b32_e32 v37, vcc_lo, v37
	v_lshlrev_b32_e32 v87, 25, v34
	v_and_b32_e32 v36, v36, v37
	v_cmp_gt_i64_e32 vcc, 0, v[86:87]
	v_not_b32_e32 v37, v87
	v_lshlrev_b32_e32 v87, 24, v34
	v_ashrrev_i32_e32 v37, 31, v37
	v_not_b32_e32 v34, v87
	v_and_b32_e32 v35, v35, v51
	v_xor_b32_e32 v51, vcc_hi, v37
	v_xor_b32_e32 v37, vcc_lo, v37
	v_cmp_gt_i64_e32 vcc, 0, v[86:87]
	v_ashrrev_i32_e32 v34, 31, v34
	v_and_b32_e32 v36, v36, v37
	v_xor_b32_e32 v37, vcc_hi, v34
	v_xor_b32_e32 v34, vcc_lo, v34
	v_and_b32_e32 v35, v35, v51
	v_and_b32_e32 v34, v36, v34
	;; [unrolled: 1-line block ×3, first 2 shown]
	v_mbcnt_lo_u32_b32 v36, v34, 0
	v_mbcnt_hi_u32_b32 v51, v35, v36
	v_cmp_eq_u32_e32 vcc, 0, v51
	v_cmp_ne_u64_e64 s[4:5], 0, v[34:35]
	s_and_b64 s[58:59], s[4:5], vcc
	; wave barrier
	s_and_saveexec_b64 s[4:5], s[58:59]
	s_cbranch_execz .LBB151_45
; %bb.44:                               ;   in Loop: Header=BB151_35 Depth=1
	v_bcnt_u32_b32 v34, v34, 0
	v_bcnt_u32_b32 v34, v35, v34
	s_waitcnt lgkmcnt(0)
	v_add_u32_e32 v34, v49, v34
	ds_write_b32 v50, v34
.LBB151_45:                             ;   in Loop: Header=BB151_35 Depth=1
	s_or_b64 exec, exec, s[4:5]
	v_lshrrev_b64 v[34:35], s48, v[92:93]
	v_and_b32_e32 v34, s57, v34
	v_lshlrev_b32_e32 v35, 2, v34
	v_add_lshl_u32 v35, v35, v127, 2
	; wave barrier
	v_add_u32_e32 v53, 16, v35
	ds_read_b32 v52, v35 offset:16
	v_and_b32_e32 v35, 1, v34
	v_add_co_u32_e32 v36, vcc, -1, v35
	v_addc_co_u32_e64 v37, s[4:5], 0, -1, vcc
	v_cmp_ne_u32_e32 vcc, 0, v35
	v_lshlrev_b32_e32 v87, 30, v34
	v_xor_b32_e32 v35, vcc_hi, v37
	v_not_b32_e32 v37, v87
	v_xor_b32_e32 v36, vcc_lo, v36
	v_cmp_gt_i64_e32 vcc, 0, v[86:87]
	v_ashrrev_i32_e32 v37, 31, v37
	v_and_b32_e32 v36, exec_lo, v36
	v_xor_b32_e32 v54, vcc_hi, v37
	v_xor_b32_e32 v37, vcc_lo, v37
	v_lshlrev_b32_e32 v87, 29, v34
	v_and_b32_e32 v36, v36, v37
	v_not_b32_e32 v37, v87
	v_and_b32_e32 v35, exec_hi, v35
	v_cmp_gt_i64_e32 vcc, 0, v[86:87]
	v_ashrrev_i32_e32 v37, 31, v37
	v_and_b32_e32 v35, v35, v54
	v_xor_b32_e32 v54, vcc_hi, v37
	v_xor_b32_e32 v37, vcc_lo, v37
	v_lshlrev_b32_e32 v87, 28, v34
	v_and_b32_e32 v36, v36, v37
	v_not_b32_e32 v37, v87
	v_cmp_gt_i64_e32 vcc, 0, v[86:87]
	v_ashrrev_i32_e32 v37, 31, v37
	v_and_b32_e32 v35, v35, v54
	v_xor_b32_e32 v54, vcc_hi, v37
	v_xor_b32_e32 v37, vcc_lo, v37
	v_lshlrev_b32_e32 v87, 27, v34
	v_and_b32_e32 v36, v36, v37
	v_not_b32_e32 v37, v87
	;; [unrolled: 8-line block ×3, first 2 shown]
	v_cmp_gt_i64_e32 vcc, 0, v[86:87]
	v_ashrrev_i32_e32 v37, 31, v37
	v_and_b32_e32 v35, v35, v54
	v_xor_b32_e32 v54, vcc_hi, v37
	v_xor_b32_e32 v37, vcc_lo, v37
	v_lshlrev_b32_e32 v87, 25, v34
	v_and_b32_e32 v36, v36, v37
	v_cmp_gt_i64_e32 vcc, 0, v[86:87]
	v_not_b32_e32 v37, v87
	v_lshlrev_b32_e32 v87, 24, v34
	v_ashrrev_i32_e32 v37, 31, v37
	v_not_b32_e32 v34, v87
	v_and_b32_e32 v35, v35, v54
	v_xor_b32_e32 v54, vcc_hi, v37
	v_xor_b32_e32 v37, vcc_lo, v37
	v_cmp_gt_i64_e32 vcc, 0, v[86:87]
	v_ashrrev_i32_e32 v34, 31, v34
	v_and_b32_e32 v36, v36, v37
	v_xor_b32_e32 v37, vcc_hi, v34
	v_xor_b32_e32 v34, vcc_lo, v34
	v_and_b32_e32 v35, v35, v54
	v_and_b32_e32 v34, v36, v34
	;; [unrolled: 1-line block ×3, first 2 shown]
	v_mbcnt_lo_u32_b32 v36, v34, 0
	v_mbcnt_hi_u32_b32 v54, v35, v36
	v_cmp_eq_u32_e32 vcc, 0, v54
	v_cmp_ne_u64_e64 s[4:5], 0, v[34:35]
	s_and_b64 s[58:59], s[4:5], vcc
	; wave barrier
	s_and_saveexec_b64 s[4:5], s[58:59]
	s_cbranch_execz .LBB151_47
; %bb.46:                               ;   in Loop: Header=BB151_35 Depth=1
	v_bcnt_u32_b32 v34, v34, 0
	v_bcnt_u32_b32 v34, v35, v34
	s_waitcnt lgkmcnt(0)
	v_add_u32_e32 v34, v52, v34
	ds_write_b32 v53, v34
.LBB151_47:                             ;   in Loop: Header=BB151_35 Depth=1
	s_or_b64 exec, exec, s[4:5]
	v_lshrrev_b64 v[34:35], s48, v[90:91]
	v_and_b32_e32 v34, s57, v34
	v_lshlrev_b32_e32 v35, 2, v34
	v_add_lshl_u32 v35, v35, v127, 2
	; wave barrier
	v_add_u32_e32 v56, 16, v35
	ds_read_b32 v55, v35 offset:16
	v_and_b32_e32 v35, 1, v34
	v_add_co_u32_e32 v36, vcc, -1, v35
	v_addc_co_u32_e64 v37, s[4:5], 0, -1, vcc
	v_cmp_ne_u32_e32 vcc, 0, v35
	v_lshlrev_b32_e32 v87, 30, v34
	v_xor_b32_e32 v35, vcc_hi, v37
	v_not_b32_e32 v37, v87
	v_xor_b32_e32 v36, vcc_lo, v36
	v_cmp_gt_i64_e32 vcc, 0, v[86:87]
	v_ashrrev_i32_e32 v37, 31, v37
	v_and_b32_e32 v36, exec_lo, v36
	v_xor_b32_e32 v57, vcc_hi, v37
	v_xor_b32_e32 v37, vcc_lo, v37
	v_lshlrev_b32_e32 v87, 29, v34
	v_and_b32_e32 v36, v36, v37
	v_not_b32_e32 v37, v87
	v_and_b32_e32 v35, exec_hi, v35
	v_cmp_gt_i64_e32 vcc, 0, v[86:87]
	v_ashrrev_i32_e32 v37, 31, v37
	v_and_b32_e32 v35, v35, v57
	v_xor_b32_e32 v57, vcc_hi, v37
	v_xor_b32_e32 v37, vcc_lo, v37
	v_lshlrev_b32_e32 v87, 28, v34
	v_and_b32_e32 v36, v36, v37
	v_not_b32_e32 v37, v87
	v_cmp_gt_i64_e32 vcc, 0, v[86:87]
	v_ashrrev_i32_e32 v37, 31, v37
	v_and_b32_e32 v35, v35, v57
	v_xor_b32_e32 v57, vcc_hi, v37
	v_xor_b32_e32 v37, vcc_lo, v37
	v_lshlrev_b32_e32 v87, 27, v34
	v_and_b32_e32 v36, v36, v37
	v_not_b32_e32 v37, v87
	v_cmp_gt_i64_e32 vcc, 0, v[86:87]
	v_ashrrev_i32_e32 v37, 31, v37
	v_and_b32_e32 v35, v35, v57
	v_xor_b32_e32 v57, vcc_hi, v37
	v_xor_b32_e32 v37, vcc_lo, v37
	v_lshlrev_b32_e32 v87, 26, v34
	v_and_b32_e32 v36, v36, v37
	v_not_b32_e32 v37, v87
	v_cmp_gt_i64_e32 vcc, 0, v[86:87]
	v_ashrrev_i32_e32 v37, 31, v37
	v_and_b32_e32 v35, v35, v57
	v_xor_b32_e32 v57, vcc_hi, v37
	v_xor_b32_e32 v37, vcc_lo, v37
	v_lshlrev_b32_e32 v87, 25, v34
	v_and_b32_e32 v36, v36, v37
	v_cmp_gt_i64_e32 vcc, 0, v[86:87]
	v_not_b32_e32 v37, v87
	v_lshlrev_b32_e32 v87, 24, v34
	v_ashrrev_i32_e32 v37, 31, v37
	v_not_b32_e32 v34, v87
	v_and_b32_e32 v35, v35, v57
	v_xor_b32_e32 v57, vcc_hi, v37
	v_xor_b32_e32 v37, vcc_lo, v37
	v_cmp_gt_i64_e32 vcc, 0, v[86:87]
	v_ashrrev_i32_e32 v34, 31, v34
	v_and_b32_e32 v36, v36, v37
	v_xor_b32_e32 v37, vcc_hi, v34
	v_xor_b32_e32 v34, vcc_lo, v34
	v_and_b32_e32 v35, v35, v57
	v_and_b32_e32 v34, v36, v34
	v_and_b32_e32 v35, v35, v37
	v_mbcnt_lo_u32_b32 v36, v34, 0
	v_mbcnt_hi_u32_b32 v57, v35, v36
	v_cmp_eq_u32_e32 vcc, 0, v57
	v_cmp_ne_u64_e64 s[4:5], 0, v[34:35]
	s_and_b64 s[58:59], s[4:5], vcc
	; wave barrier
	s_and_saveexec_b64 s[4:5], s[58:59]
	s_cbranch_execz .LBB151_49
; %bb.48:                               ;   in Loop: Header=BB151_35 Depth=1
	v_bcnt_u32_b32 v34, v34, 0
	v_bcnt_u32_b32 v34, v35, v34
	s_waitcnt lgkmcnt(0)
	v_add_u32_e32 v34, v55, v34
	ds_write_b32 v56, v34
.LBB151_49:                             ;   in Loop: Header=BB151_35 Depth=1
	s_or_b64 exec, exec, s[4:5]
	v_lshrrev_b64 v[34:35], s48, v[88:89]
	v_and_b32_e32 v34, s57, v34
	v_lshlrev_b32_e32 v35, 2, v34
	v_add_lshl_u32 v35, v35, v127, 2
	; wave barrier
	v_add_u32_e32 v59, 16, v35
	ds_read_b32 v58, v35 offset:16
	v_and_b32_e32 v35, 1, v34
	v_add_co_u32_e32 v36, vcc, -1, v35
	v_addc_co_u32_e64 v37, s[4:5], 0, -1, vcc
	v_cmp_ne_u32_e32 vcc, 0, v35
	v_lshlrev_b32_e32 v87, 30, v34
	v_xor_b32_e32 v35, vcc_hi, v37
	v_not_b32_e32 v37, v87
	v_xor_b32_e32 v36, vcc_lo, v36
	v_cmp_gt_i64_e32 vcc, 0, v[86:87]
	v_ashrrev_i32_e32 v37, 31, v37
	v_and_b32_e32 v36, exec_lo, v36
	v_xor_b32_e32 v60, vcc_hi, v37
	v_xor_b32_e32 v37, vcc_lo, v37
	v_lshlrev_b32_e32 v87, 29, v34
	v_and_b32_e32 v36, v36, v37
	v_not_b32_e32 v37, v87
	v_and_b32_e32 v35, exec_hi, v35
	v_cmp_gt_i64_e32 vcc, 0, v[86:87]
	v_ashrrev_i32_e32 v37, 31, v37
	v_and_b32_e32 v35, v35, v60
	v_xor_b32_e32 v60, vcc_hi, v37
	v_xor_b32_e32 v37, vcc_lo, v37
	v_lshlrev_b32_e32 v87, 28, v34
	v_and_b32_e32 v36, v36, v37
	v_not_b32_e32 v37, v87
	v_cmp_gt_i64_e32 vcc, 0, v[86:87]
	v_ashrrev_i32_e32 v37, 31, v37
	v_and_b32_e32 v35, v35, v60
	v_xor_b32_e32 v60, vcc_hi, v37
	v_xor_b32_e32 v37, vcc_lo, v37
	v_lshlrev_b32_e32 v87, 27, v34
	v_and_b32_e32 v36, v36, v37
	v_not_b32_e32 v37, v87
	;; [unrolled: 8-line block ×3, first 2 shown]
	v_cmp_gt_i64_e32 vcc, 0, v[86:87]
	v_ashrrev_i32_e32 v37, 31, v37
	v_and_b32_e32 v35, v35, v60
	v_xor_b32_e32 v60, vcc_hi, v37
	v_xor_b32_e32 v37, vcc_lo, v37
	v_lshlrev_b32_e32 v87, 25, v34
	v_and_b32_e32 v36, v36, v37
	v_cmp_gt_i64_e32 vcc, 0, v[86:87]
	v_not_b32_e32 v37, v87
	v_lshlrev_b32_e32 v87, 24, v34
	v_ashrrev_i32_e32 v37, 31, v37
	v_not_b32_e32 v34, v87
	v_and_b32_e32 v35, v35, v60
	v_xor_b32_e32 v60, vcc_hi, v37
	v_xor_b32_e32 v37, vcc_lo, v37
	v_cmp_gt_i64_e32 vcc, 0, v[86:87]
	v_ashrrev_i32_e32 v34, 31, v34
	v_and_b32_e32 v36, v36, v37
	v_xor_b32_e32 v37, vcc_hi, v34
	v_xor_b32_e32 v34, vcc_lo, v34
	v_and_b32_e32 v35, v35, v60
	v_and_b32_e32 v34, v36, v34
	;; [unrolled: 1-line block ×3, first 2 shown]
	v_mbcnt_lo_u32_b32 v36, v34, 0
	v_mbcnt_hi_u32_b32 v60, v35, v36
	v_cmp_eq_u32_e32 vcc, 0, v60
	v_cmp_ne_u64_e64 s[4:5], 0, v[34:35]
	s_and_b64 s[58:59], s[4:5], vcc
	; wave barrier
	s_and_saveexec_b64 s[4:5], s[58:59]
	s_cbranch_execz .LBB151_51
; %bb.50:                               ;   in Loop: Header=BB151_35 Depth=1
	v_bcnt_u32_b32 v34, v34, 0
	v_bcnt_u32_b32 v34, v35, v34
	s_waitcnt lgkmcnt(0)
	v_add_u32_e32 v34, v58, v34
	ds_write_b32 v59, v34
.LBB151_51:                             ;   in Loop: Header=BB151_35 Depth=1
	s_or_b64 exec, exec, s[4:5]
	; wave barrier
	s_waitcnt lgkmcnt(0)
	s_barrier
	ds_read2_b32 v[36:37], v112 offset0:4 offset1:5
	ds_read2_b32 v[34:35], v126 offset0:2 offset1:3
	s_waitcnt lgkmcnt(1)
	v_add_u32_e32 v61, v37, v36
	s_waitcnt lgkmcnt(0)
	v_add3_u32 v35, v61, v34, v35
	s_nop 1
	v_mov_b32_dpp v61, v35 row_shr:1 row_mask:0xf bank_mask:0xf
	v_cndmask_b32_e64 v61, v61, 0, s[26:27]
	v_add_u32_e32 v35, v61, v35
	s_nop 1
	v_mov_b32_dpp v61, v35 row_shr:2 row_mask:0xf bank_mask:0xf
	v_cndmask_b32_e64 v61, 0, v61, s[28:29]
	v_add_u32_e32 v35, v35, v61
	;; [unrolled: 4-line block ×4, first 2 shown]
	s_nop 1
	v_mov_b32_dpp v61, v35 row_bcast:15 row_mask:0xf bank_mask:0xf
	v_cndmask_b32_e64 v61, v61, 0, s[36:37]
	v_add_u32_e32 v35, v35, v61
	s_nop 1
	v_mov_b32_dpp v61, v35 row_bcast:31 row_mask:0xf bank_mask:0xf
	v_cndmask_b32_e64 v61, 0, v61, s[16:17]
	v_add_u32_e32 v35, v35, v61
	s_and_saveexec_b64 s[4:5], s[38:39]
	s_cbranch_execz .LBB151_53
; %bb.52:                               ;   in Loop: Header=BB151_35 Depth=1
	ds_write_b32 v129, v35
.LBB151_53:                             ;   in Loop: Header=BB151_35 Depth=1
	s_or_b64 exec, exec, s[4:5]
	s_waitcnt lgkmcnt(0)
	s_barrier
	s_and_saveexec_b64 s[4:5], s[18:19]
	s_cbranch_execz .LBB151_55
; %bb.54:                               ;   in Loop: Header=BB151_35 Depth=1
	ds_read_b32 v61, v69
	s_waitcnt lgkmcnt(0)
	s_nop 0
	v_mov_b32_dpp v62, v61 row_shr:1 row_mask:0xf bank_mask:0xf
	v_cndmask_b32_e64 v62, v62, 0, s[40:41]
	v_add_u32_e32 v61, v62, v61
	s_nop 1
	v_mov_b32_dpp v62, v61 row_shr:2 row_mask:0xf bank_mask:0xf
	v_cndmask_b32_e64 v62, 0, v62, s[42:43]
	v_add_u32_e32 v61, v61, v62
	ds_write_b32 v69, v61
.LBB151_55:                             ;   in Loop: Header=BB151_35 Depth=1
	s_or_b64 exec, exec, s[4:5]
	v_mov_b32_e32 v61, 0
	s_waitcnt lgkmcnt(0)
	s_barrier
	s_and_saveexec_b64 s[4:5], s[20:21]
	s_cbranch_execz .LBB151_57
; %bb.56:                               ;   in Loop: Header=BB151_35 Depth=1
	ds_read_b32 v61, v130
.LBB151_57:                             ;   in Loop: Header=BB151_35 Depth=1
	s_or_b64 exec, exec, s[4:5]
	s_waitcnt lgkmcnt(0)
	v_add_u32_e32 v35, v61, v35
	ds_bpermute_b32 v35, v128, v35
	s_cmp_gt_u32 s48, 55
	s_waitcnt lgkmcnt(0)
	v_cndmask_b32_e64 v35, v35, v61, s[22:23]
	v_cndmask_b32_e64 v35, v35, 0, s[24:25]
	v_add_u32_e32 v36, v35, v36
	v_add_u32_e32 v37, v36, v37
	v_add_u32_e32 v34, v37, v34
	ds_write2_b32 v112, v35, v36 offset0:4 offset1:5
	ds_write2_b32 v126, v37, v34 offset0:2 offset1:3
	s_waitcnt lgkmcnt(0)
	s_barrier
	ds_read_b32 v34, v38
	ds_read_b32 v35, v41
	;; [unrolled: 1-line block ×8, first 2 shown]
	s_waitcnt lgkmcnt(7)
	v_add_u32_e32 v138, v34, v39
	s_waitcnt lgkmcnt(6)
	v_add3_u32 v137, v42, v40, v35
	s_waitcnt lgkmcnt(5)
	v_add3_u32 v136, v45, v43, v36
	s_waitcnt lgkmcnt(4)
	v_add3_u32 v135, v48, v46, v37
	s_waitcnt lgkmcnt(3)
	v_add3_u32 v134, v51, v49, v38
	s_waitcnt lgkmcnt(2)
	v_add3_u32 v132, v54, v52, v41
	s_waitcnt lgkmcnt(1)
	v_add3_u32 v87, v57, v55, v44
	s_waitcnt lgkmcnt(0)
	v_add3_u32 v133, v60, v58, v47
	s_cbranch_scc0 .LBB151_34
; %bb.58:
                                        ; implicit-def: $vgpr48_vgpr49
                                        ; implicit-def: $vgpr44_vgpr45
                                        ; implicit-def: $vgpr40_vgpr41
                                        ; implicit-def: $vgpr36_vgpr37
                                        ; implicit-def: $vgpr64_vgpr65
                                        ; implicit-def: $vgpr60_vgpr61
                                        ; implicit-def: $vgpr56_vgpr57
                                        ; implicit-def: $vgpr52_vgpr53
                                        ; implicit-def: $sgpr48_sgpr49
                                        ; implicit-def: $sgpr56
.LBB151_59:
	v_lshlrev_b32_e32 v34, 3, v138
	v_lshlrev_b32_e32 v35, 3, v137
	;; [unrolled: 1-line block ×9, first 2 shown]
	s_barrier
	ds_write_b64 v34, v[102:103]
	ds_write_b64 v35, v[100:101]
	;; [unrolled: 1-line block ×8, first 2 shown]
	s_waitcnt lgkmcnt(0)
	s_barrier
	ds_read2_b64 v[50:53], v46 offset1:1
	ds_read2_b64 v[54:57], v46 offset0:2 offset1:3
	ds_read2_b64 v[58:61], v46 offset0:4 offset1:5
	;; [unrolled: 1-line block ×3, first 2 shown]
	s_waitcnt lgkmcnt(0)
	s_barrier
	ds_write_b64 v34, v[84:85]
	ds_write_b64 v35, v[82:83]
	ds_write_b64 v36, v[80:81]
	ds_write_b64 v37, v[78:79]
	ds_write_b64 v38, v[76:77]
	ds_write_b64 v39, v[74:75]
	ds_write_b64 v40, v[72:73]
	ds_write_b64 v41, v[0:1]
	s_waitcnt lgkmcnt(0)
	s_barrier
	ds_read2_b64 v[34:37], v46 offset1:1
	ds_read2_b64 v[38:41], v46 offset0:2 offset1:3
	ds_read2_b64 v[42:45], v46 offset0:4 offset1:5
	;; [unrolled: 1-line block ×3, first 2 shown]
	v_xor_b32_e32 v51, 0x80000000, v51
	v_xor_b32_e32 v53, 0x80000000, v53
	;; [unrolled: 1-line block ×8, first 2 shown]
	s_branch .LBB151_95
.LBB151_60:
	v_mov_b32_e32 v69, 0
	v_lshlrev_b64 v[2:3], 3, v[68:69]
	v_mov_b32_e32 v4, s54
	v_add_co_u32_e32 v2, vcc, s51, v2
	v_addc_co_u32_e32 v3, vcc, v4, v3, vcc
	global_load_dwordx2 v[2:3], v[2:3], off
	v_mov_b32_e32 v4, v69
	v_mov_b32_e32 v5, v69
	;; [unrolled: 1-line block ×14, first 2 shown]
	s_or_b64 exec, exec, s[4:5]
	s_and_saveexec_b64 s[4:5], s[2:3]
	s_cbranch_execz .LBB151_25
.LBB151_61:
	v_mul_lo_u32 v4, v1, s46
	v_mov_b32_e32 v5, 0
	v_lshlrev_b64 v[4:5], 3, v[4:5]
	v_mov_b32_e32 v1, s54
	v_add_co_u32_e32 v4, vcc, s51, v4
	v_addc_co_u32_e32 v5, vcc, v1, v5, vcc
	global_load_dwordx2 v[4:5], v[4:5], off
	s_or_b64 exec, exec, s[4:5]
	s_and_saveexec_b64 s[4:5], s[44:45]
	s_cbranch_execz .LBB151_26
.LBB151_62:
	v_mul_lo_u32 v6, v34, s46
	v_mov_b32_e32 v7, 0
	v_lshlrev_b64 v[6:7], 3, v[6:7]
	v_mov_b32_e32 v1, s54
	v_add_co_u32_e32 v6, vcc, s51, v6
	v_addc_co_u32_e32 v7, vcc, v1, v7, vcc
	global_load_dwordx2 v[6:7], v[6:7], off
	s_or_b64 exec, exec, s[4:5]
	s_and_saveexec_b64 s[4:5], s[6:7]
	s_cbranch_execz .LBB151_27
.LBB151_63:
	v_mul_lo_u32 v8, v35, s46
	v_mov_b32_e32 v9, 0
	v_lshlrev_b64 v[8:9], 3, v[8:9]
	v_mov_b32_e32 v1, s54
	v_add_co_u32_e32 v8, vcc, s51, v8
	v_addc_co_u32_e32 v9, vcc, v1, v9, vcc
	global_load_dwordx2 v[8:9], v[8:9], off
	s_or_b64 exec, exec, s[4:5]
	s_and_saveexec_b64 s[4:5], s[8:9]
	s_cbranch_execz .LBB151_28
.LBB151_64:
	v_mul_lo_u32 v10, v36, s46
	v_mov_b32_e32 v11, 0
	v_lshlrev_b64 v[10:11], 3, v[10:11]
	v_mov_b32_e32 v1, s54
	v_add_co_u32_e32 v10, vcc, s51, v10
	v_addc_co_u32_e32 v11, vcc, v1, v11, vcc
	global_load_dwordx2 v[10:11], v[10:11], off
	s_or_b64 exec, exec, s[4:5]
	s_and_saveexec_b64 s[4:5], s[10:11]
	s_cbranch_execz .LBB151_29
.LBB151_65:
	v_mul_lo_u32 v12, v37, s46
	v_mov_b32_e32 v13, 0
	v_lshlrev_b64 v[12:13], 3, v[12:13]
	v_mov_b32_e32 v1, s54
	v_add_co_u32_e32 v12, vcc, s51, v12
	v_addc_co_u32_e32 v13, vcc, v1, v13, vcc
	global_load_dwordx2 v[12:13], v[12:13], off
	s_or_b64 exec, exec, s[4:5]
	s_and_saveexec_b64 s[4:5], s[12:13]
	s_cbranch_execz .LBB151_30
.LBB151_66:
	v_mul_lo_u32 v14, v38, s46
	v_mov_b32_e32 v15, 0
	v_lshlrev_b64 v[14:15], 3, v[14:15]
	v_mov_b32_e32 v1, s54
	v_add_co_u32_e32 v14, vcc, s51, v14
	v_addc_co_u32_e32 v15, vcc, v1, v15, vcc
	global_load_dwordx2 v[14:15], v[14:15], off
	s_or_b64 exec, exec, s[4:5]
	s_xor_b64 s[4:5], s[34:35], -1
	s_and_saveexec_b64 s[16:17], s[14:15]
	s_cbranch_execnz .LBB151_31
	s_branch .LBB151_32
.LBB151_67:
                                        ; implicit-def: $vgpr64_vgpr65
                                        ; implicit-def: $vgpr60_vgpr61
                                        ; implicit-def: $vgpr56_vgpr57
                                        ; implicit-def: $vgpr52_vgpr53
                                        ; implicit-def: $vgpr48_vgpr49
                                        ; implicit-def: $vgpr44_vgpr45
                                        ; implicit-def: $vgpr40_vgpr41
                                        ; implicit-def: $vgpr36_vgpr37
	s_cbranch_execz .LBB151_95
; %bb.68:
	v_xor_b32_e32 v1, 0x7fffffff, v31
	v_xor_b32_e32 v0, -1, v30
	v_xor_b32_e32 v31, 0x7fffffff, v33
	v_xor_b32_e32 v30, -1, v32
	;; [unrolled: 2-line block ×8, first 2 shown]
	ds_write2_b64 v125, v[0:1], v[30:31] offset1:1
	ds_write2_b64 v125, v[26:27], v[28:29] offset0:2 offset1:3
	ds_write2_b64 v125, v[22:23], v[24:25] offset0:4 offset1:5
	;; [unrolled: 1-line block ×3, first 2 shown]
	; wave barrier
	ds_read2st64_b64 v[18:21], v124 offset1:1
	ds_read2st64_b64 v[22:25], v124 offset0:2 offset1:3
	ds_read2st64_b64 v[26:29], v124 offset0:4 offset1:5
	ds_read2st64_b64 v[30:33], v124 offset0:6 offset1:7
	; wave barrier
	ds_write2_b64 v125, v[14:15], v[16:17] offset1:1
	ds_write2_b64 v125, v[10:11], v[12:13] offset0:2 offset1:3
	ds_write2_b64 v125, v[6:7], v[8:9] offset0:4 offset1:5
	;; [unrolled: 1-line block ×3, first 2 shown]
	; wave barrier
	ds_read2st64_b64 v[0:3], v124 offset1:1
	ds_read2st64_b64 v[4:7], v124 offset0:2 offset1:3
	ds_read2st64_b64 v[8:11], v124 offset0:4 offset1:5
	;; [unrolled: 1-line block ×3, first 2 shown]
	s_waitcnt lgkmcnt(0)
	s_barrier
	s_load_dword s16, s[52:53], 0xc
	s_getpc_b64 s[4:5]
	s_add_u32 s4, s4, _ZN7rocprim17ROCPRIM_400000_NS16block_radix_sortIlLj256ELj8ElLj1ELj1ELj0ELNS0_26block_radix_rank_algorithmE1ELNS0_18block_padding_hintE2ELNS0_4arch9wavefront6targetE1EE19radix_bits_per_passE@rel32@lo+4
	s_addc_u32 s5, s5, _ZN7rocprim17ROCPRIM_400000_NS16block_radix_sortIlLj256ELj8ElLj1ELj1ELj0ELNS0_26block_radix_rank_algorithmE1ELNS0_18block_padding_hintE2ELNS0_4arch9wavefront6targetE1EE19radix_bits_per_passE@rel32@hi+12
	s_load_dword s52, s[4:5], 0x0
	v_cmp_lt_i32_e32 vcc, v117, v119
	v_cmp_gt_u32_e64 s[30:31], 4, v70
	s_waitcnt lgkmcnt(0)
	s_lshr_b32 s4, s16, 16
	s_and_b32 s5, s16, 0xffff
	v_mad_u32_u24 v16, v123, s4, v122
	v_mad_u64_u32 v[16:17], s[4:5], v16, s5, v[70:71]
	v_lshrrev_b32_e32 v73, 6, v16
	v_min_u32_e32 v16, 0xc0, v114
	v_or_b32_e32 v16, 63, v16
	v_cmp_eq_u32_e64 s[28:29], v16, v70
	v_cmp_lt_u32_e64 s[34:35], 63, v70
	v_cndmask_b32_e32 v16, v117, v113, vcc
	v_cmp_eq_u32_e64 s[38:39], 0, v70
	v_and_b32_e32 v70, 60, v118
	v_add_u32_e32 v72, 16, v112
	v_cmp_eq_u32_e64 s[16:17], 0, v120
	v_cmp_lt_u32_e64 s[18:19], 1, v120
	v_cmp_lt_u32_e64 s[20:21], 3, v120
	;; [unrolled: 1-line block ×3, first 2 shown]
	v_cmp_eq_u32_e64 s[24:25], 0, v121
	v_cmp_lt_u32_e64 s[26:27], 31, v113
	s_mov_b32 s53, 64
	v_lshlrev_b32_e32 v74, 2, v16
	v_cmp_eq_u32_e64 s[36:37], 0, v113
	v_cmp_eq_u32_e64 s[40:41], 0, v116
	v_cmp_lt_u32_e64 s[42:43], 1, v116
	v_add_u32_e32 v75, -4, v70
	v_lshlrev_b32_e32 v76, 3, v115
	s_mov_b64 s[48:49], 0
	v_mov_b32_e32 v42, 0
	s_branch .LBB151_70
.LBB151_69:                             ;   in Loop: Header=BB151_70 Depth=1
	v_lshlrev_b32_e32 v0, 3, v83
	v_lshlrev_b32_e32 v1, 3, v82
	;; [unrolled: 1-line block ×8, first 2 shown]
	s_barrier
	ds_write_b64 v0, v[64:65]
	ds_write_b64 v1, v[62:63]
	;; [unrolled: 1-line block ×8, first 2 shown]
	s_waitcnt lgkmcnt(0)
	s_barrier
	ds_read2st64_b64 v[18:21], v76 offset1:1
	ds_read2st64_b64 v[22:25], v76 offset0:2 offset1:3
	ds_read2st64_b64 v[26:29], v76 offset0:4 offset1:5
	;; [unrolled: 1-line block ×3, first 2 shown]
	s_waitcnt lgkmcnt(0)
	s_barrier
	ds_write_b64 v0, v[50:51]
	ds_write_b64 v1, v[48:49]
	;; [unrolled: 1-line block ×8, first 2 shown]
	s_waitcnt lgkmcnt(0)
	s_barrier
	ds_read2st64_b64 v[0:3], v76 offset1:1
	ds_read2st64_b64 v[4:7], v76 offset0:2 offset1:3
	ds_read2st64_b64 v[8:11], v76 offset0:4 offset1:5
	;; [unrolled: 1-line block ×3, first 2 shown]
	s_add_u32 s48, s48, 8
	s_addc_u32 s49, s49, 0
	s_add_i32 s53, s53, -8
	s_waitcnt lgkmcnt(0)
	s_barrier
	s_cbranch_execz .LBB151_94
.LBB151_70:                             ; =>This Inner Loop Header: Depth=1
	s_min_u32 s4, s52, s53
	v_pk_mov_b32 v[64:65], v[18:19], v[18:19] op_sel:[0,1]
	s_lshl_b32 s4, -1, s4
	v_pk_mov_b32 v[50:51], v[0:1], v[0:1] op_sel:[0,1]
	s_not_b32 s55, s4
	v_lshrrev_b64 v[0:1], s48, v[64:65]
	v_and_b32_e32 v0, s55, v0
	v_lshl_add_u32 v1, v0, 2, v73
	v_pk_mov_b32 v[44:45], v[4:5], v[4:5] op_sel:[0,1]
	v_lshl_add_u32 v4, v1, 2, 16
	v_and_b32_e32 v1, 1, v0
	v_pk_mov_b32 v[48:49], v[2:3], v[2:3] op_sel:[0,1]
	v_add_co_u32_e32 v2, vcc, -1, v1
	v_addc_co_u32_e64 v3, s[4:5], 0, -1, vcc
	v_cmp_ne_u32_e32 vcc, 0, v1
	v_lshlrev_b32_e32 v43, 30, v0
	v_xor_b32_e32 v1, vcc_hi, v3
	v_not_b32_e32 v3, v43
	v_xor_b32_e32 v2, vcc_lo, v2
	v_cmp_gt_i64_e32 vcc, 0, v[42:43]
	v_ashrrev_i32_e32 v3, 31, v3
	v_and_b32_e32 v2, exec_lo, v2
	v_xor_b32_e32 v5, vcc_hi, v3
	v_xor_b32_e32 v3, vcc_lo, v3
	v_lshlrev_b32_e32 v43, 29, v0
	v_and_b32_e32 v2, v2, v3
	v_not_b32_e32 v3, v43
	v_and_b32_e32 v1, exec_hi, v1
	v_cmp_gt_i64_e32 vcc, 0, v[42:43]
	v_ashrrev_i32_e32 v3, 31, v3
	v_and_b32_e32 v1, v1, v5
	v_xor_b32_e32 v5, vcc_hi, v3
	v_xor_b32_e32 v3, vcc_lo, v3
	v_lshlrev_b32_e32 v43, 28, v0
	v_and_b32_e32 v2, v2, v3
	v_not_b32_e32 v3, v43
	v_cmp_gt_i64_e32 vcc, 0, v[42:43]
	v_ashrrev_i32_e32 v3, 31, v3
	v_and_b32_e32 v1, v1, v5
	v_xor_b32_e32 v5, vcc_hi, v3
	v_xor_b32_e32 v3, vcc_lo, v3
	v_lshlrev_b32_e32 v43, 27, v0
	v_and_b32_e32 v2, v2, v3
	v_not_b32_e32 v3, v43
	;; [unrolled: 8-line block ×3, first 2 shown]
	v_cmp_gt_i64_e32 vcc, 0, v[42:43]
	v_ashrrev_i32_e32 v3, 31, v3
	v_and_b32_e32 v1, v1, v5
	v_xor_b32_e32 v5, vcc_hi, v3
	v_xor_b32_e32 v3, vcc_lo, v3
	v_lshlrev_b32_e32 v43, 25, v0
	v_and_b32_e32 v2, v2, v3
	v_cmp_gt_i64_e32 vcc, 0, v[42:43]
	v_not_b32_e32 v3, v43
	v_lshlrev_b32_e32 v43, 24, v0
	v_ashrrev_i32_e32 v3, 31, v3
	v_not_b32_e32 v0, v43
	v_and_b32_e32 v1, v1, v5
	v_xor_b32_e32 v5, vcc_hi, v3
	v_xor_b32_e32 v3, vcc_lo, v3
	v_cmp_gt_i64_e32 vcc, 0, v[42:43]
	v_ashrrev_i32_e32 v0, 31, v0
	v_and_b32_e32 v2, v2, v3
	v_xor_b32_e32 v3, vcc_hi, v0
	v_xor_b32_e32 v0, vcc_lo, v0
	v_and_b32_e32 v1, v1, v5
	v_and_b32_e32 v0, v2, v0
	;; [unrolled: 1-line block ×3, first 2 shown]
	v_mbcnt_lo_u32_b32 v2, v0, 0
	v_mbcnt_hi_u32_b32 v5, v1, v2
	v_cmp_eq_u32_e32 vcc, 0, v5
	v_cmp_ne_u64_e64 s[4:5], 0, v[0:1]
	v_pk_mov_b32 v[46:47], v[32:33], v[32:33] op_sel:[0,1]
	v_pk_mov_b32 v[52:53], v[30:31], v[30:31] op_sel:[0,1]
	;; [unrolled: 1-line block ×12, first 2 shown]
	s_and_b64 s[56:57], s[4:5], vcc
	ds_write2_b32 v112, v42, v42 offset0:4 offset1:5
	ds_write2_b32 v72, v42, v42 offset0:2 offset1:3
	s_waitcnt lgkmcnt(0)
	s_barrier
	s_waitcnt lgkmcnt(0)
	; wave barrier
	s_and_saveexec_b64 s[4:5], s[56:57]
	s_cbranch_execz .LBB151_72
; %bb.71:                               ;   in Loop: Header=BB151_70 Depth=1
	v_bcnt_u32_b32 v0, v0, 0
	v_bcnt_u32_b32 v0, v1, v0
	ds_write_b32 v4, v0
.LBB151_72:                             ;   in Loop: Header=BB151_70 Depth=1
	s_or_b64 exec, exec, s[4:5]
	v_lshrrev_b64 v[0:1], s48, v[62:63]
	v_and_b32_e32 v0, s55, v0
	v_lshlrev_b32_e32 v1, 2, v0
	v_add_lshl_u32 v1, v1, v73, 2
	; wave barrier
	v_add_u32_e32 v7, 16, v1
	ds_read_b32 v6, v1 offset:16
	v_and_b32_e32 v1, 1, v0
	v_add_co_u32_e32 v2, vcc, -1, v1
	v_addc_co_u32_e64 v3, s[4:5], 0, -1, vcc
	v_cmp_ne_u32_e32 vcc, 0, v1
	v_lshlrev_b32_e32 v43, 30, v0
	v_xor_b32_e32 v1, vcc_hi, v3
	v_not_b32_e32 v3, v43
	v_xor_b32_e32 v2, vcc_lo, v2
	v_cmp_gt_i64_e32 vcc, 0, v[42:43]
	v_ashrrev_i32_e32 v3, 31, v3
	v_and_b32_e32 v2, exec_lo, v2
	v_xor_b32_e32 v8, vcc_hi, v3
	v_xor_b32_e32 v3, vcc_lo, v3
	v_lshlrev_b32_e32 v43, 29, v0
	v_and_b32_e32 v2, v2, v3
	v_not_b32_e32 v3, v43
	v_and_b32_e32 v1, exec_hi, v1
	v_cmp_gt_i64_e32 vcc, 0, v[42:43]
	v_ashrrev_i32_e32 v3, 31, v3
	v_and_b32_e32 v1, v1, v8
	v_xor_b32_e32 v8, vcc_hi, v3
	v_xor_b32_e32 v3, vcc_lo, v3
	v_lshlrev_b32_e32 v43, 28, v0
	v_and_b32_e32 v2, v2, v3
	v_not_b32_e32 v3, v43
	v_cmp_gt_i64_e32 vcc, 0, v[42:43]
	v_ashrrev_i32_e32 v3, 31, v3
	v_and_b32_e32 v1, v1, v8
	v_xor_b32_e32 v8, vcc_hi, v3
	v_xor_b32_e32 v3, vcc_lo, v3
	v_lshlrev_b32_e32 v43, 27, v0
	v_and_b32_e32 v2, v2, v3
	v_not_b32_e32 v3, v43
	;; [unrolled: 8-line block ×3, first 2 shown]
	v_cmp_gt_i64_e32 vcc, 0, v[42:43]
	v_ashrrev_i32_e32 v3, 31, v3
	v_and_b32_e32 v1, v1, v8
	v_xor_b32_e32 v8, vcc_hi, v3
	v_xor_b32_e32 v3, vcc_lo, v3
	v_lshlrev_b32_e32 v43, 25, v0
	v_and_b32_e32 v2, v2, v3
	v_cmp_gt_i64_e32 vcc, 0, v[42:43]
	v_not_b32_e32 v3, v43
	v_lshlrev_b32_e32 v43, 24, v0
	v_ashrrev_i32_e32 v3, 31, v3
	v_not_b32_e32 v0, v43
	v_and_b32_e32 v1, v1, v8
	v_xor_b32_e32 v8, vcc_hi, v3
	v_xor_b32_e32 v3, vcc_lo, v3
	v_cmp_gt_i64_e32 vcc, 0, v[42:43]
	v_ashrrev_i32_e32 v0, 31, v0
	v_and_b32_e32 v2, v2, v3
	v_xor_b32_e32 v3, vcc_hi, v0
	v_xor_b32_e32 v0, vcc_lo, v0
	v_and_b32_e32 v1, v1, v8
	v_and_b32_e32 v0, v2, v0
	;; [unrolled: 1-line block ×3, first 2 shown]
	v_mbcnt_lo_u32_b32 v2, v0, 0
	v_mbcnt_hi_u32_b32 v8, v1, v2
	v_cmp_eq_u32_e32 vcc, 0, v8
	v_cmp_ne_u64_e64 s[4:5], 0, v[0:1]
	s_and_b64 s[56:57], s[4:5], vcc
	; wave barrier
	s_and_saveexec_b64 s[4:5], s[56:57]
	s_cbranch_execz .LBB151_74
; %bb.73:                               ;   in Loop: Header=BB151_70 Depth=1
	v_bcnt_u32_b32 v0, v0, 0
	v_bcnt_u32_b32 v0, v1, v0
	s_waitcnt lgkmcnt(0)
	v_add_u32_e32 v0, v6, v0
	ds_write_b32 v7, v0
.LBB151_74:                             ;   in Loop: Header=BB151_70 Depth=1
	s_or_b64 exec, exec, s[4:5]
	v_lshrrev_b64 v[0:1], s48, v[60:61]
	v_and_b32_e32 v0, s55, v0
	v_lshlrev_b32_e32 v1, 2, v0
	v_add_lshl_u32 v1, v1, v73, 2
	; wave barrier
	v_add_u32_e32 v10, 16, v1
	ds_read_b32 v9, v1 offset:16
	v_and_b32_e32 v1, 1, v0
	v_add_co_u32_e32 v2, vcc, -1, v1
	v_addc_co_u32_e64 v3, s[4:5], 0, -1, vcc
	v_cmp_ne_u32_e32 vcc, 0, v1
	v_lshlrev_b32_e32 v43, 30, v0
	v_xor_b32_e32 v1, vcc_hi, v3
	v_not_b32_e32 v3, v43
	v_xor_b32_e32 v2, vcc_lo, v2
	v_cmp_gt_i64_e32 vcc, 0, v[42:43]
	v_ashrrev_i32_e32 v3, 31, v3
	v_and_b32_e32 v2, exec_lo, v2
	v_xor_b32_e32 v11, vcc_hi, v3
	v_xor_b32_e32 v3, vcc_lo, v3
	v_lshlrev_b32_e32 v43, 29, v0
	v_and_b32_e32 v2, v2, v3
	v_not_b32_e32 v3, v43
	v_and_b32_e32 v1, exec_hi, v1
	v_cmp_gt_i64_e32 vcc, 0, v[42:43]
	v_ashrrev_i32_e32 v3, 31, v3
	v_and_b32_e32 v1, v1, v11
	v_xor_b32_e32 v11, vcc_hi, v3
	v_xor_b32_e32 v3, vcc_lo, v3
	v_lshlrev_b32_e32 v43, 28, v0
	v_and_b32_e32 v2, v2, v3
	v_not_b32_e32 v3, v43
	v_cmp_gt_i64_e32 vcc, 0, v[42:43]
	v_ashrrev_i32_e32 v3, 31, v3
	v_and_b32_e32 v1, v1, v11
	v_xor_b32_e32 v11, vcc_hi, v3
	v_xor_b32_e32 v3, vcc_lo, v3
	v_lshlrev_b32_e32 v43, 27, v0
	v_and_b32_e32 v2, v2, v3
	v_not_b32_e32 v3, v43
	;; [unrolled: 8-line block ×3, first 2 shown]
	v_cmp_gt_i64_e32 vcc, 0, v[42:43]
	v_ashrrev_i32_e32 v3, 31, v3
	v_and_b32_e32 v1, v1, v11
	v_xor_b32_e32 v11, vcc_hi, v3
	v_xor_b32_e32 v3, vcc_lo, v3
	v_lshlrev_b32_e32 v43, 25, v0
	v_and_b32_e32 v2, v2, v3
	v_cmp_gt_i64_e32 vcc, 0, v[42:43]
	v_not_b32_e32 v3, v43
	v_lshlrev_b32_e32 v43, 24, v0
	v_ashrrev_i32_e32 v3, 31, v3
	v_not_b32_e32 v0, v43
	v_and_b32_e32 v1, v1, v11
	v_xor_b32_e32 v11, vcc_hi, v3
	v_xor_b32_e32 v3, vcc_lo, v3
	v_cmp_gt_i64_e32 vcc, 0, v[42:43]
	v_ashrrev_i32_e32 v0, 31, v0
	v_and_b32_e32 v2, v2, v3
	v_xor_b32_e32 v3, vcc_hi, v0
	v_xor_b32_e32 v0, vcc_lo, v0
	v_and_b32_e32 v1, v1, v11
	v_and_b32_e32 v0, v2, v0
	;; [unrolled: 1-line block ×3, first 2 shown]
	v_mbcnt_lo_u32_b32 v2, v0, 0
	v_mbcnt_hi_u32_b32 v11, v1, v2
	v_cmp_eq_u32_e32 vcc, 0, v11
	v_cmp_ne_u64_e64 s[4:5], 0, v[0:1]
	s_and_b64 s[56:57], s[4:5], vcc
	; wave barrier
	s_and_saveexec_b64 s[4:5], s[56:57]
	s_cbranch_execz .LBB151_76
; %bb.75:                               ;   in Loop: Header=BB151_70 Depth=1
	v_bcnt_u32_b32 v0, v0, 0
	v_bcnt_u32_b32 v0, v1, v0
	s_waitcnt lgkmcnt(0)
	v_add_u32_e32 v0, v9, v0
	ds_write_b32 v10, v0
.LBB151_76:                             ;   in Loop: Header=BB151_70 Depth=1
	s_or_b64 exec, exec, s[4:5]
	v_lshrrev_b64 v[0:1], s48, v[58:59]
	v_and_b32_e32 v0, s55, v0
	v_lshlrev_b32_e32 v1, 2, v0
	v_add_lshl_u32 v1, v1, v73, 2
	; wave barrier
	v_add_u32_e32 v13, 16, v1
	ds_read_b32 v12, v1 offset:16
	v_and_b32_e32 v1, 1, v0
	v_add_co_u32_e32 v2, vcc, -1, v1
	v_addc_co_u32_e64 v3, s[4:5], 0, -1, vcc
	v_cmp_ne_u32_e32 vcc, 0, v1
	v_lshlrev_b32_e32 v43, 30, v0
	v_xor_b32_e32 v1, vcc_hi, v3
	v_not_b32_e32 v3, v43
	v_xor_b32_e32 v2, vcc_lo, v2
	v_cmp_gt_i64_e32 vcc, 0, v[42:43]
	v_ashrrev_i32_e32 v3, 31, v3
	v_and_b32_e32 v2, exec_lo, v2
	v_xor_b32_e32 v14, vcc_hi, v3
	v_xor_b32_e32 v3, vcc_lo, v3
	v_lshlrev_b32_e32 v43, 29, v0
	v_and_b32_e32 v2, v2, v3
	v_not_b32_e32 v3, v43
	v_and_b32_e32 v1, exec_hi, v1
	v_cmp_gt_i64_e32 vcc, 0, v[42:43]
	v_ashrrev_i32_e32 v3, 31, v3
	v_and_b32_e32 v1, v1, v14
	v_xor_b32_e32 v14, vcc_hi, v3
	v_xor_b32_e32 v3, vcc_lo, v3
	v_lshlrev_b32_e32 v43, 28, v0
	v_and_b32_e32 v2, v2, v3
	v_not_b32_e32 v3, v43
	v_cmp_gt_i64_e32 vcc, 0, v[42:43]
	v_ashrrev_i32_e32 v3, 31, v3
	v_and_b32_e32 v1, v1, v14
	v_xor_b32_e32 v14, vcc_hi, v3
	v_xor_b32_e32 v3, vcc_lo, v3
	v_lshlrev_b32_e32 v43, 27, v0
	v_and_b32_e32 v2, v2, v3
	v_not_b32_e32 v3, v43
	;; [unrolled: 8-line block ×3, first 2 shown]
	v_cmp_gt_i64_e32 vcc, 0, v[42:43]
	v_ashrrev_i32_e32 v3, 31, v3
	v_and_b32_e32 v1, v1, v14
	v_xor_b32_e32 v14, vcc_hi, v3
	v_xor_b32_e32 v3, vcc_lo, v3
	v_lshlrev_b32_e32 v43, 25, v0
	v_and_b32_e32 v2, v2, v3
	v_cmp_gt_i64_e32 vcc, 0, v[42:43]
	v_not_b32_e32 v3, v43
	v_lshlrev_b32_e32 v43, 24, v0
	v_ashrrev_i32_e32 v3, 31, v3
	v_not_b32_e32 v0, v43
	v_and_b32_e32 v1, v1, v14
	v_xor_b32_e32 v14, vcc_hi, v3
	v_xor_b32_e32 v3, vcc_lo, v3
	v_cmp_gt_i64_e32 vcc, 0, v[42:43]
	v_ashrrev_i32_e32 v0, 31, v0
	v_and_b32_e32 v2, v2, v3
	v_xor_b32_e32 v3, vcc_hi, v0
	v_xor_b32_e32 v0, vcc_lo, v0
	v_and_b32_e32 v1, v1, v14
	v_and_b32_e32 v0, v2, v0
	v_and_b32_e32 v1, v1, v3
	v_mbcnt_lo_u32_b32 v2, v0, 0
	v_mbcnt_hi_u32_b32 v14, v1, v2
	v_cmp_eq_u32_e32 vcc, 0, v14
	v_cmp_ne_u64_e64 s[4:5], 0, v[0:1]
	s_and_b64 s[56:57], s[4:5], vcc
	; wave barrier
	s_and_saveexec_b64 s[4:5], s[56:57]
	s_cbranch_execz .LBB151_78
; %bb.77:                               ;   in Loop: Header=BB151_70 Depth=1
	v_bcnt_u32_b32 v0, v0, 0
	v_bcnt_u32_b32 v0, v1, v0
	s_waitcnt lgkmcnt(0)
	v_add_u32_e32 v0, v12, v0
	ds_write_b32 v13, v0
.LBB151_78:                             ;   in Loop: Header=BB151_70 Depth=1
	s_or_b64 exec, exec, s[4:5]
	v_lshrrev_b64 v[0:1], s48, v[56:57]
	v_and_b32_e32 v0, s55, v0
	v_lshlrev_b32_e32 v1, 2, v0
	v_add_lshl_u32 v1, v1, v73, 2
	; wave barrier
	v_add_u32_e32 v18, 16, v1
	ds_read_b32 v15, v1 offset:16
	v_and_b32_e32 v1, 1, v0
	v_add_co_u32_e32 v2, vcc, -1, v1
	v_addc_co_u32_e64 v3, s[4:5], 0, -1, vcc
	v_cmp_ne_u32_e32 vcc, 0, v1
	v_lshlrev_b32_e32 v43, 30, v0
	v_xor_b32_e32 v1, vcc_hi, v3
	v_not_b32_e32 v3, v43
	v_xor_b32_e32 v2, vcc_lo, v2
	v_cmp_gt_i64_e32 vcc, 0, v[42:43]
	v_ashrrev_i32_e32 v3, 31, v3
	v_and_b32_e32 v2, exec_lo, v2
	v_xor_b32_e32 v19, vcc_hi, v3
	v_xor_b32_e32 v3, vcc_lo, v3
	v_lshlrev_b32_e32 v43, 29, v0
	v_and_b32_e32 v2, v2, v3
	v_not_b32_e32 v3, v43
	v_and_b32_e32 v1, exec_hi, v1
	v_cmp_gt_i64_e32 vcc, 0, v[42:43]
	v_ashrrev_i32_e32 v3, 31, v3
	v_and_b32_e32 v1, v1, v19
	v_xor_b32_e32 v19, vcc_hi, v3
	v_xor_b32_e32 v3, vcc_lo, v3
	v_lshlrev_b32_e32 v43, 28, v0
	v_and_b32_e32 v2, v2, v3
	v_not_b32_e32 v3, v43
	v_cmp_gt_i64_e32 vcc, 0, v[42:43]
	v_ashrrev_i32_e32 v3, 31, v3
	v_and_b32_e32 v1, v1, v19
	v_xor_b32_e32 v19, vcc_hi, v3
	v_xor_b32_e32 v3, vcc_lo, v3
	v_lshlrev_b32_e32 v43, 27, v0
	v_and_b32_e32 v2, v2, v3
	v_not_b32_e32 v3, v43
	;; [unrolled: 8-line block ×3, first 2 shown]
	v_cmp_gt_i64_e32 vcc, 0, v[42:43]
	v_ashrrev_i32_e32 v3, 31, v3
	v_and_b32_e32 v1, v1, v19
	v_xor_b32_e32 v19, vcc_hi, v3
	v_xor_b32_e32 v3, vcc_lo, v3
	v_lshlrev_b32_e32 v43, 25, v0
	v_and_b32_e32 v2, v2, v3
	v_cmp_gt_i64_e32 vcc, 0, v[42:43]
	v_not_b32_e32 v3, v43
	v_lshlrev_b32_e32 v43, 24, v0
	v_ashrrev_i32_e32 v3, 31, v3
	v_not_b32_e32 v0, v43
	v_and_b32_e32 v1, v1, v19
	v_xor_b32_e32 v19, vcc_hi, v3
	v_xor_b32_e32 v3, vcc_lo, v3
	v_cmp_gt_i64_e32 vcc, 0, v[42:43]
	v_ashrrev_i32_e32 v0, 31, v0
	v_and_b32_e32 v2, v2, v3
	v_xor_b32_e32 v3, vcc_hi, v0
	v_xor_b32_e32 v0, vcc_lo, v0
	v_and_b32_e32 v1, v1, v19
	v_and_b32_e32 v0, v2, v0
	;; [unrolled: 1-line block ×3, first 2 shown]
	v_mbcnt_lo_u32_b32 v2, v0, 0
	v_mbcnt_hi_u32_b32 v19, v1, v2
	v_cmp_eq_u32_e32 vcc, 0, v19
	v_cmp_ne_u64_e64 s[4:5], 0, v[0:1]
	s_and_b64 s[56:57], s[4:5], vcc
	; wave barrier
	s_and_saveexec_b64 s[4:5], s[56:57]
	s_cbranch_execz .LBB151_80
; %bb.79:                               ;   in Loop: Header=BB151_70 Depth=1
	v_bcnt_u32_b32 v0, v0, 0
	v_bcnt_u32_b32 v0, v1, v0
	s_waitcnt lgkmcnt(0)
	v_add_u32_e32 v0, v15, v0
	ds_write_b32 v18, v0
.LBB151_80:                             ;   in Loop: Header=BB151_70 Depth=1
	s_or_b64 exec, exec, s[4:5]
	v_lshrrev_b64 v[0:1], s48, v[54:55]
	v_and_b32_e32 v0, s55, v0
	v_lshlrev_b32_e32 v1, 2, v0
	v_add_lshl_u32 v1, v1, v73, 2
	; wave barrier
	v_add_u32_e32 v21, 16, v1
	ds_read_b32 v20, v1 offset:16
	v_and_b32_e32 v1, 1, v0
	v_add_co_u32_e32 v2, vcc, -1, v1
	v_addc_co_u32_e64 v3, s[4:5], 0, -1, vcc
	v_cmp_ne_u32_e32 vcc, 0, v1
	v_lshlrev_b32_e32 v43, 30, v0
	v_xor_b32_e32 v1, vcc_hi, v3
	v_not_b32_e32 v3, v43
	v_xor_b32_e32 v2, vcc_lo, v2
	v_cmp_gt_i64_e32 vcc, 0, v[42:43]
	v_ashrrev_i32_e32 v3, 31, v3
	v_and_b32_e32 v2, exec_lo, v2
	v_xor_b32_e32 v22, vcc_hi, v3
	v_xor_b32_e32 v3, vcc_lo, v3
	v_lshlrev_b32_e32 v43, 29, v0
	v_and_b32_e32 v2, v2, v3
	v_not_b32_e32 v3, v43
	v_and_b32_e32 v1, exec_hi, v1
	v_cmp_gt_i64_e32 vcc, 0, v[42:43]
	v_ashrrev_i32_e32 v3, 31, v3
	v_and_b32_e32 v1, v1, v22
	v_xor_b32_e32 v22, vcc_hi, v3
	v_xor_b32_e32 v3, vcc_lo, v3
	v_lshlrev_b32_e32 v43, 28, v0
	v_and_b32_e32 v2, v2, v3
	v_not_b32_e32 v3, v43
	v_cmp_gt_i64_e32 vcc, 0, v[42:43]
	v_ashrrev_i32_e32 v3, 31, v3
	v_and_b32_e32 v1, v1, v22
	v_xor_b32_e32 v22, vcc_hi, v3
	v_xor_b32_e32 v3, vcc_lo, v3
	v_lshlrev_b32_e32 v43, 27, v0
	v_and_b32_e32 v2, v2, v3
	v_not_b32_e32 v3, v43
	;; [unrolled: 8-line block ×3, first 2 shown]
	v_cmp_gt_i64_e32 vcc, 0, v[42:43]
	v_ashrrev_i32_e32 v3, 31, v3
	v_and_b32_e32 v1, v1, v22
	v_xor_b32_e32 v22, vcc_hi, v3
	v_xor_b32_e32 v3, vcc_lo, v3
	v_lshlrev_b32_e32 v43, 25, v0
	v_and_b32_e32 v2, v2, v3
	v_cmp_gt_i64_e32 vcc, 0, v[42:43]
	v_not_b32_e32 v3, v43
	v_lshlrev_b32_e32 v43, 24, v0
	v_ashrrev_i32_e32 v3, 31, v3
	v_not_b32_e32 v0, v43
	v_and_b32_e32 v1, v1, v22
	v_xor_b32_e32 v22, vcc_hi, v3
	v_xor_b32_e32 v3, vcc_lo, v3
	v_cmp_gt_i64_e32 vcc, 0, v[42:43]
	v_ashrrev_i32_e32 v0, 31, v0
	v_and_b32_e32 v2, v2, v3
	v_xor_b32_e32 v3, vcc_hi, v0
	v_xor_b32_e32 v0, vcc_lo, v0
	v_and_b32_e32 v1, v1, v22
	v_and_b32_e32 v0, v2, v0
	;; [unrolled: 1-line block ×3, first 2 shown]
	v_mbcnt_lo_u32_b32 v2, v0, 0
	v_mbcnt_hi_u32_b32 v22, v1, v2
	v_cmp_eq_u32_e32 vcc, 0, v22
	v_cmp_ne_u64_e64 s[4:5], 0, v[0:1]
	s_and_b64 s[56:57], s[4:5], vcc
	; wave barrier
	s_and_saveexec_b64 s[4:5], s[56:57]
	s_cbranch_execz .LBB151_82
; %bb.81:                               ;   in Loop: Header=BB151_70 Depth=1
	v_bcnt_u32_b32 v0, v0, 0
	v_bcnt_u32_b32 v0, v1, v0
	s_waitcnt lgkmcnt(0)
	v_add_u32_e32 v0, v20, v0
	ds_write_b32 v21, v0
.LBB151_82:                             ;   in Loop: Header=BB151_70 Depth=1
	s_or_b64 exec, exec, s[4:5]
	v_lshrrev_b64 v[0:1], s48, v[52:53]
	v_and_b32_e32 v0, s55, v0
	v_lshlrev_b32_e32 v1, 2, v0
	v_add_lshl_u32 v1, v1, v73, 2
	; wave barrier
	v_add_u32_e32 v24, 16, v1
	ds_read_b32 v23, v1 offset:16
	v_and_b32_e32 v1, 1, v0
	v_add_co_u32_e32 v2, vcc, -1, v1
	v_addc_co_u32_e64 v3, s[4:5], 0, -1, vcc
	v_cmp_ne_u32_e32 vcc, 0, v1
	v_lshlrev_b32_e32 v43, 30, v0
	v_xor_b32_e32 v1, vcc_hi, v3
	v_not_b32_e32 v3, v43
	v_xor_b32_e32 v2, vcc_lo, v2
	v_cmp_gt_i64_e32 vcc, 0, v[42:43]
	v_ashrrev_i32_e32 v3, 31, v3
	v_and_b32_e32 v2, exec_lo, v2
	v_xor_b32_e32 v25, vcc_hi, v3
	v_xor_b32_e32 v3, vcc_lo, v3
	v_lshlrev_b32_e32 v43, 29, v0
	v_and_b32_e32 v2, v2, v3
	v_not_b32_e32 v3, v43
	v_and_b32_e32 v1, exec_hi, v1
	v_cmp_gt_i64_e32 vcc, 0, v[42:43]
	v_ashrrev_i32_e32 v3, 31, v3
	v_and_b32_e32 v1, v1, v25
	v_xor_b32_e32 v25, vcc_hi, v3
	v_xor_b32_e32 v3, vcc_lo, v3
	v_lshlrev_b32_e32 v43, 28, v0
	v_and_b32_e32 v2, v2, v3
	v_not_b32_e32 v3, v43
	v_cmp_gt_i64_e32 vcc, 0, v[42:43]
	v_ashrrev_i32_e32 v3, 31, v3
	v_and_b32_e32 v1, v1, v25
	v_xor_b32_e32 v25, vcc_hi, v3
	v_xor_b32_e32 v3, vcc_lo, v3
	v_lshlrev_b32_e32 v43, 27, v0
	v_and_b32_e32 v2, v2, v3
	v_not_b32_e32 v3, v43
	;; [unrolled: 8-line block ×3, first 2 shown]
	v_cmp_gt_i64_e32 vcc, 0, v[42:43]
	v_ashrrev_i32_e32 v3, 31, v3
	v_and_b32_e32 v1, v1, v25
	v_xor_b32_e32 v25, vcc_hi, v3
	v_xor_b32_e32 v3, vcc_lo, v3
	v_lshlrev_b32_e32 v43, 25, v0
	v_and_b32_e32 v2, v2, v3
	v_cmp_gt_i64_e32 vcc, 0, v[42:43]
	v_not_b32_e32 v3, v43
	v_lshlrev_b32_e32 v43, 24, v0
	v_ashrrev_i32_e32 v3, 31, v3
	v_not_b32_e32 v0, v43
	v_and_b32_e32 v1, v1, v25
	v_xor_b32_e32 v25, vcc_hi, v3
	v_xor_b32_e32 v3, vcc_lo, v3
	v_cmp_gt_i64_e32 vcc, 0, v[42:43]
	v_ashrrev_i32_e32 v0, 31, v0
	v_and_b32_e32 v2, v2, v3
	v_xor_b32_e32 v3, vcc_hi, v0
	v_xor_b32_e32 v0, vcc_lo, v0
	v_and_b32_e32 v1, v1, v25
	v_and_b32_e32 v0, v2, v0
	;; [unrolled: 1-line block ×3, first 2 shown]
	v_mbcnt_lo_u32_b32 v2, v0, 0
	v_mbcnt_hi_u32_b32 v25, v1, v2
	v_cmp_eq_u32_e32 vcc, 0, v25
	v_cmp_ne_u64_e64 s[4:5], 0, v[0:1]
	s_and_b64 s[56:57], s[4:5], vcc
	; wave barrier
	s_and_saveexec_b64 s[4:5], s[56:57]
	s_cbranch_execz .LBB151_84
; %bb.83:                               ;   in Loop: Header=BB151_70 Depth=1
	v_bcnt_u32_b32 v0, v0, 0
	v_bcnt_u32_b32 v0, v1, v0
	s_waitcnt lgkmcnt(0)
	v_add_u32_e32 v0, v23, v0
	ds_write_b32 v24, v0
.LBB151_84:                             ;   in Loop: Header=BB151_70 Depth=1
	s_or_b64 exec, exec, s[4:5]
	v_lshrrev_b64 v[0:1], s48, v[46:47]
	v_and_b32_e32 v0, s55, v0
	v_lshlrev_b32_e32 v1, 2, v0
	v_add_lshl_u32 v1, v1, v73, 2
	; wave barrier
	v_add_u32_e32 v27, 16, v1
	ds_read_b32 v26, v1 offset:16
	v_and_b32_e32 v1, 1, v0
	v_add_co_u32_e32 v2, vcc, -1, v1
	v_addc_co_u32_e64 v3, s[4:5], 0, -1, vcc
	v_cmp_ne_u32_e32 vcc, 0, v1
	v_lshlrev_b32_e32 v43, 30, v0
	v_xor_b32_e32 v1, vcc_hi, v3
	v_not_b32_e32 v3, v43
	v_xor_b32_e32 v2, vcc_lo, v2
	v_cmp_gt_i64_e32 vcc, 0, v[42:43]
	v_ashrrev_i32_e32 v3, 31, v3
	v_and_b32_e32 v2, exec_lo, v2
	v_xor_b32_e32 v28, vcc_hi, v3
	v_xor_b32_e32 v3, vcc_lo, v3
	v_lshlrev_b32_e32 v43, 29, v0
	v_and_b32_e32 v2, v2, v3
	v_not_b32_e32 v3, v43
	v_and_b32_e32 v1, exec_hi, v1
	v_cmp_gt_i64_e32 vcc, 0, v[42:43]
	v_ashrrev_i32_e32 v3, 31, v3
	v_and_b32_e32 v1, v1, v28
	v_xor_b32_e32 v28, vcc_hi, v3
	v_xor_b32_e32 v3, vcc_lo, v3
	v_lshlrev_b32_e32 v43, 28, v0
	v_and_b32_e32 v2, v2, v3
	v_not_b32_e32 v3, v43
	v_cmp_gt_i64_e32 vcc, 0, v[42:43]
	v_ashrrev_i32_e32 v3, 31, v3
	v_and_b32_e32 v1, v1, v28
	v_xor_b32_e32 v28, vcc_hi, v3
	v_xor_b32_e32 v3, vcc_lo, v3
	v_lshlrev_b32_e32 v43, 27, v0
	v_and_b32_e32 v2, v2, v3
	v_not_b32_e32 v3, v43
	;; [unrolled: 8-line block ×3, first 2 shown]
	v_cmp_gt_i64_e32 vcc, 0, v[42:43]
	v_ashrrev_i32_e32 v3, 31, v3
	v_and_b32_e32 v1, v1, v28
	v_xor_b32_e32 v28, vcc_hi, v3
	v_xor_b32_e32 v3, vcc_lo, v3
	v_lshlrev_b32_e32 v43, 25, v0
	v_and_b32_e32 v2, v2, v3
	v_cmp_gt_i64_e32 vcc, 0, v[42:43]
	v_not_b32_e32 v3, v43
	v_lshlrev_b32_e32 v43, 24, v0
	v_ashrrev_i32_e32 v3, 31, v3
	v_not_b32_e32 v0, v43
	v_and_b32_e32 v1, v1, v28
	v_xor_b32_e32 v28, vcc_hi, v3
	v_xor_b32_e32 v3, vcc_lo, v3
	v_cmp_gt_i64_e32 vcc, 0, v[42:43]
	v_ashrrev_i32_e32 v0, 31, v0
	v_and_b32_e32 v2, v2, v3
	v_xor_b32_e32 v3, vcc_hi, v0
	v_xor_b32_e32 v0, vcc_lo, v0
	v_and_b32_e32 v1, v1, v28
	v_and_b32_e32 v0, v2, v0
	;; [unrolled: 1-line block ×3, first 2 shown]
	v_mbcnt_lo_u32_b32 v2, v0, 0
	v_mbcnt_hi_u32_b32 v28, v1, v2
	v_cmp_eq_u32_e32 vcc, 0, v28
	v_cmp_ne_u64_e64 s[4:5], 0, v[0:1]
	s_and_b64 s[56:57], s[4:5], vcc
	; wave barrier
	s_and_saveexec_b64 s[4:5], s[56:57]
	s_cbranch_execz .LBB151_86
; %bb.85:                               ;   in Loop: Header=BB151_70 Depth=1
	v_bcnt_u32_b32 v0, v0, 0
	v_bcnt_u32_b32 v0, v1, v0
	s_waitcnt lgkmcnt(0)
	v_add_u32_e32 v0, v26, v0
	ds_write_b32 v27, v0
.LBB151_86:                             ;   in Loop: Header=BB151_70 Depth=1
	s_or_b64 exec, exec, s[4:5]
	; wave barrier
	s_waitcnt lgkmcnt(0)
	s_barrier
	ds_read2_b32 v[2:3], v112 offset0:4 offset1:5
	ds_read2_b32 v[0:1], v72 offset0:2 offset1:3
	s_waitcnt lgkmcnt(1)
	v_add_u32_e32 v29, v3, v2
	s_waitcnt lgkmcnt(0)
	v_add3_u32 v1, v29, v0, v1
	s_nop 1
	v_mov_b32_dpp v29, v1 row_shr:1 row_mask:0xf bank_mask:0xf
	v_cndmask_b32_e64 v29, v29, 0, s[16:17]
	v_add_u32_e32 v1, v29, v1
	s_nop 1
	v_mov_b32_dpp v29, v1 row_shr:2 row_mask:0xf bank_mask:0xf
	v_cndmask_b32_e64 v29, 0, v29, s[18:19]
	v_add_u32_e32 v1, v1, v29
	;; [unrolled: 4-line block ×4, first 2 shown]
	s_nop 1
	v_mov_b32_dpp v29, v1 row_bcast:15 row_mask:0xf bank_mask:0xf
	v_cndmask_b32_e64 v29, v29, 0, s[24:25]
	v_add_u32_e32 v1, v1, v29
	s_nop 1
	v_mov_b32_dpp v29, v1 row_bcast:31 row_mask:0xf bank_mask:0xf
	v_cndmask_b32_e64 v29, 0, v29, s[26:27]
	v_add_u32_e32 v1, v1, v29
	s_and_saveexec_b64 s[4:5], s[28:29]
	s_cbranch_execz .LBB151_88
; %bb.87:                               ;   in Loop: Header=BB151_70 Depth=1
	ds_write_b32 v70, v1
.LBB151_88:                             ;   in Loop: Header=BB151_70 Depth=1
	s_or_b64 exec, exec, s[4:5]
	s_waitcnt lgkmcnt(0)
	s_barrier
	s_and_saveexec_b64 s[4:5], s[30:31]
	s_cbranch_execz .LBB151_90
; %bb.89:                               ;   in Loop: Header=BB151_70 Depth=1
	ds_read_b32 v29, v69
	s_waitcnt lgkmcnt(0)
	s_nop 0
	v_mov_b32_dpp v30, v29 row_shr:1 row_mask:0xf bank_mask:0xf
	v_cndmask_b32_e64 v30, v30, 0, s[40:41]
	v_add_u32_e32 v29, v30, v29
	s_nop 1
	v_mov_b32_dpp v30, v29 row_shr:2 row_mask:0xf bank_mask:0xf
	v_cndmask_b32_e64 v30, 0, v30, s[42:43]
	v_add_u32_e32 v29, v29, v30
	ds_write_b32 v69, v29
.LBB151_90:                             ;   in Loop: Header=BB151_70 Depth=1
	s_or_b64 exec, exec, s[4:5]
	v_mov_b32_e32 v29, 0
	s_waitcnt lgkmcnt(0)
	s_barrier
	s_and_saveexec_b64 s[4:5], s[34:35]
	s_cbranch_execz .LBB151_92
; %bb.91:                               ;   in Loop: Header=BB151_70 Depth=1
	ds_read_b32 v29, v75
.LBB151_92:                             ;   in Loop: Header=BB151_70 Depth=1
	s_or_b64 exec, exec, s[4:5]
	s_waitcnt lgkmcnt(0)
	v_add_u32_e32 v1, v29, v1
	ds_bpermute_b32 v1, v74, v1
	s_cmp_gt_u32 s48, 55
	s_waitcnt lgkmcnt(0)
	v_cndmask_b32_e64 v1, v1, v29, s[36:37]
	v_cndmask_b32_e64 v1, v1, 0, s[38:39]
	v_add_u32_e32 v2, v1, v2
	v_add_u32_e32 v3, v2, v3
	;; [unrolled: 1-line block ×3, first 2 shown]
	ds_write2_b32 v112, v1, v2 offset0:4 offset1:5
	ds_write2_b32 v72, v3, v0 offset0:2 offset1:3
	s_waitcnt lgkmcnt(0)
	s_barrier
	ds_read_b32 v0, v4
	ds_read_b32 v1, v7
	;; [unrolled: 1-line block ×8, first 2 shown]
	s_waitcnt lgkmcnt(7)
	v_add_u32_e32 v83, v0, v5
	s_waitcnt lgkmcnt(6)
	v_add3_u32 v82, v8, v6, v1
	s_waitcnt lgkmcnt(5)
	v_add3_u32 v81, v11, v9, v2
	;; [unrolled: 2-line block ×7, first 2 shown]
	s_cbranch_scc0 .LBB151_69
; %bb.93:
                                        ; implicit-def: $vgpr32_vgpr33
                                        ; implicit-def: $vgpr28_vgpr29
                                        ; implicit-def: $vgpr24_vgpr25
                                        ; implicit-def: $vgpr20_vgpr21
                                        ; implicit-def: $vgpr14_vgpr15
                                        ; implicit-def: $vgpr10_vgpr11
                                        ; implicit-def: $vgpr6_vgpr7
                                        ; implicit-def: $vgpr2_vgpr3
                                        ; implicit-def: $sgpr48_sgpr49
                                        ; implicit-def: $sgpr53
.LBB151_94:
	v_lshlrev_b32_e32 v18, 3, v83
	v_lshlrev_b32_e32 v19, 3, v82
	;; [unrolled: 1-line block ×9, first 2 shown]
	s_barrier
	ds_write_b64 v18, v[64:65]
	ds_write_b64 v19, v[62:63]
	;; [unrolled: 1-line block ×8, first 2 shown]
	s_waitcnt lgkmcnt(0)
	s_barrier
	ds_read2_b64 v[0:3], v26 offset1:1
	ds_read2_b64 v[4:7], v26 offset0:2 offset1:3
	ds_read2_b64 v[8:11], v26 offset0:4 offset1:5
	;; [unrolled: 1-line block ×3, first 2 shown]
	s_waitcnt lgkmcnt(0)
	s_barrier
	ds_write_b64 v18, v[50:51]
	ds_write_b64 v19, v[48:49]
	;; [unrolled: 1-line block ×8, first 2 shown]
	s_waitcnt lgkmcnt(0)
	s_barrier
	ds_read2_b64 v[34:37], v26 offset1:1
	ds_read2_b64 v[38:41], v26 offset0:2 offset1:3
	ds_read2_b64 v[42:45], v26 offset0:4 offset1:5
	;; [unrolled: 1-line block ×3, first 2 shown]
	v_xor_b32_e32 v51, 0x7fffffff, v1
	v_xor_b32_e32 v50, -1, v0
	v_xor_b32_e32 v53, 0x7fffffff, v3
	v_xor_b32_e32 v52, -1, v2
	;; [unrolled: 2-line block ×8, first 2 shown]
.LBB151_95:
	s_waitcnt lgkmcnt(0)
	s_barrier
	ds_write2_b64 v111, v[50:51], v[52:53] offset1:1
	ds_write2_b64 v111, v[54:55], v[56:57] offset0:2 offset1:3
	ds_write2_b64 v111, v[58:59], v[60:61] offset0:4 offset1:5
	;; [unrolled: 1-line block ×3, first 2 shown]
	s_waitcnt lgkmcnt(0)
	s_barrier
	ds_read_b64 v[14:15], v104 offset:2048
	ds_read_b64 v[12:13], v105 offset:4096
	;; [unrolled: 1-line block ×7, first 2 shown]
	v_mov_b32_e32 v67, 0
	v_lshlrev_b64 v[2:3], 3, v[66:67]
	v_mov_b32_e32 v16, s47
	v_add_co_u32_e32 v2, vcc, s33, v2
	v_addc_co_u32_e32 v3, vcc, v16, v3, vcc
	s_and_saveexec_b64 s[4:5], s[0:1]
	s_cbranch_execnz .LBB151_114
; %bb.96:
	s_or_b64 exec, exec, s[4:5]
	s_and_saveexec_b64 s[4:5], s[2:3]
	s_cbranch_execnz .LBB151_115
.LBB151_97:
	s_or_b64 exec, exec, s[4:5]
	s_and_saveexec_b64 s[4:5], s[44:45]
	s_cbranch_execnz .LBB151_116
.LBB151_98:
	s_or_b64 exec, exec, s[4:5]
	s_and_saveexec_b64 s[4:5], s[6:7]
	s_cbranch_execnz .LBB151_117
.LBB151_99:
	s_or_b64 exec, exec, s[4:5]
	s_and_saveexec_b64 s[4:5], s[8:9]
	s_cbranch_execnz .LBB151_118
.LBB151_100:
	s_or_b64 exec, exec, s[4:5]
	s_and_saveexec_b64 s[4:5], s[10:11]
	s_cbranch_execnz .LBB151_119
.LBB151_101:
	s_or_b64 exec, exec, s[4:5]
	s_and_saveexec_b64 s[4:5], s[12:13]
	s_cbranch_execnz .LBB151_120
.LBB151_102:
	s_or_b64 exec, exec, s[4:5]
	s_and_saveexec_b64 s[4:5], s[14:15]
	s_cbranch_execz .LBB151_104
.LBB151_103:
	s_mul_i32 s16, s50, 0x700
	s_mov_b32 s17, 0
	s_lshl_b64 s[16:17], s[16:17], 3
	s_waitcnt lgkmcnt(1)
	v_mov_b32_e32 v4, s17
	v_add_co_u32_e32 v2, vcc, s16, v2
	v_addc_co_u32_e32 v3, vcc, v3, v4, vcc
	s_waitcnt lgkmcnt(0)
	global_store_dwordx2 v[2:3], v[0:1], off
.LBB151_104:
	s_or_b64 exec, exec, s[4:5]
	s_waitcnt lgkmcnt(0)
	s_barrier
	ds_write2_b64 v111, v[34:35], v[36:37] offset1:1
	ds_write2_b64 v111, v[38:39], v[40:41] offset0:2 offset1:3
	ds_write2_b64 v111, v[42:43], v[44:45] offset0:4 offset1:5
	;; [unrolled: 1-line block ×3, first 2 shown]
	s_waitcnt lgkmcnt(0)
	s_barrier
	ds_read_b64 v[14:15], v104 offset:2048
	ds_read_b64 v[12:13], v105 offset:4096
	;; [unrolled: 1-line block ×7, first 2 shown]
	v_mov_b32_e32 v69, 0
	v_lshlrev_b64 v[2:3], 3, v[68:69]
	v_mov_b32_e32 v16, s54
	v_add_co_u32_e32 v2, vcc, s51, v2
	v_addc_co_u32_e32 v3, vcc, v16, v3, vcc
	s_and_saveexec_b64 s[4:5], s[0:1]
	s_cbranch_execnz .LBB151_121
; %bb.105:
	s_or_b64 exec, exec, s[4:5]
	s_and_saveexec_b64 s[0:1], s[2:3]
	s_cbranch_execnz .LBB151_122
.LBB151_106:
	s_or_b64 exec, exec, s[0:1]
	s_and_saveexec_b64 s[0:1], s[44:45]
	s_cbranch_execnz .LBB151_123
.LBB151_107:
	s_or_b64 exec, exec, s[0:1]
	s_and_saveexec_b64 s[0:1], s[6:7]
	s_cbranch_execnz .LBB151_124
.LBB151_108:
	s_or_b64 exec, exec, s[0:1]
	s_and_saveexec_b64 s[0:1], s[8:9]
	s_cbranch_execnz .LBB151_125
.LBB151_109:
	s_or_b64 exec, exec, s[0:1]
	s_and_saveexec_b64 s[0:1], s[10:11]
	s_cbranch_execnz .LBB151_126
.LBB151_110:
	s_or_b64 exec, exec, s[0:1]
	s_and_saveexec_b64 s[0:1], s[12:13]
	s_cbranch_execnz .LBB151_127
.LBB151_111:
	s_or_b64 exec, exec, s[0:1]
	s_and_saveexec_b64 s[0:1], s[14:15]
	s_cbranch_execz .LBB151_113
.LBB151_112:
	s_mul_i32 s0, s46, 0x700
	s_mov_b32 s1, 0
	s_lshl_b64 s[0:1], s[0:1], 3
	s_waitcnt lgkmcnt(1)
	v_mov_b32_e32 v4, s1
	v_add_co_u32_e32 v2, vcc, s0, v2
	v_addc_co_u32_e32 v3, vcc, v3, v4, vcc
	s_waitcnt lgkmcnt(0)
	global_store_dwordx2 v[2:3], v[0:1], off
.LBB151_113:
	s_endpgm
.LBB151_114:
	ds_read_b64 v[16:17], v71
	s_waitcnt lgkmcnt(0)
	global_store_dwordx2 v[2:3], v[16:17], off
	s_or_b64 exec, exec, s[4:5]
	s_and_saveexec_b64 s[4:5], s[2:3]
	s_cbranch_execz .LBB151_97
.LBB151_115:
	s_lshl_b32 s16, s50, 8
	s_mov_b32 s17, 0
	s_lshl_b64 s[16:17], s[16:17], 3
	v_mov_b32_e32 v17, s17
	v_add_co_u32_e32 v16, vcc, s16, v2
	v_addc_co_u32_e32 v17, vcc, v3, v17, vcc
	s_waitcnt lgkmcnt(6)
	global_store_dwordx2 v[16:17], v[14:15], off
	s_or_b64 exec, exec, s[4:5]
	s_and_saveexec_b64 s[4:5], s[44:45]
	s_cbranch_execz .LBB151_98
.LBB151_116:
	s_lshl_b32 s16, s50, 9
	s_mov_b32 s17, 0
	s_lshl_b64 s[16:17], s[16:17], 3
	s_waitcnt lgkmcnt(6)
	v_mov_b32_e32 v15, s17
	v_add_co_u32_e32 v14, vcc, s16, v2
	v_addc_co_u32_e32 v15, vcc, v3, v15, vcc
	s_waitcnt lgkmcnt(5)
	global_store_dwordx2 v[14:15], v[12:13], off
	s_or_b64 exec, exec, s[4:5]
	s_and_saveexec_b64 s[4:5], s[6:7]
	s_cbranch_execz .LBB151_99
.LBB151_117:
	s_mul_i32 s16, s50, 0x300
	s_mov_b32 s17, 0
	s_lshl_b64 s[16:17], s[16:17], 3
	s_waitcnt lgkmcnt(5)
	v_mov_b32_e32 v13, s17
	v_add_co_u32_e32 v12, vcc, s16, v2
	v_addc_co_u32_e32 v13, vcc, v3, v13, vcc
	s_waitcnt lgkmcnt(4)
	global_store_dwordx2 v[12:13], v[10:11], off
	s_or_b64 exec, exec, s[4:5]
	s_and_saveexec_b64 s[4:5], s[8:9]
	s_cbranch_execz .LBB151_100
.LBB151_118:
	s_lshl_b32 s16, s50, 10
	s_mov_b32 s17, 0
	s_lshl_b64 s[16:17], s[16:17], 3
	s_waitcnt lgkmcnt(4)
	v_mov_b32_e32 v11, s17
	v_add_co_u32_e32 v10, vcc, s16, v2
	v_addc_co_u32_e32 v11, vcc, v3, v11, vcc
	s_waitcnt lgkmcnt(3)
	global_store_dwordx2 v[10:11], v[8:9], off
	s_or_b64 exec, exec, s[4:5]
	s_and_saveexec_b64 s[4:5], s[10:11]
	s_cbranch_execz .LBB151_101
.LBB151_119:
	s_mul_i32 s16, s50, 0x500
	s_mov_b32 s17, 0
	s_lshl_b64 s[16:17], s[16:17], 3
	s_waitcnt lgkmcnt(3)
	v_mov_b32_e32 v9, s17
	v_add_co_u32_e32 v8, vcc, s16, v2
	v_addc_co_u32_e32 v9, vcc, v3, v9, vcc
	s_waitcnt lgkmcnt(2)
	global_store_dwordx2 v[8:9], v[6:7], off
	s_or_b64 exec, exec, s[4:5]
	s_and_saveexec_b64 s[4:5], s[12:13]
	s_cbranch_execz .LBB151_102
.LBB151_120:
	s_mul_i32 s16, s50, 0x600
	s_mov_b32 s17, 0
	s_lshl_b64 s[16:17], s[16:17], 3
	s_waitcnt lgkmcnt(2)
	v_mov_b32_e32 v7, s17
	v_add_co_u32_e32 v6, vcc, s16, v2
	v_addc_co_u32_e32 v7, vcc, v3, v7, vcc
	s_waitcnt lgkmcnt(1)
	global_store_dwordx2 v[6:7], v[4:5], off
	s_or_b64 exec, exec, s[4:5]
	s_and_saveexec_b64 s[4:5], s[14:15]
	s_cbranch_execnz .LBB151_103
	s_branch .LBB151_104
.LBB151_121:
	ds_read_b64 v[16:17], v71
	s_waitcnt lgkmcnt(0)
	global_store_dwordx2 v[2:3], v[16:17], off
	s_or_b64 exec, exec, s[4:5]
	s_and_saveexec_b64 s[0:1], s[2:3]
	s_cbranch_execz .LBB151_106
.LBB151_122:
	s_lshl_b32 s2, s46, 8
	s_mov_b32 s3, 0
	s_lshl_b64 s[2:3], s[2:3], 3
	v_mov_b32_e32 v17, s3
	v_add_co_u32_e32 v16, vcc, s2, v2
	v_addc_co_u32_e32 v17, vcc, v3, v17, vcc
	s_waitcnt lgkmcnt(6)
	global_store_dwordx2 v[16:17], v[14:15], off
	s_or_b64 exec, exec, s[0:1]
	s_and_saveexec_b64 s[0:1], s[44:45]
	s_cbranch_execz .LBB151_107
.LBB151_123:
	s_lshl_b32 s2, s46, 9
	s_mov_b32 s3, 0
	s_lshl_b64 s[2:3], s[2:3], 3
	s_waitcnt lgkmcnt(6)
	v_mov_b32_e32 v15, s3
	v_add_co_u32_e32 v14, vcc, s2, v2
	v_addc_co_u32_e32 v15, vcc, v3, v15, vcc
	s_waitcnt lgkmcnt(5)
	global_store_dwordx2 v[14:15], v[12:13], off
	s_or_b64 exec, exec, s[0:1]
	s_and_saveexec_b64 s[0:1], s[6:7]
	s_cbranch_execz .LBB151_108
.LBB151_124:
	s_mul_i32 s2, s46, 0x300
	s_mov_b32 s3, 0
	s_lshl_b64 s[2:3], s[2:3], 3
	s_waitcnt lgkmcnt(5)
	v_mov_b32_e32 v13, s3
	v_add_co_u32_e32 v12, vcc, s2, v2
	v_addc_co_u32_e32 v13, vcc, v3, v13, vcc
	s_waitcnt lgkmcnt(4)
	global_store_dwordx2 v[12:13], v[10:11], off
	s_or_b64 exec, exec, s[0:1]
	s_and_saveexec_b64 s[0:1], s[8:9]
	s_cbranch_execz .LBB151_109
.LBB151_125:
	s_lshl_b32 s2, s46, 10
	s_mov_b32 s3, 0
	s_lshl_b64 s[2:3], s[2:3], 3
	s_waitcnt lgkmcnt(4)
	v_mov_b32_e32 v11, s3
	v_add_co_u32_e32 v10, vcc, s2, v2
	v_addc_co_u32_e32 v11, vcc, v3, v11, vcc
	s_waitcnt lgkmcnt(3)
	global_store_dwordx2 v[10:11], v[8:9], off
	s_or_b64 exec, exec, s[0:1]
	s_and_saveexec_b64 s[0:1], s[10:11]
	s_cbranch_execz .LBB151_110
.LBB151_126:
	s_mul_i32 s2, s46, 0x500
	s_mov_b32 s3, 0
	s_lshl_b64 s[2:3], s[2:3], 3
	s_waitcnt lgkmcnt(3)
	v_mov_b32_e32 v9, s3
	v_add_co_u32_e32 v8, vcc, s2, v2
	v_addc_co_u32_e32 v9, vcc, v3, v9, vcc
	s_waitcnt lgkmcnt(2)
	global_store_dwordx2 v[8:9], v[6:7], off
	s_or_b64 exec, exec, s[0:1]
	s_and_saveexec_b64 s[0:1], s[12:13]
	s_cbranch_execz .LBB151_111
.LBB151_127:
	s_mul_i32 s2, s46, 0x600
	s_mov_b32 s3, 0
	s_lshl_b64 s[2:3], s[2:3], 3
	s_waitcnt lgkmcnt(2)
	v_mov_b32_e32 v7, s3
	v_add_co_u32_e32 v6, vcc, s2, v2
	v_addc_co_u32_e32 v7, vcc, v3, v7, vcc
	s_waitcnt lgkmcnt(1)
	global_store_dwordx2 v[6:7], v[4:5], off
	s_or_b64 exec, exec, s[0:1]
	s_and_saveexec_b64 s[0:1], s[14:15]
	s_cbranch_execnz .LBB151_112
	s_branch .LBB151_113
	.section	.rodata,"a",@progbits
	.p2align	6, 0x0
	.amdhsa_kernel _ZN2at6native18radixSortKVInPlaceILin1ELin1ELi256ELi8ElljEEvNS_4cuda6detail10TensorInfoIT3_T5_EES6_S6_S6_NS4_IT4_S6_EES6_b
		.amdhsa_group_segment_fixed_size 16896
		.amdhsa_private_segment_fixed_size 0
		.amdhsa_kernarg_size 712
		.amdhsa_user_sgpr_count 6
		.amdhsa_user_sgpr_private_segment_buffer 1
		.amdhsa_user_sgpr_dispatch_ptr 0
		.amdhsa_user_sgpr_queue_ptr 0
		.amdhsa_user_sgpr_kernarg_segment_ptr 1
		.amdhsa_user_sgpr_dispatch_id 0
		.amdhsa_user_sgpr_flat_scratch_init 0
		.amdhsa_user_sgpr_kernarg_preload_length 0
		.amdhsa_user_sgpr_kernarg_preload_offset 0
		.amdhsa_user_sgpr_private_segment_size 0
		.amdhsa_uses_dynamic_stack 0
		.amdhsa_system_sgpr_private_segment_wavefront_offset 0
		.amdhsa_system_sgpr_workgroup_id_x 1
		.amdhsa_system_sgpr_workgroup_id_y 1
		.amdhsa_system_sgpr_workgroup_id_z 1
		.amdhsa_system_sgpr_workgroup_info 0
		.amdhsa_system_vgpr_workitem_id 2
		.amdhsa_next_free_vgpr 139
		.amdhsa_next_free_sgpr 60
		.amdhsa_accum_offset 140
		.amdhsa_reserve_vcc 1
		.amdhsa_reserve_flat_scratch 0
		.amdhsa_float_round_mode_32 0
		.amdhsa_float_round_mode_16_64 0
		.amdhsa_float_denorm_mode_32 3
		.amdhsa_float_denorm_mode_16_64 3
		.amdhsa_dx10_clamp 1
		.amdhsa_ieee_mode 1
		.amdhsa_fp16_overflow 0
		.amdhsa_tg_split 0
		.amdhsa_exception_fp_ieee_invalid_op 0
		.amdhsa_exception_fp_denorm_src 0
		.amdhsa_exception_fp_ieee_div_zero 0
		.amdhsa_exception_fp_ieee_overflow 0
		.amdhsa_exception_fp_ieee_underflow 0
		.amdhsa_exception_fp_ieee_inexact 0
		.amdhsa_exception_int_div_zero 0
	.end_amdhsa_kernel
	.section	.text._ZN2at6native18radixSortKVInPlaceILin1ELin1ELi256ELi8ElljEEvNS_4cuda6detail10TensorInfoIT3_T5_EES6_S6_S6_NS4_IT4_S6_EES6_b,"axG",@progbits,_ZN2at6native18radixSortKVInPlaceILin1ELin1ELi256ELi8ElljEEvNS_4cuda6detail10TensorInfoIT3_T5_EES6_S6_S6_NS4_IT4_S6_EES6_b,comdat
.Lfunc_end151:
	.size	_ZN2at6native18radixSortKVInPlaceILin1ELin1ELi256ELi8ElljEEvNS_4cuda6detail10TensorInfoIT3_T5_EES6_S6_S6_NS4_IT4_S6_EES6_b, .Lfunc_end151-_ZN2at6native18radixSortKVInPlaceILin1ELin1ELi256ELi8ElljEEvNS_4cuda6detail10TensorInfoIT3_T5_EES6_S6_S6_NS4_IT4_S6_EES6_b
                                        ; -- End function
	.section	.AMDGPU.csdata,"",@progbits
; Kernel info:
; codeLenInByte = 13264
; NumSgprs: 64
; NumVgprs: 139
; NumAgprs: 0
; TotalNumVgprs: 139
; ScratchSize: 0
; MemoryBound: 0
; FloatMode: 240
; IeeeMode: 1
; LDSByteSize: 16896 bytes/workgroup (compile time only)
; SGPRBlocks: 7
; VGPRBlocks: 17
; NumSGPRsForWavesPerEU: 64
; NumVGPRsForWavesPerEU: 139
; AccumOffset: 140
; Occupancy: 3
; WaveLimiterHint : 1
; COMPUTE_PGM_RSRC2:SCRATCH_EN: 0
; COMPUTE_PGM_RSRC2:USER_SGPR: 6
; COMPUTE_PGM_RSRC2:TRAP_HANDLER: 0
; COMPUTE_PGM_RSRC2:TGID_X_EN: 1
; COMPUTE_PGM_RSRC2:TGID_Y_EN: 1
; COMPUTE_PGM_RSRC2:TGID_Z_EN: 1
; COMPUTE_PGM_RSRC2:TIDIG_COMP_CNT: 2
; COMPUTE_PGM_RSRC3_GFX90A:ACCUM_OFFSET: 34
; COMPUTE_PGM_RSRC3_GFX90A:TG_SPLIT: 0
	.section	.text._ZN2at6native18radixSortKVInPlaceILin1ELin1ELi128ELi8ElljEEvNS_4cuda6detail10TensorInfoIT3_T5_EES6_S6_S6_NS4_IT4_S6_EES6_b,"axG",@progbits,_ZN2at6native18radixSortKVInPlaceILin1ELin1ELi128ELi8ElljEEvNS_4cuda6detail10TensorInfoIT3_T5_EES6_S6_S6_NS4_IT4_S6_EES6_b,comdat
	.protected	_ZN2at6native18radixSortKVInPlaceILin1ELin1ELi128ELi8ElljEEvNS_4cuda6detail10TensorInfoIT3_T5_EES6_S6_S6_NS4_IT4_S6_EES6_b ; -- Begin function _ZN2at6native18radixSortKVInPlaceILin1ELin1ELi128ELi8ElljEEvNS_4cuda6detail10TensorInfoIT3_T5_EES6_S6_S6_NS4_IT4_S6_EES6_b
	.globl	_ZN2at6native18radixSortKVInPlaceILin1ELin1ELi128ELi8ElljEEvNS_4cuda6detail10TensorInfoIT3_T5_EES6_S6_S6_NS4_IT4_S6_EES6_b
	.p2align	8
	.type	_ZN2at6native18radixSortKVInPlaceILin1ELin1ELi128ELi8ElljEEvNS_4cuda6detail10TensorInfoIT3_T5_EES6_S6_S6_NS4_IT4_S6_EES6_b,@function
_ZN2at6native18radixSortKVInPlaceILin1ELin1ELi128ELi8ElljEEvNS_4cuda6detail10TensorInfoIT3_T5_EES6_S6_S6_NS4_IT4_S6_EES6_b: ; @_ZN2at6native18radixSortKVInPlaceILin1ELin1ELi128ELi8ElljEEvNS_4cuda6detail10TensorInfoIT3_T5_EES6_S6_S6_NS4_IT4_S6_EES6_b
; %bb.0:
	s_load_dwordx2 s[0:1], s[4:5], 0x1c8
	s_load_dwordx4 s[44:47], s[4:5], 0xd8
	s_add_u32 s50, s4, 0x1c8
	s_addc_u32 s51, s5, 0
	s_waitcnt lgkmcnt(0)
	s_mul_i32 s1, s1, s8
	s_add_i32 s1, s1, s7
	s_mul_i32 s0, s1, s0
	s_add_i32 s26, s0, s6
	s_cmp_ge_u32 s26, s44
	s_cbranch_scc1 .LBB152_113
; %bb.1:
	s_load_dword s2, s[4:5], 0xd0
	s_mov_b32 s1, 0
	s_mov_b32 s0, s26
	s_waitcnt lgkmcnt(0)
	s_cmp_lt_i32 s2, 2
	s_cbranch_scc1 .LBB152_4
; %bb.2:
	s_add_i32 s0, s2, -1
	s_add_i32 s6, s2, 1
	s_lshl_b64 s[2:3], s[0:1], 2
	s_add_u32 s0, s2, s4
	s_addc_u32 s3, s3, s5
	s_add_u32 s2, s0, 8
	s_addc_u32 s3, s3, 0
	s_mov_b32 s0, s26
.LBB152_3:                              ; =>This Inner Loop Header: Depth=1
	s_load_dword s7, s[2:3], 0x0
	s_load_dword s9, s[2:3], 0x64
	s_mov_b32 s8, s0
	s_waitcnt lgkmcnt(0)
	v_cvt_f32_u32_e32 v1, s7
	s_sub_i32 s0, 0, s7
	v_rcp_iflag_f32_e32 v1, v1
	v_mul_f32_e32 v1, 0x4f7ffffe, v1
	v_cvt_u32_f32_e32 v1, v1
	v_readfirstlane_b32 s10, v1
	s_mul_i32 s0, s0, s10
	s_mul_hi_u32 s0, s10, s0
	s_add_i32 s10, s10, s0
	s_mul_hi_u32 s0, s8, s10
	s_mul_i32 s10, s0, s7
	s_sub_i32 s10, s8, s10
	s_add_i32 s11, s0, 1
	s_sub_i32 s12, s10, s7
	s_cmp_ge_u32 s10, s7
	s_cselect_b32 s0, s11, s0
	s_cselect_b32 s10, s12, s10
	s_add_i32 s11, s0, 1
	s_cmp_ge_u32 s10, s7
	s_cselect_b32 s0, s11, s0
	s_mul_i32 s7, s0, s7
	s_sub_i32 s7, s8, s7
	s_mul_i32 s7, s9, s7
	s_add_i32 s6, s6, -1
	s_add_i32 s1, s7, s1
	s_add_u32 s2, s2, -4
	s_addc_u32 s3, s3, -1
	s_cmp_gt_u32 s6, 2
	s_cbranch_scc1 .LBB152_3
.LBB152_4:
	s_load_dword s2, s[4:5], 0x1b8
	s_mov_b32 s25, 0
	s_waitcnt lgkmcnt(0)
	s_cmp_lt_i32 s2, 2
	s_cbranch_scc1 .LBB152_7
; %bb.5:
	s_add_i32 s24, s2, -1
	s_add_i32 s6, s2, 1
	s_lshl_b64 s[2:3], s[24:25], 2
	s_add_u32 s2, s2, s4
	s_addc_u32 s3, s3, s5
	s_add_u32 s2, s2, 0xf0
	s_addc_u32 s3, s3, 0
.LBB152_6:                              ; =>This Inner Loop Header: Depth=1
	s_load_dword s7, s[2:3], 0x0
	s_load_dword s9, s[2:3], 0x64
	s_mov_b32 s8, s26
	s_waitcnt lgkmcnt(0)
	v_cvt_f32_u32_e32 v1, s7
	s_sub_i32 s10, 0, s7
	v_rcp_iflag_f32_e32 v1, v1
	v_mul_f32_e32 v1, 0x4f7ffffe, v1
	v_cvt_u32_f32_e32 v1, v1
	v_readfirstlane_b32 s11, v1
	s_mul_i32 s10, s10, s11
	s_mul_hi_u32 s10, s11, s10
	s_add_i32 s11, s11, s10
	s_mul_hi_u32 s10, s26, s11
	s_mul_i32 s11, s10, s7
	s_sub_i32 s11, s26, s11
	s_add_i32 s12, s10, 1
	s_sub_i32 s13, s11, s7
	s_cmp_ge_u32 s11, s7
	s_cselect_b32 s10, s12, s10
	s_cselect_b32 s11, s13, s11
	s_add_i32 s12, s10, 1
	s_cmp_ge_u32 s11, s7
	s_cselect_b32 s26, s12, s10
	s_mul_i32 s7, s26, s7
	s_sub_i32 s7, s8, s7
	s_mul_i32 s7, s9, s7
	s_add_i32 s6, s6, -1
	s_add_i32 s25, s7, s25
	s_add_u32 s2, s2, -4
	s_addc_u32 s3, s3, -1
	s_cmp_gt_u32 s6, 2
	s_cbranch_scc1 .LBB152_6
.LBB152_7:
	s_load_dword s2, s[4:5], 0x6c
	s_load_dwordx2 s[48:49], s[4:5], 0x1c0
	s_load_dwordx2 s[6:7], s[4:5], 0x0
	s_mov_b32 s3, 0
	v_and_b32_e32 v70, 0x3ff, v0
	s_waitcnt lgkmcnt(0)
	s_mul_i32 s0, s2, s0
	s_add_i32 s2, s0, s1
	s_bitcmp1_b32 s49, 0
	s_cselect_b64 s[34:35], -1, 0
	s_and_b64 s[0:1], s[34:35], exec
	s_brev_b32 s0, 1
	s_cselect_b32 s8, 0, -1
	s_cselect_b32 s9, s0, 0x7fffffff
	s_lshl_b64 s[0:1], s[2:3], 3
	s_add_u32 s33, s6, s0
	s_mov_b32 s10, s8
	s_mov_b32 s11, s9
	s_mov_b32 s12, s8
	s_mov_b32 s13, s9
	s_mov_b32 s14, s8
	s_mov_b32 s15, s9
	s_mov_b32 s16, s8
	s_mov_b32 s17, s9
	s_mov_b32 s18, s8
	s_mov_b32 s19, s9
	s_mov_b32 s20, s8
	s_mov_b32 s21, s9
	s_mov_b32 s22, s8
	s_mov_b32 s23, s9
	v_pk_mov_b32 v[2:3], s[8:9], s[8:9] op_sel:[0,1]
	s_addc_u32 s47, s7, s1
	v_cmp_gt_u32_e64 s[0:1], s45, v70
	v_pk_mov_b32 v[4:5], s[10:11], s[10:11] op_sel:[0,1]
	v_pk_mov_b32 v[6:7], s[12:13], s[12:13] op_sel:[0,1]
	;; [unrolled: 1-line block ×8, first 2 shown]
	v_mul_lo_u32 v66, v70, s46
	s_and_saveexec_b64 s[2:3], s[0:1]
	s_cbranch_execz .LBB152_9
; %bb.8:
	v_mov_b32_e32 v67, 0
	v_lshlrev_b64 v[2:3], 3, v[66:67]
	v_mov_b32_e32 v1, s47
	v_add_co_u32_e32 v2, vcc, s33, v2
	v_addc_co_u32_e32 v3, vcc, v1, v3, vcc
	global_load_dwordx2 v[18:19], v[2:3], off
	v_pk_mov_b32 v[2:3], s[8:9], s[8:9] op_sel:[0,1]
	v_pk_mov_b32 v[4:5], s[10:11], s[10:11] op_sel:[0,1]
	;; [unrolled: 1-line block ×8, first 2 shown]
.LBB152_9:
	s_or_b64 exec, exec, s[2:3]
	v_add_u32_e32 v1, 0x80, v70
	v_cmp_gt_u32_e64 s[2:3], s45, v1
	s_and_saveexec_b64 s[6:7], s[2:3]
	s_cbranch_execz .LBB152_11
; %bb.10:
	v_mul_lo_u32 v2, v1, s46
	v_mov_b32_e32 v3, 0
	v_lshlrev_b64 v[2:3], 3, v[2:3]
	v_mov_b32_e32 v4, s47
	v_add_co_u32_e32 v2, vcc, s33, v2
	v_addc_co_u32_e32 v3, vcc, v4, v3, vcc
	global_load_dwordx2 v[4:5], v[2:3], off
.LBB152_11:
	s_or_b64 exec, exec, s[6:7]
	v_add_u32_e32 v34, 0x100, v70
	v_cmp_gt_u32_e64 s[42:43], s45, v34
	s_and_saveexec_b64 s[6:7], s[42:43]
	s_cbranch_execz .LBB152_13
; %bb.12:
	v_mul_lo_u32 v2, v34, s46
	v_mov_b32_e32 v3, 0
	v_lshlrev_b64 v[2:3], 3, v[2:3]
	v_mov_b32_e32 v6, s47
	v_add_co_u32_e32 v2, vcc, s33, v2
	v_addc_co_u32_e32 v3, vcc, v6, v3, vcc
	global_load_dwordx2 v[6:7], v[2:3], off
.LBB152_13:
	;; [unrolled: 14-line block ×5, first 2 shown]
	s_or_b64 exec, exec, s[12:13]
	s_load_dwordx2 s[18:19], s[4:5], 0xe8
	v_add_u32_e32 v38, 0x300, v70
	v_cmp_gt_u32_e64 s[12:13], s45, v38
	s_and_saveexec_b64 s[14:15], s[12:13]
	s_cbranch_execz .LBB152_21
; %bb.20:
	v_mul_lo_u32 v2, v38, s46
	v_mov_b32_e32 v3, 0
	v_lshlrev_b64 v[2:3], 3, v[2:3]
	v_mov_b32_e32 v14, s47
	v_add_co_u32_e32 v2, vcc, s33, v2
	v_addc_co_u32_e32 v3, vcc, v14, v3, vcc
	global_load_dwordx2 v[14:15], v[2:3], off
.LBB152_21:
	s_or_b64 exec, exec, s[14:15]
	s_load_dword s16, s[4:5], 0x154
	v_add_u32_e32 v39, 0x380, v70
	v_cmp_gt_u32_e64 s[14:15], s45, v39
	s_and_saveexec_b64 s[4:5], s[14:15]
	s_cbranch_execz .LBB152_23
; %bb.22:
	v_mul_lo_u32 v2, v39, s46
	v_mov_b32_e32 v3, 0
	v_lshlrev_b64 v[2:3], 3, v[2:3]
	v_mov_b32_e32 v16, s47
	v_add_co_u32_e32 v2, vcc, s33, v2
	v_addc_co_u32_e32 v3, vcc, v16, v3, vcc
	global_load_dwordx2 v[16:17], v[2:3], off
.LBB152_23:
	s_or_b64 exec, exec, s[4:5]
	v_lshrrev_b32_e32 v2, 5, v70
	v_add_lshl_u32 v71, v2, v70, 3
	v_lshrrev_b32_e32 v2, 5, v1
	v_add_lshl_u32 v104, v2, v70, 3
	;; [unrolled: 2-line block ×8, first 2 shown]
	v_lshlrev_b32_e32 v67, 3, v70
	v_lshrrev_b32_e32 v2, 2, v70
	v_add_lshl_u32 v111, v2, v67, 3
	s_waitcnt vmcnt(0)
	ds_write_b64 v71, v[18:19]
	ds_write_b64 v104, v[4:5] offset:1024
	ds_write_b64 v105, v[6:7] offset:2048
	;; [unrolled: 1-line block ×7, first 2 shown]
	s_waitcnt lgkmcnt(0)
	s_barrier
	ds_read2_b64 v[30:33], v111 offset1:1
	ds_read2_b64 v[26:29], v111 offset0:2 offset1:3
	ds_read2_b64 v[22:25], v111 offset0:4 offset1:5
	;; [unrolled: 1-line block ×3, first 2 shown]
	s_mul_i32 s4, s16, s26
	s_add_i32 s16, s4, s25
	s_mov_b32 s17, 0
	s_lshl_b64 s[4:5], s[16:17], 3
	s_add_u32 s49, s18, s4
	s_mov_b32 s16, s17
	s_addc_u32 s52, s19, s5
	s_mov_b32 s18, s17
	s_mov_b32 s19, s17
	;; [unrolled: 1-line block ×14, first 2 shown]
	v_pk_mov_b32 v[2:3], s[16:17], s[16:17] op_sel:[0,1]
	v_pk_mov_b32 v[4:5], s[18:19], s[18:19] op_sel:[0,1]
	v_pk_mov_b32 v[6:7], s[20:21], s[20:21] op_sel:[0,1]
	v_pk_mov_b32 v[8:9], s[22:23], s[22:23] op_sel:[0,1]
	v_pk_mov_b32 v[10:11], s[24:25], s[24:25] op_sel:[0,1]
	v_pk_mov_b32 v[12:13], s[26:27], s[26:27] op_sel:[0,1]
	v_pk_mov_b32 v[14:15], s[28:29], s[28:29] op_sel:[0,1]
	v_pk_mov_b32 v[16:17], s[30:31], s[30:31] op_sel:[0,1]
	v_pk_mov_b32 v[2:3], 0, 0
	v_mul_lo_u32 v68, v70, s48
	s_waitcnt lgkmcnt(0)
	s_barrier
	s_and_saveexec_b64 s[4:5], s[0:1]
	s_cbranch_execnz .LBB152_60
; %bb.24:
	s_or_b64 exec, exec, s[4:5]
	s_and_saveexec_b64 s[4:5], s[2:3]
	s_cbranch_execnz .LBB152_61
.LBB152_25:
	s_or_b64 exec, exec, s[4:5]
	s_and_saveexec_b64 s[4:5], s[42:43]
	s_cbranch_execnz .LBB152_62
.LBB152_26:
	s_or_b64 exec, exec, s[4:5]
	s_and_saveexec_b64 s[4:5], s[6:7]
	s_cbranch_execnz .LBB152_63
.LBB152_27:
	s_or_b64 exec, exec, s[4:5]
	s_and_saveexec_b64 s[4:5], s[8:9]
	s_cbranch_execnz .LBB152_64
.LBB152_28:
	s_or_b64 exec, exec, s[4:5]
	s_and_saveexec_b64 s[4:5], s[10:11]
	s_cbranch_execnz .LBB152_65
.LBB152_29:
	s_or_b64 exec, exec, s[4:5]
	s_and_saveexec_b64 s[4:5], s[12:13]
	s_cbranch_execnz .LBB152_66
.LBB152_30:
	s_or_b64 exec, exec, s[4:5]
	s_xor_b64 s[4:5], s[34:35], -1
	s_and_saveexec_b64 s[16:17], s[14:15]
	s_cbranch_execz .LBB152_32
.LBB152_31:
	v_mul_lo_u32 v16, v39, s48
	v_mov_b32_e32 v17, 0
	v_lshlrev_b64 v[16:17], 3, v[16:17]
	v_mov_b32_e32 v1, s52
	v_add_co_u32_e32 v16, vcc, s49, v16
	v_addc_co_u32_e32 v17, vcc, v1, v17, vcc
	global_load_dwordx2 v[16:17], v[16:17], off
.LBB152_32:
	s_or_b64 exec, exec, s[16:17]
	s_waitcnt vmcnt(0)
	ds_write_b64 v71, v[2:3]
	ds_write_b64 v104, v[4:5] offset:1024
	ds_write_b64 v105, v[6:7] offset:2048
	ds_write_b64 v106, v[8:9] offset:3072
	ds_write_b64 v107, v[10:11] offset:4096
	ds_write_b64 v108, v[12:13] offset:5120
	ds_write_b64 v109, v[14:15] offset:6144
	ds_write_b64 v110, v[16:17] offset:7168
	s_waitcnt lgkmcnt(0)
	s_barrier
	ds_read2_b64 v[14:17], v111 offset1:1
	ds_read2_b64 v[10:13], v111 offset0:2 offset1:3
	ds_read2_b64 v[6:9], v111 offset0:4 offset1:5
	;; [unrolled: 1-line block ×3, first 2 shown]
	v_mbcnt_lo_u32_b32 v1, -1, 0
	v_mbcnt_hi_u32_b32 v113, -1, v1
	v_and_b32_e32 v34, 0x1e00, v67
	v_and_b32_e32 v1, 0x3c0, v70
	v_or_b32_e32 v35, v113, v34
	v_add_lshl_u32 v125, v113, v1, 6
	v_lshlrev_b32_e32 v124, 3, v35
	s_and_b64 vcc, exec, s[4:5]
	v_bfe_u32 v122, v0, 10, 10
	v_bfe_u32 v123, v0, 20, 10
	v_lshlrev_b32_e32 v69, 2, v70
	v_lshlrev_b32_e32 v112, 4, v70
	v_and_b32_e32 v120, 15, v113
	v_and_b32_e32 v121, 16, v113
	v_cmp_lt_u32_e64 s[16:17], 31, v113
	v_min_u32_e32 v118, 64, v1
	v_cmp_gt_u32_e64 s[18:19], 2, v70
	v_cmp_lt_u32_e64 s[20:21], 63, v70
	v_add_u32_e32 v115, -1, v113
	v_and_b32_e32 v119, 64, v113
	v_cmp_eq_u32_e64 s[22:23], 0, v113
	v_cmp_eq_u32_e64 s[24:25], 0, v70
	v_lshrrev_b32_e32 v116, 4, v70
	v_and_b32_e32 v117, 1, v113
	v_and_or_b32 v114, v113, 63, v34
	s_waitcnt lgkmcnt(0)
	s_barrier
	s_cbranch_vccz .LBB152_67
; %bb.33:
	v_xor_b32_e32 v1, 0x80000000, v31
	v_xor_b32_e32 v35, 0x80000000, v33
	;; [unrolled: 1-line block ×8, first 2 shown]
	v_mov_b32_e32 v0, v30
	v_mov_b32_e32 v34, v32
	v_mov_b32_e32 v36, v26
	v_mov_b32_e32 v38, v28
	v_mov_b32_e32 v40, v22
	v_mov_b32_e32 v42, v24
	v_mov_b32_e32 v44, v18
	v_mov_b32_e32 v46, v20
	ds_write2_b64 v125, v[0:1], v[34:35] offset1:1
	ds_write2_b64 v125, v[36:37], v[38:39] offset0:2 offset1:3
	ds_write2_b64 v125, v[40:41], v[42:43] offset0:4 offset1:5
	;; [unrolled: 1-line block ×3, first 2 shown]
	; wave barrier
	ds_read2st64_b64 v[34:37], v124 offset1:1
	ds_read2st64_b64 v[38:41], v124 offset0:2 offset1:3
	ds_read2st64_b64 v[42:45], v124 offset0:4 offset1:5
	;; [unrolled: 1-line block ×3, first 2 shown]
	; wave barrier
	ds_write2_b64 v125, v[14:15], v[16:17] offset1:1
	ds_write2_b64 v125, v[10:11], v[12:13] offset0:2 offset1:3
	ds_write2_b64 v125, v[6:7], v[8:9] offset0:4 offset1:5
	;; [unrolled: 1-line block ×3, first 2 shown]
	; wave barrier
	ds_read2st64_b64 v[50:53], v124 offset1:1
	ds_read2st64_b64 v[54:57], v124 offset0:2 offset1:3
	ds_read2st64_b64 v[58:61], v124 offset0:4 offset1:5
	ds_read2st64_b64 v[62:65], v124 offset0:6 offset1:7
	s_waitcnt lgkmcnt(0)
	s_barrier
	s_load_dword s26, s[50:51], 0xc
	s_getpc_b64 s[4:5]
	s_add_u32 s4, s4, _ZN7rocprim17ROCPRIM_400000_NS16block_radix_sortIlLj128ELj8ElLj1ELj1ELj0ELNS0_26block_radix_rank_algorithmE1ELNS0_18block_padding_hintE2ELNS0_4arch9wavefront6targetE1EE19radix_bits_per_passE@rel32@lo+4
	s_addc_u32 s5, s5, _ZN7rocprim17ROCPRIM_400000_NS16block_radix_sortIlLj128ELj8ElLj1ELj1ELj0ELNS0_26block_radix_rank_algorithmE1ELNS0_18block_padding_hintE2ELNS0_4arch9wavefront6targetE1EE19radix_bits_per_passE@rel32@hi+12
	s_load_dword s53, s[4:5], 0x0
	v_cmp_lt_i32_e32 vcc, v115, v119
	v_and_b32_e32 v129, 60, v116
	s_waitcnt lgkmcnt(0)
	s_lshr_b32 s4, s26, 16
	s_and_b32 s5, s26, 0xffff
	v_mad_u32_u24 v0, v123, s4, v122
	v_mad_u64_u32 v[0:1], s[4:5], v0, s5, v[70:71]
	v_lshrrev_b32_e32 v127, 6, v0
	v_or_b32_e32 v0, 63, v118
	v_cmp_eq_u32_e64 s[38:39], v0, v70
	v_cndmask_b32_e32 v0, v115, v113, vcc
	v_or_b32_e32 v126, 8, v112
	v_cmp_eq_u32_e64 s[26:27], 0, v120
	v_cmp_lt_u32_e64 s[28:29], 1, v120
	v_cmp_lt_u32_e64 s[30:31], 3, v120
	;; [unrolled: 1-line block ×3, first 2 shown]
	v_cmp_eq_u32_e64 s[36:37], 0, v121
	s_mov_b32 s54, 64
	v_lshlrev_b32_e32 v128, 2, v0
	v_cmp_eq_u32_e64 s[40:41], 0, v117
	v_add_u32_e32 v130, -4, v129
	v_lshlrev_b32_e32 v131, 3, v114
	s_mov_b64 s[44:45], 0
	v_mov_b32_e32 v86, 0
	s_branch .LBB152_35
.LBB152_34:                             ;   in Loop: Header=BB152_35 Depth=1
	v_lshlrev_b32_e32 v50, 3, v138
	v_lshlrev_b32_e32 v51, 3, v137
	;; [unrolled: 1-line block ×8, first 2 shown]
	s_barrier
	ds_write_b64 v50, v[102:103]
	ds_write_b64 v51, v[100:101]
	;; [unrolled: 1-line block ×8, first 2 shown]
	s_waitcnt lgkmcnt(0)
	s_barrier
	ds_read2st64_b64 v[34:37], v131 offset1:1
	ds_read2st64_b64 v[38:41], v131 offset0:2 offset1:3
	ds_read2st64_b64 v[42:45], v131 offset0:4 offset1:5
	;; [unrolled: 1-line block ×3, first 2 shown]
	s_waitcnt lgkmcnt(0)
	s_barrier
	ds_write_b64 v50, v[84:85]
	ds_write_b64 v51, v[82:83]
	;; [unrolled: 1-line block ×8, first 2 shown]
	s_waitcnt lgkmcnt(0)
	s_barrier
	ds_read2st64_b64 v[50:53], v131 offset1:1
	ds_read2st64_b64 v[54:57], v131 offset0:2 offset1:3
	ds_read2st64_b64 v[58:61], v131 offset0:4 offset1:5
	;; [unrolled: 1-line block ×3, first 2 shown]
	s_add_u32 s44, s44, 8
	s_addc_u32 s45, s45, 0
	s_add_i32 s54, s54, -8
	s_waitcnt lgkmcnt(0)
	s_barrier
	s_cbranch_execz .LBB152_59
.LBB152_35:                             ; =>This Inner Loop Header: Depth=1
	s_min_u32 s4, s53, s54
	v_pk_mov_b32 v[102:103], v[34:35], v[34:35] op_sel:[0,1]
	s_lshl_b32 s4, -1, s4
	s_not_b32 s55, s4
	v_lshrrev_b64 v[34:35], s44, v[102:103]
	v_and_b32_e32 v34, s55, v34
	v_lshl_add_u32 v35, v34, 1, v127
	v_pk_mov_b32 v[98:99], v[38:39], v[38:39] op_sel:[0,1]
	v_lshl_add_u32 v38, v35, 2, 8
	v_and_b32_e32 v35, 1, v34
	v_pk_mov_b32 v[100:101], v[36:37], v[36:37] op_sel:[0,1]
	v_add_co_u32_e32 v36, vcc, -1, v35
	v_addc_co_u32_e64 v37, s[4:5], 0, -1, vcc
	v_cmp_ne_u32_e32 vcc, 0, v35
	v_lshlrev_b32_e32 v87, 30, v34
	v_xor_b32_e32 v35, vcc_hi, v37
	v_not_b32_e32 v37, v87
	v_xor_b32_e32 v36, vcc_lo, v36
	v_cmp_gt_i64_e32 vcc, 0, v[86:87]
	v_ashrrev_i32_e32 v37, 31, v37
	v_and_b32_e32 v36, exec_lo, v36
	v_xor_b32_e32 v39, vcc_hi, v37
	v_xor_b32_e32 v37, vcc_lo, v37
	v_lshlrev_b32_e32 v87, 29, v34
	v_and_b32_e32 v36, v36, v37
	v_not_b32_e32 v37, v87
	v_and_b32_e32 v35, exec_hi, v35
	v_cmp_gt_i64_e32 vcc, 0, v[86:87]
	v_ashrrev_i32_e32 v37, 31, v37
	v_and_b32_e32 v35, v35, v39
	v_xor_b32_e32 v39, vcc_hi, v37
	v_xor_b32_e32 v37, vcc_lo, v37
	v_lshlrev_b32_e32 v87, 28, v34
	v_and_b32_e32 v36, v36, v37
	v_not_b32_e32 v37, v87
	v_cmp_gt_i64_e32 vcc, 0, v[86:87]
	v_ashrrev_i32_e32 v37, 31, v37
	v_and_b32_e32 v35, v35, v39
	v_xor_b32_e32 v39, vcc_hi, v37
	v_xor_b32_e32 v37, vcc_lo, v37
	v_lshlrev_b32_e32 v87, 27, v34
	v_and_b32_e32 v36, v36, v37
	v_not_b32_e32 v37, v87
	;; [unrolled: 8-line block ×3, first 2 shown]
	v_cmp_gt_i64_e32 vcc, 0, v[86:87]
	v_ashrrev_i32_e32 v37, 31, v37
	v_and_b32_e32 v35, v35, v39
	v_xor_b32_e32 v39, vcc_hi, v37
	v_xor_b32_e32 v37, vcc_lo, v37
	v_lshlrev_b32_e32 v87, 25, v34
	v_and_b32_e32 v36, v36, v37
	v_cmp_gt_i64_e32 vcc, 0, v[86:87]
	v_not_b32_e32 v37, v87
	v_lshlrev_b32_e32 v87, 24, v34
	v_ashrrev_i32_e32 v37, 31, v37
	v_not_b32_e32 v34, v87
	v_and_b32_e32 v35, v35, v39
	v_xor_b32_e32 v39, vcc_hi, v37
	v_xor_b32_e32 v37, vcc_lo, v37
	v_cmp_gt_i64_e32 vcc, 0, v[86:87]
	v_ashrrev_i32_e32 v34, 31, v34
	v_and_b32_e32 v36, v36, v37
	v_xor_b32_e32 v37, vcc_hi, v34
	v_xor_b32_e32 v34, vcc_lo, v34
	v_and_b32_e32 v35, v35, v39
	v_and_b32_e32 v34, v36, v34
	;; [unrolled: 1-line block ×3, first 2 shown]
	v_mbcnt_lo_u32_b32 v36, v34, 0
	v_mbcnt_hi_u32_b32 v39, v35, v36
	v_cmp_eq_u32_e32 vcc, 0, v39
	v_cmp_ne_u64_e64 s[4:5], 0, v[34:35]
	v_pk_mov_b32 v[88:89], v[48:49], v[48:49] op_sel:[0,1]
	v_pk_mov_b32 v[90:91], v[46:47], v[46:47] op_sel:[0,1]
	;; [unrolled: 1-line block ×13, first 2 shown]
	s_and_b64 s[56:57], s[4:5], vcc
	ds_write2_b32 v112, v86, v86 offset0:2 offset1:3
	ds_write2_b32 v126, v86, v86 offset0:2 offset1:3
	s_waitcnt lgkmcnt(0)
	s_barrier
	s_waitcnt lgkmcnt(0)
	; wave barrier
	s_and_saveexec_b64 s[4:5], s[56:57]
	s_cbranch_execz .LBB152_37
; %bb.36:                               ;   in Loop: Header=BB152_35 Depth=1
	v_bcnt_u32_b32 v34, v34, 0
	v_bcnt_u32_b32 v34, v35, v34
	ds_write_b32 v38, v34
.LBB152_37:                             ;   in Loop: Header=BB152_35 Depth=1
	s_or_b64 exec, exec, s[4:5]
	v_lshrrev_b64 v[34:35], s44, v[100:101]
	v_and_b32_e32 v34, s55, v34
	v_lshlrev_b32_e32 v35, 1, v34
	v_add_lshl_u32 v35, v35, v127, 2
	; wave barrier
	v_add_u32_e32 v41, 8, v35
	ds_read_b32 v40, v35 offset:8
	v_and_b32_e32 v35, 1, v34
	v_add_co_u32_e32 v36, vcc, -1, v35
	v_addc_co_u32_e64 v37, s[4:5], 0, -1, vcc
	v_cmp_ne_u32_e32 vcc, 0, v35
	v_lshlrev_b32_e32 v87, 30, v34
	v_xor_b32_e32 v35, vcc_hi, v37
	v_not_b32_e32 v37, v87
	v_xor_b32_e32 v36, vcc_lo, v36
	v_cmp_gt_i64_e32 vcc, 0, v[86:87]
	v_ashrrev_i32_e32 v37, 31, v37
	v_and_b32_e32 v36, exec_lo, v36
	v_xor_b32_e32 v42, vcc_hi, v37
	v_xor_b32_e32 v37, vcc_lo, v37
	v_lshlrev_b32_e32 v87, 29, v34
	v_and_b32_e32 v36, v36, v37
	v_not_b32_e32 v37, v87
	v_and_b32_e32 v35, exec_hi, v35
	v_cmp_gt_i64_e32 vcc, 0, v[86:87]
	v_ashrrev_i32_e32 v37, 31, v37
	v_and_b32_e32 v35, v35, v42
	v_xor_b32_e32 v42, vcc_hi, v37
	v_xor_b32_e32 v37, vcc_lo, v37
	v_lshlrev_b32_e32 v87, 28, v34
	v_and_b32_e32 v36, v36, v37
	v_not_b32_e32 v37, v87
	v_cmp_gt_i64_e32 vcc, 0, v[86:87]
	v_ashrrev_i32_e32 v37, 31, v37
	v_and_b32_e32 v35, v35, v42
	v_xor_b32_e32 v42, vcc_hi, v37
	v_xor_b32_e32 v37, vcc_lo, v37
	v_lshlrev_b32_e32 v87, 27, v34
	v_and_b32_e32 v36, v36, v37
	v_not_b32_e32 v37, v87
	;; [unrolled: 8-line block ×3, first 2 shown]
	v_cmp_gt_i64_e32 vcc, 0, v[86:87]
	v_ashrrev_i32_e32 v37, 31, v37
	v_and_b32_e32 v35, v35, v42
	v_xor_b32_e32 v42, vcc_hi, v37
	v_xor_b32_e32 v37, vcc_lo, v37
	v_lshlrev_b32_e32 v87, 25, v34
	v_and_b32_e32 v36, v36, v37
	v_cmp_gt_i64_e32 vcc, 0, v[86:87]
	v_not_b32_e32 v37, v87
	v_lshlrev_b32_e32 v87, 24, v34
	v_ashrrev_i32_e32 v37, 31, v37
	v_not_b32_e32 v34, v87
	v_and_b32_e32 v35, v35, v42
	v_xor_b32_e32 v42, vcc_hi, v37
	v_xor_b32_e32 v37, vcc_lo, v37
	v_cmp_gt_i64_e32 vcc, 0, v[86:87]
	v_ashrrev_i32_e32 v34, 31, v34
	v_and_b32_e32 v36, v36, v37
	v_xor_b32_e32 v37, vcc_hi, v34
	v_xor_b32_e32 v34, vcc_lo, v34
	v_and_b32_e32 v35, v35, v42
	v_and_b32_e32 v34, v36, v34
	;; [unrolled: 1-line block ×3, first 2 shown]
	v_mbcnt_lo_u32_b32 v36, v34, 0
	v_mbcnt_hi_u32_b32 v42, v35, v36
	v_cmp_eq_u32_e32 vcc, 0, v42
	v_cmp_ne_u64_e64 s[4:5], 0, v[34:35]
	s_and_b64 s[56:57], s[4:5], vcc
	; wave barrier
	s_and_saveexec_b64 s[4:5], s[56:57]
	s_cbranch_execz .LBB152_39
; %bb.38:                               ;   in Loop: Header=BB152_35 Depth=1
	v_bcnt_u32_b32 v34, v34, 0
	v_bcnt_u32_b32 v34, v35, v34
	s_waitcnt lgkmcnt(0)
	v_add_u32_e32 v34, v40, v34
	ds_write_b32 v41, v34
.LBB152_39:                             ;   in Loop: Header=BB152_35 Depth=1
	s_or_b64 exec, exec, s[4:5]
	v_lshrrev_b64 v[34:35], s44, v[98:99]
	v_and_b32_e32 v34, s55, v34
	v_lshlrev_b32_e32 v35, 1, v34
	v_add_lshl_u32 v35, v35, v127, 2
	; wave barrier
	v_add_u32_e32 v44, 8, v35
	ds_read_b32 v43, v35 offset:8
	v_and_b32_e32 v35, 1, v34
	v_add_co_u32_e32 v36, vcc, -1, v35
	v_addc_co_u32_e64 v37, s[4:5], 0, -1, vcc
	v_cmp_ne_u32_e32 vcc, 0, v35
	v_lshlrev_b32_e32 v87, 30, v34
	v_xor_b32_e32 v35, vcc_hi, v37
	v_not_b32_e32 v37, v87
	v_xor_b32_e32 v36, vcc_lo, v36
	v_cmp_gt_i64_e32 vcc, 0, v[86:87]
	v_ashrrev_i32_e32 v37, 31, v37
	v_and_b32_e32 v36, exec_lo, v36
	v_xor_b32_e32 v45, vcc_hi, v37
	v_xor_b32_e32 v37, vcc_lo, v37
	v_lshlrev_b32_e32 v87, 29, v34
	v_and_b32_e32 v36, v36, v37
	v_not_b32_e32 v37, v87
	v_and_b32_e32 v35, exec_hi, v35
	v_cmp_gt_i64_e32 vcc, 0, v[86:87]
	v_ashrrev_i32_e32 v37, 31, v37
	v_and_b32_e32 v35, v35, v45
	v_xor_b32_e32 v45, vcc_hi, v37
	v_xor_b32_e32 v37, vcc_lo, v37
	v_lshlrev_b32_e32 v87, 28, v34
	v_and_b32_e32 v36, v36, v37
	v_not_b32_e32 v37, v87
	v_cmp_gt_i64_e32 vcc, 0, v[86:87]
	v_ashrrev_i32_e32 v37, 31, v37
	v_and_b32_e32 v35, v35, v45
	v_xor_b32_e32 v45, vcc_hi, v37
	v_xor_b32_e32 v37, vcc_lo, v37
	v_lshlrev_b32_e32 v87, 27, v34
	v_and_b32_e32 v36, v36, v37
	v_not_b32_e32 v37, v87
	;; [unrolled: 8-line block ×3, first 2 shown]
	v_cmp_gt_i64_e32 vcc, 0, v[86:87]
	v_ashrrev_i32_e32 v37, 31, v37
	v_and_b32_e32 v35, v35, v45
	v_xor_b32_e32 v45, vcc_hi, v37
	v_xor_b32_e32 v37, vcc_lo, v37
	v_lshlrev_b32_e32 v87, 25, v34
	v_and_b32_e32 v36, v36, v37
	v_cmp_gt_i64_e32 vcc, 0, v[86:87]
	v_not_b32_e32 v37, v87
	v_lshlrev_b32_e32 v87, 24, v34
	v_ashrrev_i32_e32 v37, 31, v37
	v_not_b32_e32 v34, v87
	v_and_b32_e32 v35, v35, v45
	v_xor_b32_e32 v45, vcc_hi, v37
	v_xor_b32_e32 v37, vcc_lo, v37
	v_cmp_gt_i64_e32 vcc, 0, v[86:87]
	v_ashrrev_i32_e32 v34, 31, v34
	v_and_b32_e32 v36, v36, v37
	v_xor_b32_e32 v37, vcc_hi, v34
	v_xor_b32_e32 v34, vcc_lo, v34
	v_and_b32_e32 v35, v35, v45
	v_and_b32_e32 v34, v36, v34
	;; [unrolled: 1-line block ×3, first 2 shown]
	v_mbcnt_lo_u32_b32 v36, v34, 0
	v_mbcnt_hi_u32_b32 v45, v35, v36
	v_cmp_eq_u32_e32 vcc, 0, v45
	v_cmp_ne_u64_e64 s[4:5], 0, v[34:35]
	s_and_b64 s[56:57], s[4:5], vcc
	; wave barrier
	s_and_saveexec_b64 s[4:5], s[56:57]
	s_cbranch_execz .LBB152_41
; %bb.40:                               ;   in Loop: Header=BB152_35 Depth=1
	v_bcnt_u32_b32 v34, v34, 0
	v_bcnt_u32_b32 v34, v35, v34
	s_waitcnt lgkmcnt(0)
	v_add_u32_e32 v34, v43, v34
	ds_write_b32 v44, v34
.LBB152_41:                             ;   in Loop: Header=BB152_35 Depth=1
	s_or_b64 exec, exec, s[4:5]
	v_lshrrev_b64 v[34:35], s44, v[96:97]
	v_and_b32_e32 v34, s55, v34
	v_lshlrev_b32_e32 v35, 1, v34
	v_add_lshl_u32 v35, v35, v127, 2
	; wave barrier
	v_add_u32_e32 v47, 8, v35
	ds_read_b32 v46, v35 offset:8
	v_and_b32_e32 v35, 1, v34
	v_add_co_u32_e32 v36, vcc, -1, v35
	v_addc_co_u32_e64 v37, s[4:5], 0, -1, vcc
	v_cmp_ne_u32_e32 vcc, 0, v35
	v_lshlrev_b32_e32 v87, 30, v34
	v_xor_b32_e32 v35, vcc_hi, v37
	v_not_b32_e32 v37, v87
	v_xor_b32_e32 v36, vcc_lo, v36
	v_cmp_gt_i64_e32 vcc, 0, v[86:87]
	v_ashrrev_i32_e32 v37, 31, v37
	v_and_b32_e32 v36, exec_lo, v36
	v_xor_b32_e32 v48, vcc_hi, v37
	v_xor_b32_e32 v37, vcc_lo, v37
	v_lshlrev_b32_e32 v87, 29, v34
	v_and_b32_e32 v36, v36, v37
	v_not_b32_e32 v37, v87
	v_and_b32_e32 v35, exec_hi, v35
	v_cmp_gt_i64_e32 vcc, 0, v[86:87]
	v_ashrrev_i32_e32 v37, 31, v37
	v_and_b32_e32 v35, v35, v48
	v_xor_b32_e32 v48, vcc_hi, v37
	v_xor_b32_e32 v37, vcc_lo, v37
	v_lshlrev_b32_e32 v87, 28, v34
	v_and_b32_e32 v36, v36, v37
	v_not_b32_e32 v37, v87
	v_cmp_gt_i64_e32 vcc, 0, v[86:87]
	v_ashrrev_i32_e32 v37, 31, v37
	v_and_b32_e32 v35, v35, v48
	v_xor_b32_e32 v48, vcc_hi, v37
	v_xor_b32_e32 v37, vcc_lo, v37
	v_lshlrev_b32_e32 v87, 27, v34
	v_and_b32_e32 v36, v36, v37
	v_not_b32_e32 v37, v87
	;; [unrolled: 8-line block ×3, first 2 shown]
	v_cmp_gt_i64_e32 vcc, 0, v[86:87]
	v_ashrrev_i32_e32 v37, 31, v37
	v_and_b32_e32 v35, v35, v48
	v_xor_b32_e32 v48, vcc_hi, v37
	v_xor_b32_e32 v37, vcc_lo, v37
	v_lshlrev_b32_e32 v87, 25, v34
	v_and_b32_e32 v36, v36, v37
	v_cmp_gt_i64_e32 vcc, 0, v[86:87]
	v_not_b32_e32 v37, v87
	v_lshlrev_b32_e32 v87, 24, v34
	v_ashrrev_i32_e32 v37, 31, v37
	v_not_b32_e32 v34, v87
	v_and_b32_e32 v35, v35, v48
	v_xor_b32_e32 v48, vcc_hi, v37
	v_xor_b32_e32 v37, vcc_lo, v37
	v_cmp_gt_i64_e32 vcc, 0, v[86:87]
	v_ashrrev_i32_e32 v34, 31, v34
	v_and_b32_e32 v36, v36, v37
	v_xor_b32_e32 v37, vcc_hi, v34
	v_xor_b32_e32 v34, vcc_lo, v34
	v_and_b32_e32 v35, v35, v48
	v_and_b32_e32 v34, v36, v34
	;; [unrolled: 1-line block ×3, first 2 shown]
	v_mbcnt_lo_u32_b32 v36, v34, 0
	v_mbcnt_hi_u32_b32 v48, v35, v36
	v_cmp_eq_u32_e32 vcc, 0, v48
	v_cmp_ne_u64_e64 s[4:5], 0, v[34:35]
	s_and_b64 s[56:57], s[4:5], vcc
	; wave barrier
	s_and_saveexec_b64 s[4:5], s[56:57]
	s_cbranch_execz .LBB152_43
; %bb.42:                               ;   in Loop: Header=BB152_35 Depth=1
	v_bcnt_u32_b32 v34, v34, 0
	v_bcnt_u32_b32 v34, v35, v34
	s_waitcnt lgkmcnt(0)
	v_add_u32_e32 v34, v46, v34
	ds_write_b32 v47, v34
.LBB152_43:                             ;   in Loop: Header=BB152_35 Depth=1
	s_or_b64 exec, exec, s[4:5]
	v_lshrrev_b64 v[34:35], s44, v[94:95]
	v_and_b32_e32 v34, s55, v34
	v_lshlrev_b32_e32 v35, 1, v34
	v_add_lshl_u32 v35, v35, v127, 2
	; wave barrier
	v_add_u32_e32 v50, 8, v35
	ds_read_b32 v49, v35 offset:8
	v_and_b32_e32 v35, 1, v34
	v_add_co_u32_e32 v36, vcc, -1, v35
	v_addc_co_u32_e64 v37, s[4:5], 0, -1, vcc
	v_cmp_ne_u32_e32 vcc, 0, v35
	v_lshlrev_b32_e32 v87, 30, v34
	v_xor_b32_e32 v35, vcc_hi, v37
	v_not_b32_e32 v37, v87
	v_xor_b32_e32 v36, vcc_lo, v36
	v_cmp_gt_i64_e32 vcc, 0, v[86:87]
	v_ashrrev_i32_e32 v37, 31, v37
	v_and_b32_e32 v36, exec_lo, v36
	v_xor_b32_e32 v51, vcc_hi, v37
	v_xor_b32_e32 v37, vcc_lo, v37
	v_lshlrev_b32_e32 v87, 29, v34
	v_and_b32_e32 v36, v36, v37
	v_not_b32_e32 v37, v87
	v_and_b32_e32 v35, exec_hi, v35
	v_cmp_gt_i64_e32 vcc, 0, v[86:87]
	v_ashrrev_i32_e32 v37, 31, v37
	v_and_b32_e32 v35, v35, v51
	v_xor_b32_e32 v51, vcc_hi, v37
	v_xor_b32_e32 v37, vcc_lo, v37
	v_lshlrev_b32_e32 v87, 28, v34
	v_and_b32_e32 v36, v36, v37
	v_not_b32_e32 v37, v87
	v_cmp_gt_i64_e32 vcc, 0, v[86:87]
	v_ashrrev_i32_e32 v37, 31, v37
	v_and_b32_e32 v35, v35, v51
	v_xor_b32_e32 v51, vcc_hi, v37
	v_xor_b32_e32 v37, vcc_lo, v37
	v_lshlrev_b32_e32 v87, 27, v34
	v_and_b32_e32 v36, v36, v37
	v_not_b32_e32 v37, v87
	;; [unrolled: 8-line block ×3, first 2 shown]
	v_cmp_gt_i64_e32 vcc, 0, v[86:87]
	v_ashrrev_i32_e32 v37, 31, v37
	v_and_b32_e32 v35, v35, v51
	v_xor_b32_e32 v51, vcc_hi, v37
	v_xor_b32_e32 v37, vcc_lo, v37
	v_lshlrev_b32_e32 v87, 25, v34
	v_and_b32_e32 v36, v36, v37
	v_cmp_gt_i64_e32 vcc, 0, v[86:87]
	v_not_b32_e32 v37, v87
	v_lshlrev_b32_e32 v87, 24, v34
	v_ashrrev_i32_e32 v37, 31, v37
	v_not_b32_e32 v34, v87
	v_and_b32_e32 v35, v35, v51
	v_xor_b32_e32 v51, vcc_hi, v37
	v_xor_b32_e32 v37, vcc_lo, v37
	v_cmp_gt_i64_e32 vcc, 0, v[86:87]
	v_ashrrev_i32_e32 v34, 31, v34
	v_and_b32_e32 v36, v36, v37
	v_xor_b32_e32 v37, vcc_hi, v34
	v_xor_b32_e32 v34, vcc_lo, v34
	v_and_b32_e32 v35, v35, v51
	v_and_b32_e32 v34, v36, v34
	;; [unrolled: 1-line block ×3, first 2 shown]
	v_mbcnt_lo_u32_b32 v36, v34, 0
	v_mbcnt_hi_u32_b32 v51, v35, v36
	v_cmp_eq_u32_e32 vcc, 0, v51
	v_cmp_ne_u64_e64 s[4:5], 0, v[34:35]
	s_and_b64 s[56:57], s[4:5], vcc
	; wave barrier
	s_and_saveexec_b64 s[4:5], s[56:57]
	s_cbranch_execz .LBB152_45
; %bb.44:                               ;   in Loop: Header=BB152_35 Depth=1
	v_bcnt_u32_b32 v34, v34, 0
	v_bcnt_u32_b32 v34, v35, v34
	s_waitcnt lgkmcnt(0)
	v_add_u32_e32 v34, v49, v34
	ds_write_b32 v50, v34
.LBB152_45:                             ;   in Loop: Header=BB152_35 Depth=1
	s_or_b64 exec, exec, s[4:5]
	v_lshrrev_b64 v[34:35], s44, v[92:93]
	v_and_b32_e32 v34, s55, v34
	v_lshlrev_b32_e32 v35, 1, v34
	v_add_lshl_u32 v35, v35, v127, 2
	; wave barrier
	v_add_u32_e32 v53, 8, v35
	ds_read_b32 v52, v35 offset:8
	v_and_b32_e32 v35, 1, v34
	v_add_co_u32_e32 v36, vcc, -1, v35
	v_addc_co_u32_e64 v37, s[4:5], 0, -1, vcc
	v_cmp_ne_u32_e32 vcc, 0, v35
	v_lshlrev_b32_e32 v87, 30, v34
	v_xor_b32_e32 v35, vcc_hi, v37
	v_not_b32_e32 v37, v87
	v_xor_b32_e32 v36, vcc_lo, v36
	v_cmp_gt_i64_e32 vcc, 0, v[86:87]
	v_ashrrev_i32_e32 v37, 31, v37
	v_and_b32_e32 v36, exec_lo, v36
	v_xor_b32_e32 v54, vcc_hi, v37
	v_xor_b32_e32 v37, vcc_lo, v37
	v_lshlrev_b32_e32 v87, 29, v34
	v_and_b32_e32 v36, v36, v37
	v_not_b32_e32 v37, v87
	v_and_b32_e32 v35, exec_hi, v35
	v_cmp_gt_i64_e32 vcc, 0, v[86:87]
	v_ashrrev_i32_e32 v37, 31, v37
	v_and_b32_e32 v35, v35, v54
	v_xor_b32_e32 v54, vcc_hi, v37
	v_xor_b32_e32 v37, vcc_lo, v37
	v_lshlrev_b32_e32 v87, 28, v34
	v_and_b32_e32 v36, v36, v37
	v_not_b32_e32 v37, v87
	v_cmp_gt_i64_e32 vcc, 0, v[86:87]
	v_ashrrev_i32_e32 v37, 31, v37
	v_and_b32_e32 v35, v35, v54
	v_xor_b32_e32 v54, vcc_hi, v37
	v_xor_b32_e32 v37, vcc_lo, v37
	v_lshlrev_b32_e32 v87, 27, v34
	v_and_b32_e32 v36, v36, v37
	v_not_b32_e32 v37, v87
	;; [unrolled: 8-line block ×3, first 2 shown]
	v_cmp_gt_i64_e32 vcc, 0, v[86:87]
	v_ashrrev_i32_e32 v37, 31, v37
	v_and_b32_e32 v35, v35, v54
	v_xor_b32_e32 v54, vcc_hi, v37
	v_xor_b32_e32 v37, vcc_lo, v37
	v_lshlrev_b32_e32 v87, 25, v34
	v_and_b32_e32 v36, v36, v37
	v_cmp_gt_i64_e32 vcc, 0, v[86:87]
	v_not_b32_e32 v37, v87
	v_lshlrev_b32_e32 v87, 24, v34
	v_ashrrev_i32_e32 v37, 31, v37
	v_not_b32_e32 v34, v87
	v_and_b32_e32 v35, v35, v54
	v_xor_b32_e32 v54, vcc_hi, v37
	v_xor_b32_e32 v37, vcc_lo, v37
	v_cmp_gt_i64_e32 vcc, 0, v[86:87]
	v_ashrrev_i32_e32 v34, 31, v34
	v_and_b32_e32 v36, v36, v37
	v_xor_b32_e32 v37, vcc_hi, v34
	v_xor_b32_e32 v34, vcc_lo, v34
	v_and_b32_e32 v35, v35, v54
	v_and_b32_e32 v34, v36, v34
	;; [unrolled: 1-line block ×3, first 2 shown]
	v_mbcnt_lo_u32_b32 v36, v34, 0
	v_mbcnt_hi_u32_b32 v54, v35, v36
	v_cmp_eq_u32_e32 vcc, 0, v54
	v_cmp_ne_u64_e64 s[4:5], 0, v[34:35]
	s_and_b64 s[56:57], s[4:5], vcc
	; wave barrier
	s_and_saveexec_b64 s[4:5], s[56:57]
	s_cbranch_execz .LBB152_47
; %bb.46:                               ;   in Loop: Header=BB152_35 Depth=1
	v_bcnt_u32_b32 v34, v34, 0
	v_bcnt_u32_b32 v34, v35, v34
	s_waitcnt lgkmcnt(0)
	v_add_u32_e32 v34, v52, v34
	ds_write_b32 v53, v34
.LBB152_47:                             ;   in Loop: Header=BB152_35 Depth=1
	s_or_b64 exec, exec, s[4:5]
	v_lshrrev_b64 v[34:35], s44, v[90:91]
	v_and_b32_e32 v34, s55, v34
	v_lshlrev_b32_e32 v35, 1, v34
	v_add_lshl_u32 v35, v35, v127, 2
	; wave barrier
	v_add_u32_e32 v56, 8, v35
	ds_read_b32 v55, v35 offset:8
	v_and_b32_e32 v35, 1, v34
	v_add_co_u32_e32 v36, vcc, -1, v35
	v_addc_co_u32_e64 v37, s[4:5], 0, -1, vcc
	v_cmp_ne_u32_e32 vcc, 0, v35
	v_lshlrev_b32_e32 v87, 30, v34
	v_xor_b32_e32 v35, vcc_hi, v37
	v_not_b32_e32 v37, v87
	v_xor_b32_e32 v36, vcc_lo, v36
	v_cmp_gt_i64_e32 vcc, 0, v[86:87]
	v_ashrrev_i32_e32 v37, 31, v37
	v_and_b32_e32 v36, exec_lo, v36
	v_xor_b32_e32 v57, vcc_hi, v37
	v_xor_b32_e32 v37, vcc_lo, v37
	v_lshlrev_b32_e32 v87, 29, v34
	v_and_b32_e32 v36, v36, v37
	v_not_b32_e32 v37, v87
	v_and_b32_e32 v35, exec_hi, v35
	v_cmp_gt_i64_e32 vcc, 0, v[86:87]
	v_ashrrev_i32_e32 v37, 31, v37
	v_and_b32_e32 v35, v35, v57
	v_xor_b32_e32 v57, vcc_hi, v37
	v_xor_b32_e32 v37, vcc_lo, v37
	v_lshlrev_b32_e32 v87, 28, v34
	v_and_b32_e32 v36, v36, v37
	v_not_b32_e32 v37, v87
	v_cmp_gt_i64_e32 vcc, 0, v[86:87]
	v_ashrrev_i32_e32 v37, 31, v37
	v_and_b32_e32 v35, v35, v57
	v_xor_b32_e32 v57, vcc_hi, v37
	v_xor_b32_e32 v37, vcc_lo, v37
	v_lshlrev_b32_e32 v87, 27, v34
	v_and_b32_e32 v36, v36, v37
	v_not_b32_e32 v37, v87
	;; [unrolled: 8-line block ×3, first 2 shown]
	v_cmp_gt_i64_e32 vcc, 0, v[86:87]
	v_ashrrev_i32_e32 v37, 31, v37
	v_and_b32_e32 v35, v35, v57
	v_xor_b32_e32 v57, vcc_hi, v37
	v_xor_b32_e32 v37, vcc_lo, v37
	v_lshlrev_b32_e32 v87, 25, v34
	v_and_b32_e32 v36, v36, v37
	v_cmp_gt_i64_e32 vcc, 0, v[86:87]
	v_not_b32_e32 v37, v87
	v_lshlrev_b32_e32 v87, 24, v34
	v_ashrrev_i32_e32 v37, 31, v37
	v_not_b32_e32 v34, v87
	v_and_b32_e32 v35, v35, v57
	v_xor_b32_e32 v57, vcc_hi, v37
	v_xor_b32_e32 v37, vcc_lo, v37
	v_cmp_gt_i64_e32 vcc, 0, v[86:87]
	v_ashrrev_i32_e32 v34, 31, v34
	v_and_b32_e32 v36, v36, v37
	v_xor_b32_e32 v37, vcc_hi, v34
	v_xor_b32_e32 v34, vcc_lo, v34
	v_and_b32_e32 v35, v35, v57
	v_and_b32_e32 v34, v36, v34
	;; [unrolled: 1-line block ×3, first 2 shown]
	v_mbcnt_lo_u32_b32 v36, v34, 0
	v_mbcnt_hi_u32_b32 v57, v35, v36
	v_cmp_eq_u32_e32 vcc, 0, v57
	v_cmp_ne_u64_e64 s[4:5], 0, v[34:35]
	s_and_b64 s[56:57], s[4:5], vcc
	; wave barrier
	s_and_saveexec_b64 s[4:5], s[56:57]
	s_cbranch_execz .LBB152_49
; %bb.48:                               ;   in Loop: Header=BB152_35 Depth=1
	v_bcnt_u32_b32 v34, v34, 0
	v_bcnt_u32_b32 v34, v35, v34
	s_waitcnt lgkmcnt(0)
	v_add_u32_e32 v34, v55, v34
	ds_write_b32 v56, v34
.LBB152_49:                             ;   in Loop: Header=BB152_35 Depth=1
	s_or_b64 exec, exec, s[4:5]
	v_lshrrev_b64 v[34:35], s44, v[88:89]
	v_and_b32_e32 v34, s55, v34
	v_lshlrev_b32_e32 v35, 1, v34
	v_add_lshl_u32 v35, v35, v127, 2
	; wave barrier
	v_add_u32_e32 v59, 8, v35
	ds_read_b32 v58, v35 offset:8
	v_and_b32_e32 v35, 1, v34
	v_add_co_u32_e32 v36, vcc, -1, v35
	v_addc_co_u32_e64 v37, s[4:5], 0, -1, vcc
	v_cmp_ne_u32_e32 vcc, 0, v35
	v_lshlrev_b32_e32 v87, 30, v34
	v_xor_b32_e32 v35, vcc_hi, v37
	v_not_b32_e32 v37, v87
	v_xor_b32_e32 v36, vcc_lo, v36
	v_cmp_gt_i64_e32 vcc, 0, v[86:87]
	v_ashrrev_i32_e32 v37, 31, v37
	v_and_b32_e32 v36, exec_lo, v36
	v_xor_b32_e32 v60, vcc_hi, v37
	v_xor_b32_e32 v37, vcc_lo, v37
	v_lshlrev_b32_e32 v87, 29, v34
	v_and_b32_e32 v36, v36, v37
	v_not_b32_e32 v37, v87
	v_and_b32_e32 v35, exec_hi, v35
	v_cmp_gt_i64_e32 vcc, 0, v[86:87]
	v_ashrrev_i32_e32 v37, 31, v37
	v_and_b32_e32 v35, v35, v60
	v_xor_b32_e32 v60, vcc_hi, v37
	v_xor_b32_e32 v37, vcc_lo, v37
	v_lshlrev_b32_e32 v87, 28, v34
	v_and_b32_e32 v36, v36, v37
	v_not_b32_e32 v37, v87
	v_cmp_gt_i64_e32 vcc, 0, v[86:87]
	v_ashrrev_i32_e32 v37, 31, v37
	v_and_b32_e32 v35, v35, v60
	v_xor_b32_e32 v60, vcc_hi, v37
	v_xor_b32_e32 v37, vcc_lo, v37
	v_lshlrev_b32_e32 v87, 27, v34
	v_and_b32_e32 v36, v36, v37
	v_not_b32_e32 v37, v87
	;; [unrolled: 8-line block ×3, first 2 shown]
	v_cmp_gt_i64_e32 vcc, 0, v[86:87]
	v_ashrrev_i32_e32 v37, 31, v37
	v_and_b32_e32 v35, v35, v60
	v_xor_b32_e32 v60, vcc_hi, v37
	v_xor_b32_e32 v37, vcc_lo, v37
	v_lshlrev_b32_e32 v87, 25, v34
	v_and_b32_e32 v36, v36, v37
	v_cmp_gt_i64_e32 vcc, 0, v[86:87]
	v_not_b32_e32 v37, v87
	v_lshlrev_b32_e32 v87, 24, v34
	v_ashrrev_i32_e32 v37, 31, v37
	v_not_b32_e32 v34, v87
	v_and_b32_e32 v35, v35, v60
	v_xor_b32_e32 v60, vcc_hi, v37
	v_xor_b32_e32 v37, vcc_lo, v37
	v_cmp_gt_i64_e32 vcc, 0, v[86:87]
	v_ashrrev_i32_e32 v34, 31, v34
	v_and_b32_e32 v36, v36, v37
	v_xor_b32_e32 v37, vcc_hi, v34
	v_xor_b32_e32 v34, vcc_lo, v34
	v_and_b32_e32 v35, v35, v60
	v_and_b32_e32 v34, v36, v34
	;; [unrolled: 1-line block ×3, first 2 shown]
	v_mbcnt_lo_u32_b32 v36, v34, 0
	v_mbcnt_hi_u32_b32 v60, v35, v36
	v_cmp_eq_u32_e32 vcc, 0, v60
	v_cmp_ne_u64_e64 s[4:5], 0, v[34:35]
	s_and_b64 s[56:57], s[4:5], vcc
	; wave barrier
	s_and_saveexec_b64 s[4:5], s[56:57]
	s_cbranch_execz .LBB152_51
; %bb.50:                               ;   in Loop: Header=BB152_35 Depth=1
	v_bcnt_u32_b32 v34, v34, 0
	v_bcnt_u32_b32 v34, v35, v34
	s_waitcnt lgkmcnt(0)
	v_add_u32_e32 v34, v58, v34
	ds_write_b32 v59, v34
.LBB152_51:                             ;   in Loop: Header=BB152_35 Depth=1
	s_or_b64 exec, exec, s[4:5]
	; wave barrier
	s_waitcnt lgkmcnt(0)
	s_barrier
	ds_read2_b32 v[36:37], v112 offset0:2 offset1:3
	ds_read2_b32 v[34:35], v126 offset0:2 offset1:3
	s_waitcnt lgkmcnt(1)
	v_add_u32_e32 v61, v37, v36
	s_waitcnt lgkmcnt(0)
	v_add3_u32 v35, v61, v34, v35
	s_nop 1
	v_mov_b32_dpp v61, v35 row_shr:1 row_mask:0xf bank_mask:0xf
	v_cndmask_b32_e64 v61, v61, 0, s[26:27]
	v_add_u32_e32 v35, v61, v35
	s_nop 1
	v_mov_b32_dpp v61, v35 row_shr:2 row_mask:0xf bank_mask:0xf
	v_cndmask_b32_e64 v61, 0, v61, s[28:29]
	v_add_u32_e32 v35, v35, v61
	;; [unrolled: 4-line block ×4, first 2 shown]
	s_nop 1
	v_mov_b32_dpp v61, v35 row_bcast:15 row_mask:0xf bank_mask:0xf
	v_cndmask_b32_e64 v61, v61, 0, s[36:37]
	v_add_u32_e32 v35, v35, v61
	s_nop 1
	v_mov_b32_dpp v61, v35 row_bcast:31 row_mask:0xf bank_mask:0xf
	v_cndmask_b32_e64 v61, 0, v61, s[16:17]
	v_add_u32_e32 v35, v35, v61
	s_and_saveexec_b64 s[4:5], s[38:39]
	s_cbranch_execz .LBB152_53
; %bb.52:                               ;   in Loop: Header=BB152_35 Depth=1
	ds_write_b32 v129, v35
.LBB152_53:                             ;   in Loop: Header=BB152_35 Depth=1
	s_or_b64 exec, exec, s[4:5]
	s_waitcnt lgkmcnt(0)
	s_barrier
	s_and_saveexec_b64 s[4:5], s[18:19]
	s_cbranch_execz .LBB152_55
; %bb.54:                               ;   in Loop: Header=BB152_35 Depth=1
	ds_read_b32 v61, v69
	s_waitcnt lgkmcnt(0)
	s_nop 0
	v_mov_b32_dpp v62, v61 row_shr:1 row_mask:0xf bank_mask:0xf
	v_cndmask_b32_e64 v62, v62, 0, s[40:41]
	v_add_u32_e32 v61, v62, v61
	ds_write_b32 v69, v61
.LBB152_55:                             ;   in Loop: Header=BB152_35 Depth=1
	s_or_b64 exec, exec, s[4:5]
	v_mov_b32_e32 v61, 0
	s_waitcnt lgkmcnt(0)
	s_barrier
	s_and_saveexec_b64 s[4:5], s[20:21]
	s_cbranch_execz .LBB152_57
; %bb.56:                               ;   in Loop: Header=BB152_35 Depth=1
	ds_read_b32 v61, v130
.LBB152_57:                             ;   in Loop: Header=BB152_35 Depth=1
	s_or_b64 exec, exec, s[4:5]
	s_waitcnt lgkmcnt(0)
	v_add_u32_e32 v35, v61, v35
	ds_bpermute_b32 v35, v128, v35
	s_cmp_gt_u32 s44, 55
	s_waitcnt lgkmcnt(0)
	v_cndmask_b32_e64 v35, v35, v61, s[22:23]
	v_cndmask_b32_e64 v35, v35, 0, s[24:25]
	v_add_u32_e32 v36, v35, v36
	v_add_u32_e32 v37, v36, v37
	;; [unrolled: 1-line block ×3, first 2 shown]
	ds_write2_b32 v112, v35, v36 offset0:2 offset1:3
	ds_write2_b32 v126, v37, v34 offset0:2 offset1:3
	s_waitcnt lgkmcnt(0)
	s_barrier
	ds_read_b32 v34, v38
	ds_read_b32 v35, v41
	;; [unrolled: 1-line block ×8, first 2 shown]
	s_waitcnt lgkmcnt(7)
	v_add_u32_e32 v138, v34, v39
	s_waitcnt lgkmcnt(6)
	v_add3_u32 v137, v42, v40, v35
	s_waitcnt lgkmcnt(5)
	v_add3_u32 v136, v45, v43, v36
	;; [unrolled: 2-line block ×7, first 2 shown]
	s_cbranch_scc0 .LBB152_34
; %bb.58:
                                        ; implicit-def: $vgpr48_vgpr49
                                        ; implicit-def: $vgpr44_vgpr45
                                        ; implicit-def: $vgpr40_vgpr41
                                        ; implicit-def: $vgpr36_vgpr37
                                        ; implicit-def: $vgpr64_vgpr65
                                        ; implicit-def: $vgpr60_vgpr61
                                        ; implicit-def: $vgpr56_vgpr57
                                        ; implicit-def: $vgpr52_vgpr53
                                        ; implicit-def: $sgpr44_sgpr45
                                        ; implicit-def: $sgpr54
.LBB152_59:
	v_lshlrev_b32_e32 v34, 3, v138
	v_lshlrev_b32_e32 v35, 3, v137
	;; [unrolled: 1-line block ×9, first 2 shown]
	s_barrier
	ds_write_b64 v34, v[102:103]
	ds_write_b64 v35, v[100:101]
	;; [unrolled: 1-line block ×8, first 2 shown]
	s_waitcnt lgkmcnt(0)
	s_barrier
	ds_read2_b64 v[50:53], v46 offset1:1
	ds_read2_b64 v[54:57], v46 offset0:2 offset1:3
	ds_read2_b64 v[58:61], v46 offset0:4 offset1:5
	;; [unrolled: 1-line block ×3, first 2 shown]
	s_waitcnt lgkmcnt(0)
	s_barrier
	ds_write_b64 v34, v[84:85]
	ds_write_b64 v35, v[82:83]
	;; [unrolled: 1-line block ×8, first 2 shown]
	s_waitcnt lgkmcnt(0)
	s_barrier
	ds_read2_b64 v[34:37], v46 offset1:1
	ds_read2_b64 v[38:41], v46 offset0:2 offset1:3
	ds_read2_b64 v[42:45], v46 offset0:4 offset1:5
	;; [unrolled: 1-line block ×3, first 2 shown]
	v_xor_b32_e32 v51, 0x80000000, v51
	v_xor_b32_e32 v53, 0x80000000, v53
	;; [unrolled: 1-line block ×8, first 2 shown]
	s_branch .LBB152_95
.LBB152_60:
	v_mov_b32_e32 v69, 0
	v_lshlrev_b64 v[2:3], 3, v[68:69]
	v_mov_b32_e32 v4, s52
	v_add_co_u32_e32 v2, vcc, s49, v2
	v_addc_co_u32_e32 v3, vcc, v4, v3, vcc
	global_load_dwordx2 v[2:3], v[2:3], off
	v_mov_b32_e32 v4, v69
	v_mov_b32_e32 v5, v69
	;; [unrolled: 1-line block ×14, first 2 shown]
	s_or_b64 exec, exec, s[4:5]
	s_and_saveexec_b64 s[4:5], s[2:3]
	s_cbranch_execz .LBB152_25
.LBB152_61:
	v_mul_lo_u32 v4, v1, s48
	v_mov_b32_e32 v5, 0
	v_lshlrev_b64 v[4:5], 3, v[4:5]
	v_mov_b32_e32 v1, s52
	v_add_co_u32_e32 v4, vcc, s49, v4
	v_addc_co_u32_e32 v5, vcc, v1, v5, vcc
	global_load_dwordx2 v[4:5], v[4:5], off
	s_or_b64 exec, exec, s[4:5]
	s_and_saveexec_b64 s[4:5], s[42:43]
	s_cbranch_execz .LBB152_26
.LBB152_62:
	v_mul_lo_u32 v6, v34, s48
	v_mov_b32_e32 v7, 0
	v_lshlrev_b64 v[6:7], 3, v[6:7]
	v_mov_b32_e32 v1, s52
	v_add_co_u32_e32 v6, vcc, s49, v6
	v_addc_co_u32_e32 v7, vcc, v1, v7, vcc
	global_load_dwordx2 v[6:7], v[6:7], off
	s_or_b64 exec, exec, s[4:5]
	s_and_saveexec_b64 s[4:5], s[6:7]
	s_cbranch_execz .LBB152_27
.LBB152_63:
	v_mul_lo_u32 v8, v35, s48
	v_mov_b32_e32 v9, 0
	v_lshlrev_b64 v[8:9], 3, v[8:9]
	v_mov_b32_e32 v1, s52
	v_add_co_u32_e32 v8, vcc, s49, v8
	v_addc_co_u32_e32 v9, vcc, v1, v9, vcc
	global_load_dwordx2 v[8:9], v[8:9], off
	s_or_b64 exec, exec, s[4:5]
	s_and_saveexec_b64 s[4:5], s[8:9]
	s_cbranch_execz .LBB152_28
.LBB152_64:
	v_mul_lo_u32 v10, v36, s48
	v_mov_b32_e32 v11, 0
	v_lshlrev_b64 v[10:11], 3, v[10:11]
	v_mov_b32_e32 v1, s52
	v_add_co_u32_e32 v10, vcc, s49, v10
	v_addc_co_u32_e32 v11, vcc, v1, v11, vcc
	global_load_dwordx2 v[10:11], v[10:11], off
	s_or_b64 exec, exec, s[4:5]
	s_and_saveexec_b64 s[4:5], s[10:11]
	s_cbranch_execz .LBB152_29
.LBB152_65:
	v_mul_lo_u32 v12, v37, s48
	v_mov_b32_e32 v13, 0
	v_lshlrev_b64 v[12:13], 3, v[12:13]
	v_mov_b32_e32 v1, s52
	v_add_co_u32_e32 v12, vcc, s49, v12
	v_addc_co_u32_e32 v13, vcc, v1, v13, vcc
	global_load_dwordx2 v[12:13], v[12:13], off
	s_or_b64 exec, exec, s[4:5]
	s_and_saveexec_b64 s[4:5], s[12:13]
	s_cbranch_execz .LBB152_30
.LBB152_66:
	v_mul_lo_u32 v14, v38, s48
	v_mov_b32_e32 v15, 0
	v_lshlrev_b64 v[14:15], 3, v[14:15]
	v_mov_b32_e32 v1, s52
	v_add_co_u32_e32 v14, vcc, s49, v14
	v_addc_co_u32_e32 v15, vcc, v1, v15, vcc
	global_load_dwordx2 v[14:15], v[14:15], off
	s_or_b64 exec, exec, s[4:5]
	s_xor_b64 s[4:5], s[34:35], -1
	s_and_saveexec_b64 s[16:17], s[14:15]
	s_cbranch_execnz .LBB152_31
	s_branch .LBB152_32
.LBB152_67:
                                        ; implicit-def: $vgpr64_vgpr65
                                        ; implicit-def: $vgpr60_vgpr61
                                        ; implicit-def: $vgpr56_vgpr57
                                        ; implicit-def: $vgpr52_vgpr53
                                        ; implicit-def: $vgpr48_vgpr49
                                        ; implicit-def: $vgpr44_vgpr45
                                        ; implicit-def: $vgpr40_vgpr41
                                        ; implicit-def: $vgpr36_vgpr37
	s_cbranch_execz .LBB152_95
; %bb.68:
	v_xor_b32_e32 v1, 0x7fffffff, v31
	v_xor_b32_e32 v0, -1, v30
	v_xor_b32_e32 v31, 0x7fffffff, v33
	v_xor_b32_e32 v30, -1, v32
	;; [unrolled: 2-line block ×8, first 2 shown]
	ds_write2_b64 v125, v[0:1], v[30:31] offset1:1
	ds_write2_b64 v125, v[26:27], v[28:29] offset0:2 offset1:3
	ds_write2_b64 v125, v[22:23], v[24:25] offset0:4 offset1:5
	;; [unrolled: 1-line block ×3, first 2 shown]
	; wave barrier
	ds_read2st64_b64 v[18:21], v124 offset1:1
	ds_read2st64_b64 v[22:25], v124 offset0:2 offset1:3
	ds_read2st64_b64 v[26:29], v124 offset0:4 offset1:5
	;; [unrolled: 1-line block ×3, first 2 shown]
	; wave barrier
	ds_write2_b64 v125, v[14:15], v[16:17] offset1:1
	ds_write2_b64 v125, v[10:11], v[12:13] offset0:2 offset1:3
	ds_write2_b64 v125, v[6:7], v[8:9] offset0:4 offset1:5
	;; [unrolled: 1-line block ×3, first 2 shown]
	; wave barrier
	ds_read2st64_b64 v[0:3], v124 offset1:1
	ds_read2st64_b64 v[4:7], v124 offset0:2 offset1:3
	ds_read2st64_b64 v[8:11], v124 offset0:4 offset1:5
	;; [unrolled: 1-line block ×3, first 2 shown]
	s_waitcnt lgkmcnt(0)
	s_barrier
	s_load_dword s16, s[50:51], 0xc
	s_getpc_b64 s[4:5]
	s_add_u32 s4, s4, _ZN7rocprim17ROCPRIM_400000_NS16block_radix_sortIlLj128ELj8ElLj1ELj1ELj0ELNS0_26block_radix_rank_algorithmE1ELNS0_18block_padding_hintE2ELNS0_4arch9wavefront6targetE1EE19radix_bits_per_passE@rel32@lo+4
	s_addc_u32 s5, s5, _ZN7rocprim17ROCPRIM_400000_NS16block_radix_sortIlLj128ELj8ElLj1ELj1ELj0ELNS0_26block_radix_rank_algorithmE1ELNS0_18block_padding_hintE2ELNS0_4arch9wavefront6targetE1EE19radix_bits_per_passE@rel32@hi+12
	s_load_dword s50, s[4:5], 0x0
	v_cmp_lt_i32_e32 vcc, v115, v119
	v_cmp_gt_u32_e64 s[30:31], 2, v70
	s_waitcnt lgkmcnt(0)
	s_lshr_b32 s4, s16, 16
	s_and_b32 s5, s16, 0xffff
	v_mad_u32_u24 v16, v123, s4, v122
	v_mad_u64_u32 v[16:17], s[4:5], v16, s5, v[70:71]
	v_lshrrev_b32_e32 v73, 6, v16
	v_or_b32_e32 v16, 63, v118
	v_cmp_eq_u32_e64 s[28:29], v16, v70
	v_cmp_lt_u32_e64 s[34:35], 63, v70
	v_cndmask_b32_e32 v16, v115, v113, vcc
	v_cmp_eq_u32_e64 s[38:39], 0, v70
	v_and_b32_e32 v70, 60, v116
	v_or_b32_e32 v72, 8, v112
	v_cmp_eq_u32_e64 s[16:17], 0, v120
	v_cmp_lt_u32_e64 s[18:19], 1, v120
	v_cmp_lt_u32_e64 s[20:21], 3, v120
	;; [unrolled: 1-line block ×3, first 2 shown]
	v_cmp_eq_u32_e64 s[24:25], 0, v121
	v_cmp_lt_u32_e64 s[26:27], 31, v113
	s_mov_b32 s51, 64
	v_lshlrev_b32_e32 v74, 2, v16
	v_cmp_eq_u32_e64 s[36:37], 0, v113
	v_cmp_eq_u32_e64 s[40:41], 0, v117
	v_add_u32_e32 v75, -4, v70
	v_lshlrev_b32_e32 v76, 3, v114
	s_mov_b64 s[44:45], 0
	v_mov_b32_e32 v42, 0
	s_branch .LBB152_70
.LBB152_69:                             ;   in Loop: Header=BB152_70 Depth=1
	v_lshlrev_b32_e32 v0, 3, v83
	v_lshlrev_b32_e32 v1, 3, v82
	;; [unrolled: 1-line block ×8, first 2 shown]
	s_barrier
	ds_write_b64 v0, v[64:65]
	ds_write_b64 v1, v[62:63]
	;; [unrolled: 1-line block ×8, first 2 shown]
	s_waitcnt lgkmcnt(0)
	s_barrier
	ds_read2st64_b64 v[18:21], v76 offset1:1
	ds_read2st64_b64 v[22:25], v76 offset0:2 offset1:3
	ds_read2st64_b64 v[26:29], v76 offset0:4 offset1:5
	;; [unrolled: 1-line block ×3, first 2 shown]
	s_waitcnt lgkmcnt(0)
	s_barrier
	ds_write_b64 v0, v[50:51]
	ds_write_b64 v1, v[48:49]
	;; [unrolled: 1-line block ×8, first 2 shown]
	s_waitcnt lgkmcnt(0)
	s_barrier
	ds_read2st64_b64 v[0:3], v76 offset1:1
	ds_read2st64_b64 v[4:7], v76 offset0:2 offset1:3
	ds_read2st64_b64 v[8:11], v76 offset0:4 offset1:5
	ds_read2st64_b64 v[12:15], v76 offset0:6 offset1:7
	s_add_u32 s44, s44, 8
	s_addc_u32 s45, s45, 0
	s_add_i32 s51, s51, -8
	s_waitcnt lgkmcnt(0)
	s_barrier
	s_cbranch_execz .LBB152_94
.LBB152_70:                             ; =>This Inner Loop Header: Depth=1
	s_min_u32 s4, s50, s51
	v_pk_mov_b32 v[64:65], v[18:19], v[18:19] op_sel:[0,1]
	s_lshl_b32 s4, -1, s4
	v_pk_mov_b32 v[50:51], v[0:1], v[0:1] op_sel:[0,1]
	s_not_b32 s53, s4
	v_lshrrev_b64 v[0:1], s44, v[64:65]
	v_and_b32_e32 v0, s53, v0
	v_lshl_add_u32 v1, v0, 1, v73
	v_pk_mov_b32 v[44:45], v[4:5], v[4:5] op_sel:[0,1]
	v_lshl_add_u32 v4, v1, 2, 8
	v_and_b32_e32 v1, 1, v0
	v_pk_mov_b32 v[48:49], v[2:3], v[2:3] op_sel:[0,1]
	v_add_co_u32_e32 v2, vcc, -1, v1
	v_addc_co_u32_e64 v3, s[4:5], 0, -1, vcc
	v_cmp_ne_u32_e32 vcc, 0, v1
	v_lshlrev_b32_e32 v43, 30, v0
	v_xor_b32_e32 v1, vcc_hi, v3
	v_not_b32_e32 v3, v43
	v_xor_b32_e32 v2, vcc_lo, v2
	v_cmp_gt_i64_e32 vcc, 0, v[42:43]
	v_ashrrev_i32_e32 v3, 31, v3
	v_and_b32_e32 v2, exec_lo, v2
	v_xor_b32_e32 v5, vcc_hi, v3
	v_xor_b32_e32 v3, vcc_lo, v3
	v_lshlrev_b32_e32 v43, 29, v0
	v_and_b32_e32 v2, v2, v3
	v_not_b32_e32 v3, v43
	v_and_b32_e32 v1, exec_hi, v1
	v_cmp_gt_i64_e32 vcc, 0, v[42:43]
	v_ashrrev_i32_e32 v3, 31, v3
	v_and_b32_e32 v1, v1, v5
	v_xor_b32_e32 v5, vcc_hi, v3
	v_xor_b32_e32 v3, vcc_lo, v3
	v_lshlrev_b32_e32 v43, 28, v0
	v_and_b32_e32 v2, v2, v3
	v_not_b32_e32 v3, v43
	v_cmp_gt_i64_e32 vcc, 0, v[42:43]
	v_ashrrev_i32_e32 v3, 31, v3
	v_and_b32_e32 v1, v1, v5
	v_xor_b32_e32 v5, vcc_hi, v3
	v_xor_b32_e32 v3, vcc_lo, v3
	v_lshlrev_b32_e32 v43, 27, v0
	v_and_b32_e32 v2, v2, v3
	v_not_b32_e32 v3, v43
	;; [unrolled: 8-line block ×3, first 2 shown]
	v_cmp_gt_i64_e32 vcc, 0, v[42:43]
	v_ashrrev_i32_e32 v3, 31, v3
	v_and_b32_e32 v1, v1, v5
	v_xor_b32_e32 v5, vcc_hi, v3
	v_xor_b32_e32 v3, vcc_lo, v3
	v_lshlrev_b32_e32 v43, 25, v0
	v_and_b32_e32 v2, v2, v3
	v_cmp_gt_i64_e32 vcc, 0, v[42:43]
	v_not_b32_e32 v3, v43
	v_lshlrev_b32_e32 v43, 24, v0
	v_ashrrev_i32_e32 v3, 31, v3
	v_not_b32_e32 v0, v43
	v_and_b32_e32 v1, v1, v5
	v_xor_b32_e32 v5, vcc_hi, v3
	v_xor_b32_e32 v3, vcc_lo, v3
	v_cmp_gt_i64_e32 vcc, 0, v[42:43]
	v_ashrrev_i32_e32 v0, 31, v0
	v_and_b32_e32 v2, v2, v3
	v_xor_b32_e32 v3, vcc_hi, v0
	v_xor_b32_e32 v0, vcc_lo, v0
	v_and_b32_e32 v1, v1, v5
	v_and_b32_e32 v0, v2, v0
	;; [unrolled: 1-line block ×3, first 2 shown]
	v_mbcnt_lo_u32_b32 v2, v0, 0
	v_mbcnt_hi_u32_b32 v5, v1, v2
	v_cmp_eq_u32_e32 vcc, 0, v5
	v_cmp_ne_u64_e64 s[4:5], 0, v[0:1]
	v_pk_mov_b32 v[46:47], v[32:33], v[32:33] op_sel:[0,1]
	v_pk_mov_b32 v[52:53], v[30:31], v[30:31] op_sel:[0,1]
	;; [unrolled: 1-line block ×12, first 2 shown]
	s_and_b64 s[54:55], s[4:5], vcc
	ds_write2_b32 v112, v42, v42 offset0:2 offset1:3
	ds_write2_b32 v72, v42, v42 offset0:2 offset1:3
	s_waitcnt lgkmcnt(0)
	s_barrier
	s_waitcnt lgkmcnt(0)
	; wave barrier
	s_and_saveexec_b64 s[4:5], s[54:55]
	s_cbranch_execz .LBB152_72
; %bb.71:                               ;   in Loop: Header=BB152_70 Depth=1
	v_bcnt_u32_b32 v0, v0, 0
	v_bcnt_u32_b32 v0, v1, v0
	ds_write_b32 v4, v0
.LBB152_72:                             ;   in Loop: Header=BB152_70 Depth=1
	s_or_b64 exec, exec, s[4:5]
	v_lshrrev_b64 v[0:1], s44, v[62:63]
	v_and_b32_e32 v0, s53, v0
	v_lshlrev_b32_e32 v1, 1, v0
	v_add_lshl_u32 v1, v1, v73, 2
	; wave barrier
	v_add_u32_e32 v7, 8, v1
	ds_read_b32 v6, v1 offset:8
	v_and_b32_e32 v1, 1, v0
	v_add_co_u32_e32 v2, vcc, -1, v1
	v_addc_co_u32_e64 v3, s[4:5], 0, -1, vcc
	v_cmp_ne_u32_e32 vcc, 0, v1
	v_lshlrev_b32_e32 v43, 30, v0
	v_xor_b32_e32 v1, vcc_hi, v3
	v_not_b32_e32 v3, v43
	v_xor_b32_e32 v2, vcc_lo, v2
	v_cmp_gt_i64_e32 vcc, 0, v[42:43]
	v_ashrrev_i32_e32 v3, 31, v3
	v_and_b32_e32 v2, exec_lo, v2
	v_xor_b32_e32 v8, vcc_hi, v3
	v_xor_b32_e32 v3, vcc_lo, v3
	v_lshlrev_b32_e32 v43, 29, v0
	v_and_b32_e32 v2, v2, v3
	v_not_b32_e32 v3, v43
	v_and_b32_e32 v1, exec_hi, v1
	v_cmp_gt_i64_e32 vcc, 0, v[42:43]
	v_ashrrev_i32_e32 v3, 31, v3
	v_and_b32_e32 v1, v1, v8
	v_xor_b32_e32 v8, vcc_hi, v3
	v_xor_b32_e32 v3, vcc_lo, v3
	v_lshlrev_b32_e32 v43, 28, v0
	v_and_b32_e32 v2, v2, v3
	v_not_b32_e32 v3, v43
	v_cmp_gt_i64_e32 vcc, 0, v[42:43]
	v_ashrrev_i32_e32 v3, 31, v3
	v_and_b32_e32 v1, v1, v8
	v_xor_b32_e32 v8, vcc_hi, v3
	v_xor_b32_e32 v3, vcc_lo, v3
	v_lshlrev_b32_e32 v43, 27, v0
	v_and_b32_e32 v2, v2, v3
	v_not_b32_e32 v3, v43
	;; [unrolled: 8-line block ×3, first 2 shown]
	v_cmp_gt_i64_e32 vcc, 0, v[42:43]
	v_ashrrev_i32_e32 v3, 31, v3
	v_and_b32_e32 v1, v1, v8
	v_xor_b32_e32 v8, vcc_hi, v3
	v_xor_b32_e32 v3, vcc_lo, v3
	v_lshlrev_b32_e32 v43, 25, v0
	v_and_b32_e32 v2, v2, v3
	v_cmp_gt_i64_e32 vcc, 0, v[42:43]
	v_not_b32_e32 v3, v43
	v_lshlrev_b32_e32 v43, 24, v0
	v_ashrrev_i32_e32 v3, 31, v3
	v_not_b32_e32 v0, v43
	v_and_b32_e32 v1, v1, v8
	v_xor_b32_e32 v8, vcc_hi, v3
	v_xor_b32_e32 v3, vcc_lo, v3
	v_cmp_gt_i64_e32 vcc, 0, v[42:43]
	v_ashrrev_i32_e32 v0, 31, v0
	v_and_b32_e32 v2, v2, v3
	v_xor_b32_e32 v3, vcc_hi, v0
	v_xor_b32_e32 v0, vcc_lo, v0
	v_and_b32_e32 v1, v1, v8
	v_and_b32_e32 v0, v2, v0
	;; [unrolled: 1-line block ×3, first 2 shown]
	v_mbcnt_lo_u32_b32 v2, v0, 0
	v_mbcnt_hi_u32_b32 v8, v1, v2
	v_cmp_eq_u32_e32 vcc, 0, v8
	v_cmp_ne_u64_e64 s[4:5], 0, v[0:1]
	s_and_b64 s[54:55], s[4:5], vcc
	; wave barrier
	s_and_saveexec_b64 s[4:5], s[54:55]
	s_cbranch_execz .LBB152_74
; %bb.73:                               ;   in Loop: Header=BB152_70 Depth=1
	v_bcnt_u32_b32 v0, v0, 0
	v_bcnt_u32_b32 v0, v1, v0
	s_waitcnt lgkmcnt(0)
	v_add_u32_e32 v0, v6, v0
	ds_write_b32 v7, v0
.LBB152_74:                             ;   in Loop: Header=BB152_70 Depth=1
	s_or_b64 exec, exec, s[4:5]
	v_lshrrev_b64 v[0:1], s44, v[60:61]
	v_and_b32_e32 v0, s53, v0
	v_lshlrev_b32_e32 v1, 1, v0
	v_add_lshl_u32 v1, v1, v73, 2
	; wave barrier
	v_add_u32_e32 v10, 8, v1
	ds_read_b32 v9, v1 offset:8
	v_and_b32_e32 v1, 1, v0
	v_add_co_u32_e32 v2, vcc, -1, v1
	v_addc_co_u32_e64 v3, s[4:5], 0, -1, vcc
	v_cmp_ne_u32_e32 vcc, 0, v1
	v_lshlrev_b32_e32 v43, 30, v0
	v_xor_b32_e32 v1, vcc_hi, v3
	v_not_b32_e32 v3, v43
	v_xor_b32_e32 v2, vcc_lo, v2
	v_cmp_gt_i64_e32 vcc, 0, v[42:43]
	v_ashrrev_i32_e32 v3, 31, v3
	v_and_b32_e32 v2, exec_lo, v2
	v_xor_b32_e32 v11, vcc_hi, v3
	v_xor_b32_e32 v3, vcc_lo, v3
	v_lshlrev_b32_e32 v43, 29, v0
	v_and_b32_e32 v2, v2, v3
	v_not_b32_e32 v3, v43
	v_and_b32_e32 v1, exec_hi, v1
	v_cmp_gt_i64_e32 vcc, 0, v[42:43]
	v_ashrrev_i32_e32 v3, 31, v3
	v_and_b32_e32 v1, v1, v11
	v_xor_b32_e32 v11, vcc_hi, v3
	v_xor_b32_e32 v3, vcc_lo, v3
	v_lshlrev_b32_e32 v43, 28, v0
	v_and_b32_e32 v2, v2, v3
	v_not_b32_e32 v3, v43
	v_cmp_gt_i64_e32 vcc, 0, v[42:43]
	v_ashrrev_i32_e32 v3, 31, v3
	v_and_b32_e32 v1, v1, v11
	v_xor_b32_e32 v11, vcc_hi, v3
	v_xor_b32_e32 v3, vcc_lo, v3
	v_lshlrev_b32_e32 v43, 27, v0
	v_and_b32_e32 v2, v2, v3
	v_not_b32_e32 v3, v43
	;; [unrolled: 8-line block ×3, first 2 shown]
	v_cmp_gt_i64_e32 vcc, 0, v[42:43]
	v_ashrrev_i32_e32 v3, 31, v3
	v_and_b32_e32 v1, v1, v11
	v_xor_b32_e32 v11, vcc_hi, v3
	v_xor_b32_e32 v3, vcc_lo, v3
	v_lshlrev_b32_e32 v43, 25, v0
	v_and_b32_e32 v2, v2, v3
	v_cmp_gt_i64_e32 vcc, 0, v[42:43]
	v_not_b32_e32 v3, v43
	v_lshlrev_b32_e32 v43, 24, v0
	v_ashrrev_i32_e32 v3, 31, v3
	v_not_b32_e32 v0, v43
	v_and_b32_e32 v1, v1, v11
	v_xor_b32_e32 v11, vcc_hi, v3
	v_xor_b32_e32 v3, vcc_lo, v3
	v_cmp_gt_i64_e32 vcc, 0, v[42:43]
	v_ashrrev_i32_e32 v0, 31, v0
	v_and_b32_e32 v2, v2, v3
	v_xor_b32_e32 v3, vcc_hi, v0
	v_xor_b32_e32 v0, vcc_lo, v0
	v_and_b32_e32 v1, v1, v11
	v_and_b32_e32 v0, v2, v0
	;; [unrolled: 1-line block ×3, first 2 shown]
	v_mbcnt_lo_u32_b32 v2, v0, 0
	v_mbcnt_hi_u32_b32 v11, v1, v2
	v_cmp_eq_u32_e32 vcc, 0, v11
	v_cmp_ne_u64_e64 s[4:5], 0, v[0:1]
	s_and_b64 s[54:55], s[4:5], vcc
	; wave barrier
	s_and_saveexec_b64 s[4:5], s[54:55]
	s_cbranch_execz .LBB152_76
; %bb.75:                               ;   in Loop: Header=BB152_70 Depth=1
	v_bcnt_u32_b32 v0, v0, 0
	v_bcnt_u32_b32 v0, v1, v0
	s_waitcnt lgkmcnt(0)
	v_add_u32_e32 v0, v9, v0
	ds_write_b32 v10, v0
.LBB152_76:                             ;   in Loop: Header=BB152_70 Depth=1
	s_or_b64 exec, exec, s[4:5]
	v_lshrrev_b64 v[0:1], s44, v[58:59]
	v_and_b32_e32 v0, s53, v0
	v_lshlrev_b32_e32 v1, 1, v0
	v_add_lshl_u32 v1, v1, v73, 2
	; wave barrier
	v_add_u32_e32 v13, 8, v1
	ds_read_b32 v12, v1 offset:8
	v_and_b32_e32 v1, 1, v0
	v_add_co_u32_e32 v2, vcc, -1, v1
	v_addc_co_u32_e64 v3, s[4:5], 0, -1, vcc
	v_cmp_ne_u32_e32 vcc, 0, v1
	v_lshlrev_b32_e32 v43, 30, v0
	v_xor_b32_e32 v1, vcc_hi, v3
	v_not_b32_e32 v3, v43
	v_xor_b32_e32 v2, vcc_lo, v2
	v_cmp_gt_i64_e32 vcc, 0, v[42:43]
	v_ashrrev_i32_e32 v3, 31, v3
	v_and_b32_e32 v2, exec_lo, v2
	v_xor_b32_e32 v14, vcc_hi, v3
	v_xor_b32_e32 v3, vcc_lo, v3
	v_lshlrev_b32_e32 v43, 29, v0
	v_and_b32_e32 v2, v2, v3
	v_not_b32_e32 v3, v43
	v_and_b32_e32 v1, exec_hi, v1
	v_cmp_gt_i64_e32 vcc, 0, v[42:43]
	v_ashrrev_i32_e32 v3, 31, v3
	v_and_b32_e32 v1, v1, v14
	v_xor_b32_e32 v14, vcc_hi, v3
	v_xor_b32_e32 v3, vcc_lo, v3
	v_lshlrev_b32_e32 v43, 28, v0
	v_and_b32_e32 v2, v2, v3
	v_not_b32_e32 v3, v43
	v_cmp_gt_i64_e32 vcc, 0, v[42:43]
	v_ashrrev_i32_e32 v3, 31, v3
	v_and_b32_e32 v1, v1, v14
	v_xor_b32_e32 v14, vcc_hi, v3
	v_xor_b32_e32 v3, vcc_lo, v3
	v_lshlrev_b32_e32 v43, 27, v0
	v_and_b32_e32 v2, v2, v3
	v_not_b32_e32 v3, v43
	;; [unrolled: 8-line block ×3, first 2 shown]
	v_cmp_gt_i64_e32 vcc, 0, v[42:43]
	v_ashrrev_i32_e32 v3, 31, v3
	v_and_b32_e32 v1, v1, v14
	v_xor_b32_e32 v14, vcc_hi, v3
	v_xor_b32_e32 v3, vcc_lo, v3
	v_lshlrev_b32_e32 v43, 25, v0
	v_and_b32_e32 v2, v2, v3
	v_cmp_gt_i64_e32 vcc, 0, v[42:43]
	v_not_b32_e32 v3, v43
	v_lshlrev_b32_e32 v43, 24, v0
	v_ashrrev_i32_e32 v3, 31, v3
	v_not_b32_e32 v0, v43
	v_and_b32_e32 v1, v1, v14
	v_xor_b32_e32 v14, vcc_hi, v3
	v_xor_b32_e32 v3, vcc_lo, v3
	v_cmp_gt_i64_e32 vcc, 0, v[42:43]
	v_ashrrev_i32_e32 v0, 31, v0
	v_and_b32_e32 v2, v2, v3
	v_xor_b32_e32 v3, vcc_hi, v0
	v_xor_b32_e32 v0, vcc_lo, v0
	v_and_b32_e32 v1, v1, v14
	v_and_b32_e32 v0, v2, v0
	;; [unrolled: 1-line block ×3, first 2 shown]
	v_mbcnt_lo_u32_b32 v2, v0, 0
	v_mbcnt_hi_u32_b32 v14, v1, v2
	v_cmp_eq_u32_e32 vcc, 0, v14
	v_cmp_ne_u64_e64 s[4:5], 0, v[0:1]
	s_and_b64 s[54:55], s[4:5], vcc
	; wave barrier
	s_and_saveexec_b64 s[4:5], s[54:55]
	s_cbranch_execz .LBB152_78
; %bb.77:                               ;   in Loop: Header=BB152_70 Depth=1
	v_bcnt_u32_b32 v0, v0, 0
	v_bcnt_u32_b32 v0, v1, v0
	s_waitcnt lgkmcnt(0)
	v_add_u32_e32 v0, v12, v0
	ds_write_b32 v13, v0
.LBB152_78:                             ;   in Loop: Header=BB152_70 Depth=1
	s_or_b64 exec, exec, s[4:5]
	v_lshrrev_b64 v[0:1], s44, v[56:57]
	v_and_b32_e32 v0, s53, v0
	v_lshlrev_b32_e32 v1, 1, v0
	v_add_lshl_u32 v1, v1, v73, 2
	; wave barrier
	v_add_u32_e32 v18, 8, v1
	ds_read_b32 v15, v1 offset:8
	v_and_b32_e32 v1, 1, v0
	v_add_co_u32_e32 v2, vcc, -1, v1
	v_addc_co_u32_e64 v3, s[4:5], 0, -1, vcc
	v_cmp_ne_u32_e32 vcc, 0, v1
	v_lshlrev_b32_e32 v43, 30, v0
	v_xor_b32_e32 v1, vcc_hi, v3
	v_not_b32_e32 v3, v43
	v_xor_b32_e32 v2, vcc_lo, v2
	v_cmp_gt_i64_e32 vcc, 0, v[42:43]
	v_ashrrev_i32_e32 v3, 31, v3
	v_and_b32_e32 v2, exec_lo, v2
	v_xor_b32_e32 v19, vcc_hi, v3
	v_xor_b32_e32 v3, vcc_lo, v3
	v_lshlrev_b32_e32 v43, 29, v0
	v_and_b32_e32 v2, v2, v3
	v_not_b32_e32 v3, v43
	v_and_b32_e32 v1, exec_hi, v1
	v_cmp_gt_i64_e32 vcc, 0, v[42:43]
	v_ashrrev_i32_e32 v3, 31, v3
	v_and_b32_e32 v1, v1, v19
	v_xor_b32_e32 v19, vcc_hi, v3
	v_xor_b32_e32 v3, vcc_lo, v3
	v_lshlrev_b32_e32 v43, 28, v0
	v_and_b32_e32 v2, v2, v3
	v_not_b32_e32 v3, v43
	v_cmp_gt_i64_e32 vcc, 0, v[42:43]
	v_ashrrev_i32_e32 v3, 31, v3
	v_and_b32_e32 v1, v1, v19
	v_xor_b32_e32 v19, vcc_hi, v3
	v_xor_b32_e32 v3, vcc_lo, v3
	v_lshlrev_b32_e32 v43, 27, v0
	v_and_b32_e32 v2, v2, v3
	v_not_b32_e32 v3, v43
	;; [unrolled: 8-line block ×3, first 2 shown]
	v_cmp_gt_i64_e32 vcc, 0, v[42:43]
	v_ashrrev_i32_e32 v3, 31, v3
	v_and_b32_e32 v1, v1, v19
	v_xor_b32_e32 v19, vcc_hi, v3
	v_xor_b32_e32 v3, vcc_lo, v3
	v_lshlrev_b32_e32 v43, 25, v0
	v_and_b32_e32 v2, v2, v3
	v_cmp_gt_i64_e32 vcc, 0, v[42:43]
	v_not_b32_e32 v3, v43
	v_lshlrev_b32_e32 v43, 24, v0
	v_ashrrev_i32_e32 v3, 31, v3
	v_not_b32_e32 v0, v43
	v_and_b32_e32 v1, v1, v19
	v_xor_b32_e32 v19, vcc_hi, v3
	v_xor_b32_e32 v3, vcc_lo, v3
	v_cmp_gt_i64_e32 vcc, 0, v[42:43]
	v_ashrrev_i32_e32 v0, 31, v0
	v_and_b32_e32 v2, v2, v3
	v_xor_b32_e32 v3, vcc_hi, v0
	v_xor_b32_e32 v0, vcc_lo, v0
	v_and_b32_e32 v1, v1, v19
	v_and_b32_e32 v0, v2, v0
	;; [unrolled: 1-line block ×3, first 2 shown]
	v_mbcnt_lo_u32_b32 v2, v0, 0
	v_mbcnt_hi_u32_b32 v19, v1, v2
	v_cmp_eq_u32_e32 vcc, 0, v19
	v_cmp_ne_u64_e64 s[4:5], 0, v[0:1]
	s_and_b64 s[54:55], s[4:5], vcc
	; wave barrier
	s_and_saveexec_b64 s[4:5], s[54:55]
	s_cbranch_execz .LBB152_80
; %bb.79:                               ;   in Loop: Header=BB152_70 Depth=1
	v_bcnt_u32_b32 v0, v0, 0
	v_bcnt_u32_b32 v0, v1, v0
	s_waitcnt lgkmcnt(0)
	v_add_u32_e32 v0, v15, v0
	ds_write_b32 v18, v0
.LBB152_80:                             ;   in Loop: Header=BB152_70 Depth=1
	s_or_b64 exec, exec, s[4:5]
	v_lshrrev_b64 v[0:1], s44, v[54:55]
	v_and_b32_e32 v0, s53, v0
	v_lshlrev_b32_e32 v1, 1, v0
	v_add_lshl_u32 v1, v1, v73, 2
	; wave barrier
	v_add_u32_e32 v21, 8, v1
	ds_read_b32 v20, v1 offset:8
	v_and_b32_e32 v1, 1, v0
	v_add_co_u32_e32 v2, vcc, -1, v1
	v_addc_co_u32_e64 v3, s[4:5], 0, -1, vcc
	v_cmp_ne_u32_e32 vcc, 0, v1
	v_lshlrev_b32_e32 v43, 30, v0
	v_xor_b32_e32 v1, vcc_hi, v3
	v_not_b32_e32 v3, v43
	v_xor_b32_e32 v2, vcc_lo, v2
	v_cmp_gt_i64_e32 vcc, 0, v[42:43]
	v_ashrrev_i32_e32 v3, 31, v3
	v_and_b32_e32 v2, exec_lo, v2
	v_xor_b32_e32 v22, vcc_hi, v3
	v_xor_b32_e32 v3, vcc_lo, v3
	v_lshlrev_b32_e32 v43, 29, v0
	v_and_b32_e32 v2, v2, v3
	v_not_b32_e32 v3, v43
	v_and_b32_e32 v1, exec_hi, v1
	v_cmp_gt_i64_e32 vcc, 0, v[42:43]
	v_ashrrev_i32_e32 v3, 31, v3
	v_and_b32_e32 v1, v1, v22
	v_xor_b32_e32 v22, vcc_hi, v3
	v_xor_b32_e32 v3, vcc_lo, v3
	v_lshlrev_b32_e32 v43, 28, v0
	v_and_b32_e32 v2, v2, v3
	v_not_b32_e32 v3, v43
	v_cmp_gt_i64_e32 vcc, 0, v[42:43]
	v_ashrrev_i32_e32 v3, 31, v3
	v_and_b32_e32 v1, v1, v22
	v_xor_b32_e32 v22, vcc_hi, v3
	v_xor_b32_e32 v3, vcc_lo, v3
	v_lshlrev_b32_e32 v43, 27, v0
	v_and_b32_e32 v2, v2, v3
	v_not_b32_e32 v3, v43
	;; [unrolled: 8-line block ×3, first 2 shown]
	v_cmp_gt_i64_e32 vcc, 0, v[42:43]
	v_ashrrev_i32_e32 v3, 31, v3
	v_and_b32_e32 v1, v1, v22
	v_xor_b32_e32 v22, vcc_hi, v3
	v_xor_b32_e32 v3, vcc_lo, v3
	v_lshlrev_b32_e32 v43, 25, v0
	v_and_b32_e32 v2, v2, v3
	v_cmp_gt_i64_e32 vcc, 0, v[42:43]
	v_not_b32_e32 v3, v43
	v_lshlrev_b32_e32 v43, 24, v0
	v_ashrrev_i32_e32 v3, 31, v3
	v_not_b32_e32 v0, v43
	v_and_b32_e32 v1, v1, v22
	v_xor_b32_e32 v22, vcc_hi, v3
	v_xor_b32_e32 v3, vcc_lo, v3
	v_cmp_gt_i64_e32 vcc, 0, v[42:43]
	v_ashrrev_i32_e32 v0, 31, v0
	v_and_b32_e32 v2, v2, v3
	v_xor_b32_e32 v3, vcc_hi, v0
	v_xor_b32_e32 v0, vcc_lo, v0
	v_and_b32_e32 v1, v1, v22
	v_and_b32_e32 v0, v2, v0
	;; [unrolled: 1-line block ×3, first 2 shown]
	v_mbcnt_lo_u32_b32 v2, v0, 0
	v_mbcnt_hi_u32_b32 v22, v1, v2
	v_cmp_eq_u32_e32 vcc, 0, v22
	v_cmp_ne_u64_e64 s[4:5], 0, v[0:1]
	s_and_b64 s[54:55], s[4:5], vcc
	; wave barrier
	s_and_saveexec_b64 s[4:5], s[54:55]
	s_cbranch_execz .LBB152_82
; %bb.81:                               ;   in Loop: Header=BB152_70 Depth=1
	v_bcnt_u32_b32 v0, v0, 0
	v_bcnt_u32_b32 v0, v1, v0
	s_waitcnt lgkmcnt(0)
	v_add_u32_e32 v0, v20, v0
	ds_write_b32 v21, v0
.LBB152_82:                             ;   in Loop: Header=BB152_70 Depth=1
	s_or_b64 exec, exec, s[4:5]
	v_lshrrev_b64 v[0:1], s44, v[52:53]
	v_and_b32_e32 v0, s53, v0
	v_lshlrev_b32_e32 v1, 1, v0
	v_add_lshl_u32 v1, v1, v73, 2
	; wave barrier
	v_add_u32_e32 v24, 8, v1
	ds_read_b32 v23, v1 offset:8
	v_and_b32_e32 v1, 1, v0
	v_add_co_u32_e32 v2, vcc, -1, v1
	v_addc_co_u32_e64 v3, s[4:5], 0, -1, vcc
	v_cmp_ne_u32_e32 vcc, 0, v1
	v_lshlrev_b32_e32 v43, 30, v0
	v_xor_b32_e32 v1, vcc_hi, v3
	v_not_b32_e32 v3, v43
	v_xor_b32_e32 v2, vcc_lo, v2
	v_cmp_gt_i64_e32 vcc, 0, v[42:43]
	v_ashrrev_i32_e32 v3, 31, v3
	v_and_b32_e32 v2, exec_lo, v2
	v_xor_b32_e32 v25, vcc_hi, v3
	v_xor_b32_e32 v3, vcc_lo, v3
	v_lshlrev_b32_e32 v43, 29, v0
	v_and_b32_e32 v2, v2, v3
	v_not_b32_e32 v3, v43
	v_and_b32_e32 v1, exec_hi, v1
	v_cmp_gt_i64_e32 vcc, 0, v[42:43]
	v_ashrrev_i32_e32 v3, 31, v3
	v_and_b32_e32 v1, v1, v25
	v_xor_b32_e32 v25, vcc_hi, v3
	v_xor_b32_e32 v3, vcc_lo, v3
	v_lshlrev_b32_e32 v43, 28, v0
	v_and_b32_e32 v2, v2, v3
	v_not_b32_e32 v3, v43
	v_cmp_gt_i64_e32 vcc, 0, v[42:43]
	v_ashrrev_i32_e32 v3, 31, v3
	v_and_b32_e32 v1, v1, v25
	v_xor_b32_e32 v25, vcc_hi, v3
	v_xor_b32_e32 v3, vcc_lo, v3
	v_lshlrev_b32_e32 v43, 27, v0
	v_and_b32_e32 v2, v2, v3
	v_not_b32_e32 v3, v43
	;; [unrolled: 8-line block ×3, first 2 shown]
	v_cmp_gt_i64_e32 vcc, 0, v[42:43]
	v_ashrrev_i32_e32 v3, 31, v3
	v_and_b32_e32 v1, v1, v25
	v_xor_b32_e32 v25, vcc_hi, v3
	v_xor_b32_e32 v3, vcc_lo, v3
	v_lshlrev_b32_e32 v43, 25, v0
	v_and_b32_e32 v2, v2, v3
	v_cmp_gt_i64_e32 vcc, 0, v[42:43]
	v_not_b32_e32 v3, v43
	v_lshlrev_b32_e32 v43, 24, v0
	v_ashrrev_i32_e32 v3, 31, v3
	v_not_b32_e32 v0, v43
	v_and_b32_e32 v1, v1, v25
	v_xor_b32_e32 v25, vcc_hi, v3
	v_xor_b32_e32 v3, vcc_lo, v3
	v_cmp_gt_i64_e32 vcc, 0, v[42:43]
	v_ashrrev_i32_e32 v0, 31, v0
	v_and_b32_e32 v2, v2, v3
	v_xor_b32_e32 v3, vcc_hi, v0
	v_xor_b32_e32 v0, vcc_lo, v0
	v_and_b32_e32 v1, v1, v25
	v_and_b32_e32 v0, v2, v0
	;; [unrolled: 1-line block ×3, first 2 shown]
	v_mbcnt_lo_u32_b32 v2, v0, 0
	v_mbcnt_hi_u32_b32 v25, v1, v2
	v_cmp_eq_u32_e32 vcc, 0, v25
	v_cmp_ne_u64_e64 s[4:5], 0, v[0:1]
	s_and_b64 s[54:55], s[4:5], vcc
	; wave barrier
	s_and_saveexec_b64 s[4:5], s[54:55]
	s_cbranch_execz .LBB152_84
; %bb.83:                               ;   in Loop: Header=BB152_70 Depth=1
	v_bcnt_u32_b32 v0, v0, 0
	v_bcnt_u32_b32 v0, v1, v0
	s_waitcnt lgkmcnt(0)
	v_add_u32_e32 v0, v23, v0
	ds_write_b32 v24, v0
.LBB152_84:                             ;   in Loop: Header=BB152_70 Depth=1
	s_or_b64 exec, exec, s[4:5]
	v_lshrrev_b64 v[0:1], s44, v[46:47]
	v_and_b32_e32 v0, s53, v0
	v_lshlrev_b32_e32 v1, 1, v0
	v_add_lshl_u32 v1, v1, v73, 2
	; wave barrier
	v_add_u32_e32 v27, 8, v1
	ds_read_b32 v26, v1 offset:8
	v_and_b32_e32 v1, 1, v0
	v_add_co_u32_e32 v2, vcc, -1, v1
	v_addc_co_u32_e64 v3, s[4:5], 0, -1, vcc
	v_cmp_ne_u32_e32 vcc, 0, v1
	v_lshlrev_b32_e32 v43, 30, v0
	v_xor_b32_e32 v1, vcc_hi, v3
	v_not_b32_e32 v3, v43
	v_xor_b32_e32 v2, vcc_lo, v2
	v_cmp_gt_i64_e32 vcc, 0, v[42:43]
	v_ashrrev_i32_e32 v3, 31, v3
	v_and_b32_e32 v2, exec_lo, v2
	v_xor_b32_e32 v28, vcc_hi, v3
	v_xor_b32_e32 v3, vcc_lo, v3
	v_lshlrev_b32_e32 v43, 29, v0
	v_and_b32_e32 v2, v2, v3
	v_not_b32_e32 v3, v43
	v_and_b32_e32 v1, exec_hi, v1
	v_cmp_gt_i64_e32 vcc, 0, v[42:43]
	v_ashrrev_i32_e32 v3, 31, v3
	v_and_b32_e32 v1, v1, v28
	v_xor_b32_e32 v28, vcc_hi, v3
	v_xor_b32_e32 v3, vcc_lo, v3
	v_lshlrev_b32_e32 v43, 28, v0
	v_and_b32_e32 v2, v2, v3
	v_not_b32_e32 v3, v43
	v_cmp_gt_i64_e32 vcc, 0, v[42:43]
	v_ashrrev_i32_e32 v3, 31, v3
	v_and_b32_e32 v1, v1, v28
	v_xor_b32_e32 v28, vcc_hi, v3
	v_xor_b32_e32 v3, vcc_lo, v3
	v_lshlrev_b32_e32 v43, 27, v0
	v_and_b32_e32 v2, v2, v3
	v_not_b32_e32 v3, v43
	;; [unrolled: 8-line block ×3, first 2 shown]
	v_cmp_gt_i64_e32 vcc, 0, v[42:43]
	v_ashrrev_i32_e32 v3, 31, v3
	v_and_b32_e32 v1, v1, v28
	v_xor_b32_e32 v28, vcc_hi, v3
	v_xor_b32_e32 v3, vcc_lo, v3
	v_lshlrev_b32_e32 v43, 25, v0
	v_and_b32_e32 v2, v2, v3
	v_cmp_gt_i64_e32 vcc, 0, v[42:43]
	v_not_b32_e32 v3, v43
	v_lshlrev_b32_e32 v43, 24, v0
	v_ashrrev_i32_e32 v3, 31, v3
	v_not_b32_e32 v0, v43
	v_and_b32_e32 v1, v1, v28
	v_xor_b32_e32 v28, vcc_hi, v3
	v_xor_b32_e32 v3, vcc_lo, v3
	v_cmp_gt_i64_e32 vcc, 0, v[42:43]
	v_ashrrev_i32_e32 v0, 31, v0
	v_and_b32_e32 v2, v2, v3
	v_xor_b32_e32 v3, vcc_hi, v0
	v_xor_b32_e32 v0, vcc_lo, v0
	v_and_b32_e32 v1, v1, v28
	v_and_b32_e32 v0, v2, v0
	;; [unrolled: 1-line block ×3, first 2 shown]
	v_mbcnt_lo_u32_b32 v2, v0, 0
	v_mbcnt_hi_u32_b32 v28, v1, v2
	v_cmp_eq_u32_e32 vcc, 0, v28
	v_cmp_ne_u64_e64 s[4:5], 0, v[0:1]
	s_and_b64 s[54:55], s[4:5], vcc
	; wave barrier
	s_and_saveexec_b64 s[4:5], s[54:55]
	s_cbranch_execz .LBB152_86
; %bb.85:                               ;   in Loop: Header=BB152_70 Depth=1
	v_bcnt_u32_b32 v0, v0, 0
	v_bcnt_u32_b32 v0, v1, v0
	s_waitcnt lgkmcnt(0)
	v_add_u32_e32 v0, v26, v0
	ds_write_b32 v27, v0
.LBB152_86:                             ;   in Loop: Header=BB152_70 Depth=1
	s_or_b64 exec, exec, s[4:5]
	; wave barrier
	s_waitcnt lgkmcnt(0)
	s_barrier
	ds_read2_b32 v[2:3], v112 offset0:2 offset1:3
	ds_read2_b32 v[0:1], v72 offset0:2 offset1:3
	s_waitcnt lgkmcnt(1)
	v_add_u32_e32 v29, v3, v2
	s_waitcnt lgkmcnt(0)
	v_add3_u32 v1, v29, v0, v1
	s_nop 1
	v_mov_b32_dpp v29, v1 row_shr:1 row_mask:0xf bank_mask:0xf
	v_cndmask_b32_e64 v29, v29, 0, s[16:17]
	v_add_u32_e32 v1, v29, v1
	s_nop 1
	v_mov_b32_dpp v29, v1 row_shr:2 row_mask:0xf bank_mask:0xf
	v_cndmask_b32_e64 v29, 0, v29, s[18:19]
	v_add_u32_e32 v1, v1, v29
	;; [unrolled: 4-line block ×4, first 2 shown]
	s_nop 1
	v_mov_b32_dpp v29, v1 row_bcast:15 row_mask:0xf bank_mask:0xf
	v_cndmask_b32_e64 v29, v29, 0, s[24:25]
	v_add_u32_e32 v1, v1, v29
	s_nop 1
	v_mov_b32_dpp v29, v1 row_bcast:31 row_mask:0xf bank_mask:0xf
	v_cndmask_b32_e64 v29, 0, v29, s[26:27]
	v_add_u32_e32 v1, v1, v29
	s_and_saveexec_b64 s[4:5], s[28:29]
	s_cbranch_execz .LBB152_88
; %bb.87:                               ;   in Loop: Header=BB152_70 Depth=1
	ds_write_b32 v70, v1
.LBB152_88:                             ;   in Loop: Header=BB152_70 Depth=1
	s_or_b64 exec, exec, s[4:5]
	s_waitcnt lgkmcnt(0)
	s_barrier
	s_and_saveexec_b64 s[4:5], s[30:31]
	s_cbranch_execz .LBB152_90
; %bb.89:                               ;   in Loop: Header=BB152_70 Depth=1
	ds_read_b32 v29, v69
	s_waitcnt lgkmcnt(0)
	s_nop 0
	v_mov_b32_dpp v30, v29 row_shr:1 row_mask:0xf bank_mask:0xf
	v_cndmask_b32_e64 v30, v30, 0, s[40:41]
	v_add_u32_e32 v29, v30, v29
	ds_write_b32 v69, v29
.LBB152_90:                             ;   in Loop: Header=BB152_70 Depth=1
	s_or_b64 exec, exec, s[4:5]
	v_mov_b32_e32 v29, 0
	s_waitcnt lgkmcnt(0)
	s_barrier
	s_and_saveexec_b64 s[4:5], s[34:35]
	s_cbranch_execz .LBB152_92
; %bb.91:                               ;   in Loop: Header=BB152_70 Depth=1
	ds_read_b32 v29, v75
.LBB152_92:                             ;   in Loop: Header=BB152_70 Depth=1
	s_or_b64 exec, exec, s[4:5]
	s_waitcnt lgkmcnt(0)
	v_add_u32_e32 v1, v29, v1
	ds_bpermute_b32 v1, v74, v1
	s_cmp_gt_u32 s44, 55
	s_waitcnt lgkmcnt(0)
	v_cndmask_b32_e64 v1, v1, v29, s[36:37]
	v_cndmask_b32_e64 v1, v1, 0, s[38:39]
	v_add_u32_e32 v2, v1, v2
	v_add_u32_e32 v3, v2, v3
	;; [unrolled: 1-line block ×3, first 2 shown]
	ds_write2_b32 v112, v1, v2 offset0:2 offset1:3
	ds_write2_b32 v72, v3, v0 offset0:2 offset1:3
	s_waitcnt lgkmcnt(0)
	s_barrier
	ds_read_b32 v0, v4
	ds_read_b32 v1, v7
	;; [unrolled: 1-line block ×8, first 2 shown]
	s_waitcnt lgkmcnt(7)
	v_add_u32_e32 v83, v0, v5
	s_waitcnt lgkmcnt(6)
	v_add3_u32 v82, v8, v6, v1
	s_waitcnt lgkmcnt(5)
	v_add3_u32 v81, v11, v9, v2
	;; [unrolled: 2-line block ×7, first 2 shown]
	s_cbranch_scc0 .LBB152_69
; %bb.93:
                                        ; implicit-def: $vgpr32_vgpr33
                                        ; implicit-def: $vgpr28_vgpr29
                                        ; implicit-def: $vgpr24_vgpr25
                                        ; implicit-def: $vgpr20_vgpr21
                                        ; implicit-def: $vgpr14_vgpr15
                                        ; implicit-def: $vgpr10_vgpr11
                                        ; implicit-def: $vgpr6_vgpr7
                                        ; implicit-def: $vgpr2_vgpr3
                                        ; implicit-def: $sgpr44_sgpr45
                                        ; implicit-def: $sgpr51
.LBB152_94:
	v_lshlrev_b32_e32 v18, 3, v83
	v_lshlrev_b32_e32 v19, 3, v82
	;; [unrolled: 1-line block ×9, first 2 shown]
	s_barrier
	ds_write_b64 v18, v[64:65]
	ds_write_b64 v19, v[62:63]
	;; [unrolled: 1-line block ×8, first 2 shown]
	s_waitcnt lgkmcnt(0)
	s_barrier
	ds_read2_b64 v[0:3], v26 offset1:1
	ds_read2_b64 v[4:7], v26 offset0:2 offset1:3
	ds_read2_b64 v[8:11], v26 offset0:4 offset1:5
	;; [unrolled: 1-line block ×3, first 2 shown]
	s_waitcnt lgkmcnt(0)
	s_barrier
	ds_write_b64 v18, v[50:51]
	ds_write_b64 v19, v[48:49]
	;; [unrolled: 1-line block ×8, first 2 shown]
	s_waitcnt lgkmcnt(0)
	s_barrier
	ds_read2_b64 v[34:37], v26 offset1:1
	ds_read2_b64 v[38:41], v26 offset0:2 offset1:3
	ds_read2_b64 v[42:45], v26 offset0:4 offset1:5
	ds_read2_b64 v[46:49], v26 offset0:6 offset1:7
	v_xor_b32_e32 v51, 0x7fffffff, v1
	v_xor_b32_e32 v50, -1, v0
	v_xor_b32_e32 v53, 0x7fffffff, v3
	v_xor_b32_e32 v52, -1, v2
	;; [unrolled: 2-line block ×8, first 2 shown]
.LBB152_95:
	s_waitcnt lgkmcnt(0)
	s_barrier
	ds_write2_b64 v111, v[50:51], v[52:53] offset1:1
	ds_write2_b64 v111, v[54:55], v[56:57] offset0:2 offset1:3
	ds_write2_b64 v111, v[58:59], v[60:61] offset0:4 offset1:5
	ds_write2_b64 v111, v[62:63], v[64:65] offset0:6 offset1:7
	s_waitcnt lgkmcnt(0)
	s_barrier
	ds_read_b64 v[14:15], v104 offset:1024
	ds_read_b64 v[12:13], v105 offset:2048
	;; [unrolled: 1-line block ×7, first 2 shown]
	v_mov_b32_e32 v67, 0
	v_lshlrev_b64 v[2:3], 3, v[66:67]
	v_mov_b32_e32 v16, s47
	v_add_co_u32_e32 v2, vcc, s33, v2
	v_addc_co_u32_e32 v3, vcc, v16, v3, vcc
	s_and_saveexec_b64 s[4:5], s[0:1]
	s_cbranch_execnz .LBB152_114
; %bb.96:
	s_or_b64 exec, exec, s[4:5]
	s_and_saveexec_b64 s[4:5], s[2:3]
	s_cbranch_execnz .LBB152_115
.LBB152_97:
	s_or_b64 exec, exec, s[4:5]
	s_and_saveexec_b64 s[4:5], s[42:43]
	s_cbranch_execnz .LBB152_116
.LBB152_98:
	s_or_b64 exec, exec, s[4:5]
	s_and_saveexec_b64 s[4:5], s[6:7]
	s_cbranch_execnz .LBB152_117
.LBB152_99:
	s_or_b64 exec, exec, s[4:5]
	s_and_saveexec_b64 s[4:5], s[8:9]
	s_cbranch_execnz .LBB152_118
.LBB152_100:
	s_or_b64 exec, exec, s[4:5]
	s_and_saveexec_b64 s[4:5], s[10:11]
	s_cbranch_execnz .LBB152_119
.LBB152_101:
	s_or_b64 exec, exec, s[4:5]
	s_and_saveexec_b64 s[4:5], s[12:13]
	s_cbranch_execnz .LBB152_120
.LBB152_102:
	s_or_b64 exec, exec, s[4:5]
	s_and_saveexec_b64 s[4:5], s[14:15]
	s_cbranch_execz .LBB152_104
.LBB152_103:
	s_mul_i32 s16, s46, 0x380
	s_mov_b32 s17, 0
	s_lshl_b64 s[16:17], s[16:17], 3
	s_waitcnt lgkmcnt(1)
	v_mov_b32_e32 v4, s17
	v_add_co_u32_e32 v2, vcc, s16, v2
	v_addc_co_u32_e32 v3, vcc, v3, v4, vcc
	s_waitcnt lgkmcnt(0)
	global_store_dwordx2 v[2:3], v[0:1], off
.LBB152_104:
	s_or_b64 exec, exec, s[4:5]
	s_waitcnt lgkmcnt(0)
	s_barrier
	ds_write2_b64 v111, v[34:35], v[36:37] offset1:1
	ds_write2_b64 v111, v[38:39], v[40:41] offset0:2 offset1:3
	ds_write2_b64 v111, v[42:43], v[44:45] offset0:4 offset1:5
	;; [unrolled: 1-line block ×3, first 2 shown]
	s_waitcnt lgkmcnt(0)
	s_barrier
	ds_read_b64 v[14:15], v104 offset:1024
	ds_read_b64 v[12:13], v105 offset:2048
	;; [unrolled: 1-line block ×7, first 2 shown]
	v_mov_b32_e32 v69, 0
	v_lshlrev_b64 v[2:3], 3, v[68:69]
	v_mov_b32_e32 v16, s52
	v_add_co_u32_e32 v2, vcc, s49, v2
	v_addc_co_u32_e32 v3, vcc, v16, v3, vcc
	s_and_saveexec_b64 s[4:5], s[0:1]
	s_cbranch_execnz .LBB152_121
; %bb.105:
	s_or_b64 exec, exec, s[4:5]
	s_and_saveexec_b64 s[0:1], s[2:3]
	s_cbranch_execnz .LBB152_122
.LBB152_106:
	s_or_b64 exec, exec, s[0:1]
	s_and_saveexec_b64 s[0:1], s[42:43]
	s_cbranch_execnz .LBB152_123
.LBB152_107:
	s_or_b64 exec, exec, s[0:1]
	s_and_saveexec_b64 s[0:1], s[6:7]
	s_cbranch_execnz .LBB152_124
.LBB152_108:
	s_or_b64 exec, exec, s[0:1]
	s_and_saveexec_b64 s[0:1], s[8:9]
	s_cbranch_execnz .LBB152_125
.LBB152_109:
	s_or_b64 exec, exec, s[0:1]
	s_and_saveexec_b64 s[0:1], s[10:11]
	s_cbranch_execnz .LBB152_126
.LBB152_110:
	s_or_b64 exec, exec, s[0:1]
	s_and_saveexec_b64 s[0:1], s[12:13]
	s_cbranch_execnz .LBB152_127
.LBB152_111:
	s_or_b64 exec, exec, s[0:1]
	s_and_saveexec_b64 s[0:1], s[14:15]
	s_cbranch_execz .LBB152_113
.LBB152_112:
	s_mul_i32 s0, s48, 0x380
	s_mov_b32 s1, 0
	s_lshl_b64 s[0:1], s[0:1], 3
	s_waitcnt lgkmcnt(1)
	v_mov_b32_e32 v4, s1
	v_add_co_u32_e32 v2, vcc, s0, v2
	v_addc_co_u32_e32 v3, vcc, v3, v4, vcc
	s_waitcnt lgkmcnt(0)
	global_store_dwordx2 v[2:3], v[0:1], off
.LBB152_113:
	s_endpgm
.LBB152_114:
	ds_read_b64 v[16:17], v71
	s_waitcnt lgkmcnt(0)
	global_store_dwordx2 v[2:3], v[16:17], off
	s_or_b64 exec, exec, s[4:5]
	s_and_saveexec_b64 s[4:5], s[2:3]
	s_cbranch_execz .LBB152_97
.LBB152_115:
	s_lshl_b32 s16, s46, 7
	s_mov_b32 s17, 0
	s_lshl_b64 s[16:17], s[16:17], 3
	v_mov_b32_e32 v17, s17
	v_add_co_u32_e32 v16, vcc, s16, v2
	v_addc_co_u32_e32 v17, vcc, v3, v17, vcc
	s_waitcnt lgkmcnt(6)
	global_store_dwordx2 v[16:17], v[14:15], off
	s_or_b64 exec, exec, s[4:5]
	s_and_saveexec_b64 s[4:5], s[42:43]
	s_cbranch_execz .LBB152_98
.LBB152_116:
	s_lshl_b32 s16, s46, 8
	s_mov_b32 s17, 0
	s_lshl_b64 s[16:17], s[16:17], 3
	s_waitcnt lgkmcnt(6)
	v_mov_b32_e32 v15, s17
	v_add_co_u32_e32 v14, vcc, s16, v2
	v_addc_co_u32_e32 v15, vcc, v3, v15, vcc
	s_waitcnt lgkmcnt(5)
	global_store_dwordx2 v[14:15], v[12:13], off
	s_or_b64 exec, exec, s[4:5]
	s_and_saveexec_b64 s[4:5], s[6:7]
	s_cbranch_execz .LBB152_99
.LBB152_117:
	s_mul_i32 s16, s46, 0x180
	s_mov_b32 s17, 0
	s_lshl_b64 s[16:17], s[16:17], 3
	s_waitcnt lgkmcnt(5)
	v_mov_b32_e32 v13, s17
	v_add_co_u32_e32 v12, vcc, s16, v2
	v_addc_co_u32_e32 v13, vcc, v3, v13, vcc
	s_waitcnt lgkmcnt(4)
	global_store_dwordx2 v[12:13], v[10:11], off
	s_or_b64 exec, exec, s[4:5]
	s_and_saveexec_b64 s[4:5], s[8:9]
	s_cbranch_execz .LBB152_100
.LBB152_118:
	s_lshl_b32 s16, s46, 9
	s_mov_b32 s17, 0
	s_lshl_b64 s[16:17], s[16:17], 3
	s_waitcnt lgkmcnt(4)
	v_mov_b32_e32 v11, s17
	v_add_co_u32_e32 v10, vcc, s16, v2
	v_addc_co_u32_e32 v11, vcc, v3, v11, vcc
	s_waitcnt lgkmcnt(3)
	global_store_dwordx2 v[10:11], v[8:9], off
	s_or_b64 exec, exec, s[4:5]
	s_and_saveexec_b64 s[4:5], s[10:11]
	s_cbranch_execz .LBB152_101
.LBB152_119:
	s_mul_i32 s16, s46, 0x280
	s_mov_b32 s17, 0
	s_lshl_b64 s[16:17], s[16:17], 3
	s_waitcnt lgkmcnt(3)
	v_mov_b32_e32 v9, s17
	v_add_co_u32_e32 v8, vcc, s16, v2
	v_addc_co_u32_e32 v9, vcc, v3, v9, vcc
	s_waitcnt lgkmcnt(2)
	global_store_dwordx2 v[8:9], v[6:7], off
	s_or_b64 exec, exec, s[4:5]
	s_and_saveexec_b64 s[4:5], s[12:13]
	s_cbranch_execz .LBB152_102
.LBB152_120:
	s_mul_i32 s16, s46, 0x300
	s_mov_b32 s17, 0
	s_lshl_b64 s[16:17], s[16:17], 3
	s_waitcnt lgkmcnt(2)
	v_mov_b32_e32 v7, s17
	v_add_co_u32_e32 v6, vcc, s16, v2
	v_addc_co_u32_e32 v7, vcc, v3, v7, vcc
	s_waitcnt lgkmcnt(1)
	global_store_dwordx2 v[6:7], v[4:5], off
	s_or_b64 exec, exec, s[4:5]
	s_and_saveexec_b64 s[4:5], s[14:15]
	s_cbranch_execnz .LBB152_103
	s_branch .LBB152_104
.LBB152_121:
	ds_read_b64 v[16:17], v71
	s_waitcnt lgkmcnt(0)
	global_store_dwordx2 v[2:3], v[16:17], off
	s_or_b64 exec, exec, s[4:5]
	s_and_saveexec_b64 s[0:1], s[2:3]
	s_cbranch_execz .LBB152_106
.LBB152_122:
	s_lshl_b32 s2, s48, 7
	s_mov_b32 s3, 0
	s_lshl_b64 s[2:3], s[2:3], 3
	v_mov_b32_e32 v17, s3
	v_add_co_u32_e32 v16, vcc, s2, v2
	v_addc_co_u32_e32 v17, vcc, v3, v17, vcc
	s_waitcnt lgkmcnt(6)
	global_store_dwordx2 v[16:17], v[14:15], off
	s_or_b64 exec, exec, s[0:1]
	s_and_saveexec_b64 s[0:1], s[42:43]
	s_cbranch_execz .LBB152_107
.LBB152_123:
	s_lshl_b32 s2, s48, 8
	s_mov_b32 s3, 0
	s_lshl_b64 s[2:3], s[2:3], 3
	s_waitcnt lgkmcnt(6)
	v_mov_b32_e32 v15, s3
	v_add_co_u32_e32 v14, vcc, s2, v2
	v_addc_co_u32_e32 v15, vcc, v3, v15, vcc
	s_waitcnt lgkmcnt(5)
	global_store_dwordx2 v[14:15], v[12:13], off
	s_or_b64 exec, exec, s[0:1]
	s_and_saveexec_b64 s[0:1], s[6:7]
	s_cbranch_execz .LBB152_108
.LBB152_124:
	s_mul_i32 s2, s48, 0x180
	s_mov_b32 s3, 0
	s_lshl_b64 s[2:3], s[2:3], 3
	s_waitcnt lgkmcnt(5)
	v_mov_b32_e32 v13, s3
	v_add_co_u32_e32 v12, vcc, s2, v2
	v_addc_co_u32_e32 v13, vcc, v3, v13, vcc
	s_waitcnt lgkmcnt(4)
	global_store_dwordx2 v[12:13], v[10:11], off
	s_or_b64 exec, exec, s[0:1]
	s_and_saveexec_b64 s[0:1], s[8:9]
	s_cbranch_execz .LBB152_109
.LBB152_125:
	s_lshl_b32 s2, s48, 9
	s_mov_b32 s3, 0
	s_lshl_b64 s[2:3], s[2:3], 3
	s_waitcnt lgkmcnt(4)
	v_mov_b32_e32 v11, s3
	v_add_co_u32_e32 v10, vcc, s2, v2
	v_addc_co_u32_e32 v11, vcc, v3, v11, vcc
	s_waitcnt lgkmcnt(3)
	global_store_dwordx2 v[10:11], v[8:9], off
	s_or_b64 exec, exec, s[0:1]
	s_and_saveexec_b64 s[0:1], s[10:11]
	s_cbranch_execz .LBB152_110
.LBB152_126:
	s_mul_i32 s2, s48, 0x280
	s_mov_b32 s3, 0
	s_lshl_b64 s[2:3], s[2:3], 3
	s_waitcnt lgkmcnt(3)
	v_mov_b32_e32 v9, s3
	v_add_co_u32_e32 v8, vcc, s2, v2
	v_addc_co_u32_e32 v9, vcc, v3, v9, vcc
	s_waitcnt lgkmcnt(2)
	global_store_dwordx2 v[8:9], v[6:7], off
	s_or_b64 exec, exec, s[0:1]
	s_and_saveexec_b64 s[0:1], s[12:13]
	s_cbranch_execz .LBB152_111
.LBB152_127:
	s_mul_i32 s2, s48, 0x300
	s_mov_b32 s3, 0
	s_lshl_b64 s[2:3], s[2:3], 3
	s_waitcnt lgkmcnt(2)
	v_mov_b32_e32 v7, s3
	v_add_co_u32_e32 v6, vcc, s2, v2
	v_addc_co_u32_e32 v7, vcc, v3, v7, vcc
	s_waitcnt lgkmcnt(1)
	global_store_dwordx2 v[6:7], v[4:5], off
	s_or_b64 exec, exec, s[0:1]
	s_and_saveexec_b64 s[0:1], s[14:15]
	s_cbranch_execnz .LBB152_112
	s_branch .LBB152_113
	.section	.rodata,"a",@progbits
	.p2align	6, 0x0
	.amdhsa_kernel _ZN2at6native18radixSortKVInPlaceILin1ELin1ELi128ELi8ElljEEvNS_4cuda6detail10TensorInfoIT3_T5_EES6_S6_S6_NS4_IT4_S6_EES6_b
		.amdhsa_group_segment_fixed_size 8448
		.amdhsa_private_segment_fixed_size 0
		.amdhsa_kernarg_size 712
		.amdhsa_user_sgpr_count 6
		.amdhsa_user_sgpr_private_segment_buffer 1
		.amdhsa_user_sgpr_dispatch_ptr 0
		.amdhsa_user_sgpr_queue_ptr 0
		.amdhsa_user_sgpr_kernarg_segment_ptr 1
		.amdhsa_user_sgpr_dispatch_id 0
		.amdhsa_user_sgpr_flat_scratch_init 0
		.amdhsa_user_sgpr_kernarg_preload_length 0
		.amdhsa_user_sgpr_kernarg_preload_offset 0
		.amdhsa_user_sgpr_private_segment_size 0
		.amdhsa_uses_dynamic_stack 0
		.amdhsa_system_sgpr_private_segment_wavefront_offset 0
		.amdhsa_system_sgpr_workgroup_id_x 1
		.amdhsa_system_sgpr_workgroup_id_y 1
		.amdhsa_system_sgpr_workgroup_id_z 1
		.amdhsa_system_sgpr_workgroup_info 0
		.amdhsa_system_vgpr_workitem_id 2
		.amdhsa_next_free_vgpr 139
		.amdhsa_next_free_sgpr 58
		.amdhsa_accum_offset 140
		.amdhsa_reserve_vcc 1
		.amdhsa_reserve_flat_scratch 0
		.amdhsa_float_round_mode_32 0
		.amdhsa_float_round_mode_16_64 0
		.amdhsa_float_denorm_mode_32 3
		.amdhsa_float_denorm_mode_16_64 3
		.amdhsa_dx10_clamp 1
		.amdhsa_ieee_mode 1
		.amdhsa_fp16_overflow 0
		.amdhsa_tg_split 0
		.amdhsa_exception_fp_ieee_invalid_op 0
		.amdhsa_exception_fp_denorm_src 0
		.amdhsa_exception_fp_ieee_div_zero 0
		.amdhsa_exception_fp_ieee_overflow 0
		.amdhsa_exception_fp_ieee_underflow 0
		.amdhsa_exception_fp_ieee_inexact 0
		.amdhsa_exception_int_div_zero 0
	.end_amdhsa_kernel
	.section	.text._ZN2at6native18radixSortKVInPlaceILin1ELin1ELi128ELi8ElljEEvNS_4cuda6detail10TensorInfoIT3_T5_EES6_S6_S6_NS4_IT4_S6_EES6_b,"axG",@progbits,_ZN2at6native18radixSortKVInPlaceILin1ELin1ELi128ELi8ElljEEvNS_4cuda6detail10TensorInfoIT3_T5_EES6_S6_S6_NS4_IT4_S6_EES6_b,comdat
.Lfunc_end152:
	.size	_ZN2at6native18radixSortKVInPlaceILin1ELin1ELi128ELi8ElljEEvNS_4cuda6detail10TensorInfoIT3_T5_EES6_S6_S6_NS4_IT4_S6_EES6_b, .Lfunc_end152-_ZN2at6native18radixSortKVInPlaceILin1ELin1ELi128ELi8ElljEEvNS_4cuda6detail10TensorInfoIT3_T5_EES6_S6_S6_NS4_IT4_S6_EES6_b
                                        ; -- End function
	.section	.AMDGPU.csdata,"",@progbits
; Kernel info:
; codeLenInByte = 13188
; NumSgprs: 62
; NumVgprs: 139
; NumAgprs: 0
; TotalNumVgprs: 139
; ScratchSize: 0
; MemoryBound: 0
; FloatMode: 240
; IeeeMode: 1
; LDSByteSize: 8448 bytes/workgroup (compile time only)
; SGPRBlocks: 7
; VGPRBlocks: 17
; NumSGPRsForWavesPerEU: 62
; NumVGPRsForWavesPerEU: 139
; AccumOffset: 140
; Occupancy: 3
; WaveLimiterHint : 1
; COMPUTE_PGM_RSRC2:SCRATCH_EN: 0
; COMPUTE_PGM_RSRC2:USER_SGPR: 6
; COMPUTE_PGM_RSRC2:TRAP_HANDLER: 0
; COMPUTE_PGM_RSRC2:TGID_X_EN: 1
; COMPUTE_PGM_RSRC2:TGID_Y_EN: 1
; COMPUTE_PGM_RSRC2:TGID_Z_EN: 1
; COMPUTE_PGM_RSRC2:TIDIG_COMP_CNT: 2
; COMPUTE_PGM_RSRC3_GFX90A:ACCUM_OFFSET: 34
; COMPUTE_PGM_RSRC3_GFX90A:TG_SPLIT: 0
	.section	.text._ZN2at6native18radixSortKVInPlaceILin1ELin1ELi32ELi4ElljEEvNS_4cuda6detail10TensorInfoIT3_T5_EES6_S6_S6_NS4_IT4_S6_EES6_b,"axG",@progbits,_ZN2at6native18radixSortKVInPlaceILin1ELin1ELi32ELi4ElljEEvNS_4cuda6detail10TensorInfoIT3_T5_EES6_S6_S6_NS4_IT4_S6_EES6_b,comdat
	.protected	_ZN2at6native18radixSortKVInPlaceILin1ELin1ELi32ELi4ElljEEvNS_4cuda6detail10TensorInfoIT3_T5_EES6_S6_S6_NS4_IT4_S6_EES6_b ; -- Begin function _ZN2at6native18radixSortKVInPlaceILin1ELin1ELi32ELi4ElljEEvNS_4cuda6detail10TensorInfoIT3_T5_EES6_S6_S6_NS4_IT4_S6_EES6_b
	.globl	_ZN2at6native18radixSortKVInPlaceILin1ELin1ELi32ELi4ElljEEvNS_4cuda6detail10TensorInfoIT3_T5_EES6_S6_S6_NS4_IT4_S6_EES6_b
	.p2align	8
	.type	_ZN2at6native18radixSortKVInPlaceILin1ELin1ELi32ELi4ElljEEvNS_4cuda6detail10TensorInfoIT3_T5_EES6_S6_S6_NS4_IT4_S6_EES6_b,@function
_ZN2at6native18radixSortKVInPlaceILin1ELin1ELi32ELi4ElljEEvNS_4cuda6detail10TensorInfoIT3_T5_EES6_S6_S6_NS4_IT4_S6_EES6_b: ; @_ZN2at6native18radixSortKVInPlaceILin1ELin1ELi32ELi4ElljEEvNS_4cuda6detail10TensorInfoIT3_T5_EES6_S6_S6_NS4_IT4_S6_EES6_b
; %bb.0:
	s_load_dwordx2 s[0:1], s[4:5], 0x1c8
	s_load_dwordx4 s[28:31], s[4:5], 0xd8
	s_waitcnt lgkmcnt(0)
	s_mul_i32 s1, s1, s8
	s_add_i32 s1, s1, s7
	s_mul_i32 s0, s1, s0
	s_add_i32 s20, s0, s6
	s_cmp_ge_u32 s20, s28
	s_cbranch_scc1 .LBB153_63
; %bb.1:
	s_load_dword s2, s[4:5], 0xd0
	s_mov_b32 s1, 0
	s_mov_b32 s0, s20
	s_waitcnt lgkmcnt(0)
	s_cmp_lt_i32 s2, 2
	s_cbranch_scc1 .LBB153_4
; %bb.2:
	s_add_i32 s0, s2, -1
	s_add_i32 s6, s2, 1
	s_lshl_b64 s[2:3], s[0:1], 2
	s_add_u32 s0, s2, s4
	s_addc_u32 s3, s3, s5
	s_add_u32 s2, s0, 8
	s_addc_u32 s3, s3, 0
	s_mov_b32 s0, s20
.LBB153_3:                              ; =>This Inner Loop Header: Depth=1
	s_load_dword s7, s[2:3], 0x0
	s_load_dword s9, s[2:3], 0x64
	s_mov_b32 s8, s0
	s_waitcnt lgkmcnt(0)
	v_cvt_f32_u32_e32 v1, s7
	s_sub_i32 s0, 0, s7
	v_rcp_iflag_f32_e32 v1, v1
	v_mul_f32_e32 v1, 0x4f7ffffe, v1
	v_cvt_u32_f32_e32 v1, v1
	v_readfirstlane_b32 s10, v1
	s_mul_i32 s0, s0, s10
	s_mul_hi_u32 s0, s10, s0
	s_add_i32 s10, s10, s0
	s_mul_hi_u32 s0, s8, s10
	s_mul_i32 s10, s0, s7
	s_sub_i32 s10, s8, s10
	s_add_i32 s11, s0, 1
	s_sub_i32 s12, s10, s7
	s_cmp_ge_u32 s10, s7
	s_cselect_b32 s0, s11, s0
	s_cselect_b32 s10, s12, s10
	s_add_i32 s11, s0, 1
	s_cmp_ge_u32 s10, s7
	s_cselect_b32 s0, s11, s0
	s_mul_i32 s7, s0, s7
	s_sub_i32 s7, s8, s7
	s_mul_i32 s7, s9, s7
	s_add_i32 s6, s6, -1
	s_add_i32 s1, s7, s1
	s_add_u32 s2, s2, -4
	s_addc_u32 s3, s3, -1
	s_cmp_gt_u32 s6, 2
	s_cbranch_scc1 .LBB153_3
.LBB153_4:
	s_load_dword s2, s[4:5], 0x1b8
	s_mov_b32 s19, 0
	s_waitcnt lgkmcnt(0)
	s_cmp_lt_i32 s2, 2
	s_cbranch_scc1 .LBB153_7
; %bb.5:
	s_add_i32 s18, s2, -1
	s_add_i32 s6, s2, 1
	s_lshl_b64 s[2:3], s[18:19], 2
	s_add_u32 s2, s2, s4
	s_addc_u32 s3, s3, s5
	s_add_u32 s2, s2, 0xf0
	s_addc_u32 s3, s3, 0
.LBB153_6:                              ; =>This Inner Loop Header: Depth=1
	s_load_dword s7, s[2:3], 0x0
	s_load_dword s9, s[2:3], 0x64
	s_mov_b32 s8, s20
	s_waitcnt lgkmcnt(0)
	v_cvt_f32_u32_e32 v1, s7
	s_sub_i32 s10, 0, s7
	v_rcp_iflag_f32_e32 v1, v1
	v_mul_f32_e32 v1, 0x4f7ffffe, v1
	v_cvt_u32_f32_e32 v1, v1
	v_readfirstlane_b32 s11, v1
	s_mul_i32 s10, s10, s11
	s_mul_hi_u32 s10, s11, s10
	s_add_i32 s11, s11, s10
	s_mul_hi_u32 s10, s20, s11
	s_mul_i32 s11, s10, s7
	s_sub_i32 s11, s20, s11
	s_add_i32 s12, s10, 1
	s_sub_i32 s13, s11, s7
	s_cmp_ge_u32 s11, s7
	s_cselect_b32 s10, s12, s10
	s_cselect_b32 s11, s13, s11
	s_add_i32 s12, s10, 1
	s_cmp_ge_u32 s11, s7
	s_cselect_b32 s20, s12, s10
	s_mul_i32 s7, s20, s7
	s_sub_i32 s7, s8, s7
	s_mul_i32 s7, s9, s7
	s_add_i32 s6, s6, -1
	s_add_i32 s19, s7, s19
	s_add_u32 s2, s2, -4
	s_addc_u32 s3, s3, -1
	s_cmp_gt_u32 s6, 2
	s_cbranch_scc1 .LBB153_6
.LBB153_7:
	s_load_dword s2, s[4:5], 0x6c
	s_load_dwordx2 s[26:27], s[4:5], 0x1c0
	s_load_dwordx2 s[6:7], s[4:5], 0x0
	s_mov_b32 s3, 0
	v_mul_lo_u32 v34, v0, s30
	s_waitcnt lgkmcnt(0)
	s_mul_i32 s0, s2, s0
	s_add_i32 s2, s0, s1
	s_bitcmp1_b32 s27, 0
	s_cselect_b64 s[16:17], -1, 0
	s_and_b64 s[0:1], s[16:17], exec
	s_brev_b32 s0, 1
	s_cselect_b32 s8, 0, -1
	s_cselect_b32 s9, s0, 0x7fffffff
	s_lshl_b64 s[0:1], s[2:3], 3
	s_add_u32 s27, s6, s0
	s_mov_b32 s10, s8
	s_mov_b32 s11, s9
	;; [unrolled: 1-line block ×6, first 2 shown]
	v_pk_mov_b32 v[2:3], s[8:9], s[8:9] op_sel:[0,1]
	s_addc_u32 s31, s7, s1
	v_cmp_gt_u32_e64 s[0:1], s29, v0
	v_pk_mov_b32 v[4:5], s[10:11], s[10:11] op_sel:[0,1]
	v_pk_mov_b32 v[6:7], s[12:13], s[12:13] op_sel:[0,1]
	v_pk_mov_b32 v[8:9], s[14:15], s[14:15] op_sel:[0,1]
	v_pk_mov_b32 v[10:11], s[8:9], s[8:9] op_sel:[0,1]
	s_and_saveexec_b64 s[2:3], s[0:1]
	s_cbranch_execz .LBB153_9
; %bb.8:
	v_mov_b32_e32 v35, 0
	v_lshlrev_b64 v[2:3], 3, v[34:35]
	v_mov_b32_e32 v1, s31
	v_add_co_u32_e32 v2, vcc, s27, v2
	v_addc_co_u32_e32 v3, vcc, v1, v3, vcc
	global_load_dwordx2 v[10:11], v[2:3], off
	v_pk_mov_b32 v[2:3], s[8:9], s[8:9] op_sel:[0,1]
	v_pk_mov_b32 v[4:5], s[10:11], s[10:11] op_sel:[0,1]
	;; [unrolled: 1-line block ×4, first 2 shown]
.LBB153_9:
	s_or_b64 exec, exec, s[2:3]
	v_or_b32_e32 v1, 32, v0
	v_cmp_gt_u32_e64 s[2:3], s29, v1
	s_and_saveexec_b64 s[6:7], s[2:3]
	s_cbranch_execz .LBB153_11
; %bb.10:
	v_mul_lo_u32 v2, v1, s30
	v_mov_b32_e32 v3, 0
	v_lshlrev_b64 v[2:3], 3, v[2:3]
	v_mov_b32_e32 v4, s31
	v_add_co_u32_e32 v2, vcc, s27, v2
	v_addc_co_u32_e32 v3, vcc, v4, v3, vcc
	global_load_dwordx2 v[4:5], v[2:3], off
.LBB153_11:
	s_or_b64 exec, exec, s[6:7]
	s_load_dwordx2 s[10:11], s[4:5], 0xe8
	v_or_b32_e32 v19, 64, v0
	v_cmp_gt_u32_e64 s[24:25], s29, v19
	s_and_saveexec_b64 s[6:7], s[24:25]
	s_cbranch_execz .LBB153_13
; %bb.12:
	v_mul_lo_u32 v2, v19, s30
	v_mov_b32_e32 v3, 0
	v_lshlrev_b64 v[2:3], 3, v[2:3]
	v_mov_b32_e32 v6, s31
	v_add_co_u32_e32 v2, vcc, s27, v2
	v_addc_co_u32_e32 v3, vcc, v6, v3, vcc
	global_load_dwordx2 v[6:7], v[2:3], off
.LBB153_13:
	s_or_b64 exec, exec, s[6:7]
	s_load_dword s8, s[4:5], 0x154
	v_or_b32_e32 v20, 0x60, v0
	v_cmp_gt_u32_e64 s[6:7], s29, v20
	s_and_saveexec_b64 s[4:5], s[6:7]
	s_cbranch_execz .LBB153_15
; %bb.14:
	v_mul_lo_u32 v2, v20, s30
	v_mov_b32_e32 v3, 0
	v_lshlrev_b64 v[2:3], 3, v[2:3]
	v_mov_b32_e32 v8, s31
	v_add_co_u32_e32 v2, vcc, s27, v2
	v_addc_co_u32_e32 v3, vcc, v8, v3, vcc
	global_load_dwordx2 v[8:9], v[2:3], off
.LBB153_15:
	s_or_b64 exec, exec, s[4:5]
	v_lshrrev_b32_e32 v2, 5, v1
	v_add_lshl_u32 v55, v2, v0, 3
	v_lshrrev_b32_e32 v2, 5, v19
	v_add_lshl_u32 v56, v2, v0, 3
	;; [unrolled: 2-line block ×3, first 2 shown]
	v_lshlrev_b32_e32 v18, 2, v0
	v_lshrrev_b32_e32 v2, 3, v0
	v_or_b32_e32 v2, v2, v18
	s_waitcnt lgkmcnt(0)
	s_mul_i32 s4, s8, s20
	v_lshlrev_b32_e32 v54, 3, v0
	v_lshlrev_b32_e32 v58, 3, v2
	s_add_i32 s8, s4, s19
	s_mov_b32 s9, 0
	s_waitcnt vmcnt(0)
	ds_write_b64 v54, v[10:11]
	ds_write_b64 v55, v[4:5] offset:256
	ds_write_b64 v56, v[6:7] offset:512
	;; [unrolled: 1-line block ×3, first 2 shown]
	s_waitcnt lgkmcnt(0)
	; wave barrier
	s_waitcnt lgkmcnt(0)
	ds_read2_b64 v[14:17], v58 offset1:1
	ds_read2_b64 v[10:13], v58 offset0:2 offset1:3
	s_lshl_b64 s[4:5], s[8:9], 3
	s_add_u32 s33, s10, s4
	s_mov_b32 s8, s9
	s_addc_u32 s38, s11, s5
	s_mov_b32 s10, s9
	s_mov_b32 s11, s9
	;; [unrolled: 1-line block ×6, first 2 shown]
	v_pk_mov_b32 v[2:3], s[8:9], s[8:9] op_sel:[0,1]
	v_pk_mov_b32 v[4:5], s[10:11], s[10:11] op_sel:[0,1]
	;; [unrolled: 1-line block ×4, first 2 shown]
	v_pk_mov_b32 v[2:3], 0, 0
	v_mul_lo_u32 v36, v0, s26
	s_waitcnt lgkmcnt(0)
	; wave barrier
	s_waitcnt lgkmcnt(0)
	s_and_saveexec_b64 s[4:5], s[0:1]
	s_cbranch_execnz .LBB153_35
; %bb.16:
	s_or_b64 exec, exec, s[4:5]
	s_and_saveexec_b64 s[4:5], s[2:3]
	s_cbranch_execnz .LBB153_36
.LBB153_17:
	s_or_b64 exec, exec, s[4:5]
	s_and_saveexec_b64 s[4:5], s[24:25]
	s_cbranch_execnz .LBB153_37
.LBB153_18:
	s_or_b64 exec, exec, s[4:5]
	s_xor_b64 s[4:5], s[16:17], -1
	s_and_saveexec_b64 s[8:9], s[6:7]
	s_cbranch_execz .LBB153_20
.LBB153_19:
	v_mul_lo_u32 v8, v20, s26
	v_mov_b32_e32 v9, 0
	v_lshlrev_b64 v[8:9], 3, v[8:9]
	v_mov_b32_e32 v19, s38
	v_add_co_u32_e32 v8, vcc, s33, v8
	v_addc_co_u32_e32 v9, vcc, v19, v9, vcc
	global_load_dwordx2 v[8:9], v[8:9], off
.LBB153_20:
	s_or_b64 exec, exec, s[8:9]
	v_mbcnt_lo_u32_b32 v19, -1, 0
	v_mbcnt_hi_u32_b32 v19, -1, v19
	s_getpc_b64 s[8:9]
	s_add_u32 s8, s8, _ZN7rocprim17ROCPRIM_400000_NS16block_radix_sortIlLj32ELj4ElLj1ELj1ELj0ELNS0_26block_radix_rank_algorithmE1ELNS0_18block_padding_hintE2ELNS0_4arch9wavefront6targetE1EE19radix_bits_per_passE@rel32@lo+4
	s_addc_u32 s9, s9, _ZN7rocprim17ROCPRIM_400000_NS16block_radix_sortIlLj32ELj4ElLj1ELj1ELj0ELNS0_26block_radix_rank_algorithmE1ELNS0_18block_padding_hintE2ELNS0_4arch9wavefront6targetE1EE19radix_bits_per_passE@rel32@hi+12
	v_and_b32_e32 v20, 15, v19
	s_waitcnt vmcnt(0)
	ds_write_b64 v54, v[2:3]
	ds_write_b64 v55, v[4:5] offset:256
	ds_write_b64 v56, v[6:7] offset:512
	;; [unrolled: 1-line block ×3, first 2 shown]
	s_waitcnt lgkmcnt(0)
	; wave barrier
	s_waitcnt lgkmcnt(0)
	ds_read2_b64 v[2:5], v58 offset1:1
	ds_read2_b64 v[6:9], v58 offset0:2 offset1:3
	s_load_dword s39, s[8:9], 0x0
	v_cmp_eq_u32_e64 s[10:11], 0, v20
	v_cmp_lt_u32_e64 s[12:13], 1, v20
	v_cmp_lt_u32_e64 s[14:15], 3, v20
	;; [unrolled: 1-line block ×3, first 2 shown]
	v_and_b32_e32 v20, 16, v19
	v_cmp_eq_u32_e64 s[18:19], 0, v20
	v_add_u32_e32 v20, -1, v19
	v_and_b32_e32 v21, 0x60, v19
	v_cmp_lt_i32_e32 vcc, v20, v21
	s_movk_i32 s8, 0x100
	v_cndmask_b32_e32 v20, v20, v19, vcc
	v_cmp_gt_u32_e64 s[8:9], s8, v0
	v_lshlrev_b32_e32 v37, 5, v0
	s_mov_b32 s40, 0
	v_cmp_eq_u32_e64 s[20:21], 31, v0
	v_lshlrev_b32_e32 v59, 2, v20
	v_cmp_eq_u32_e64 s[22:23], 0, v19
	v_lshlrev_b32_e32 v35, 3, v18
	s_and_b64 vcc, exec, s[4:5]
	v_add_u32_e64 v60, 7, 2
	s_waitcnt lgkmcnt(0)
	; wave barrier
	s_waitcnt lgkmcnt(0)
	s_cbranch_vccz .LBB153_38
; %bb.21:
	v_xor_b32_e32 v19, 0x80000000, v15
	v_mov_b32_e32 v18, v14
	v_xor_b32_e32 v21, 0x80000000, v17
	v_mov_b32_e32 v20, v16
	;; [unrolled: 2-line block ×4, first 2 shown]
	v_and_b32_e32 v61, 14, v60
	v_mov_b32_e32 v62, 0
	s_movk_i32 s41, 0xe0
	v_pk_mov_b32 v[26:27], v[2:3], v[2:3] op_sel:[0,1]
	v_pk_mov_b32 v[28:29], v[4:5], v[4:5] op_sel:[0,1]
	;; [unrolled: 1-line block ×4, first 2 shown]
	s_branch .LBB153_23
.LBB153_22:                             ;   in Loop: Header=BB153_23 Depth=1
	v_lshlrev_b32_e32 v26, 3, v66
	v_lshlrev_b32_e32 v27, 3, v64
	;; [unrolled: 1-line block ×4, first 2 shown]
	s_waitcnt lgkmcnt(0)
	; wave barrier
	ds_write_b64 v26, v[52:53]
	ds_write_b64 v27, v[50:51]
	;; [unrolled: 1-line block ×4, first 2 shown]
	s_waitcnt lgkmcnt(0)
	; wave barrier
	s_waitcnt lgkmcnt(0)
	ds_read2_b64 v[18:21], v35 offset1:1
	ds_read2_b64 v[22:25], v35 offset0:2 offset1:3
	s_waitcnt lgkmcnt(0)
	; wave barrier
	s_waitcnt lgkmcnt(0)
	ds_write_b64 v26, v[44:45]
	ds_write_b64 v27, v[42:43]
	;; [unrolled: 1-line block ×4, first 2 shown]
	s_waitcnt lgkmcnt(0)
	; wave barrier
	s_waitcnt lgkmcnt(0)
	ds_read2_b64 v[26:29], v35 offset1:1
	ds_read2_b64 v[30:33], v35 offset0:2 offset1:3
	s_add_i32 s40, s40, 4
	s_waitcnt lgkmcnt(0)
	; wave barrier
	s_waitcnt lgkmcnt(0)
	s_cbranch_execz .LBB153_34
.LBB153_23:                             ; =>This Loop Header: Depth=1
                                        ;     Child Loop BB153_26 Depth 2
	v_pk_mov_b32 v[46:47], v[24:25], v[24:25] op_sel:[0,1]
	v_pk_mov_b32 v[48:49], v[22:23], v[22:23] op_sel:[0,1]
	;; [unrolled: 1-line block ×8, first 2 shown]
	s_and_saveexec_b64 s[4:5], s[8:9]
	s_cbranch_execz .LBB153_30
; %bb.24:                               ;   in Loop: Header=BB153_23 Depth=1
	s_mov_b32 s42, 0
	s_mov_b64 s[28:29], 0
	v_pk_mov_b32 v[18:19], v[0:1], v[0:1] op_sel:[0,1]
	s_branch .LBB153_26
.LBB153_25:                             ;   in Loop: Header=BB153_26 Depth=2
	s_or_b64 exec, exec, s[36:37]
	s_add_i32 s42, s42, 2
	v_cmp_eq_u32_e32 vcc, s42, v61
	v_add_u32_e32 v19, 64, v19
	s_or_b64 s[28:29], vcc, s[28:29]
	v_add_u32_e32 v18, 64, v18
	s_andn2_b64 exec, exec, s[28:29]
	s_cbranch_execz .LBB153_30
.LBB153_26:                             ;   Parent Loop BB153_23 Depth=1
                                        ; =>  This Inner Loop Header: Depth=2
	s_or_b32 s34, s42, 1
	v_cmp_le_u32_e64 s[34:35], s34, 7
	v_cmp_le_u32_e64 s[44:45], s42, 7
	s_and_saveexec_b64 s[36:37], s[44:45]
	s_cbranch_execz .LBB153_28
; %bb.27:                               ;   in Loop: Header=BB153_26 Depth=2
	v_lshlrev_b32_e32 v20, 2, v18
	ds_write_b32 v20, v62
.LBB153_28:                             ;   in Loop: Header=BB153_26 Depth=2
	s_or_b64 exec, exec, s[36:37]
	s_and_saveexec_b64 s[36:37], s[34:35]
	s_cbranch_execz .LBB153_25
; %bb.29:                               ;   in Loop: Header=BB153_26 Depth=2
	v_lshlrev_b32_e32 v20, 2, v19
	ds_write_b32 v20, v62
	s_branch .LBB153_25
.LBB153_30:                             ;   in Loop: Header=BB153_23 Depth=1
	s_or_b64 exec, exec, s[4:5]
	s_sub_i32 s4, 64, s40
	s_min_u32 s4, s39, s4
	s_lshl_b32 s4, -1, s4
	s_not_b32 s4, s4
	v_lshrrev_b64 v[18:19], s40, v[52:53]
	v_and_b32_e32 v18, s4, v18
	v_lshrrev_b32_e32 v19, 3, v18
	v_lshlrev_b32_e32 v18, 5, v18
	v_and_or_b32 v18, v18, s41, v0
	v_lshlrev_b32_e32 v18, 1, v18
	v_add_lshl_u32 v27, v18, v19, 1
	ds_read_u16 v26, v27
	v_lshrrev_b64 v[18:19], s40, v[50:51]
	v_and_b32_e32 v18, s4, v18
	s_waitcnt lgkmcnt(0)
	v_add_u16_e32 v19, 1, v26
	ds_write_b16 v27, v19
	v_lshrrev_b32_e32 v19, 3, v18
	v_lshlrev_b32_e32 v18, 5, v18
	v_and_or_b32 v18, v18, s41, v0
	v_lshlrev_b32_e32 v18, 1, v18
	v_add_lshl_u32 v29, v18, v19, 1
	ds_read_u16 v28, v29
	s_waitcnt lgkmcnt(0)
	v_add_u16_e32 v18, 1, v28
	ds_write_b16 v29, v18
	v_lshrrev_b64 v[18:19], s40, v[48:49]
	v_and_b32_e32 v18, s4, v18
	v_lshrrev_b32_e32 v19, 3, v18
	v_lshlrev_b32_e32 v18, 5, v18
	v_and_or_b32 v18, v18, s41, v0
	v_lshlrev_b32_e32 v18, 1, v18
	v_add_lshl_u32 v31, v18, v19, 1
	ds_read_u16 v30, v31
	s_waitcnt lgkmcnt(0)
	v_add_u16_e32 v18, 1, v30
	ds_write_b16 v31, v18
	v_lshrrev_b64 v[18:19], s40, v[46:47]
	v_and_b32_e32 v18, s4, v18
	v_lshrrev_b32_e32 v19, 3, v18
	v_lshlrev_b32_e32 v18, 5, v18
	v_and_or_b32 v18, v18, s41, v0
	v_lshlrev_b32_e32 v18, 1, v18
	v_add_lshl_u32 v33, v18, v19, 1
	ds_read_u16 v32, v33
	s_waitcnt lgkmcnt(0)
	v_add_u16_e32 v18, 1, v32
	ds_write_b16 v33, v18
	s_waitcnt lgkmcnt(0)
	; wave barrier
	s_waitcnt lgkmcnt(0)
	ds_read2_b32 v[24:25], v37 offset1:1
	ds_read2_b32 v[22:23], v37 offset0:2 offset1:3
	ds_read2_b32 v[18:19], v37 offset0:4 offset1:5
	;; [unrolled: 1-line block ×3, first 2 shown]
	s_waitcnt lgkmcnt(3)
	v_add_u32_e32 v63, v25, v24
	s_waitcnt lgkmcnt(2)
	v_add3_u32 v63, v63, v22, v23
	s_waitcnt lgkmcnt(1)
	v_add3_u32 v63, v63, v18, v19
	;; [unrolled: 2-line block ×3, first 2 shown]
	s_nop 1
	v_mov_b32_dpp v63, v21 row_shr:1 row_mask:0xf bank_mask:0xf
	v_cndmask_b32_e64 v63, v63, 0, s[10:11]
	v_add_u32_e32 v21, v63, v21
	s_nop 1
	v_mov_b32_dpp v63, v21 row_shr:2 row_mask:0xf bank_mask:0xf
	v_cndmask_b32_e64 v63, 0, v63, s[12:13]
	v_add_u32_e32 v21, v21, v63
	;; [unrolled: 4-line block ×4, first 2 shown]
	s_nop 1
	v_mov_b32_dpp v63, v21 row_bcast:15 row_mask:0xf bank_mask:0xf
	v_cndmask_b32_e64 v63, v63, 0, s[18:19]
	v_add_u32_e32 v21, v21, v63
	s_and_saveexec_b64 s[4:5], s[20:21]
	s_cbranch_execz .LBB153_32
; %bb.31:                               ;   in Loop: Header=BB153_23 Depth=1
	ds_write_b32 v62, v21 offset:1024
.LBB153_32:                             ;   in Loop: Header=BB153_23 Depth=1
	s_or_b64 exec, exec, s[4:5]
	ds_bpermute_b32 v21, v59, v21
	s_waitcnt lgkmcnt(0)
	; wave barrier
	s_waitcnt lgkmcnt(0)
	ds_read_b32 v63, v62 offset:1024
	s_cmp_gt_u32 s40, 59
	v_cndmask_b32_e64 v21, v21, 0, s[22:23]
	s_waitcnt lgkmcnt(0)
	v_lshl_add_u32 v21, v63, 16, v21
	v_add_u32_e32 v24, v21, v24
	v_add_u32_e32 v25, v24, v25
	ds_write2_b32 v37, v21, v24 offset1:1
	v_add_u32_e32 v21, v25, v22
	v_add_u32_e32 v22, v21, v23
	;; [unrolled: 1-line block ×5, first 2 shown]
	ds_write2_b32 v37, v25, v21 offset0:2 offset1:3
	ds_write2_b32 v37, v22, v18 offset0:4 offset1:5
	;; [unrolled: 1-line block ×3, first 2 shown]
	s_waitcnt lgkmcnt(0)
	; wave barrier
	s_waitcnt lgkmcnt(0)
	ds_read_u16 v18, v27
	ds_read_u16 v19, v29
	;; [unrolled: 1-line block ×4, first 2 shown]
	s_waitcnt lgkmcnt(3)
	v_add_u32_sdwa v66, v18, v26 dst_sel:DWORD dst_unused:UNUSED_PAD src0_sel:DWORD src1_sel:WORD_0
	s_waitcnt lgkmcnt(2)
	v_add_u32_sdwa v64, v19, v28 dst_sel:DWORD dst_unused:UNUSED_PAD src0_sel:DWORD src1_sel:WORD_0
	;; [unrolled: 2-line block ×4, first 2 shown]
	s_cbranch_scc0 .LBB153_22
; %bb.33:
                                        ; implicit-def: $vgpr24_vgpr25
                                        ; implicit-def: $vgpr20_vgpr21
                                        ; implicit-def: $vgpr32_vgpr33
                                        ; implicit-def: $vgpr28_vgpr29
                                        ; implicit-def: $sgpr40
.LBB153_34:
	v_lshlrev_b32_e32 v18, 3, v66
	v_lshlrev_b32_e32 v19, 3, v64
	;; [unrolled: 1-line block ×4, first 2 shown]
	s_waitcnt lgkmcnt(0)
	; wave barrier
	ds_write_b64 v18, v[52:53]
	ds_write_b64 v19, v[50:51]
	;; [unrolled: 1-line block ×4, first 2 shown]
	s_waitcnt lgkmcnt(0)
	; wave barrier
	s_waitcnt lgkmcnt(0)
	ds_read2_b64 v[26:29], v35 offset1:1
	ds_read2_b64 v[30:33], v35 offset0:2 offset1:3
	s_waitcnt lgkmcnt(0)
	; wave barrier
	s_waitcnt lgkmcnt(0)
	ds_write_b64 v18, v[44:45]
	ds_write_b64 v19, v[42:43]
	;; [unrolled: 1-line block ×4, first 2 shown]
	s_waitcnt lgkmcnt(0)
	; wave barrier
	s_waitcnt lgkmcnt(0)
	ds_read2_b64 v[18:21], v35 offset1:1
	ds_read2_b64 v[22:25], v35 offset0:2 offset1:3
	v_xor_b32_e32 v27, 0x80000000, v27
	v_xor_b32_e32 v29, 0x80000000, v29
	;; [unrolled: 1-line block ×4, first 2 shown]
	s_branch .LBB153_53
.LBB153_35:
	v_mov_b32_e32 v37, 0
	v_lshlrev_b64 v[2:3], 3, v[36:37]
	v_mov_b32_e32 v4, s38
	v_add_co_u32_e32 v2, vcc, s33, v2
	v_addc_co_u32_e32 v3, vcc, v4, v3, vcc
	global_load_dwordx2 v[2:3], v[2:3], off
	v_mov_b32_e32 v4, v37
	v_mov_b32_e32 v5, v37
	;; [unrolled: 1-line block ×6, first 2 shown]
	s_or_b64 exec, exec, s[4:5]
	s_and_saveexec_b64 s[4:5], s[2:3]
	s_cbranch_execz .LBB153_17
.LBB153_36:
	v_mul_lo_u32 v4, v1, s26
	v_mov_b32_e32 v5, 0
	v_lshlrev_b64 v[4:5], 3, v[4:5]
	v_mov_b32_e32 v21, s38
	v_add_co_u32_e32 v4, vcc, s33, v4
	v_addc_co_u32_e32 v5, vcc, v21, v5, vcc
	global_load_dwordx2 v[4:5], v[4:5], off
	s_or_b64 exec, exec, s[4:5]
	s_and_saveexec_b64 s[4:5], s[24:25]
	s_cbranch_execz .LBB153_18
.LBB153_37:
	v_mul_lo_u32 v6, v19, s26
	v_mov_b32_e32 v7, 0
	v_lshlrev_b64 v[6:7], 3, v[6:7]
	v_mov_b32_e32 v19, s38
	v_add_co_u32_e32 v6, vcc, s33, v6
	v_addc_co_u32_e32 v7, vcc, v19, v7, vcc
	global_load_dwordx2 v[6:7], v[6:7], off
	s_or_b64 exec, exec, s[4:5]
	s_xor_b64 s[4:5], s[16:17], -1
	s_and_saveexec_b64 s[8:9], s[6:7]
	s_cbranch_execnz .LBB153_19
	s_branch .LBB153_20
.LBB153_38:
                                        ; implicit-def: $vgpr32_vgpr33
                                        ; implicit-def: $vgpr28_vgpr29
                                        ; implicit-def: $vgpr24_vgpr25
                                        ; implicit-def: $vgpr20_vgpr21
	s_cbranch_execz .LBB153_53
; %bb.39:
	v_xor_b32_e32 v15, 0x7fffffff, v15
	v_xor_b32_e32 v14, -1, v14
	v_xor_b32_e32 v17, 0x7fffffff, v17
	v_xor_b32_e32 v16, -1, v16
	v_xor_b32_e32 v11, 0x7fffffff, v11
	v_xor_b32_e32 v10, -1, v10
	v_xor_b32_e32 v13, 0x7fffffff, v13
	v_xor_b32_e32 v12, -1, v12
	v_and_b32_e32 v38, 14, v60
	s_mov_b32 s41, 0
	v_mov_b32_e32 v39, 0
	s_movk_i32 s40, 0xe0
	s_branch .LBB153_41
.LBB153_40:                             ;   in Loop: Header=BB153_41 Depth=1
	v_lshlrev_b32_e32 v2, 3, v43
	v_lshlrev_b32_e32 v3, 3, v41
	;; [unrolled: 1-line block ×4, first 2 shown]
	s_waitcnt lgkmcnt(0)
	; wave barrier
	ds_write_b64 v2, v[32:33]
	ds_write_b64 v3, v[30:31]
	;; [unrolled: 1-line block ×4, first 2 shown]
	s_waitcnt lgkmcnt(0)
	; wave barrier
	s_waitcnt lgkmcnt(0)
	ds_read2_b64 v[14:17], v35 offset1:1
	ds_read2_b64 v[10:13], v35 offset0:2 offset1:3
	s_waitcnt lgkmcnt(0)
	; wave barrier
	s_waitcnt lgkmcnt(0)
	ds_write_b64 v2, v[24:25]
	ds_write_b64 v3, v[22:23]
	;; [unrolled: 1-line block ×4, first 2 shown]
	s_waitcnt lgkmcnt(0)
	; wave barrier
	s_waitcnt lgkmcnt(0)
	ds_read2_b64 v[2:5], v35 offset1:1
	ds_read2_b64 v[6:9], v35 offset0:2 offset1:3
	s_add_i32 s41, s41, 4
	s_waitcnt lgkmcnt(0)
	; wave barrier
	s_waitcnt lgkmcnt(0)
	s_cbranch_execz .LBB153_52
.LBB153_41:                             ; =>This Loop Header: Depth=1
                                        ;     Child Loop BB153_44 Depth 2
	v_pk_mov_b32 v[26:27], v[12:13], v[12:13] op_sel:[0,1]
	v_pk_mov_b32 v[28:29], v[10:11], v[10:11] op_sel:[0,1]
	v_pk_mov_b32 v[30:31], v[16:17], v[16:17] op_sel:[0,1]
	v_pk_mov_b32 v[32:33], v[14:15], v[14:15] op_sel:[0,1]
	s_waitcnt lgkmcnt(1)
	v_pk_mov_b32 v[18:19], v[8:9], v[8:9] op_sel:[0,1]
	v_pk_mov_b32 v[20:21], v[6:7], v[6:7] op_sel:[0,1]
	s_waitcnt lgkmcnt(0)
	v_pk_mov_b32 v[22:23], v[4:5], v[4:5] op_sel:[0,1]
	v_pk_mov_b32 v[24:25], v[2:3], v[2:3] op_sel:[0,1]
	s_and_saveexec_b64 s[4:5], s[8:9]
	s_cbranch_execz .LBB153_48
; %bb.42:                               ;   in Loop: Header=BB153_41 Depth=1
	s_mov_b32 s42, 0
	s_mov_b64 s[28:29], 0
	v_pk_mov_b32 v[2:3], v[0:1], v[0:1] op_sel:[0,1]
	s_branch .LBB153_44
.LBB153_43:                             ;   in Loop: Header=BB153_44 Depth=2
	s_or_b64 exec, exec, s[36:37]
	s_add_i32 s42, s42, 2
	v_cmp_eq_u32_e32 vcc, s42, v38
	v_add_u32_e32 v3, 64, v3
	s_or_b64 s[28:29], vcc, s[28:29]
	v_add_u32_e32 v2, 64, v2
	s_andn2_b64 exec, exec, s[28:29]
	s_cbranch_execz .LBB153_48
.LBB153_44:                             ;   Parent Loop BB153_41 Depth=1
                                        ; =>  This Inner Loop Header: Depth=2
	s_or_b32 s34, s42, 1
	v_cmp_le_u32_e64 s[34:35], s34, 7
	v_cmp_le_u32_e64 s[44:45], s42, 7
	s_and_saveexec_b64 s[36:37], s[44:45]
	s_cbranch_execz .LBB153_46
; %bb.45:                               ;   in Loop: Header=BB153_44 Depth=2
	v_lshlrev_b32_e32 v4, 2, v2
	ds_write_b32 v4, v39
.LBB153_46:                             ;   in Loop: Header=BB153_44 Depth=2
	s_or_b64 exec, exec, s[36:37]
	s_and_saveexec_b64 s[36:37], s[34:35]
	s_cbranch_execz .LBB153_43
; %bb.47:                               ;   in Loop: Header=BB153_44 Depth=2
	v_lshlrev_b32_e32 v4, 2, v3
	ds_write_b32 v4, v39
	s_branch .LBB153_43
.LBB153_48:                             ;   in Loop: Header=BB153_41 Depth=1
	s_or_b64 exec, exec, s[4:5]
	s_sub_i32 s4, 64, s41
	s_min_u32 s4, s39, s4
	s_lshl_b32 s4, -1, s4
	s_not_b32 s4, s4
	v_lshrrev_b64 v[2:3], s41, v[32:33]
	v_and_b32_e32 v2, s4, v2
	v_lshrrev_b32_e32 v3, 3, v2
	v_lshlrev_b32_e32 v2, 5, v2
	v_and_or_b32 v2, v2, s40, v0
	v_lshlrev_b32_e32 v2, 1, v2
	v_add_lshl_u32 v11, v2, v3, 1
	ds_read_u16 v10, v11
	v_lshrrev_b64 v[2:3], s41, v[30:31]
	v_and_b32_e32 v2, s4, v2
	s_waitcnt lgkmcnt(0)
	v_add_u16_e32 v3, 1, v10
	ds_write_b16 v11, v3
	v_lshrrev_b32_e32 v3, 3, v2
	v_lshlrev_b32_e32 v2, 5, v2
	v_and_or_b32 v2, v2, s40, v0
	v_lshlrev_b32_e32 v2, 1, v2
	v_add_lshl_u32 v13, v2, v3, 1
	ds_read_u16 v12, v13
	s_waitcnt lgkmcnt(0)
	v_add_u16_e32 v2, 1, v12
	ds_write_b16 v13, v2
	v_lshrrev_b64 v[2:3], s41, v[28:29]
	v_and_b32_e32 v2, s4, v2
	v_lshrrev_b32_e32 v3, 3, v2
	v_lshlrev_b32_e32 v2, 5, v2
	v_and_or_b32 v2, v2, s40, v0
	v_lshlrev_b32_e32 v2, 1, v2
	v_add_lshl_u32 v15, v2, v3, 1
	ds_read_u16 v14, v15
	s_waitcnt lgkmcnt(0)
	v_add_u16_e32 v2, 1, v14
	ds_write_b16 v15, v2
	v_lshrrev_b64 v[2:3], s41, v[26:27]
	v_and_b32_e32 v2, s4, v2
	v_lshrrev_b32_e32 v3, 3, v2
	v_lshlrev_b32_e32 v2, 5, v2
	v_and_or_b32 v2, v2, s40, v0
	v_lshlrev_b32_e32 v2, 1, v2
	v_add_lshl_u32 v17, v2, v3, 1
	ds_read_u16 v16, v17
	s_waitcnt lgkmcnt(0)
	v_add_u16_e32 v2, 1, v16
	ds_write_b16 v17, v2
	s_waitcnt lgkmcnt(0)
	; wave barrier
	s_waitcnt lgkmcnt(0)
	ds_read2_b32 v[8:9], v37 offset1:1
	ds_read2_b32 v[6:7], v37 offset0:2 offset1:3
	ds_read2_b32 v[2:3], v37 offset0:4 offset1:5
	;; [unrolled: 1-line block ×3, first 2 shown]
	s_waitcnt lgkmcnt(3)
	v_add_u32_e32 v40, v9, v8
	s_waitcnt lgkmcnt(2)
	v_add3_u32 v40, v40, v6, v7
	s_waitcnt lgkmcnt(1)
	v_add3_u32 v40, v40, v2, v3
	;; [unrolled: 2-line block ×3, first 2 shown]
	s_nop 1
	v_mov_b32_dpp v40, v5 row_shr:1 row_mask:0xf bank_mask:0xf
	v_cndmask_b32_e64 v40, v40, 0, s[10:11]
	v_add_u32_e32 v5, v40, v5
	s_nop 1
	v_mov_b32_dpp v40, v5 row_shr:2 row_mask:0xf bank_mask:0xf
	v_cndmask_b32_e64 v40, 0, v40, s[12:13]
	v_add_u32_e32 v5, v5, v40
	;; [unrolled: 4-line block ×4, first 2 shown]
	s_nop 1
	v_mov_b32_dpp v40, v5 row_bcast:15 row_mask:0xf bank_mask:0xf
	v_cndmask_b32_e64 v40, v40, 0, s[18:19]
	v_add_u32_e32 v5, v5, v40
	s_and_saveexec_b64 s[4:5], s[20:21]
	s_cbranch_execz .LBB153_50
; %bb.49:                               ;   in Loop: Header=BB153_41 Depth=1
	ds_write_b32 v39, v5 offset:1024
.LBB153_50:                             ;   in Loop: Header=BB153_41 Depth=1
	s_or_b64 exec, exec, s[4:5]
	ds_bpermute_b32 v5, v59, v5
	s_waitcnt lgkmcnt(0)
	; wave barrier
	s_waitcnt lgkmcnt(0)
	ds_read_b32 v40, v39 offset:1024
	s_cmp_gt_u32 s41, 59
	v_cndmask_b32_e64 v5, v5, 0, s[22:23]
	s_waitcnt lgkmcnt(0)
	v_lshl_add_u32 v5, v40, 16, v5
	v_add_u32_e32 v8, v5, v8
	v_add_u32_e32 v9, v8, v9
	ds_write2_b32 v37, v5, v8 offset1:1
	v_add_u32_e32 v5, v9, v6
	v_add_u32_e32 v6, v5, v7
	;; [unrolled: 1-line block ×5, first 2 shown]
	ds_write2_b32 v37, v9, v5 offset0:2 offset1:3
	ds_write2_b32 v37, v6, v2 offset0:4 offset1:5
	;; [unrolled: 1-line block ×3, first 2 shown]
	s_waitcnt lgkmcnt(0)
	; wave barrier
	s_waitcnt lgkmcnt(0)
	ds_read_u16 v2, v11
	ds_read_u16 v3, v13
	;; [unrolled: 1-line block ×4, first 2 shown]
	s_waitcnt lgkmcnt(3)
	v_add_u32_sdwa v43, v2, v10 dst_sel:DWORD dst_unused:UNUSED_PAD src0_sel:DWORD src1_sel:WORD_0
	s_waitcnt lgkmcnt(2)
	v_add_u32_sdwa v41, v3, v12 dst_sel:DWORD dst_unused:UNUSED_PAD src0_sel:DWORD src1_sel:WORD_0
	;; [unrolled: 2-line block ×4, first 2 shown]
	s_cbranch_scc0 .LBB153_40
; %bb.51:
                                        ; implicit-def: $vgpr12_vgpr13
                                        ; implicit-def: $vgpr16_vgpr17
                                        ; implicit-def: $vgpr8_vgpr9
                                        ; implicit-def: $vgpr4_vgpr5
                                        ; implicit-def: $sgpr41
.LBB153_52:
	v_lshlrev_b32_e32 v8, 3, v43
	v_lshlrev_b32_e32 v9, 3, v41
	;; [unrolled: 1-line block ×4, first 2 shown]
	s_waitcnt lgkmcnt(0)
	; wave barrier
	ds_write_b64 v8, v[32:33]
	ds_write_b64 v9, v[30:31]
	;; [unrolled: 1-line block ×4, first 2 shown]
	s_waitcnt lgkmcnt(0)
	; wave barrier
	s_waitcnt lgkmcnt(0)
	ds_read2_b64 v[0:3], v35 offset1:1
	ds_read2_b64 v[4:7], v35 offset0:2 offset1:3
	s_waitcnt lgkmcnt(0)
	; wave barrier
	s_waitcnt lgkmcnt(0)
	ds_write_b64 v8, v[24:25]
	ds_write_b64 v9, v[22:23]
	ds_write_b64 v10, v[20:21]
	ds_write_b64 v11, v[18:19]
	s_waitcnt lgkmcnt(0)
	; wave barrier
	s_waitcnt lgkmcnt(0)
	ds_read2_b64 v[18:21], v35 offset1:1
	ds_read2_b64 v[22:25], v35 offset0:2 offset1:3
	v_xor_b32_e32 v27, 0x7fffffff, v1
	v_xor_b32_e32 v26, -1, v0
	v_xor_b32_e32 v29, 0x7fffffff, v3
	v_xor_b32_e32 v28, -1, v2
	;; [unrolled: 2-line block ×4, first 2 shown]
.LBB153_53:
	s_waitcnt lgkmcnt(0)
	; wave barrier
	s_waitcnt lgkmcnt(0)
	ds_write2_b64 v58, v[26:27], v[28:29] offset1:1
	ds_write2_b64 v58, v[30:31], v[32:33] offset0:2 offset1:3
	s_waitcnt lgkmcnt(0)
	; wave barrier
	s_waitcnt lgkmcnt(0)
	ds_read_b64 v[6:7], v55 offset:256
	ds_read_b64 v[4:5], v56 offset:512
	;; [unrolled: 1-line block ×3, first 2 shown]
	v_mov_b32_e32 v35, 0
	v_lshlrev_b64 v[2:3], 3, v[34:35]
	v_mov_b32_e32 v8, s31
	v_add_co_u32_e32 v2, vcc, s27, v2
	v_addc_co_u32_e32 v3, vcc, v8, v3, vcc
	s_and_saveexec_b64 s[4:5], s[0:1]
	s_cbranch_execnz .LBB153_64
; %bb.54:
	s_or_b64 exec, exec, s[4:5]
	s_and_saveexec_b64 s[4:5], s[2:3]
	s_cbranch_execnz .LBB153_65
.LBB153_55:
	s_or_b64 exec, exec, s[4:5]
	s_and_saveexec_b64 s[4:5], s[24:25]
	s_cbranch_execnz .LBB153_66
.LBB153_56:
	s_or_b64 exec, exec, s[4:5]
	s_and_saveexec_b64 s[4:5], s[6:7]
	s_cbranch_execz .LBB153_58
.LBB153_57:
	s_mul_i32 s8, s30, 0x60
	s_mov_b32 s9, 0
	s_lshl_b64 s[8:9], s[8:9], 3
	s_waitcnt lgkmcnt(1)
	v_mov_b32_e32 v4, s9
	v_add_co_u32_e32 v2, vcc, s8, v2
	v_addc_co_u32_e32 v3, vcc, v3, v4, vcc
	s_waitcnt lgkmcnt(0)
	global_store_dwordx2 v[2:3], v[0:1], off
.LBB153_58:
	s_or_b64 exec, exec, s[4:5]
	s_waitcnt lgkmcnt(0)
	; wave barrier
	s_waitcnt lgkmcnt(0)
	ds_write2_b64 v58, v[18:19], v[20:21] offset1:1
	ds_write2_b64 v58, v[22:23], v[24:25] offset0:2 offset1:3
	s_waitcnt lgkmcnt(0)
	; wave barrier
	s_waitcnt lgkmcnt(0)
	ds_read_b64 v[6:7], v55 offset:256
	ds_read_b64 v[4:5], v56 offset:512
	;; [unrolled: 1-line block ×3, first 2 shown]
	v_mov_b32_e32 v37, 0
	v_lshlrev_b64 v[2:3], 3, v[36:37]
	v_mov_b32_e32 v8, s38
	v_add_co_u32_e32 v2, vcc, s33, v2
	v_addc_co_u32_e32 v3, vcc, v8, v3, vcc
	s_and_saveexec_b64 s[4:5], s[0:1]
	s_cbranch_execnz .LBB153_67
; %bb.59:
	s_or_b64 exec, exec, s[4:5]
	s_and_saveexec_b64 s[0:1], s[2:3]
	s_cbranch_execnz .LBB153_68
.LBB153_60:
	s_or_b64 exec, exec, s[0:1]
	s_and_saveexec_b64 s[0:1], s[24:25]
	s_cbranch_execnz .LBB153_69
.LBB153_61:
	s_or_b64 exec, exec, s[0:1]
	s_and_saveexec_b64 s[0:1], s[6:7]
	s_cbranch_execz .LBB153_63
.LBB153_62:
	s_mul_i32 s0, s26, 0x60
	s_mov_b32 s1, 0
	s_lshl_b64 s[0:1], s[0:1], 3
	s_waitcnt lgkmcnt(1)
	v_mov_b32_e32 v4, s1
	v_add_co_u32_e32 v2, vcc, s0, v2
	v_addc_co_u32_e32 v3, vcc, v3, v4, vcc
	s_waitcnt lgkmcnt(0)
	global_store_dwordx2 v[2:3], v[0:1], off
.LBB153_63:
	s_endpgm
.LBB153_64:
	ds_read_b64 v[8:9], v54
	s_waitcnt lgkmcnt(0)
	global_store_dwordx2 v[2:3], v[8:9], off
	s_or_b64 exec, exec, s[4:5]
	s_and_saveexec_b64 s[4:5], s[2:3]
	s_cbranch_execz .LBB153_55
.LBB153_65:
	s_lshl_b32 s8, s30, 5
	s_mov_b32 s9, 0
	s_lshl_b64 s[8:9], s[8:9], 3
	v_mov_b32_e32 v9, s9
	v_add_co_u32_e32 v8, vcc, s8, v2
	v_addc_co_u32_e32 v9, vcc, v3, v9, vcc
	s_waitcnt lgkmcnt(2)
	global_store_dwordx2 v[8:9], v[6:7], off
	s_or_b64 exec, exec, s[4:5]
	s_and_saveexec_b64 s[4:5], s[24:25]
	s_cbranch_execz .LBB153_56
.LBB153_66:
	s_lshl_b32 s8, s30, 6
	s_mov_b32 s9, 0
	s_lshl_b64 s[8:9], s[8:9], 3
	s_waitcnt lgkmcnt(2)
	v_mov_b32_e32 v7, s9
	v_add_co_u32_e32 v6, vcc, s8, v2
	v_addc_co_u32_e32 v7, vcc, v3, v7, vcc
	s_waitcnt lgkmcnt(1)
	global_store_dwordx2 v[6:7], v[4:5], off
	s_or_b64 exec, exec, s[4:5]
	s_and_saveexec_b64 s[4:5], s[6:7]
	s_cbranch_execnz .LBB153_57
	s_branch .LBB153_58
.LBB153_67:
	ds_read_b64 v[8:9], v54
	s_waitcnt lgkmcnt(0)
	global_store_dwordx2 v[2:3], v[8:9], off
	s_or_b64 exec, exec, s[4:5]
	s_and_saveexec_b64 s[0:1], s[2:3]
	s_cbranch_execz .LBB153_60
.LBB153_68:
	s_lshl_b32 s2, s26, 5
	s_mov_b32 s3, 0
	s_lshl_b64 s[2:3], s[2:3], 3
	v_mov_b32_e32 v9, s3
	v_add_co_u32_e32 v8, vcc, s2, v2
	v_addc_co_u32_e32 v9, vcc, v3, v9, vcc
	s_waitcnt lgkmcnt(2)
	global_store_dwordx2 v[8:9], v[6:7], off
	s_or_b64 exec, exec, s[0:1]
	s_and_saveexec_b64 s[0:1], s[24:25]
	s_cbranch_execz .LBB153_61
.LBB153_69:
	s_lshl_b32 s2, s26, 6
	s_mov_b32 s3, 0
	s_lshl_b64 s[2:3], s[2:3], 3
	s_waitcnt lgkmcnt(2)
	v_mov_b32_e32 v7, s3
	v_add_co_u32_e32 v6, vcc, s2, v2
	v_addc_co_u32_e32 v7, vcc, v3, v7, vcc
	s_waitcnt lgkmcnt(1)
	global_store_dwordx2 v[6:7], v[4:5], off
	s_or_b64 exec, exec, s[0:1]
	s_and_saveexec_b64 s[0:1], s[6:7]
	s_cbranch_execnz .LBB153_62
	s_branch .LBB153_63
	.section	.rodata,"a",@progbits
	.p2align	6, 0x0
	.amdhsa_kernel _ZN2at6native18radixSortKVInPlaceILin1ELin1ELi32ELi4ElljEEvNS_4cuda6detail10TensorInfoIT3_T5_EES6_S6_S6_NS4_IT4_S6_EES6_b
		.amdhsa_group_segment_fixed_size 1056
		.amdhsa_private_segment_fixed_size 0
		.amdhsa_kernarg_size 712
		.amdhsa_user_sgpr_count 6
		.amdhsa_user_sgpr_private_segment_buffer 1
		.amdhsa_user_sgpr_dispatch_ptr 0
		.amdhsa_user_sgpr_queue_ptr 0
		.amdhsa_user_sgpr_kernarg_segment_ptr 1
		.amdhsa_user_sgpr_dispatch_id 0
		.amdhsa_user_sgpr_flat_scratch_init 0
		.amdhsa_user_sgpr_kernarg_preload_length 0
		.amdhsa_user_sgpr_kernarg_preload_offset 0
		.amdhsa_user_sgpr_private_segment_size 0
		.amdhsa_uses_dynamic_stack 0
		.amdhsa_system_sgpr_private_segment_wavefront_offset 0
		.amdhsa_system_sgpr_workgroup_id_x 1
		.amdhsa_system_sgpr_workgroup_id_y 1
		.amdhsa_system_sgpr_workgroup_id_z 1
		.amdhsa_system_sgpr_workgroup_info 0
		.amdhsa_system_vgpr_workitem_id 0
		.amdhsa_next_free_vgpr 67
		.amdhsa_next_free_sgpr 46
		.amdhsa_accum_offset 68
		.amdhsa_reserve_vcc 1
		.amdhsa_reserve_flat_scratch 0
		.amdhsa_float_round_mode_32 0
		.amdhsa_float_round_mode_16_64 0
		.amdhsa_float_denorm_mode_32 3
		.amdhsa_float_denorm_mode_16_64 3
		.amdhsa_dx10_clamp 1
		.amdhsa_ieee_mode 1
		.amdhsa_fp16_overflow 0
		.amdhsa_tg_split 0
		.amdhsa_exception_fp_ieee_invalid_op 0
		.amdhsa_exception_fp_denorm_src 0
		.amdhsa_exception_fp_ieee_div_zero 0
		.amdhsa_exception_fp_ieee_overflow 0
		.amdhsa_exception_fp_ieee_underflow 0
		.amdhsa_exception_fp_ieee_inexact 0
		.amdhsa_exception_int_div_zero 0
	.end_amdhsa_kernel
	.section	.text._ZN2at6native18radixSortKVInPlaceILin1ELin1ELi32ELi4ElljEEvNS_4cuda6detail10TensorInfoIT3_T5_EES6_S6_S6_NS4_IT4_S6_EES6_b,"axG",@progbits,_ZN2at6native18radixSortKVInPlaceILin1ELin1ELi32ELi4ElljEEvNS_4cuda6detail10TensorInfoIT3_T5_EES6_S6_S6_NS4_IT4_S6_EES6_b,comdat
.Lfunc_end153:
	.size	_ZN2at6native18radixSortKVInPlaceILin1ELin1ELi32ELi4ElljEEvNS_4cuda6detail10TensorInfoIT3_T5_EES6_S6_S6_NS4_IT4_S6_EES6_b, .Lfunc_end153-_ZN2at6native18radixSortKVInPlaceILin1ELin1ELi32ELi4ElljEEvNS_4cuda6detail10TensorInfoIT3_T5_EES6_S6_S6_NS4_IT4_S6_EES6_b
                                        ; -- End function
	.section	.AMDGPU.csdata,"",@progbits
; Kernel info:
; codeLenInByte = 4888
; NumSgprs: 50
; NumVgprs: 67
; NumAgprs: 0
; TotalNumVgprs: 67
; ScratchSize: 0
; MemoryBound: 0
; FloatMode: 240
; IeeeMode: 1
; LDSByteSize: 1056 bytes/workgroup (compile time only)
; SGPRBlocks: 6
; VGPRBlocks: 8
; NumSGPRsForWavesPerEU: 50
; NumVGPRsForWavesPerEU: 67
; AccumOffset: 68
; Occupancy: 7
; WaveLimiterHint : 1
; COMPUTE_PGM_RSRC2:SCRATCH_EN: 0
; COMPUTE_PGM_RSRC2:USER_SGPR: 6
; COMPUTE_PGM_RSRC2:TRAP_HANDLER: 0
; COMPUTE_PGM_RSRC2:TGID_X_EN: 1
; COMPUTE_PGM_RSRC2:TGID_Y_EN: 1
; COMPUTE_PGM_RSRC2:TGID_Z_EN: 1
; COMPUTE_PGM_RSRC2:TIDIG_COMP_CNT: 0
; COMPUTE_PGM_RSRC3_GFX90A:ACCUM_OFFSET: 16
; COMPUTE_PGM_RSRC3_GFX90A:TG_SPLIT: 0
	.section	.text._ZN2at6native18radixSortKVInPlaceILin1ELin1ELi16ELi2ElljEEvNS_4cuda6detail10TensorInfoIT3_T5_EES6_S6_S6_NS4_IT4_S6_EES6_b,"axG",@progbits,_ZN2at6native18radixSortKVInPlaceILin1ELin1ELi16ELi2ElljEEvNS_4cuda6detail10TensorInfoIT3_T5_EES6_S6_S6_NS4_IT4_S6_EES6_b,comdat
	.protected	_ZN2at6native18radixSortKVInPlaceILin1ELin1ELi16ELi2ElljEEvNS_4cuda6detail10TensorInfoIT3_T5_EES6_S6_S6_NS4_IT4_S6_EES6_b ; -- Begin function _ZN2at6native18radixSortKVInPlaceILin1ELin1ELi16ELi2ElljEEvNS_4cuda6detail10TensorInfoIT3_T5_EES6_S6_S6_NS4_IT4_S6_EES6_b
	.globl	_ZN2at6native18radixSortKVInPlaceILin1ELin1ELi16ELi2ElljEEvNS_4cuda6detail10TensorInfoIT3_T5_EES6_S6_S6_NS4_IT4_S6_EES6_b
	.p2align	8
	.type	_ZN2at6native18radixSortKVInPlaceILin1ELin1ELi16ELi2ElljEEvNS_4cuda6detail10TensorInfoIT3_T5_EES6_S6_S6_NS4_IT4_S6_EES6_b,@function
_ZN2at6native18radixSortKVInPlaceILin1ELin1ELi16ELi2ElljEEvNS_4cuda6detail10TensorInfoIT3_T5_EES6_S6_S6_NS4_IT4_S6_EES6_b: ; @_ZN2at6native18radixSortKVInPlaceILin1ELin1ELi16ELi2ElljEEvNS_4cuda6detail10TensorInfoIT3_T5_EES6_S6_S6_NS4_IT4_S6_EES6_b
; %bb.0:
	s_load_dwordx2 s[0:1], s[4:5], 0x1c8
	s_load_dwordx4 s[16:19], s[4:5], 0xd8
	s_waitcnt lgkmcnt(0)
	s_mul_i32 s1, s1, s8
	s_add_i32 s1, s1, s7
	s_mul_i32 s0, s1, s0
	s_add_i32 s22, s0, s6
	s_cmp_ge_u32 s22, s16
	s_cbranch_scc1 .LBB154_53
; %bb.1:
	s_load_dword s2, s[4:5], 0xd0
	s_mov_b32 s1, 0
	s_mov_b32 s0, s22
	s_waitcnt lgkmcnt(0)
	s_cmp_lt_i32 s2, 2
	s_cbranch_scc1 .LBB154_4
; %bb.2:
	s_add_i32 s0, s2, -1
	s_add_i32 s6, s2, 1
	s_lshl_b64 s[2:3], s[0:1], 2
	s_add_u32 s0, s2, s4
	s_addc_u32 s3, s3, s5
	s_add_u32 s2, s0, 8
	s_addc_u32 s3, s3, 0
	s_mov_b32 s0, s22
.LBB154_3:                              ; =>This Inner Loop Header: Depth=1
	s_load_dword s7, s[2:3], 0x0
	s_load_dword s9, s[2:3], 0x64
	s_mov_b32 s8, s0
	s_waitcnt lgkmcnt(0)
	v_cvt_f32_u32_e32 v1, s7
	s_sub_i32 s0, 0, s7
	v_rcp_iflag_f32_e32 v1, v1
	v_mul_f32_e32 v1, 0x4f7ffffe, v1
	v_cvt_u32_f32_e32 v1, v1
	v_readfirstlane_b32 s10, v1
	s_mul_i32 s0, s0, s10
	s_mul_hi_u32 s0, s10, s0
	s_add_i32 s10, s10, s0
	s_mul_hi_u32 s0, s8, s10
	s_mul_i32 s10, s0, s7
	s_sub_i32 s10, s8, s10
	s_add_i32 s11, s0, 1
	s_sub_i32 s12, s10, s7
	s_cmp_ge_u32 s10, s7
	s_cselect_b32 s0, s11, s0
	s_cselect_b32 s10, s12, s10
	s_add_i32 s11, s0, 1
	s_cmp_ge_u32 s10, s7
	s_cselect_b32 s0, s11, s0
	s_mul_i32 s7, s0, s7
	s_sub_i32 s7, s8, s7
	s_mul_i32 s7, s9, s7
	s_add_i32 s6, s6, -1
	s_add_i32 s1, s7, s1
	s_add_u32 s2, s2, -4
	s_addc_u32 s3, s3, -1
	s_cmp_gt_u32 s6, 2
	s_cbranch_scc1 .LBB154_3
.LBB154_4:
	s_load_dword s2, s[4:5], 0x1b8
	s_mov_b32 s7, 0
	s_waitcnt lgkmcnt(0)
	s_cmp_lt_i32 s2, 2
	s_cbranch_scc1 .LBB154_7
; %bb.5:
	s_add_i32 s6, s2, -1
	s_add_i32 s8, s2, 1
	s_lshl_b64 s[2:3], s[6:7], 2
	s_add_u32 s2, s2, s4
	s_addc_u32 s3, s3, s5
	s_add_u32 s2, s2, 0xf0
	s_addc_u32 s3, s3, 0
.LBB154_6:                              ; =>This Inner Loop Header: Depth=1
	s_load_dword s6, s[2:3], 0x0
	s_load_dword s10, s[2:3], 0x64
	s_mov_b32 s9, s22
	s_waitcnt lgkmcnt(0)
	v_cvt_f32_u32_e32 v1, s6
	s_sub_i32 s11, 0, s6
	v_rcp_iflag_f32_e32 v1, v1
	v_mul_f32_e32 v1, 0x4f7ffffe, v1
	v_cvt_u32_f32_e32 v1, v1
	v_readfirstlane_b32 s12, v1
	s_mul_i32 s11, s11, s12
	s_mul_hi_u32 s11, s12, s11
	s_add_i32 s12, s12, s11
	s_mul_hi_u32 s11, s22, s12
	s_mul_i32 s12, s11, s6
	s_sub_i32 s12, s22, s12
	s_add_i32 s13, s11, 1
	s_sub_i32 s14, s12, s6
	s_cmp_ge_u32 s12, s6
	s_cselect_b32 s11, s13, s11
	s_cselect_b32 s12, s14, s12
	s_add_i32 s13, s11, 1
	s_cmp_ge_u32 s12, s6
	s_cselect_b32 s22, s13, s11
	s_mul_i32 s6, s22, s6
	s_sub_i32 s6, s9, s6
	s_mul_i32 s6, s10, s6
	s_add_i32 s8, s8, -1
	s_add_i32 s7, s6, s7
	s_add_u32 s2, s2, -4
	s_addc_u32 s3, s3, -1
	s_cmp_gt_u32 s8, 2
	s_cbranch_scc1 .LBB154_6
.LBB154_7:
	s_load_dword s2, s[4:5], 0x6c
	s_load_dwordx2 s[20:21], s[4:5], 0x1c0
	s_brev_b32 s6, 1
	v_mul_lo_u32 v18, v0, s18
	s_waitcnt lgkmcnt(0)
	s_mul_i32 s0, s2, s0
	s_add_i32 s0, s0, s1
	s_load_dwordx2 s[2:3], s[4:5], 0x0
	s_load_dwordx2 s[14:15], s[4:5], 0xe8
	s_bitcmp1_b32 s21, 0
	s_cselect_b64 s[12:13], -1, 0
	s_mov_b32 s1, 0
	s_and_b64 s[8:9], s[12:13], exec
	s_cselect_b32 s8, 0, -1
	s_cselect_b32 s9, s6, 0x7fffffff
	s_lshl_b64 s[0:1], s[0:1], 3
	s_waitcnt lgkmcnt(0)
	s_add_u32 s19, s2, s0
	s_mov_b32 s10, s8
	s_mov_b32 s11, s9
	v_pk_mov_b32 v[2:3], s[8:9], s[8:9] op_sel:[0,1]
	s_addc_u32 s21, s3, s1
	v_cmp_gt_u32_e64 s[0:1], s17, v0
	v_pk_mov_b32 v[4:5], s[10:11], s[10:11] op_sel:[0,1]
	v_pk_mov_b32 v[6:7], s[8:9], s[8:9] op_sel:[0,1]
	s_and_saveexec_b64 s[2:3], s[0:1]
	s_cbranch_execz .LBB154_9
; %bb.8:
	v_mov_b32_e32 v19, 0
	v_lshlrev_b64 v[2:3], 3, v[18:19]
	v_mov_b32_e32 v1, s21
	v_add_co_u32_e32 v2, vcc, s19, v2
	v_addc_co_u32_e32 v3, vcc, v1, v3, vcc
	global_load_dwordx2 v[6:7], v[2:3], off
	v_pk_mov_b32 v[2:3], s[8:9], s[8:9] op_sel:[0,1]
	v_pk_mov_b32 v[4:5], s[10:11], s[10:11] op_sel:[0,1]
.LBB154_9:
	s_or_b64 exec, exec, s[2:3]
	s_load_dword s6, s[4:5], 0x154
	v_or_b32_e32 v1, 16, v0
	v_cmp_gt_u32_e64 s[2:3], s17, v1
	s_and_saveexec_b64 s[4:5], s[2:3]
	s_cbranch_execz .LBB154_11
; %bb.10:
	v_mul_lo_u32 v2, v1, s18
	v_mov_b32_e32 v3, 0
	v_lshlrev_b64 v[2:3], 3, v[2:3]
	v_mov_b32_e32 v4, s21
	v_add_co_u32_e32 v2, vcc, s19, v2
	v_addc_co_u32_e32 v3, vcc, v4, v3, vcc
	global_load_dwordx2 v[4:5], v[2:3], off
.LBB154_11:
	s_or_b64 exec, exec, s[4:5]
	s_waitcnt lgkmcnt(0)
	s_mul_i32 s4, s6, s22
	s_add_i32 s4, s4, s7
	s_mov_b32 s5, 0
	s_lshl_b64 s[6:7], s[4:5], 3
	v_lshlrev_b32_e32 v30, 3, v0
	v_lshlrev_b32_e32 v31, 4, v0
	s_add_u32 s30, s14, s6
	s_waitcnt vmcnt(0)
	ds_write2_b64 v30, v[6:7], v[4:5] offset1:16
	s_waitcnt lgkmcnt(0)
	; wave barrier
	s_waitcnt lgkmcnt(0)
	ds_read2_b64 v[2:5], v31 offset1:1
	s_addc_u32 s31, s15, s7
	s_mov_b32 s6, s5
	s_mov_b32 s7, s5
	s_mov_b32 s4, s5
	v_pk_mov_b32 v[8:9], s[6:7], s[6:7] op_sel:[0,1]
	v_pk_mov_b32 v[6:7], s[4:5], s[4:5] op_sel:[0,1]
	v_pk_mov_b32 v[6:7], 0, 0
	v_mul_lo_u32 v20, v0, s20
	s_waitcnt lgkmcnt(0)
	; wave barrier
	s_waitcnt lgkmcnt(0)
	s_and_saveexec_b64 s[4:5], s[0:1]
	s_cbranch_execz .LBB154_13
; %bb.12:
	v_mov_b32_e32 v21, 0
	v_lshlrev_b64 v[6:7], 3, v[20:21]
	v_mov_b32_e32 v8, s31
	v_add_co_u32_e32 v6, vcc, s30, v6
	v_addc_co_u32_e32 v7, vcc, v8, v7, vcc
	global_load_dwordx2 v[6:7], v[6:7], off
	v_mov_b32_e32 v8, v21
	v_mov_b32_e32 v9, v21
.LBB154_13:
	s_or_b64 exec, exec, s[4:5]
	s_xor_b64 s[22:23], s[12:13], -1
	v_lshlrev_b32_e32 v10, 1, v0
	s_and_saveexec_b64 s[4:5], s[2:3]
	s_cbranch_execz .LBB154_15
; %bb.14:
	v_mul_lo_u32 v8, v1, s20
	v_mov_b32_e32 v9, 0
	v_lshlrev_b64 v[8:9], 3, v[8:9]
	v_mov_b32_e32 v11, s31
	v_add_co_u32_e32 v8, vcc, s30, v8
	v_addc_co_u32_e32 v9, vcc, v11, v9, vcc
	global_load_dwordx2 v[8:9], v[8:9], off
.LBB154_15:
	s_or_b64 exec, exec, s[4:5]
	v_mbcnt_lo_u32_b32 v11, -1, 0
	s_getpc_b64 s[4:5]
	s_add_u32 s4, s4, _ZN7rocprim17ROCPRIM_400000_NS16block_radix_sortIlLj16ELj2ElLj1ELj1ELj0ELNS0_26block_radix_rank_algorithmE1ELNS0_18block_padding_hintE2ELNS0_4arch9wavefront6targetE1EE19radix_bits_per_passE@rel32@lo+4
	s_addc_u32 s5, s5, _ZN7rocprim17ROCPRIM_400000_NS16block_radix_sortIlLj16ELj2ElLj1ELj1ELj0ELNS0_26block_radix_rank_algorithmE1ELNS0_18block_padding_hintE2ELNS0_4arch9wavefront6targetE1EE19radix_bits_per_passE@rel32@hi+12
	v_mbcnt_hi_u32_b32 v11, -1, v11
	s_waitcnt vmcnt(0)
	ds_write2_b64 v30, v[6:7], v[8:9] offset1:16
	s_waitcnt lgkmcnt(0)
	; wave barrier
	s_waitcnt lgkmcnt(0)
	ds_read2_b64 v[6:9], v31 offset1:1
	s_load_dword s33, s[4:5], 0x0
	v_and_b32_e32 v12, 15, v11
	v_cmp_eq_u32_e64 s[6:7], 0, v12
	v_cmp_lt_u32_e64 s[8:9], 1, v12
	v_cmp_lt_u32_e64 s[10:11], 3, v12
	;; [unrolled: 1-line block ×3, first 2 shown]
	v_add_u32_e32 v12, -1, v11
	v_and_b32_e32 v13, 0x70, v11
	v_cmp_lt_i32_e32 vcc, v12, v13
	s_movk_i32 s4, 0x80
	v_cndmask_b32_e32 v12, v12, v11, vcc
	v_cmp_gt_u32_e64 s[4:5], s4, v0
	v_lshlrev_b32_e32 v21, 5, v0
	s_mov_b32 s34, 0
	v_cmp_eq_u32_e64 s[14:15], 15, v0
	s_movk_i32 s35, 0x70
	v_lshlrev_b32_e32 v32, 2, v12
	v_cmp_eq_u32_e64 s[16:17], 0, v11
	v_lshlrev_b32_e32 v19, 3, v10
	s_and_b64 vcc, exec, s[22:23]
	v_add_u32_e64 v33, 7, 2
	s_waitcnt lgkmcnt(0)
	; wave barrier
	s_waitcnt lgkmcnt(0)
	s_cbranch_vccz .LBB154_30
; %bb.16:
	v_xor_b32_e32 v11, 0x80000000, v3
	v_mov_b32_e32 v10, v2
	v_xor_b32_e32 v13, 0x80000000, v5
	v_mov_b32_e32 v12, v4
	v_and_b32_e32 v34, 14, v33
	v_mov_b32_e32 v35, 0
	v_pk_mov_b32 v[14:15], v[6:7], v[6:7] op_sel:[0,1]
	v_pk_mov_b32 v[16:17], v[8:9], v[8:9] op_sel:[0,1]
	s_branch .LBB154_18
.LBB154_17:                             ;   in Loop: Header=BB154_18 Depth=1
	v_lshlrev_b32_e32 v14, 3, v36
	v_lshlrev_b32_e32 v15, 3, v37
	s_waitcnt lgkmcnt(0)
	; wave barrier
	ds_write_b64 v14, v[28:29]
	ds_write_b64 v15, v[26:27]
	s_waitcnt lgkmcnt(0)
	; wave barrier
	s_waitcnt lgkmcnt(0)
	ds_read2_b64 v[10:13], v19 offset1:1
	s_waitcnt lgkmcnt(0)
	; wave barrier
	s_waitcnt lgkmcnt(0)
	ds_write_b64 v14, v[24:25]
	ds_write_b64 v15, v[22:23]
	s_waitcnt lgkmcnt(0)
	; wave barrier
	s_waitcnt lgkmcnt(0)
	ds_read2_b64 v[14:17], v19 offset1:1
	s_add_i32 s34, s34, 4
	s_waitcnt lgkmcnt(0)
	; wave barrier
	s_waitcnt lgkmcnt(0)
	s_cbranch_execz .LBB154_29
.LBB154_18:                             ; =>This Loop Header: Depth=1
                                        ;     Child Loop BB154_21 Depth 2
	v_pk_mov_b32 v[26:27], v[12:13], v[12:13] op_sel:[0,1]
	v_pk_mov_b32 v[28:29], v[10:11], v[10:11] op_sel:[0,1]
	v_pk_mov_b32 v[22:23], v[16:17], v[16:17] op_sel:[0,1]
	v_pk_mov_b32 v[24:25], v[14:15], v[14:15] op_sel:[0,1]
	s_and_saveexec_b64 s[22:23], s[4:5]
	s_cbranch_execz .LBB154_25
; %bb.19:                               ;   in Loop: Header=BB154_18 Depth=1
	s_mov_b32 s36, 0
	s_mov_b64 s[24:25], 0
	v_pk_mov_b32 v[10:11], v[0:1], v[0:1] op_sel:[0,1]
	s_branch .LBB154_21
.LBB154_20:                             ;   in Loop: Header=BB154_21 Depth=2
	s_or_b64 exec, exec, s[28:29]
	s_add_i32 s36, s36, 2
	v_cmp_eq_u32_e32 vcc, s36, v34
	v_add_u32_e32 v11, 32, v11
	s_or_b64 s[24:25], vcc, s[24:25]
	v_add_u32_e32 v10, 32, v10
	s_andn2_b64 exec, exec, s[24:25]
	s_cbranch_execz .LBB154_25
.LBB154_21:                             ;   Parent Loop BB154_18 Depth=1
                                        ; =>  This Inner Loop Header: Depth=2
	s_or_b32 s26, s36, 1
	v_cmp_le_u32_e64 s[26:27], s26, 7
	v_cmp_le_u32_e64 s[38:39], s36, 7
	s_and_saveexec_b64 s[28:29], s[38:39]
	s_cbranch_execz .LBB154_23
; %bb.22:                               ;   in Loop: Header=BB154_21 Depth=2
	v_lshlrev_b32_e32 v12, 2, v10
	ds_write_b32 v12, v35
.LBB154_23:                             ;   in Loop: Header=BB154_21 Depth=2
	s_or_b64 exec, exec, s[28:29]
	s_and_saveexec_b64 s[28:29], s[26:27]
	s_cbranch_execz .LBB154_20
; %bb.24:                               ;   in Loop: Header=BB154_21 Depth=2
	v_lshlrev_b32_e32 v12, 2, v11
	ds_write_b32 v12, v35
	s_branch .LBB154_20
.LBB154_25:                             ;   in Loop: Header=BB154_18 Depth=1
	s_or_b64 exec, exec, s[22:23]
	s_sub_i32 s22, 64, s34
	s_min_u32 s22, s33, s22
	s_lshl_b32 s22, -1, s22
	s_not_b32 s22, s22
	v_lshrrev_b64 v[10:11], s34, v[28:29]
	v_and_b32_e32 v10, s22, v10
	v_lshrrev_b32_e32 v11, 3, v10
	v_lshlrev_b32_e32 v10, 4, v10
	v_and_or_b32 v10, v10, s35, v0
	v_lshlrev_b32_e32 v10, 1, v10
	v_add_lshl_u32 v37, v10, v11, 1
	ds_read_u16 v36, v37
	v_lshrrev_b64 v[10:11], s34, v[26:27]
	v_and_b32_e32 v10, s22, v10
	s_waitcnt lgkmcnt(0)
	v_add_u16_e32 v11, 1, v36
	ds_write_b16 v37, v11
	v_lshrrev_b32_e32 v11, 3, v10
	v_lshlrev_b32_e32 v10, 4, v10
	v_and_or_b32 v10, v10, s35, v0
	v_lshlrev_b32_e32 v10, 1, v10
	v_add_lshl_u32 v39, v10, v11, 1
	ds_read_u16 v38, v39
	s_waitcnt lgkmcnt(0)
	v_add_u16_e32 v10, 1, v38
	ds_write_b16 v39, v10
	s_waitcnt lgkmcnt(0)
	; wave barrier
	s_waitcnt lgkmcnt(0)
	ds_read2_b32 v[16:17], v21 offset1:1
	ds_read2_b32 v[14:15], v21 offset0:2 offset1:3
	ds_read2_b32 v[10:11], v21 offset0:4 offset1:5
	;; [unrolled: 1-line block ×3, first 2 shown]
	s_waitcnt lgkmcnt(3)
	v_add_u32_e32 v40, v17, v16
	s_waitcnt lgkmcnt(2)
	v_add3_u32 v40, v40, v14, v15
	s_waitcnt lgkmcnt(1)
	v_add3_u32 v40, v40, v10, v11
	;; [unrolled: 2-line block ×3, first 2 shown]
	s_nop 1
	v_mov_b32_dpp v40, v13 row_shr:1 row_mask:0xf bank_mask:0xf
	v_cndmask_b32_e64 v40, v40, 0, s[6:7]
	v_add_u32_e32 v13, v40, v13
	s_nop 1
	v_mov_b32_dpp v40, v13 row_shr:2 row_mask:0xf bank_mask:0xf
	v_cndmask_b32_e64 v40, 0, v40, s[8:9]
	v_add_u32_e32 v13, v13, v40
	;; [unrolled: 4-line block ×4, first 2 shown]
	s_and_saveexec_b64 s[22:23], s[14:15]
	s_cbranch_execz .LBB154_27
; %bb.26:                               ;   in Loop: Header=BB154_18 Depth=1
	ds_write_b32 v35, v13 offset:512
.LBB154_27:                             ;   in Loop: Header=BB154_18 Depth=1
	s_or_b64 exec, exec, s[22:23]
	ds_bpermute_b32 v13, v32, v13
	s_waitcnt lgkmcnt(0)
	; wave barrier
	s_waitcnt lgkmcnt(0)
	ds_read_b32 v40, v35 offset:512
	s_cmp_gt_u32 s34, 59
	v_cndmask_b32_e64 v13, v13, 0, s[16:17]
	s_waitcnt lgkmcnt(0)
	v_lshl_add_u32 v13, v40, 16, v13
	v_add_u32_e32 v16, v13, v16
	v_add_u32_e32 v17, v16, v17
	ds_write2_b32 v21, v13, v16 offset1:1
	v_add_u32_e32 v13, v17, v14
	v_add_u32_e32 v14, v13, v15
	;; [unrolled: 1-line block ×5, first 2 shown]
	ds_write2_b32 v21, v17, v13 offset0:2 offset1:3
	ds_write2_b32 v21, v14, v10 offset0:4 offset1:5
	;; [unrolled: 1-line block ×3, first 2 shown]
	s_waitcnt lgkmcnt(0)
	; wave barrier
	s_waitcnt lgkmcnt(0)
	ds_read_u16 v10, v37
	ds_read_u16 v11, v39
	s_waitcnt lgkmcnt(1)
	v_add_u32_sdwa v36, v10, v36 dst_sel:DWORD dst_unused:UNUSED_PAD src0_sel:DWORD src1_sel:WORD_0
	s_waitcnt lgkmcnt(0)
	v_add_u32_sdwa v37, v11, v38 dst_sel:DWORD dst_unused:UNUSED_PAD src0_sel:DWORD src1_sel:WORD_0
	s_cbranch_scc0 .LBB154_17
; %bb.28:
                                        ; implicit-def: $vgpr12_vgpr13
                                        ; implicit-def: $vgpr16_vgpr17
                                        ; implicit-def: $sgpr34
.LBB154_29:
	v_lshlrev_b32_e32 v10, 3, v36
	v_lshlrev_b32_e32 v11, 3, v37
	s_waitcnt lgkmcnt(0)
	; wave barrier
	ds_write_b64 v10, v[28:29]
	ds_write_b64 v11, v[26:27]
	s_waitcnt lgkmcnt(0)
	; wave barrier
	s_waitcnt lgkmcnt(0)
	ds_read2_b64 v[14:17], v19 offset1:1
	s_waitcnt lgkmcnt(0)
	; wave barrier
	s_waitcnt lgkmcnt(0)
	ds_write_b64 v10, v[24:25]
	ds_write_b64 v11, v[22:23]
	s_waitcnt lgkmcnt(0)
	; wave barrier
	s_waitcnt lgkmcnt(0)
	ds_read2_b64 v[10:13], v19 offset1:1
	v_xor_b32_e32 v15, 0x80000000, v15
	v_xor_b32_e32 v17, 0x80000000, v17
	s_branch .LBB154_45
.LBB154_30:
                                        ; implicit-def: $vgpr16_vgpr17
                                        ; implicit-def: $vgpr12_vgpr13
	s_cbranch_execz .LBB154_45
; %bb.31:
	v_xor_b32_e32 v3, 0x7fffffff, v3
	v_xor_b32_e32 v2, -1, v2
	v_xor_b32_e32 v5, 0x7fffffff, v5
	v_xor_b32_e32 v4, -1, v4
	v_and_b32_e32 v22, 14, v33
	s_mov_b32 s35, 0
	v_mov_b32_e32 v23, 0
	s_movk_i32 s34, 0x70
	s_branch .LBB154_33
.LBB154_32:                             ;   in Loop: Header=BB154_33 Depth=1
	v_lshlrev_b32_e32 v6, 3, v24
	v_lshlrev_b32_e32 v7, 3, v25
	s_waitcnt lgkmcnt(0)
	; wave barrier
	ds_write_b64 v6, v[16:17]
	ds_write_b64 v7, v[14:15]
	s_waitcnt lgkmcnt(0)
	; wave barrier
	s_waitcnt lgkmcnt(0)
	ds_read2_b64 v[2:5], v19 offset1:1
	s_waitcnt lgkmcnt(0)
	; wave barrier
	s_waitcnt lgkmcnt(0)
	ds_write_b64 v6, v[12:13]
	ds_write_b64 v7, v[10:11]
	s_waitcnt lgkmcnt(0)
	; wave barrier
	s_waitcnt lgkmcnt(0)
	ds_read2_b64 v[6:9], v19 offset1:1
	s_add_i32 s35, s35, 4
	s_waitcnt lgkmcnt(0)
	; wave barrier
	s_waitcnt lgkmcnt(0)
	s_cbranch_execz .LBB154_44
.LBB154_33:                             ; =>This Loop Header: Depth=1
                                        ;     Child Loop BB154_36 Depth 2
	v_pk_mov_b32 v[14:15], v[4:5], v[4:5] op_sel:[0,1]
	v_pk_mov_b32 v[16:17], v[2:3], v[2:3] op_sel:[0,1]
	s_waitcnt lgkmcnt(0)
	v_pk_mov_b32 v[10:11], v[8:9], v[8:9] op_sel:[0,1]
	v_pk_mov_b32 v[12:13], v[6:7], v[6:7] op_sel:[0,1]
	s_and_saveexec_b64 s[22:23], s[4:5]
	s_cbranch_execz .LBB154_40
; %bb.34:                               ;   in Loop: Header=BB154_33 Depth=1
	s_mov_b32 s36, 0
	s_mov_b64 s[24:25], 0
	v_pk_mov_b32 v[2:3], v[0:1], v[0:1] op_sel:[0,1]
	s_branch .LBB154_36
.LBB154_35:                             ;   in Loop: Header=BB154_36 Depth=2
	s_or_b64 exec, exec, s[28:29]
	s_add_i32 s36, s36, 2
	v_cmp_eq_u32_e32 vcc, s36, v22
	v_add_u32_e32 v3, 32, v3
	s_or_b64 s[24:25], vcc, s[24:25]
	v_add_u32_e32 v2, 32, v2
	s_andn2_b64 exec, exec, s[24:25]
	s_cbranch_execz .LBB154_40
.LBB154_36:                             ;   Parent Loop BB154_33 Depth=1
                                        ; =>  This Inner Loop Header: Depth=2
	s_or_b32 s26, s36, 1
	v_cmp_le_u32_e64 s[26:27], s26, 7
	v_cmp_le_u32_e64 s[38:39], s36, 7
	s_and_saveexec_b64 s[28:29], s[38:39]
	s_cbranch_execz .LBB154_38
; %bb.37:                               ;   in Loop: Header=BB154_36 Depth=2
	v_lshlrev_b32_e32 v4, 2, v2
	ds_write_b32 v4, v23
.LBB154_38:                             ;   in Loop: Header=BB154_36 Depth=2
	s_or_b64 exec, exec, s[28:29]
	s_and_saveexec_b64 s[28:29], s[26:27]
	s_cbranch_execz .LBB154_35
; %bb.39:                               ;   in Loop: Header=BB154_36 Depth=2
	v_lshlrev_b32_e32 v4, 2, v3
	ds_write_b32 v4, v23
	s_branch .LBB154_35
.LBB154_40:                             ;   in Loop: Header=BB154_33 Depth=1
	s_or_b64 exec, exec, s[22:23]
	s_sub_i32 s22, 64, s35
	s_min_u32 s22, s33, s22
	s_lshl_b32 s22, -1, s22
	s_not_b32 s22, s22
	v_lshrrev_b64 v[2:3], s35, v[16:17]
	v_and_b32_e32 v2, s22, v2
	v_lshrrev_b32_e32 v3, 3, v2
	v_lshlrev_b32_e32 v2, 4, v2
	v_and_or_b32 v2, v2, s34, v0
	v_lshlrev_b32_e32 v2, 1, v2
	v_add_lshl_u32 v25, v2, v3, 1
	ds_read_u16 v24, v25
	v_lshrrev_b64 v[2:3], s35, v[14:15]
	v_and_b32_e32 v2, s22, v2
	s_waitcnt lgkmcnt(0)
	v_add_u16_e32 v3, 1, v24
	ds_write_b16 v25, v3
	v_lshrrev_b32_e32 v3, 3, v2
	v_lshlrev_b32_e32 v2, 4, v2
	v_and_or_b32 v2, v2, s34, v0
	v_lshlrev_b32_e32 v2, 1, v2
	v_add_lshl_u32 v27, v2, v3, 1
	ds_read_u16 v26, v27
	s_waitcnt lgkmcnt(0)
	v_add_u16_e32 v2, 1, v26
	ds_write_b16 v27, v2
	s_waitcnt lgkmcnt(0)
	; wave barrier
	s_waitcnt lgkmcnt(0)
	ds_read2_b32 v[8:9], v21 offset1:1
	ds_read2_b32 v[6:7], v21 offset0:2 offset1:3
	ds_read2_b32 v[2:3], v21 offset0:4 offset1:5
	;; [unrolled: 1-line block ×3, first 2 shown]
	s_waitcnt lgkmcnt(3)
	v_add_u32_e32 v28, v9, v8
	s_waitcnt lgkmcnt(2)
	v_add3_u32 v28, v28, v6, v7
	s_waitcnt lgkmcnt(1)
	v_add3_u32 v28, v28, v2, v3
	;; [unrolled: 2-line block ×3, first 2 shown]
	s_nop 1
	v_mov_b32_dpp v28, v5 row_shr:1 row_mask:0xf bank_mask:0xf
	v_cndmask_b32_e64 v28, v28, 0, s[6:7]
	v_add_u32_e32 v5, v28, v5
	s_nop 1
	v_mov_b32_dpp v28, v5 row_shr:2 row_mask:0xf bank_mask:0xf
	v_cndmask_b32_e64 v28, 0, v28, s[8:9]
	v_add_u32_e32 v5, v5, v28
	;; [unrolled: 4-line block ×4, first 2 shown]
	s_and_saveexec_b64 s[22:23], s[14:15]
	s_cbranch_execz .LBB154_42
; %bb.41:                               ;   in Loop: Header=BB154_33 Depth=1
	ds_write_b32 v23, v5 offset:512
.LBB154_42:                             ;   in Loop: Header=BB154_33 Depth=1
	s_or_b64 exec, exec, s[22:23]
	ds_bpermute_b32 v5, v32, v5
	s_waitcnt lgkmcnt(0)
	; wave barrier
	s_waitcnt lgkmcnt(0)
	ds_read_b32 v28, v23 offset:512
	s_cmp_gt_u32 s35, 59
	v_cndmask_b32_e64 v5, v5, 0, s[16:17]
	s_waitcnt lgkmcnt(0)
	v_lshl_add_u32 v5, v28, 16, v5
	v_add_u32_e32 v8, v5, v8
	v_add_u32_e32 v9, v8, v9
	ds_write2_b32 v21, v5, v8 offset1:1
	v_add_u32_e32 v5, v9, v6
	v_add_u32_e32 v6, v5, v7
	;; [unrolled: 1-line block ×5, first 2 shown]
	ds_write2_b32 v21, v9, v5 offset0:2 offset1:3
	ds_write2_b32 v21, v6, v2 offset0:4 offset1:5
	;; [unrolled: 1-line block ×3, first 2 shown]
	s_waitcnt lgkmcnt(0)
	; wave barrier
	s_waitcnt lgkmcnt(0)
	ds_read_u16 v2, v25
	ds_read_u16 v3, v27
	s_waitcnt lgkmcnt(1)
	v_add_u32_sdwa v24, v2, v24 dst_sel:DWORD dst_unused:UNUSED_PAD src0_sel:DWORD src1_sel:WORD_0
	s_waitcnt lgkmcnt(0)
	v_add_u32_sdwa v25, v3, v26 dst_sel:DWORD dst_unused:UNUSED_PAD src0_sel:DWORD src1_sel:WORD_0
	s_cbranch_scc0 .LBB154_32
; %bb.43:
                                        ; implicit-def: $vgpr4_vgpr5
                                        ; implicit-def: $vgpr8_vgpr9
                                        ; implicit-def: $sgpr35
.LBB154_44:
	v_lshlrev_b32_e32 v4, 3, v24
	v_lshlrev_b32_e32 v5, 3, v25
	s_waitcnt lgkmcnt(0)
	; wave barrier
	ds_write_b64 v4, v[16:17]
	ds_write_b64 v5, v[14:15]
	s_waitcnt lgkmcnt(0)
	; wave barrier
	s_waitcnt lgkmcnt(0)
	ds_read2_b64 v[0:3], v19 offset1:1
	s_waitcnt lgkmcnt(0)
	; wave barrier
	s_waitcnt lgkmcnt(0)
	ds_write_b64 v4, v[12:13]
	ds_write_b64 v5, v[10:11]
	s_waitcnt lgkmcnt(0)
	; wave barrier
	s_waitcnt lgkmcnt(0)
	ds_read2_b64 v[10:13], v19 offset1:1
	v_xor_b32_e32 v15, 0x7fffffff, v1
	v_xor_b32_e32 v14, -1, v0
	v_xor_b32_e32 v17, 0x7fffffff, v3
	v_xor_b32_e32 v16, -1, v2
.LBB154_45:
	s_waitcnt lgkmcnt(0)
	; wave barrier
	s_waitcnt lgkmcnt(0)
	ds_write2_b64 v31, v[14:15], v[16:17] offset1:1
	s_waitcnt lgkmcnt(0)
	; wave barrier
	s_waitcnt lgkmcnt(0)
	ds_read_b64 v[0:1], v30 offset:128
	v_mov_b32_e32 v19, 0
	v_lshlrev_b64 v[2:3], 3, v[18:19]
	v_mov_b32_e32 v4, s21
	v_add_co_u32_e32 v2, vcc, s19, v2
	v_addc_co_u32_e32 v3, vcc, v4, v3, vcc
	s_and_saveexec_b64 s[4:5], s[0:1]
	s_cbranch_execz .LBB154_47
; %bb.46:
	ds_read_b64 v[4:5], v30
	s_waitcnt lgkmcnt(0)
	global_store_dwordx2 v[2:3], v[4:5], off
.LBB154_47:
	s_or_b64 exec, exec, s[4:5]
	s_and_saveexec_b64 s[4:5], s[2:3]
	s_cbranch_execz .LBB154_49
; %bb.48:
	s_lshl_b32 s6, s18, 4
	s_mov_b32 s7, 0
	s_lshl_b64 s[6:7], s[6:7], 3
	v_mov_b32_e32 v4, s7
	v_add_co_u32_e32 v2, vcc, s6, v2
	v_addc_co_u32_e32 v3, vcc, v3, v4, vcc
	s_waitcnt lgkmcnt(0)
	global_store_dwordx2 v[2:3], v[0:1], off
.LBB154_49:
	s_or_b64 exec, exec, s[4:5]
	s_waitcnt lgkmcnt(0)
	; wave barrier
	s_waitcnt lgkmcnt(0)
	ds_write2_b64 v31, v[10:11], v[12:13] offset1:1
	s_waitcnt lgkmcnt(0)
	; wave barrier
	s_waitcnt lgkmcnt(0)
	ds_read_b64 v[0:1], v30 offset:128
	v_mov_b32_e32 v21, 0
	v_lshlrev_b64 v[2:3], 3, v[20:21]
	v_mov_b32_e32 v4, s31
	v_add_co_u32_e32 v2, vcc, s30, v2
	v_addc_co_u32_e32 v3, vcc, v4, v3, vcc
	s_and_saveexec_b64 s[4:5], s[0:1]
	s_cbranch_execz .LBB154_51
; %bb.50:
	ds_read_b64 v[4:5], v30
	s_waitcnt lgkmcnt(0)
	global_store_dwordx2 v[2:3], v[4:5], off
.LBB154_51:
	s_or_b64 exec, exec, s[4:5]
	s_and_saveexec_b64 s[0:1], s[2:3]
	s_cbranch_execz .LBB154_53
; %bb.52:
	s_lshl_b32 s0, s20, 4
	s_mov_b32 s1, 0
	s_lshl_b64 s[0:1], s[0:1], 3
	v_mov_b32_e32 v4, s1
	v_add_co_u32_e32 v2, vcc, s0, v2
	v_addc_co_u32_e32 v3, vcc, v3, v4, vcc
	s_waitcnt lgkmcnt(0)
	global_store_dwordx2 v[2:3], v[0:1], off
.LBB154_53:
	s_endpgm
	.section	.rodata,"a",@progbits
	.p2align	6, 0x0
	.amdhsa_kernel _ZN2at6native18radixSortKVInPlaceILin1ELin1ELi16ELi2ElljEEvNS_4cuda6detail10TensorInfoIT3_T5_EES6_S6_S6_NS4_IT4_S6_EES6_b
		.amdhsa_group_segment_fixed_size 528
		.amdhsa_private_segment_fixed_size 0
		.amdhsa_kernarg_size 712
		.amdhsa_user_sgpr_count 6
		.amdhsa_user_sgpr_private_segment_buffer 1
		.amdhsa_user_sgpr_dispatch_ptr 0
		.amdhsa_user_sgpr_queue_ptr 0
		.amdhsa_user_sgpr_kernarg_segment_ptr 1
		.amdhsa_user_sgpr_dispatch_id 0
		.amdhsa_user_sgpr_flat_scratch_init 0
		.amdhsa_user_sgpr_kernarg_preload_length 0
		.amdhsa_user_sgpr_kernarg_preload_offset 0
		.amdhsa_user_sgpr_private_segment_size 0
		.amdhsa_uses_dynamic_stack 0
		.amdhsa_system_sgpr_private_segment_wavefront_offset 0
		.amdhsa_system_sgpr_workgroup_id_x 1
		.amdhsa_system_sgpr_workgroup_id_y 1
		.amdhsa_system_sgpr_workgroup_id_z 1
		.amdhsa_system_sgpr_workgroup_info 0
		.amdhsa_system_vgpr_workitem_id 0
		.amdhsa_next_free_vgpr 41
		.amdhsa_next_free_sgpr 40
		.amdhsa_accum_offset 44
		.amdhsa_reserve_vcc 1
		.amdhsa_reserve_flat_scratch 0
		.amdhsa_float_round_mode_32 0
		.amdhsa_float_round_mode_16_64 0
		.amdhsa_float_denorm_mode_32 3
		.amdhsa_float_denorm_mode_16_64 3
		.amdhsa_dx10_clamp 1
		.amdhsa_ieee_mode 1
		.amdhsa_fp16_overflow 0
		.amdhsa_tg_split 0
		.amdhsa_exception_fp_ieee_invalid_op 0
		.amdhsa_exception_fp_denorm_src 0
		.amdhsa_exception_fp_ieee_div_zero 0
		.amdhsa_exception_fp_ieee_overflow 0
		.amdhsa_exception_fp_ieee_underflow 0
		.amdhsa_exception_fp_ieee_inexact 0
		.amdhsa_exception_int_div_zero 0
	.end_amdhsa_kernel
	.section	.text._ZN2at6native18radixSortKVInPlaceILin1ELin1ELi16ELi2ElljEEvNS_4cuda6detail10TensorInfoIT3_T5_EES6_S6_S6_NS4_IT4_S6_EES6_b,"axG",@progbits,_ZN2at6native18radixSortKVInPlaceILin1ELin1ELi16ELi2ElljEEvNS_4cuda6detail10TensorInfoIT3_T5_EES6_S6_S6_NS4_IT4_S6_EES6_b,comdat
.Lfunc_end154:
	.size	_ZN2at6native18radixSortKVInPlaceILin1ELin1ELi16ELi2ElljEEvNS_4cuda6detail10TensorInfoIT3_T5_EES6_S6_S6_NS4_IT4_S6_EES6_b, .Lfunc_end154-_ZN2at6native18radixSortKVInPlaceILin1ELin1ELi16ELi2ElljEEvNS_4cuda6detail10TensorInfoIT3_T5_EES6_S6_S6_NS4_IT4_S6_EES6_b
                                        ; -- End function
	.section	.AMDGPU.csdata,"",@progbits
; Kernel info:
; codeLenInByte = 3272
; NumSgprs: 44
; NumVgprs: 41
; NumAgprs: 0
; TotalNumVgprs: 41
; ScratchSize: 0
; MemoryBound: 0
; FloatMode: 240
; IeeeMode: 1
; LDSByteSize: 528 bytes/workgroup (compile time only)
; SGPRBlocks: 5
; VGPRBlocks: 5
; NumSGPRsForWavesPerEU: 44
; NumVGPRsForWavesPerEU: 41
; AccumOffset: 44
; Occupancy: 8
; WaveLimiterHint : 1
; COMPUTE_PGM_RSRC2:SCRATCH_EN: 0
; COMPUTE_PGM_RSRC2:USER_SGPR: 6
; COMPUTE_PGM_RSRC2:TRAP_HANDLER: 0
; COMPUTE_PGM_RSRC2:TGID_X_EN: 1
; COMPUTE_PGM_RSRC2:TGID_Y_EN: 1
; COMPUTE_PGM_RSRC2:TGID_Z_EN: 1
; COMPUTE_PGM_RSRC2:TIDIG_COMP_CNT: 0
; COMPUTE_PGM_RSRC3_GFX90A:ACCUM_OFFSET: 10
; COMPUTE_PGM_RSRC3_GFX90A:TG_SPLIT: 0
	.section	.text._ZN2at6native18radixSortKVInPlaceILin1ELin1ELi512ELi8EllmEEvNS_4cuda6detail10TensorInfoIT3_T5_EES6_S6_S6_NS4_IT4_S6_EES6_b,"axG",@progbits,_ZN2at6native18radixSortKVInPlaceILin1ELin1ELi512ELi8EllmEEvNS_4cuda6detail10TensorInfoIT3_T5_EES6_S6_S6_NS4_IT4_S6_EES6_b,comdat
	.protected	_ZN2at6native18radixSortKVInPlaceILin1ELin1ELi512ELi8EllmEEvNS_4cuda6detail10TensorInfoIT3_T5_EES6_S6_S6_NS4_IT4_S6_EES6_b ; -- Begin function _ZN2at6native18radixSortKVInPlaceILin1ELin1ELi512ELi8EllmEEvNS_4cuda6detail10TensorInfoIT3_T5_EES6_S6_S6_NS4_IT4_S6_EES6_b
	.globl	_ZN2at6native18radixSortKVInPlaceILin1ELin1ELi512ELi8EllmEEvNS_4cuda6detail10TensorInfoIT3_T5_EES6_S6_S6_NS4_IT4_S6_EES6_b
	.p2align	8
	.type	_ZN2at6native18radixSortKVInPlaceILin1ELin1ELi512ELi8EllmEEvNS_4cuda6detail10TensorInfoIT3_T5_EES6_S6_S6_NS4_IT4_S6_EES6_b,@function
_ZN2at6native18radixSortKVInPlaceILin1ELin1ELi512ELi8EllmEEvNS_4cuda6detail10TensorInfoIT3_T5_EES6_S6_S6_NS4_IT4_S6_EES6_b: ; @_ZN2at6native18radixSortKVInPlaceILin1ELin1ELi512ELi8EllmEEvNS_4cuda6detail10TensorInfoIT3_T5_EES6_S6_S6_NS4_IT4_S6_EES6_b
; %bb.0:
	s_load_dwordx4 s[24:27], s[4:5], 0x1a0
	s_load_dwordx2 s[0:1], s[4:5], 0x368
	s_add_u32 s52, s4, 0x368
	s_addc_u32 s53, s5, 0
	s_waitcnt lgkmcnt(0)
	v_mov_b32_e32 v2, s24
	s_mul_i32 s1, s1, s8
	s_add_i32 s1, s1, s7
	s_mul_i32 s0, s1, s0
	v_mov_b32_e32 v3, s25
	s_add_i32 s6, s0, s6
	s_mov_b32 s7, 0
	v_cmp_ge_u64_e32 vcc, s[6:7], v[2:3]
	s_cbranch_vccnz .LBB155_124
; %bb.1:
	s_load_dword s0, s[4:5], 0x198
	s_load_dwordx2 s[48:49], s[4:5], 0x1b0
	s_mov_b64 s[2:3], 0
	s_mov_b64 s[8:9], s[6:7]
	s_waitcnt lgkmcnt(0)
	s_cmp_lt_i32 s0, 2
	s_cbranch_scc1 .LBB155_9
; %bb.2:
	s_mov_b32 s10, 0
	s_add_i32 s18, s0, 1
	s_add_i32 s0, s0, -1
	s_mov_b32 s1, s10
	s_lshl_b64 s[0:1], s[0:1], 3
	s_add_u32 s0, s0, s4
	s_addc_u32 s1, s1, s5
	s_add_u32 s12, s0, 8
	s_addc_u32 s13, s1, 0
	s_mov_b64 s[14:15], s[6:7]
.LBB155_3:                              ; =>This Inner Loop Header: Depth=1
	s_load_dwordx2 s[16:17], s[12:13], 0x0
	s_waitcnt lgkmcnt(0)
	s_or_b64 s[0:1], s[14:15], s[16:17]
	s_mov_b32 s11, s1
	s_cmp_lg_u64 s[10:11], 0
	s_cbranch_scc0 .LBB155_8
; %bb.4:                                ;   in Loop: Header=BB155_3 Depth=1
	v_cvt_f32_u32_e32 v1, s16
	v_cvt_f32_u32_e32 v2, s17
	s_sub_u32 s0, 0, s16
	s_subb_u32 s1, 0, s17
	v_mac_f32_e32 v1, 0x4f800000, v2
	v_rcp_f32_e32 v1, v1
	v_mul_f32_e32 v1, 0x5f7ffffc, v1
	v_mul_f32_e32 v2, 0x2f800000, v1
	v_trunc_f32_e32 v2, v2
	v_mac_f32_e32 v1, 0xcf800000, v2
	v_cvt_u32_f32_e32 v2, v2
	v_cvt_u32_f32_e32 v1, v1
	v_readfirstlane_b32 s8, v2
	v_readfirstlane_b32 s9, v1
	s_mul_i32 s11, s0, s8
	s_mul_hi_u32 s20, s0, s9
	s_mul_i32 s19, s1, s9
	s_add_i32 s11, s20, s11
	s_mul_i32 s21, s0, s9
	s_add_i32 s11, s11, s19
	s_mul_hi_u32 s19, s9, s11
	s_mul_i32 s20, s9, s11
	s_mul_hi_u32 s9, s9, s21
	s_add_u32 s9, s9, s20
	s_addc_u32 s19, 0, s19
	s_mul_hi_u32 s22, s8, s21
	s_mul_i32 s21, s8, s21
	s_add_u32 s9, s9, s21
	s_mul_hi_u32 s20, s8, s11
	s_addc_u32 s9, s19, s22
	s_addc_u32 s19, s20, 0
	s_mul_i32 s11, s8, s11
	s_add_u32 s9, s9, s11
	s_addc_u32 s11, 0, s19
	v_add_co_u32_e32 v1, vcc, s9, v1
	s_cmp_lg_u64 vcc, 0
	s_addc_u32 s8, s8, s11
	v_readfirstlane_b32 s11, v1
	s_mul_i32 s9, s0, s8
	s_mul_hi_u32 s19, s0, s11
	s_add_i32 s9, s19, s9
	s_mul_i32 s1, s1, s11
	s_add_i32 s9, s9, s1
	s_mul_i32 s0, s0, s11
	s_mul_hi_u32 s19, s8, s0
	s_mul_i32 s20, s8, s0
	s_mul_i32 s22, s11, s9
	s_mul_hi_u32 s0, s11, s0
	s_mul_hi_u32 s21, s11, s9
	s_add_u32 s0, s0, s22
	s_addc_u32 s11, 0, s21
	s_add_u32 s0, s0, s20
	s_mul_hi_u32 s1, s8, s9
	s_addc_u32 s0, s11, s19
	s_addc_u32 s1, s1, 0
	s_mul_i32 s9, s8, s9
	s_add_u32 s0, s0, s9
	s_addc_u32 s1, 0, s1
	v_add_co_u32_e32 v1, vcc, s0, v1
	s_cmp_lg_u64 vcc, 0
	s_addc_u32 s0, s8, s1
	v_readfirstlane_b32 s9, v1
	s_mul_i32 s8, s14, s0
	s_mul_hi_u32 s11, s14, s9
	s_mul_hi_u32 s1, s14, s0
	s_add_u32 s8, s11, s8
	s_addc_u32 s1, 0, s1
	s_mul_hi_u32 s19, s15, s9
	s_mul_i32 s9, s15, s9
	s_add_u32 s8, s8, s9
	s_mul_hi_u32 s11, s15, s0
	s_addc_u32 s1, s1, s19
	s_addc_u32 s8, s11, 0
	s_mul_i32 s0, s15, s0
	s_add_u32 s11, s1, s0
	s_addc_u32 s8, 0, s8
	s_mul_i32 s0, s16, s8
	s_mul_hi_u32 s1, s16, s11
	s_add_i32 s0, s1, s0
	s_mul_i32 s1, s17, s11
	s_add_i32 s9, s0, s1
	s_mul_i32 s1, s16, s11
	v_mov_b32_e32 v1, s1
	s_sub_i32 s0, s15, s9
	v_sub_co_u32_e32 v1, vcc, s14, v1
	s_cmp_lg_u64 vcc, 0
	s_subb_u32 s19, s0, s17
	v_subrev_co_u32_e64 v2, s[0:1], s16, v1
	s_cmp_lg_u64 s[0:1], 0
	s_subb_u32 s0, s19, 0
	s_cmp_ge_u32 s0, s17
	v_readfirstlane_b32 s19, v2
	s_cselect_b32 s1, -1, 0
	s_cmp_ge_u32 s19, s16
	s_cselect_b32 s19, -1, 0
	s_cmp_eq_u32 s0, s17
	s_cselect_b32 s0, s19, s1
	s_add_u32 s1, s11, 1
	s_addc_u32 s19, s8, 0
	s_add_u32 s20, s11, 2
	s_addc_u32 s21, s8, 0
	s_cmp_lg_u32 s0, 0
	s_cselect_b32 s0, s20, s1
	s_cselect_b32 s1, s21, s19
	s_cmp_lg_u64 vcc, 0
	s_subb_u32 s9, s15, s9
	s_cmp_ge_u32 s9, s17
	v_readfirstlane_b32 s20, v1
	s_cselect_b32 s19, -1, 0
	s_cmp_ge_u32 s20, s16
	s_cselect_b32 s20, -1, 0
	s_cmp_eq_u32 s9, s17
	s_cselect_b32 s9, s20, s19
	s_cmp_lg_u32 s9, 0
	s_cselect_b32 s9, s1, s8
	s_cselect_b32 s8, s0, s11
	s_cbranch_execnz .LBB155_6
.LBB155_5:                              ;   in Loop: Header=BB155_3 Depth=1
	v_cvt_f32_u32_e32 v1, s16
	s_sub_i32 s0, 0, s16
	v_rcp_iflag_f32_e32 v1, v1
	v_mul_f32_e32 v1, 0x4f7ffffe, v1
	v_cvt_u32_f32_e32 v1, v1
	v_readfirstlane_b32 s1, v1
	s_mul_i32 s0, s0, s1
	s_mul_hi_u32 s0, s1, s0
	s_add_i32 s1, s1, s0
	s_mul_hi_u32 s0, s14, s1
	s_mul_i32 s8, s0, s16
	s_sub_i32 s8, s14, s8
	s_add_i32 s1, s0, 1
	s_sub_i32 s9, s8, s16
	s_cmp_ge_u32 s8, s16
	s_cselect_b32 s0, s1, s0
	s_cselect_b32 s8, s9, s8
	s_add_i32 s1, s0, 1
	s_cmp_ge_u32 s8, s16
	s_cselect_b32 s8, s1, s0
	s_mov_b32 s9, s10
.LBB155_6:                              ;   in Loop: Header=BB155_3 Depth=1
	s_mul_i32 s0, s8, s17
	s_mul_hi_u32 s1, s8, s16
	s_add_i32 s11, s1, s0
	s_load_dwordx2 s[0:1], s[12:13], 0xc8
	s_mul_i32 s17, s9, s16
	s_add_i32 s11, s11, s17
	s_mul_i32 s16, s8, s16
	s_sub_u32 s14, s14, s16
	s_subb_u32 s11, s15, s11
	s_waitcnt lgkmcnt(0)
	s_mul_i32 s11, s0, s11
	s_mul_hi_u32 s15, s0, s14
	s_add_i32 s11, s15, s11
	s_mul_i32 s1, s1, s14
	s_add_i32 s11, s11, s1
	s_mul_i32 s0, s0, s14
	s_add_u32 s2, s0, s2
	s_addc_u32 s3, s11, s3
	s_add_i32 s18, s18, -1
	s_add_u32 s12, s12, -8
	s_addc_u32 s13, s13, -1
	s_cmp_gt_u32 s18, 2
	s_cbranch_scc0 .LBB155_9
; %bb.7:                                ;   in Loop: Header=BB155_3 Depth=1
	s_mov_b64 s[14:15], s[8:9]
	s_branch .LBB155_3
.LBB155_8:                              ;   in Loop: Header=BB155_3 Depth=1
                                        ; implicit-def: $sgpr8_sgpr9
	s_branch .LBB155_5
.LBB155_9:
	s_load_dword s0, s[4:5], 0x350
	s_load_dwordx2 s[10:11], s[4:5], 0xd0
	s_mov_b64 s[24:25], 0
	s_waitcnt lgkmcnt(0)
	s_cmp_lt_i32 s0, 2
	s_cbranch_scc1 .LBB155_17
; %bb.10:
	s_mov_b32 s12, 0
	s_add_i32 s18, s0, 1
	s_add_i32 s0, s0, -1
	s_mov_b32 s1, s12
	s_lshl_b64 s[0:1], s[0:1], 3
	s_add_u32 s0, s0, s4
	s_addc_u32 s1, s1, s5
	s_add_u32 s14, s0, 0x1c0
	s_addc_u32 s15, s1, 0
.LBB155_11:                             ; =>This Inner Loop Header: Depth=1
	s_load_dwordx2 s[16:17], s[14:15], 0x0
	s_waitcnt lgkmcnt(0)
	s_or_b64 s[0:1], s[6:7], s[16:17]
	s_mov_b32 s13, s1
	s_cmp_lg_u64 s[12:13], 0
	s_cbranch_scc0 .LBB155_16
; %bb.12:                               ;   in Loop: Header=BB155_11 Depth=1
	v_cvt_f32_u32_e32 v1, s16
	v_cvt_f32_u32_e32 v2, s17
	s_sub_u32 s0, 0, s16
	s_subb_u32 s1, 0, s17
	v_mac_f32_e32 v1, 0x4f800000, v2
	v_rcp_f32_e32 v1, v1
	v_mul_f32_e32 v1, 0x5f7ffffc, v1
	v_mul_f32_e32 v2, 0x2f800000, v1
	v_trunc_f32_e32 v2, v2
	v_mac_f32_e32 v1, 0xcf800000, v2
	v_cvt_u32_f32_e32 v2, v2
	v_cvt_u32_f32_e32 v1, v1
	v_readfirstlane_b32 s13, v2
	v_readfirstlane_b32 s19, v1
	s_mul_i32 s20, s0, s13
	s_mul_hi_u32 s22, s0, s19
	s_mul_i32 s21, s1, s19
	s_add_i32 s20, s22, s20
	s_mul_i32 s23, s0, s19
	s_add_i32 s20, s20, s21
	s_mul_hi_u32 s21, s19, s20
	s_mul_i32 s22, s19, s20
	s_mul_hi_u32 s19, s19, s23
	s_add_u32 s19, s19, s22
	s_addc_u32 s21, 0, s21
	s_mul_hi_u32 s27, s13, s23
	s_mul_i32 s23, s13, s23
	s_add_u32 s19, s19, s23
	s_mul_hi_u32 s22, s13, s20
	s_addc_u32 s19, s21, s27
	s_addc_u32 s21, s22, 0
	s_mul_i32 s20, s13, s20
	s_add_u32 s19, s19, s20
	s_addc_u32 s20, 0, s21
	v_add_co_u32_e32 v1, vcc, s19, v1
	s_cmp_lg_u64 vcc, 0
	s_addc_u32 s13, s13, s20
	v_readfirstlane_b32 s20, v1
	s_mul_i32 s19, s0, s13
	s_mul_hi_u32 s21, s0, s20
	s_add_i32 s19, s21, s19
	s_mul_i32 s1, s1, s20
	s_add_i32 s19, s19, s1
	s_mul_i32 s0, s0, s20
	s_mul_hi_u32 s21, s13, s0
	s_mul_i32 s22, s13, s0
	s_mul_i32 s27, s20, s19
	s_mul_hi_u32 s0, s20, s0
	s_mul_hi_u32 s23, s20, s19
	s_add_u32 s0, s0, s27
	s_addc_u32 s20, 0, s23
	s_add_u32 s0, s0, s22
	s_mul_hi_u32 s1, s13, s19
	s_addc_u32 s0, s20, s21
	s_addc_u32 s1, s1, 0
	s_mul_i32 s19, s13, s19
	s_add_u32 s0, s0, s19
	s_addc_u32 s1, 0, s1
	v_add_co_u32_e32 v1, vcc, s0, v1
	s_cmp_lg_u64 vcc, 0
	s_addc_u32 s0, s13, s1
	v_readfirstlane_b32 s19, v1
	s_mul_i32 s13, s6, s0
	s_mul_hi_u32 s20, s6, s19
	s_mul_hi_u32 s1, s6, s0
	s_add_u32 s13, s20, s13
	s_addc_u32 s1, 0, s1
	s_mul_hi_u32 s21, s7, s19
	s_mul_i32 s19, s7, s19
	s_add_u32 s13, s13, s19
	s_mul_hi_u32 s20, s7, s0
	s_addc_u32 s1, s1, s21
	s_addc_u32 s13, s20, 0
	s_mul_i32 s0, s7, s0
	s_add_u32 s19, s1, s0
	s_addc_u32 s13, 0, s13
	s_mul_i32 s0, s16, s13
	s_mul_hi_u32 s1, s16, s19
	s_add_i32 s0, s1, s0
	s_mul_i32 s1, s17, s19
	s_add_i32 s20, s0, s1
	s_mul_i32 s1, s16, s19
	v_mov_b32_e32 v1, s1
	s_sub_i32 s0, s7, s20
	v_sub_co_u32_e32 v1, vcc, s6, v1
	s_cmp_lg_u64 vcc, 0
	s_subb_u32 s21, s0, s17
	v_subrev_co_u32_e64 v2, s[0:1], s16, v1
	s_cmp_lg_u64 s[0:1], 0
	s_subb_u32 s0, s21, 0
	s_cmp_ge_u32 s0, s17
	v_readfirstlane_b32 s21, v2
	s_cselect_b32 s1, -1, 0
	s_cmp_ge_u32 s21, s16
	s_cselect_b32 s21, -1, 0
	s_cmp_eq_u32 s0, s17
	s_cselect_b32 s0, s21, s1
	s_add_u32 s1, s19, 1
	s_addc_u32 s21, s13, 0
	s_add_u32 s22, s19, 2
	s_addc_u32 s23, s13, 0
	s_cmp_lg_u32 s0, 0
	s_cselect_b32 s0, s22, s1
	s_cselect_b32 s1, s23, s21
	s_cmp_lg_u64 vcc, 0
	s_subb_u32 s20, s7, s20
	s_cmp_ge_u32 s20, s17
	v_readfirstlane_b32 s22, v1
	s_cselect_b32 s21, -1, 0
	s_cmp_ge_u32 s22, s16
	s_cselect_b32 s22, -1, 0
	s_cmp_eq_u32 s20, s17
	s_cselect_b32 s20, s22, s21
	s_cmp_lg_u32 s20, 0
	s_cselect_b32 s29, s1, s13
	s_cselect_b32 s28, s0, s19
	s_cbranch_execnz .LBB155_14
.LBB155_13:                             ;   in Loop: Header=BB155_11 Depth=1
	v_cvt_f32_u32_e32 v1, s16
	s_sub_i32 s0, 0, s16
	s_mov_b32 s29, s12
	v_rcp_iflag_f32_e32 v1, v1
	v_mul_f32_e32 v1, 0x4f7ffffe, v1
	v_cvt_u32_f32_e32 v1, v1
	v_readfirstlane_b32 s1, v1
	s_mul_i32 s0, s0, s1
	s_mul_hi_u32 s0, s1, s0
	s_add_i32 s1, s1, s0
	s_mul_hi_u32 s0, s6, s1
	s_mul_i32 s13, s0, s16
	s_sub_i32 s13, s6, s13
	s_add_i32 s1, s0, 1
	s_sub_i32 s19, s13, s16
	s_cmp_ge_u32 s13, s16
	s_cselect_b32 s0, s1, s0
	s_cselect_b32 s13, s19, s13
	s_add_i32 s1, s0, 1
	s_cmp_ge_u32 s13, s16
	s_cselect_b32 s28, s1, s0
.LBB155_14:                             ;   in Loop: Header=BB155_11 Depth=1
	s_mul_i32 s0, s28, s17
	s_mul_hi_u32 s1, s28, s16
	s_add_i32 s13, s1, s0
	s_load_dwordx2 s[0:1], s[14:15], 0xc8
	s_mul_i32 s17, s29, s16
	s_add_i32 s13, s13, s17
	s_mul_i32 s16, s28, s16
	s_sub_u32 s6, s6, s16
	s_subb_u32 s7, s7, s13
	s_waitcnt lgkmcnt(0)
	s_mul_i32 s7, s0, s7
	s_mul_hi_u32 s13, s0, s6
	s_add_i32 s7, s13, s7
	s_mul_i32 s1, s1, s6
	s_add_i32 s7, s7, s1
	s_mul_i32 s0, s0, s6
	s_add_u32 s24, s0, s24
	s_addc_u32 s25, s7, s25
	s_add_i32 s18, s18, -1
	s_add_u32 s14, s14, -8
	s_addc_u32 s15, s15, -1
	s_cmp_gt_u32 s18, 2
	s_cbranch_scc0 .LBB155_18
; %bb.15:                               ;   in Loop: Header=BB155_11 Depth=1
	s_mov_b64 s[6:7], s[28:29]
	s_branch .LBB155_11
.LBB155_16:                             ;   in Loop: Header=BB155_11 Depth=1
                                        ; implicit-def: $sgpr28_sgpr29
	s_branch .LBB155_13
.LBB155_17:
	s_mov_b64 s[28:29], s[6:7]
.LBB155_18:
	s_mul_i32 s0, s10, s9
	s_load_dword s9, s[4:5], 0x360
	s_load_dwordx2 s[6:7], s[4:5], 0x0
	s_mul_hi_u32 s1, s10, s8
	s_add_i32 s0, s1, s0
	s_mul_i32 s1, s11, s8
	s_add_i32 s1, s0, s1
	s_waitcnt lgkmcnt(0)
	s_bitcmp1_b32 s9, 0
	s_cselect_b64 s[34:35], -1, 0
	s_mul_i32 s0, s10, s8
	s_and_b64 s[8:9], s[34:35], exec
	s_brev_b32 s9, 1
	s_cselect_b32 s8, 0, -1
	s_cselect_b32 s9, s9, 0x7fffffff
	s_lshl_b64 s[0:1], s[0:1], 3
	s_add_u32 s6, s6, s0
	s_addc_u32 s7, s7, s1
	s_lshl_b64 s[0:1], s[2:3], 3
	s_add_u32 s33, s6, s0
	v_and_b32_e32 v66, 0x3ff, v0
	s_mov_b32 s10, s8
	s_mov_b32 s11, s9
	;; [unrolled: 1-line block ×14, first 2 shown]
	v_pk_mov_b32 v[2:3], s[8:9], s[8:9] op_sel:[0,1]
	s_addc_u32 s56, s7, s1
	v_cmp_gt_u32_e64 s[0:1], s26, v66
	v_pk_mov_b32 v[4:5], s[10:11], s[10:11] op_sel:[0,1]
	v_pk_mov_b32 v[6:7], s[12:13], s[12:13] op_sel:[0,1]
	;; [unrolled: 1-line block ×8, first 2 shown]
	s_and_saveexec_b64 s[2:3], s[0:1]
	s_cbranch_execz .LBB155_20
; %bb.19:
	v_mad_u64_u32 v[2:3], s[6:7], v66, s48, 0
	v_mov_b32_e32 v4, v3
	v_mad_u64_u32 v[4:5], s[6:7], v66, s49, v[4:5]
	v_mov_b32_e32 v3, v4
	v_lshlrev_b64 v[2:3], 3, v[2:3]
	v_mov_b32_e32 v1, s56
	v_add_co_u32_e32 v2, vcc, s33, v2
	v_addc_co_u32_e32 v3, vcc, v1, v3, vcc
	global_load_dwordx2 v[18:19], v[2:3], off
	v_pk_mov_b32 v[2:3], s[8:9], s[8:9] op_sel:[0,1]
	v_pk_mov_b32 v[4:5], s[10:11], s[10:11] op_sel:[0,1]
	;; [unrolled: 1-line block ×8, first 2 shown]
.LBB155_20:
	s_or_b64 exec, exec, s[2:3]
	v_add_u32_e32 v1, 0x200, v66
	v_cmp_gt_u32_e64 s[2:3], s26, v1
	s_and_saveexec_b64 s[6:7], s[2:3]
	s_cbranch_execz .LBB155_22
; %bb.21:
	v_mad_u64_u32 v[2:3], s[8:9], v1, s48, 0
	v_mov_b32_e32 v4, v3
	v_mad_u64_u32 v[4:5], s[8:9], v1, s49, v[4:5]
	v_mov_b32_e32 v3, v4
	v_lshlrev_b64 v[2:3], 3, v[2:3]
	v_mov_b32_e32 v4, s56
	v_add_co_u32_e32 v2, vcc, s33, v2
	v_addc_co_u32_e32 v3, vcc, v4, v3, vcc
	global_load_dwordx2 v[4:5], v[2:3], off
.LBB155_22:
	s_or_b64 exec, exec, s[6:7]
	v_or_b32_e32 v34, 0x400, v66
	v_cmp_gt_u32_e64 s[46:47], s26, v34
	s_and_saveexec_b64 s[6:7], s[46:47]
	s_cbranch_execz .LBB155_24
; %bb.23:
	v_mad_u64_u32 v[2:3], s[8:9], v34, s48, 0
	v_mov_b32_e32 v6, v3
	v_mad_u64_u32 v[6:7], s[8:9], v34, s49, v[6:7]
	v_mov_b32_e32 v3, v6
	v_lshlrev_b64 v[2:3], 3, v[2:3]
	v_mov_b32_e32 v6, s56
	v_add_co_u32_e32 v2, vcc, s33, v2
	v_addc_co_u32_e32 v3, vcc, v6, v3, vcc
	global_load_dwordx2 v[6:7], v[2:3], off
.LBB155_24:
	s_or_b64 exec, exec, s[6:7]
	v_add_u32_e32 v35, 0x600, v66
	v_cmp_gt_u32_e64 s[6:7], s26, v35
	s_and_saveexec_b64 s[8:9], s[6:7]
	s_cbranch_execz .LBB155_26
; %bb.25:
	v_mad_u64_u32 v[2:3], s[10:11], v35, s48, 0
	v_mov_b32_e32 v8, v3
	v_mad_u64_u32 v[8:9], s[10:11], v35, s49, v[8:9]
	v_mov_b32_e32 v3, v8
	v_lshlrev_b64 v[2:3], 3, v[2:3]
	v_mov_b32_e32 v8, s56
	v_add_co_u32_e32 v2, vcc, s33, v2
	v_addc_co_u32_e32 v3, vcc, v8, v3, vcc
	global_load_dwordx2 v[8:9], v[2:3], off
.LBB155_26:
	s_or_b64 exec, exec, s[8:9]
	v_or_b32_e32 v36, 0x800, v66
	v_cmp_gt_u32_e64 s[8:9], s26, v36
	s_and_saveexec_b64 s[10:11], s[8:9]
	s_cbranch_execz .LBB155_28
; %bb.27:
	v_mad_u64_u32 v[2:3], s[12:13], v36, s48, 0
	v_mov_b32_e32 v10, v3
	v_mad_u64_u32 v[10:11], s[12:13], v36, s49, v[10:11]
	v_mov_b32_e32 v3, v10
	v_lshlrev_b64 v[2:3], 3, v[2:3]
	v_mov_b32_e32 v10, s56
	v_add_co_u32_e32 v2, vcc, s33, v2
	v_addc_co_u32_e32 v3, vcc, v10, v3, vcc
	global_load_dwordx2 v[10:11], v[2:3], off
.LBB155_28:
	s_or_b64 exec, exec, s[10:11]
	v_add_u32_e32 v37, 0xa00, v66
	v_cmp_gt_u32_e64 s[10:11], s26, v37
	s_and_saveexec_b64 s[12:13], s[10:11]
	s_cbranch_execz .LBB155_30
; %bb.29:
	v_mad_u64_u32 v[2:3], s[14:15], v37, s48, 0
	v_mov_b32_e32 v12, v3
	v_mad_u64_u32 v[12:13], s[14:15], v37, s49, v[12:13]
	v_mov_b32_e32 v3, v12
	v_lshlrev_b64 v[2:3], 3, v[2:3]
	v_mov_b32_e32 v12, s56
	v_add_co_u32_e32 v2, vcc, s33, v2
	v_addc_co_u32_e32 v3, vcc, v12, v3, vcc
	global_load_dwordx2 v[12:13], v[2:3], off
.LBB155_30:
	s_or_b64 exec, exec, s[12:13]
	s_load_dwordx2 s[18:19], s[4:5], 0x288
	s_load_dwordx2 s[16:17], s[4:5], 0x1b8
	v_or_b32_e32 v38, 0xc00, v66
	v_cmp_gt_u32_e64 s[12:13], s26, v38
	s_and_saveexec_b64 s[14:15], s[12:13]
	s_cbranch_execz .LBB155_32
; %bb.31:
	v_mad_u64_u32 v[2:3], s[20:21], v38, s48, 0
	v_mov_b32_e32 v14, v3
	v_mad_u64_u32 v[14:15], s[20:21], v38, s49, v[14:15]
	v_mov_b32_e32 v3, v14
	v_lshlrev_b64 v[2:3], 3, v[2:3]
	v_mov_b32_e32 v14, s56
	v_add_co_u32_e32 v2, vcc, s33, v2
	v_addc_co_u32_e32 v3, vcc, v14, v3, vcc
	global_load_dwordx2 v[14:15], v[2:3], off
.LBB155_32:
	s_or_b64 exec, exec, s[14:15]
	v_add_u32_e32 v39, 0xe00, v66
	v_cmp_gt_u32_e64 s[14:15], s26, v39
	s_and_saveexec_b64 s[20:21], s[14:15]
	s_cbranch_execz .LBB155_34
; %bb.33:
	v_mad_u64_u32 v[2:3], s[22:23], v39, s48, 0
	v_mov_b32_e32 v16, v3
	v_mad_u64_u32 v[16:17], s[22:23], v39, s49, v[16:17]
	v_mov_b32_e32 v3, v16
	v_lshlrev_b64 v[2:3], 3, v[2:3]
	v_mov_b32_e32 v16, s56
	v_add_co_u32_e32 v2, vcc, s33, v2
	v_addc_co_u32_e32 v3, vcc, v16, v3, vcc
	global_load_dwordx2 v[16:17], v[2:3], off
.LBB155_34:
	s_or_b64 exec, exec, s[20:21]
	v_lshrrev_b32_e32 v2, 5, v66
	v_add_lshl_u32 v67, v2, v66, 3
	v_lshrrev_b32_e32 v2, 5, v1
	v_add_lshl_u32 v100, v2, v66, 3
	;; [unrolled: 2-line block ×6, first 2 shown]
	v_lshrrev_b32_e32 v2, 5, v38
	s_waitcnt lgkmcnt(0)
	s_mul_i32 s20, s18, s29
	s_mul_hi_u32 s21, s18, s28
	v_add_lshl_u32 v105, v2, v66, 3
	v_lshrrev_b32_e32 v2, 5, v39
	s_add_i32 s20, s21, s20
	s_mul_i32 s19, s19, s28
	v_add_lshl_u32 v106, v2, v66, 3
	v_lshlrev_b32_e32 v108, 3, v66
	v_lshrrev_b32_e32 v2, 2, v66
	s_add_i32 s19, s20, s19
	s_mul_i32 s18, s18, s28
	v_add_lshl_u32 v107, v2, v108, 3
	s_lshl_b64 s[18:19], s[18:19], 3
	s_waitcnt vmcnt(0)
	ds_write_b64 v67, v[18:19]
	ds_write_b64 v100, v[4:5] offset:4096
	ds_write_b64 v101, v[6:7] offset:8192
	;; [unrolled: 1-line block ×7, first 2 shown]
	s_waitcnt lgkmcnt(0)
	s_barrier
	ds_read2_b64 v[30:33], v107 offset1:1
	ds_read2_b64 v[26:29], v107 offset0:2 offset1:3
	ds_read2_b64 v[22:25], v107 offset0:4 offset1:5
	;; [unrolled: 1-line block ×3, first 2 shown]
	s_add_u32 s18, s16, s18
	s_addc_u32 s19, s17, s19
	s_lshl_b64 s[16:17], s[24:25], 3
	s_load_dwordx2 s[50:51], s[4:5], 0x358
	s_add_u32 s57, s18, s16
	s_mov_b32 s16, 0
	s_addc_u32 s58, s19, s17
	s_mov_b32 s17, s16
	s_mov_b32 s18, s16
	;; [unrolled: 1-line block ×15, first 2 shown]
	v_pk_mov_b32 v[2:3], s[16:17], s[16:17] op_sel:[0,1]
	v_pk_mov_b32 v[4:5], s[18:19], s[18:19] op_sel:[0,1]
	;; [unrolled: 1-line block ×8, first 2 shown]
	v_pk_mov_b32 v[2:3], 0, 0
	s_waitcnt lgkmcnt(0)
	s_barrier
	s_and_saveexec_b64 s[4:5], s[0:1]
	s_cbranch_execnz .LBB155_71
; %bb.35:
	s_or_b64 exec, exec, s[4:5]
	s_and_saveexec_b64 s[4:5], s[2:3]
	s_cbranch_execnz .LBB155_72
.LBB155_36:
	s_or_b64 exec, exec, s[4:5]
	s_and_saveexec_b64 s[4:5], s[46:47]
	s_cbranch_execnz .LBB155_73
.LBB155_37:
	s_or_b64 exec, exec, s[4:5]
	s_and_saveexec_b64 s[4:5], s[6:7]
	s_cbranch_execnz .LBB155_74
.LBB155_38:
	s_or_b64 exec, exec, s[4:5]
	s_and_saveexec_b64 s[4:5], s[8:9]
	s_cbranch_execnz .LBB155_75
.LBB155_39:
	s_or_b64 exec, exec, s[4:5]
	s_and_saveexec_b64 s[4:5], s[10:11]
	s_cbranch_execnz .LBB155_76
.LBB155_40:
	s_or_b64 exec, exec, s[4:5]
	s_and_saveexec_b64 s[4:5], s[12:13]
	s_cbranch_execnz .LBB155_77
.LBB155_41:
	s_or_b64 exec, exec, s[4:5]
	s_xor_b64 s[4:5], s[34:35], -1
	s_and_saveexec_b64 s[16:17], s[14:15]
	s_cbranch_execz .LBB155_43
.LBB155_42:
	v_mad_u64_u32 v[16:17], s[18:19], v39, s50, 0
	v_mov_b32_e32 v34, v17
	v_mad_u64_u32 v[34:35], s[18:19], v39, s51, v[34:35]
	v_mov_b32_e32 v17, v34
	v_lshlrev_b64 v[16:17], 3, v[16:17]
	v_mov_b32_e32 v1, s58
	v_add_co_u32_e32 v16, vcc, s57, v16
	v_addc_co_u32_e32 v17, vcc, v1, v17, vcc
	global_load_dwordx2 v[16:17], v[16:17], off
.LBB155_43:
	s_or_b64 exec, exec, s[16:17]
	s_waitcnt vmcnt(0)
	ds_write_b64 v67, v[2:3]
	ds_write_b64 v100, v[4:5] offset:4096
	ds_write_b64 v101, v[6:7] offset:8192
	;; [unrolled: 1-line block ×7, first 2 shown]
	s_waitcnt lgkmcnt(0)
	s_barrier
	ds_read2_b64 v[14:17], v107 offset1:1
	ds_read2_b64 v[10:13], v107 offset0:2 offset1:3
	ds_read2_b64 v[6:9], v107 offset0:4 offset1:5
	;; [unrolled: 1-line block ×3, first 2 shown]
	v_mbcnt_lo_u32_b32 v1, -1, 0
	v_mbcnt_hi_u32_b32 v111, -1, v1
	v_and_b32_e32 v1, 0x1e00, v108
	v_and_b32_e32 v112, 0x3c0, v66
	v_or_b32_e32 v34, v111, v1
	v_add_lshl_u32 v123, v111, v112, 6
	v_lshlrev_b32_e32 v122, 3, v34
	s_and_b64 vcc, exec, s[4:5]
	v_bfe_u32 v120, v0, 10, 10
	v_bfe_u32 v121, v0, 20, 10
	v_lshlrev_b32_e32 v109, 2, v66
	v_lshlrev_b32_e32 v110, 4, v66
	v_and_b32_e32 v118, 15, v111
	v_and_b32_e32 v119, 16, v111
	v_cmp_lt_u32_e64 s[16:17], 31, v111
	v_cmp_gt_u32_e64 s[18:19], 8, v66
	v_cmp_lt_u32_e64 s[20:21], 63, v66
	v_add_u32_e32 v115, -1, v111
	v_and_b32_e32 v117, 64, v111
	v_cmp_eq_u32_e64 s[22:23], 0, v111
	v_cmp_eq_u32_e64 s[24:25], 0, v66
	v_lshrrev_b32_e32 v116, 4, v66
	v_and_b32_e32 v114, 7, v111
	v_and_or_b32 v113, v111, 63, v1
	s_waitcnt lgkmcnt(0)
	s_barrier
	s_cbranch_vccz .LBB155_78
; %bb.44:
	v_xor_b32_e32 v1, 0x80000000, v31
	v_xor_b32_e32 v35, 0x80000000, v33
	;; [unrolled: 1-line block ×8, first 2 shown]
	v_mov_b32_e32 v0, v30
	v_mov_b32_e32 v34, v32
	;; [unrolled: 1-line block ×8, first 2 shown]
	ds_write2_b64 v123, v[0:1], v[34:35] offset1:1
	ds_write2_b64 v123, v[36:37], v[38:39] offset0:2 offset1:3
	ds_write2_b64 v123, v[40:41], v[42:43] offset0:4 offset1:5
	;; [unrolled: 1-line block ×3, first 2 shown]
	; wave barrier
	ds_read2st64_b64 v[34:37], v122 offset1:1
	ds_read2st64_b64 v[38:41], v122 offset0:2 offset1:3
	ds_read2st64_b64 v[42:45], v122 offset0:4 offset1:5
	;; [unrolled: 1-line block ×3, first 2 shown]
	; wave barrier
	ds_write2_b64 v123, v[14:15], v[16:17] offset1:1
	ds_write2_b64 v123, v[10:11], v[12:13] offset0:2 offset1:3
	ds_write2_b64 v123, v[6:7], v[8:9] offset0:4 offset1:5
	;; [unrolled: 1-line block ×3, first 2 shown]
	; wave barrier
	ds_read2st64_b64 v[50:53], v122 offset1:1
	ds_read2st64_b64 v[54:57], v122 offset0:2 offset1:3
	ds_read2st64_b64 v[58:61], v122 offset0:4 offset1:5
	;; [unrolled: 1-line block ×3, first 2 shown]
	s_waitcnt lgkmcnt(0)
	s_barrier
	s_load_dword s26, s[52:53], 0xc
	s_getpc_b64 s[4:5]
	s_add_u32 s4, s4, _ZN7rocprim17ROCPRIM_400000_NS16block_radix_sortIlLj512ELj8ElLj1ELj1ELj0ELNS0_26block_radix_rank_algorithmE1ELNS0_18block_padding_hintE2ELNS0_4arch9wavefront6targetE1EE19radix_bits_per_passE@rel32@lo+4
	s_addc_u32 s5, s5, _ZN7rocprim17ROCPRIM_400000_NS16block_radix_sortIlLj512ELj8ElLj1ELj1ELj0ELNS0_26block_radix_rank_algorithmE1ELNS0_18block_padding_hintE2ELNS0_4arch9wavefront6targetE1EE19radix_bits_per_passE@rel32@hi+12
	s_load_dword s59, s[4:5], 0x0
	v_cmp_lt_i32_e32 vcc, v115, v117
	v_and_b32_e32 v127, 60, v116
	s_waitcnt lgkmcnt(0)
	s_lshr_b32 s4, s26, 16
	s_and_b32 s5, s26, 0xffff
	v_mad_u32_u24 v0, v121, s4, v120
	v_mad_u64_u32 v[0:1], s[4:5], v0, s5, v[66:67]
	v_lshrrev_b32_e32 v125, 6, v0
	v_min_u32_e32 v0, 0x1c0, v112
	v_or_b32_e32 v0, 63, v0
	v_cmp_eq_u32_e64 s[38:39], v0, v66
	v_cndmask_b32_e32 v0, v115, v111, vcc
	v_add_u32_e32 v124, 32, v110
	v_cmp_eq_u32_e64 s[26:27], 0, v118
	v_cmp_lt_u32_e64 s[28:29], 1, v118
	v_cmp_lt_u32_e64 s[30:31], 3, v118
	;; [unrolled: 1-line block ×3, first 2 shown]
	v_cmp_eq_u32_e64 s[36:37], 0, v119
	s_mov_b32 s60, 64
	v_lshlrev_b32_e32 v126, 2, v0
	v_cmp_eq_u32_e64 s[40:41], 0, v114
	v_cmp_lt_u32_e64 s[42:43], 1, v114
	v_cmp_lt_u32_e64 s[44:45], 3, v114
	v_add_u32_e32 v128, -4, v127
	v_lshlrev_b32_e32 v129, 3, v113
	s_mov_b64 s[54:55], 0
	v_mov_b32_e32 v82, 0
	s_branch .LBB155_46
.LBB155_45:                             ;   in Loop: Header=BB155_46 Depth=1
	v_lshlrev_b32_e32 v50, 3, v136
	v_lshlrev_b32_e32 v51, 3, v135
	;; [unrolled: 1-line block ×8, first 2 shown]
	s_barrier
	ds_write_b64 v50, v[98:99]
	ds_write_b64 v51, v[96:97]
	;; [unrolled: 1-line block ×8, first 2 shown]
	s_waitcnt lgkmcnt(0)
	s_barrier
	ds_read2st64_b64 v[34:37], v129 offset1:1
	ds_read2st64_b64 v[38:41], v129 offset0:2 offset1:3
	ds_read2st64_b64 v[42:45], v129 offset0:4 offset1:5
	;; [unrolled: 1-line block ×3, first 2 shown]
	s_waitcnt lgkmcnt(0)
	s_barrier
	ds_write_b64 v50, v[80:81]
	ds_write_b64 v51, v[78:79]
	;; [unrolled: 1-line block ×8, first 2 shown]
	s_waitcnt lgkmcnt(0)
	s_barrier
	ds_read2st64_b64 v[50:53], v129 offset1:1
	ds_read2st64_b64 v[54:57], v129 offset0:2 offset1:3
	ds_read2st64_b64 v[58:61], v129 offset0:4 offset1:5
	;; [unrolled: 1-line block ×3, first 2 shown]
	s_add_u32 s54, s54, 8
	s_addc_u32 s55, s55, 0
	s_add_i32 s60, s60, -8
	s_waitcnt lgkmcnt(0)
	s_barrier
	s_cbranch_execz .LBB155_70
.LBB155_46:                             ; =>This Inner Loop Header: Depth=1
	s_min_u32 s4, s59, s60
	v_pk_mov_b32 v[98:99], v[34:35], v[34:35] op_sel:[0,1]
	s_lshl_b32 s4, -1, s4
	s_not_b32 s61, s4
	v_lshrrev_b64 v[34:35], s54, v[98:99]
	v_and_b32_e32 v34, s61, v34
	v_lshl_add_u32 v35, v34, 3, v125
	v_pk_mov_b32 v[94:95], v[38:39], v[38:39] op_sel:[0,1]
	v_lshl_add_u32 v38, v35, 2, 32
	v_and_b32_e32 v35, 1, v34
	v_pk_mov_b32 v[96:97], v[36:37], v[36:37] op_sel:[0,1]
	v_add_co_u32_e32 v36, vcc, -1, v35
	v_addc_co_u32_e64 v37, s[4:5], 0, -1, vcc
	v_cmp_ne_u32_e32 vcc, 0, v35
	v_lshlrev_b32_e32 v83, 30, v34
	v_xor_b32_e32 v35, vcc_hi, v37
	v_not_b32_e32 v37, v83
	v_xor_b32_e32 v36, vcc_lo, v36
	v_cmp_gt_i64_e32 vcc, 0, v[82:83]
	v_ashrrev_i32_e32 v37, 31, v37
	v_and_b32_e32 v36, exec_lo, v36
	v_xor_b32_e32 v39, vcc_hi, v37
	v_xor_b32_e32 v37, vcc_lo, v37
	v_lshlrev_b32_e32 v83, 29, v34
	v_and_b32_e32 v36, v36, v37
	v_not_b32_e32 v37, v83
	v_and_b32_e32 v35, exec_hi, v35
	v_cmp_gt_i64_e32 vcc, 0, v[82:83]
	v_ashrrev_i32_e32 v37, 31, v37
	v_and_b32_e32 v35, v35, v39
	v_xor_b32_e32 v39, vcc_hi, v37
	v_xor_b32_e32 v37, vcc_lo, v37
	v_lshlrev_b32_e32 v83, 28, v34
	v_and_b32_e32 v36, v36, v37
	v_not_b32_e32 v37, v83
	v_cmp_gt_i64_e32 vcc, 0, v[82:83]
	v_ashrrev_i32_e32 v37, 31, v37
	v_and_b32_e32 v35, v35, v39
	v_xor_b32_e32 v39, vcc_hi, v37
	v_xor_b32_e32 v37, vcc_lo, v37
	v_lshlrev_b32_e32 v83, 27, v34
	v_and_b32_e32 v36, v36, v37
	v_not_b32_e32 v37, v83
	;; [unrolled: 8-line block ×3, first 2 shown]
	v_cmp_gt_i64_e32 vcc, 0, v[82:83]
	v_ashrrev_i32_e32 v37, 31, v37
	v_and_b32_e32 v35, v35, v39
	v_xor_b32_e32 v39, vcc_hi, v37
	v_xor_b32_e32 v37, vcc_lo, v37
	v_lshlrev_b32_e32 v83, 25, v34
	v_and_b32_e32 v36, v36, v37
	v_cmp_gt_i64_e32 vcc, 0, v[82:83]
	v_not_b32_e32 v37, v83
	v_lshlrev_b32_e32 v83, 24, v34
	v_ashrrev_i32_e32 v37, 31, v37
	v_not_b32_e32 v34, v83
	v_and_b32_e32 v35, v35, v39
	v_xor_b32_e32 v39, vcc_hi, v37
	v_xor_b32_e32 v37, vcc_lo, v37
	v_cmp_gt_i64_e32 vcc, 0, v[82:83]
	v_ashrrev_i32_e32 v34, 31, v34
	v_and_b32_e32 v36, v36, v37
	v_xor_b32_e32 v37, vcc_hi, v34
	v_xor_b32_e32 v34, vcc_lo, v34
	v_and_b32_e32 v35, v35, v39
	v_and_b32_e32 v34, v36, v34
	;; [unrolled: 1-line block ×3, first 2 shown]
	v_mbcnt_lo_u32_b32 v36, v34, 0
	v_mbcnt_hi_u32_b32 v39, v35, v36
	v_cmp_eq_u32_e32 vcc, 0, v39
	v_cmp_ne_u64_e64 s[4:5], 0, v[34:35]
	v_pk_mov_b32 v[84:85], v[48:49], v[48:49] op_sel:[0,1]
	v_pk_mov_b32 v[86:87], v[46:47], v[46:47] op_sel:[0,1]
	;; [unrolled: 1-line block ×13, first 2 shown]
	s_and_b64 s[62:63], s[4:5], vcc
	ds_write2_b32 v110, v82, v82 offset0:8 offset1:9
	ds_write2_b32 v124, v82, v82 offset0:2 offset1:3
	s_waitcnt lgkmcnt(0)
	s_barrier
	s_waitcnt lgkmcnt(0)
	; wave barrier
	s_and_saveexec_b64 s[4:5], s[62:63]
	s_cbranch_execz .LBB155_48
; %bb.47:                               ;   in Loop: Header=BB155_46 Depth=1
	v_bcnt_u32_b32 v34, v34, 0
	v_bcnt_u32_b32 v34, v35, v34
	ds_write_b32 v38, v34
.LBB155_48:                             ;   in Loop: Header=BB155_46 Depth=1
	s_or_b64 exec, exec, s[4:5]
	v_lshrrev_b64 v[34:35], s54, v[96:97]
	v_and_b32_e32 v34, s61, v34
	v_lshlrev_b32_e32 v35, 3, v34
	v_add_lshl_u32 v35, v35, v125, 2
	; wave barrier
	v_add_u32_e32 v41, 32, v35
	ds_read_b32 v40, v35 offset:32
	v_and_b32_e32 v35, 1, v34
	v_add_co_u32_e32 v36, vcc, -1, v35
	v_addc_co_u32_e64 v37, s[4:5], 0, -1, vcc
	v_cmp_ne_u32_e32 vcc, 0, v35
	v_lshlrev_b32_e32 v83, 30, v34
	v_xor_b32_e32 v35, vcc_hi, v37
	v_not_b32_e32 v37, v83
	v_xor_b32_e32 v36, vcc_lo, v36
	v_cmp_gt_i64_e32 vcc, 0, v[82:83]
	v_ashrrev_i32_e32 v37, 31, v37
	v_and_b32_e32 v36, exec_lo, v36
	v_xor_b32_e32 v42, vcc_hi, v37
	v_xor_b32_e32 v37, vcc_lo, v37
	v_lshlrev_b32_e32 v83, 29, v34
	v_and_b32_e32 v36, v36, v37
	v_not_b32_e32 v37, v83
	v_and_b32_e32 v35, exec_hi, v35
	v_cmp_gt_i64_e32 vcc, 0, v[82:83]
	v_ashrrev_i32_e32 v37, 31, v37
	v_and_b32_e32 v35, v35, v42
	v_xor_b32_e32 v42, vcc_hi, v37
	v_xor_b32_e32 v37, vcc_lo, v37
	v_lshlrev_b32_e32 v83, 28, v34
	v_and_b32_e32 v36, v36, v37
	v_not_b32_e32 v37, v83
	v_cmp_gt_i64_e32 vcc, 0, v[82:83]
	v_ashrrev_i32_e32 v37, 31, v37
	v_and_b32_e32 v35, v35, v42
	v_xor_b32_e32 v42, vcc_hi, v37
	v_xor_b32_e32 v37, vcc_lo, v37
	v_lshlrev_b32_e32 v83, 27, v34
	v_and_b32_e32 v36, v36, v37
	v_not_b32_e32 v37, v83
	;; [unrolled: 8-line block ×3, first 2 shown]
	v_cmp_gt_i64_e32 vcc, 0, v[82:83]
	v_ashrrev_i32_e32 v37, 31, v37
	v_and_b32_e32 v35, v35, v42
	v_xor_b32_e32 v42, vcc_hi, v37
	v_xor_b32_e32 v37, vcc_lo, v37
	v_lshlrev_b32_e32 v83, 25, v34
	v_and_b32_e32 v36, v36, v37
	v_cmp_gt_i64_e32 vcc, 0, v[82:83]
	v_not_b32_e32 v37, v83
	v_lshlrev_b32_e32 v83, 24, v34
	v_ashrrev_i32_e32 v37, 31, v37
	v_not_b32_e32 v34, v83
	v_and_b32_e32 v35, v35, v42
	v_xor_b32_e32 v42, vcc_hi, v37
	v_xor_b32_e32 v37, vcc_lo, v37
	v_cmp_gt_i64_e32 vcc, 0, v[82:83]
	v_ashrrev_i32_e32 v34, 31, v34
	v_and_b32_e32 v36, v36, v37
	v_xor_b32_e32 v37, vcc_hi, v34
	v_xor_b32_e32 v34, vcc_lo, v34
	v_and_b32_e32 v35, v35, v42
	v_and_b32_e32 v34, v36, v34
	;; [unrolled: 1-line block ×3, first 2 shown]
	v_mbcnt_lo_u32_b32 v36, v34, 0
	v_mbcnt_hi_u32_b32 v42, v35, v36
	v_cmp_eq_u32_e32 vcc, 0, v42
	v_cmp_ne_u64_e64 s[4:5], 0, v[34:35]
	s_and_b64 s[62:63], s[4:5], vcc
	; wave barrier
	s_and_saveexec_b64 s[4:5], s[62:63]
	s_cbranch_execz .LBB155_50
; %bb.49:                               ;   in Loop: Header=BB155_46 Depth=1
	v_bcnt_u32_b32 v34, v34, 0
	v_bcnt_u32_b32 v34, v35, v34
	s_waitcnt lgkmcnt(0)
	v_add_u32_e32 v34, v40, v34
	ds_write_b32 v41, v34
.LBB155_50:                             ;   in Loop: Header=BB155_46 Depth=1
	s_or_b64 exec, exec, s[4:5]
	v_lshrrev_b64 v[34:35], s54, v[94:95]
	v_and_b32_e32 v34, s61, v34
	v_lshlrev_b32_e32 v35, 3, v34
	v_add_lshl_u32 v35, v35, v125, 2
	; wave barrier
	v_add_u32_e32 v44, 32, v35
	ds_read_b32 v43, v35 offset:32
	v_and_b32_e32 v35, 1, v34
	v_add_co_u32_e32 v36, vcc, -1, v35
	v_addc_co_u32_e64 v37, s[4:5], 0, -1, vcc
	v_cmp_ne_u32_e32 vcc, 0, v35
	v_lshlrev_b32_e32 v83, 30, v34
	v_xor_b32_e32 v35, vcc_hi, v37
	v_not_b32_e32 v37, v83
	v_xor_b32_e32 v36, vcc_lo, v36
	v_cmp_gt_i64_e32 vcc, 0, v[82:83]
	v_ashrrev_i32_e32 v37, 31, v37
	v_and_b32_e32 v36, exec_lo, v36
	v_xor_b32_e32 v45, vcc_hi, v37
	v_xor_b32_e32 v37, vcc_lo, v37
	v_lshlrev_b32_e32 v83, 29, v34
	v_and_b32_e32 v36, v36, v37
	v_not_b32_e32 v37, v83
	v_and_b32_e32 v35, exec_hi, v35
	v_cmp_gt_i64_e32 vcc, 0, v[82:83]
	v_ashrrev_i32_e32 v37, 31, v37
	v_and_b32_e32 v35, v35, v45
	v_xor_b32_e32 v45, vcc_hi, v37
	v_xor_b32_e32 v37, vcc_lo, v37
	v_lshlrev_b32_e32 v83, 28, v34
	v_and_b32_e32 v36, v36, v37
	v_not_b32_e32 v37, v83
	v_cmp_gt_i64_e32 vcc, 0, v[82:83]
	v_ashrrev_i32_e32 v37, 31, v37
	v_and_b32_e32 v35, v35, v45
	v_xor_b32_e32 v45, vcc_hi, v37
	v_xor_b32_e32 v37, vcc_lo, v37
	v_lshlrev_b32_e32 v83, 27, v34
	v_and_b32_e32 v36, v36, v37
	v_not_b32_e32 v37, v83
	;; [unrolled: 8-line block ×3, first 2 shown]
	v_cmp_gt_i64_e32 vcc, 0, v[82:83]
	v_ashrrev_i32_e32 v37, 31, v37
	v_and_b32_e32 v35, v35, v45
	v_xor_b32_e32 v45, vcc_hi, v37
	v_xor_b32_e32 v37, vcc_lo, v37
	v_lshlrev_b32_e32 v83, 25, v34
	v_and_b32_e32 v36, v36, v37
	v_cmp_gt_i64_e32 vcc, 0, v[82:83]
	v_not_b32_e32 v37, v83
	v_lshlrev_b32_e32 v83, 24, v34
	v_ashrrev_i32_e32 v37, 31, v37
	v_not_b32_e32 v34, v83
	v_and_b32_e32 v35, v35, v45
	v_xor_b32_e32 v45, vcc_hi, v37
	v_xor_b32_e32 v37, vcc_lo, v37
	v_cmp_gt_i64_e32 vcc, 0, v[82:83]
	v_ashrrev_i32_e32 v34, 31, v34
	v_and_b32_e32 v36, v36, v37
	v_xor_b32_e32 v37, vcc_hi, v34
	v_xor_b32_e32 v34, vcc_lo, v34
	v_and_b32_e32 v35, v35, v45
	v_and_b32_e32 v34, v36, v34
	;; [unrolled: 1-line block ×3, first 2 shown]
	v_mbcnt_lo_u32_b32 v36, v34, 0
	v_mbcnt_hi_u32_b32 v45, v35, v36
	v_cmp_eq_u32_e32 vcc, 0, v45
	v_cmp_ne_u64_e64 s[4:5], 0, v[34:35]
	s_and_b64 s[62:63], s[4:5], vcc
	; wave barrier
	s_and_saveexec_b64 s[4:5], s[62:63]
	s_cbranch_execz .LBB155_52
; %bb.51:                               ;   in Loop: Header=BB155_46 Depth=1
	v_bcnt_u32_b32 v34, v34, 0
	v_bcnt_u32_b32 v34, v35, v34
	s_waitcnt lgkmcnt(0)
	v_add_u32_e32 v34, v43, v34
	ds_write_b32 v44, v34
.LBB155_52:                             ;   in Loop: Header=BB155_46 Depth=1
	s_or_b64 exec, exec, s[4:5]
	v_lshrrev_b64 v[34:35], s54, v[92:93]
	v_and_b32_e32 v34, s61, v34
	v_lshlrev_b32_e32 v35, 3, v34
	v_add_lshl_u32 v35, v35, v125, 2
	; wave barrier
	v_add_u32_e32 v47, 32, v35
	ds_read_b32 v46, v35 offset:32
	v_and_b32_e32 v35, 1, v34
	v_add_co_u32_e32 v36, vcc, -1, v35
	v_addc_co_u32_e64 v37, s[4:5], 0, -1, vcc
	v_cmp_ne_u32_e32 vcc, 0, v35
	v_lshlrev_b32_e32 v83, 30, v34
	v_xor_b32_e32 v35, vcc_hi, v37
	v_not_b32_e32 v37, v83
	v_xor_b32_e32 v36, vcc_lo, v36
	v_cmp_gt_i64_e32 vcc, 0, v[82:83]
	v_ashrrev_i32_e32 v37, 31, v37
	v_and_b32_e32 v36, exec_lo, v36
	v_xor_b32_e32 v48, vcc_hi, v37
	v_xor_b32_e32 v37, vcc_lo, v37
	v_lshlrev_b32_e32 v83, 29, v34
	v_and_b32_e32 v36, v36, v37
	v_not_b32_e32 v37, v83
	v_and_b32_e32 v35, exec_hi, v35
	v_cmp_gt_i64_e32 vcc, 0, v[82:83]
	v_ashrrev_i32_e32 v37, 31, v37
	v_and_b32_e32 v35, v35, v48
	v_xor_b32_e32 v48, vcc_hi, v37
	v_xor_b32_e32 v37, vcc_lo, v37
	v_lshlrev_b32_e32 v83, 28, v34
	v_and_b32_e32 v36, v36, v37
	v_not_b32_e32 v37, v83
	v_cmp_gt_i64_e32 vcc, 0, v[82:83]
	v_ashrrev_i32_e32 v37, 31, v37
	v_and_b32_e32 v35, v35, v48
	v_xor_b32_e32 v48, vcc_hi, v37
	v_xor_b32_e32 v37, vcc_lo, v37
	v_lshlrev_b32_e32 v83, 27, v34
	v_and_b32_e32 v36, v36, v37
	v_not_b32_e32 v37, v83
	;; [unrolled: 8-line block ×3, first 2 shown]
	v_cmp_gt_i64_e32 vcc, 0, v[82:83]
	v_ashrrev_i32_e32 v37, 31, v37
	v_and_b32_e32 v35, v35, v48
	v_xor_b32_e32 v48, vcc_hi, v37
	v_xor_b32_e32 v37, vcc_lo, v37
	v_lshlrev_b32_e32 v83, 25, v34
	v_and_b32_e32 v36, v36, v37
	v_cmp_gt_i64_e32 vcc, 0, v[82:83]
	v_not_b32_e32 v37, v83
	v_lshlrev_b32_e32 v83, 24, v34
	v_ashrrev_i32_e32 v37, 31, v37
	v_not_b32_e32 v34, v83
	v_and_b32_e32 v35, v35, v48
	v_xor_b32_e32 v48, vcc_hi, v37
	v_xor_b32_e32 v37, vcc_lo, v37
	v_cmp_gt_i64_e32 vcc, 0, v[82:83]
	v_ashrrev_i32_e32 v34, 31, v34
	v_and_b32_e32 v36, v36, v37
	v_xor_b32_e32 v37, vcc_hi, v34
	v_xor_b32_e32 v34, vcc_lo, v34
	v_and_b32_e32 v35, v35, v48
	v_and_b32_e32 v34, v36, v34
	v_and_b32_e32 v35, v35, v37
	v_mbcnt_lo_u32_b32 v36, v34, 0
	v_mbcnt_hi_u32_b32 v48, v35, v36
	v_cmp_eq_u32_e32 vcc, 0, v48
	v_cmp_ne_u64_e64 s[4:5], 0, v[34:35]
	s_and_b64 s[62:63], s[4:5], vcc
	; wave barrier
	s_and_saveexec_b64 s[4:5], s[62:63]
	s_cbranch_execz .LBB155_54
; %bb.53:                               ;   in Loop: Header=BB155_46 Depth=1
	v_bcnt_u32_b32 v34, v34, 0
	v_bcnt_u32_b32 v34, v35, v34
	s_waitcnt lgkmcnt(0)
	v_add_u32_e32 v34, v46, v34
	ds_write_b32 v47, v34
.LBB155_54:                             ;   in Loop: Header=BB155_46 Depth=1
	s_or_b64 exec, exec, s[4:5]
	v_lshrrev_b64 v[34:35], s54, v[90:91]
	v_and_b32_e32 v34, s61, v34
	v_lshlrev_b32_e32 v35, 3, v34
	v_add_lshl_u32 v35, v35, v125, 2
	; wave barrier
	v_add_u32_e32 v50, 32, v35
	ds_read_b32 v49, v35 offset:32
	v_and_b32_e32 v35, 1, v34
	v_add_co_u32_e32 v36, vcc, -1, v35
	v_addc_co_u32_e64 v37, s[4:5], 0, -1, vcc
	v_cmp_ne_u32_e32 vcc, 0, v35
	v_lshlrev_b32_e32 v83, 30, v34
	v_xor_b32_e32 v35, vcc_hi, v37
	v_not_b32_e32 v37, v83
	v_xor_b32_e32 v36, vcc_lo, v36
	v_cmp_gt_i64_e32 vcc, 0, v[82:83]
	v_ashrrev_i32_e32 v37, 31, v37
	v_and_b32_e32 v36, exec_lo, v36
	v_xor_b32_e32 v51, vcc_hi, v37
	v_xor_b32_e32 v37, vcc_lo, v37
	v_lshlrev_b32_e32 v83, 29, v34
	v_and_b32_e32 v36, v36, v37
	v_not_b32_e32 v37, v83
	v_and_b32_e32 v35, exec_hi, v35
	v_cmp_gt_i64_e32 vcc, 0, v[82:83]
	v_ashrrev_i32_e32 v37, 31, v37
	v_and_b32_e32 v35, v35, v51
	v_xor_b32_e32 v51, vcc_hi, v37
	v_xor_b32_e32 v37, vcc_lo, v37
	v_lshlrev_b32_e32 v83, 28, v34
	v_and_b32_e32 v36, v36, v37
	v_not_b32_e32 v37, v83
	v_cmp_gt_i64_e32 vcc, 0, v[82:83]
	v_ashrrev_i32_e32 v37, 31, v37
	v_and_b32_e32 v35, v35, v51
	v_xor_b32_e32 v51, vcc_hi, v37
	v_xor_b32_e32 v37, vcc_lo, v37
	v_lshlrev_b32_e32 v83, 27, v34
	v_and_b32_e32 v36, v36, v37
	v_not_b32_e32 v37, v83
	v_cmp_gt_i64_e32 vcc, 0, v[82:83]
	v_ashrrev_i32_e32 v37, 31, v37
	v_and_b32_e32 v35, v35, v51
	v_xor_b32_e32 v51, vcc_hi, v37
	v_xor_b32_e32 v37, vcc_lo, v37
	v_lshlrev_b32_e32 v83, 26, v34
	v_and_b32_e32 v36, v36, v37
	v_not_b32_e32 v37, v83
	v_cmp_gt_i64_e32 vcc, 0, v[82:83]
	v_ashrrev_i32_e32 v37, 31, v37
	v_and_b32_e32 v35, v35, v51
	v_xor_b32_e32 v51, vcc_hi, v37
	v_xor_b32_e32 v37, vcc_lo, v37
	v_lshlrev_b32_e32 v83, 25, v34
	v_and_b32_e32 v36, v36, v37
	v_cmp_gt_i64_e32 vcc, 0, v[82:83]
	v_not_b32_e32 v37, v83
	v_lshlrev_b32_e32 v83, 24, v34
	v_ashrrev_i32_e32 v37, 31, v37
	v_not_b32_e32 v34, v83
	v_and_b32_e32 v35, v35, v51
	v_xor_b32_e32 v51, vcc_hi, v37
	v_xor_b32_e32 v37, vcc_lo, v37
	v_cmp_gt_i64_e32 vcc, 0, v[82:83]
	v_ashrrev_i32_e32 v34, 31, v34
	v_and_b32_e32 v36, v36, v37
	v_xor_b32_e32 v37, vcc_hi, v34
	v_xor_b32_e32 v34, vcc_lo, v34
	v_and_b32_e32 v35, v35, v51
	v_and_b32_e32 v34, v36, v34
	;; [unrolled: 1-line block ×3, first 2 shown]
	v_mbcnt_lo_u32_b32 v36, v34, 0
	v_mbcnt_hi_u32_b32 v51, v35, v36
	v_cmp_eq_u32_e32 vcc, 0, v51
	v_cmp_ne_u64_e64 s[4:5], 0, v[34:35]
	s_and_b64 s[62:63], s[4:5], vcc
	; wave barrier
	s_and_saveexec_b64 s[4:5], s[62:63]
	s_cbranch_execz .LBB155_56
; %bb.55:                               ;   in Loop: Header=BB155_46 Depth=1
	v_bcnt_u32_b32 v34, v34, 0
	v_bcnt_u32_b32 v34, v35, v34
	s_waitcnt lgkmcnt(0)
	v_add_u32_e32 v34, v49, v34
	ds_write_b32 v50, v34
.LBB155_56:                             ;   in Loop: Header=BB155_46 Depth=1
	s_or_b64 exec, exec, s[4:5]
	v_lshrrev_b64 v[34:35], s54, v[88:89]
	v_and_b32_e32 v34, s61, v34
	v_lshlrev_b32_e32 v35, 3, v34
	v_add_lshl_u32 v35, v35, v125, 2
	; wave barrier
	v_add_u32_e32 v53, 32, v35
	ds_read_b32 v52, v35 offset:32
	v_and_b32_e32 v35, 1, v34
	v_add_co_u32_e32 v36, vcc, -1, v35
	v_addc_co_u32_e64 v37, s[4:5], 0, -1, vcc
	v_cmp_ne_u32_e32 vcc, 0, v35
	v_lshlrev_b32_e32 v83, 30, v34
	v_xor_b32_e32 v35, vcc_hi, v37
	v_not_b32_e32 v37, v83
	v_xor_b32_e32 v36, vcc_lo, v36
	v_cmp_gt_i64_e32 vcc, 0, v[82:83]
	v_ashrrev_i32_e32 v37, 31, v37
	v_and_b32_e32 v36, exec_lo, v36
	v_xor_b32_e32 v54, vcc_hi, v37
	v_xor_b32_e32 v37, vcc_lo, v37
	v_lshlrev_b32_e32 v83, 29, v34
	v_and_b32_e32 v36, v36, v37
	v_not_b32_e32 v37, v83
	v_and_b32_e32 v35, exec_hi, v35
	v_cmp_gt_i64_e32 vcc, 0, v[82:83]
	v_ashrrev_i32_e32 v37, 31, v37
	v_and_b32_e32 v35, v35, v54
	v_xor_b32_e32 v54, vcc_hi, v37
	v_xor_b32_e32 v37, vcc_lo, v37
	v_lshlrev_b32_e32 v83, 28, v34
	v_and_b32_e32 v36, v36, v37
	v_not_b32_e32 v37, v83
	v_cmp_gt_i64_e32 vcc, 0, v[82:83]
	v_ashrrev_i32_e32 v37, 31, v37
	v_and_b32_e32 v35, v35, v54
	v_xor_b32_e32 v54, vcc_hi, v37
	v_xor_b32_e32 v37, vcc_lo, v37
	v_lshlrev_b32_e32 v83, 27, v34
	v_and_b32_e32 v36, v36, v37
	v_not_b32_e32 v37, v83
	;; [unrolled: 8-line block ×3, first 2 shown]
	v_cmp_gt_i64_e32 vcc, 0, v[82:83]
	v_ashrrev_i32_e32 v37, 31, v37
	v_and_b32_e32 v35, v35, v54
	v_xor_b32_e32 v54, vcc_hi, v37
	v_xor_b32_e32 v37, vcc_lo, v37
	v_lshlrev_b32_e32 v83, 25, v34
	v_and_b32_e32 v36, v36, v37
	v_cmp_gt_i64_e32 vcc, 0, v[82:83]
	v_not_b32_e32 v37, v83
	v_lshlrev_b32_e32 v83, 24, v34
	v_ashrrev_i32_e32 v37, 31, v37
	v_not_b32_e32 v34, v83
	v_and_b32_e32 v35, v35, v54
	v_xor_b32_e32 v54, vcc_hi, v37
	v_xor_b32_e32 v37, vcc_lo, v37
	v_cmp_gt_i64_e32 vcc, 0, v[82:83]
	v_ashrrev_i32_e32 v34, 31, v34
	v_and_b32_e32 v36, v36, v37
	v_xor_b32_e32 v37, vcc_hi, v34
	v_xor_b32_e32 v34, vcc_lo, v34
	v_and_b32_e32 v35, v35, v54
	v_and_b32_e32 v34, v36, v34
	;; [unrolled: 1-line block ×3, first 2 shown]
	v_mbcnt_lo_u32_b32 v36, v34, 0
	v_mbcnt_hi_u32_b32 v54, v35, v36
	v_cmp_eq_u32_e32 vcc, 0, v54
	v_cmp_ne_u64_e64 s[4:5], 0, v[34:35]
	s_and_b64 s[62:63], s[4:5], vcc
	; wave barrier
	s_and_saveexec_b64 s[4:5], s[62:63]
	s_cbranch_execz .LBB155_58
; %bb.57:                               ;   in Loop: Header=BB155_46 Depth=1
	v_bcnt_u32_b32 v34, v34, 0
	v_bcnt_u32_b32 v34, v35, v34
	s_waitcnt lgkmcnt(0)
	v_add_u32_e32 v34, v52, v34
	ds_write_b32 v53, v34
.LBB155_58:                             ;   in Loop: Header=BB155_46 Depth=1
	s_or_b64 exec, exec, s[4:5]
	v_lshrrev_b64 v[34:35], s54, v[86:87]
	v_and_b32_e32 v34, s61, v34
	v_lshlrev_b32_e32 v35, 3, v34
	v_add_lshl_u32 v35, v35, v125, 2
	; wave barrier
	v_add_u32_e32 v56, 32, v35
	ds_read_b32 v55, v35 offset:32
	v_and_b32_e32 v35, 1, v34
	v_add_co_u32_e32 v36, vcc, -1, v35
	v_addc_co_u32_e64 v37, s[4:5], 0, -1, vcc
	v_cmp_ne_u32_e32 vcc, 0, v35
	v_lshlrev_b32_e32 v83, 30, v34
	v_xor_b32_e32 v35, vcc_hi, v37
	v_not_b32_e32 v37, v83
	v_xor_b32_e32 v36, vcc_lo, v36
	v_cmp_gt_i64_e32 vcc, 0, v[82:83]
	v_ashrrev_i32_e32 v37, 31, v37
	v_and_b32_e32 v36, exec_lo, v36
	v_xor_b32_e32 v57, vcc_hi, v37
	v_xor_b32_e32 v37, vcc_lo, v37
	v_lshlrev_b32_e32 v83, 29, v34
	v_and_b32_e32 v36, v36, v37
	v_not_b32_e32 v37, v83
	v_and_b32_e32 v35, exec_hi, v35
	v_cmp_gt_i64_e32 vcc, 0, v[82:83]
	v_ashrrev_i32_e32 v37, 31, v37
	v_and_b32_e32 v35, v35, v57
	v_xor_b32_e32 v57, vcc_hi, v37
	v_xor_b32_e32 v37, vcc_lo, v37
	v_lshlrev_b32_e32 v83, 28, v34
	v_and_b32_e32 v36, v36, v37
	v_not_b32_e32 v37, v83
	v_cmp_gt_i64_e32 vcc, 0, v[82:83]
	v_ashrrev_i32_e32 v37, 31, v37
	v_and_b32_e32 v35, v35, v57
	v_xor_b32_e32 v57, vcc_hi, v37
	v_xor_b32_e32 v37, vcc_lo, v37
	v_lshlrev_b32_e32 v83, 27, v34
	v_and_b32_e32 v36, v36, v37
	v_not_b32_e32 v37, v83
	;; [unrolled: 8-line block ×3, first 2 shown]
	v_cmp_gt_i64_e32 vcc, 0, v[82:83]
	v_ashrrev_i32_e32 v37, 31, v37
	v_and_b32_e32 v35, v35, v57
	v_xor_b32_e32 v57, vcc_hi, v37
	v_xor_b32_e32 v37, vcc_lo, v37
	v_lshlrev_b32_e32 v83, 25, v34
	v_and_b32_e32 v36, v36, v37
	v_cmp_gt_i64_e32 vcc, 0, v[82:83]
	v_not_b32_e32 v37, v83
	v_lshlrev_b32_e32 v83, 24, v34
	v_ashrrev_i32_e32 v37, 31, v37
	v_not_b32_e32 v34, v83
	v_and_b32_e32 v35, v35, v57
	v_xor_b32_e32 v57, vcc_hi, v37
	v_xor_b32_e32 v37, vcc_lo, v37
	v_cmp_gt_i64_e32 vcc, 0, v[82:83]
	v_ashrrev_i32_e32 v34, 31, v34
	v_and_b32_e32 v36, v36, v37
	v_xor_b32_e32 v37, vcc_hi, v34
	v_xor_b32_e32 v34, vcc_lo, v34
	v_and_b32_e32 v35, v35, v57
	v_and_b32_e32 v34, v36, v34
	;; [unrolled: 1-line block ×3, first 2 shown]
	v_mbcnt_lo_u32_b32 v36, v34, 0
	v_mbcnt_hi_u32_b32 v57, v35, v36
	v_cmp_eq_u32_e32 vcc, 0, v57
	v_cmp_ne_u64_e64 s[4:5], 0, v[34:35]
	s_and_b64 s[62:63], s[4:5], vcc
	; wave barrier
	s_and_saveexec_b64 s[4:5], s[62:63]
	s_cbranch_execz .LBB155_60
; %bb.59:                               ;   in Loop: Header=BB155_46 Depth=1
	v_bcnt_u32_b32 v34, v34, 0
	v_bcnt_u32_b32 v34, v35, v34
	s_waitcnt lgkmcnt(0)
	v_add_u32_e32 v34, v55, v34
	ds_write_b32 v56, v34
.LBB155_60:                             ;   in Loop: Header=BB155_46 Depth=1
	s_or_b64 exec, exec, s[4:5]
	v_lshrrev_b64 v[34:35], s54, v[84:85]
	v_and_b32_e32 v34, s61, v34
	v_lshlrev_b32_e32 v35, 3, v34
	v_add_lshl_u32 v35, v35, v125, 2
	; wave barrier
	v_add_u32_e32 v59, 32, v35
	ds_read_b32 v58, v35 offset:32
	v_and_b32_e32 v35, 1, v34
	v_add_co_u32_e32 v36, vcc, -1, v35
	v_addc_co_u32_e64 v37, s[4:5], 0, -1, vcc
	v_cmp_ne_u32_e32 vcc, 0, v35
	v_lshlrev_b32_e32 v83, 30, v34
	v_xor_b32_e32 v35, vcc_hi, v37
	v_not_b32_e32 v37, v83
	v_xor_b32_e32 v36, vcc_lo, v36
	v_cmp_gt_i64_e32 vcc, 0, v[82:83]
	v_ashrrev_i32_e32 v37, 31, v37
	v_and_b32_e32 v36, exec_lo, v36
	v_xor_b32_e32 v60, vcc_hi, v37
	v_xor_b32_e32 v37, vcc_lo, v37
	v_lshlrev_b32_e32 v83, 29, v34
	v_and_b32_e32 v36, v36, v37
	v_not_b32_e32 v37, v83
	v_and_b32_e32 v35, exec_hi, v35
	v_cmp_gt_i64_e32 vcc, 0, v[82:83]
	v_ashrrev_i32_e32 v37, 31, v37
	v_and_b32_e32 v35, v35, v60
	v_xor_b32_e32 v60, vcc_hi, v37
	v_xor_b32_e32 v37, vcc_lo, v37
	v_lshlrev_b32_e32 v83, 28, v34
	v_and_b32_e32 v36, v36, v37
	v_not_b32_e32 v37, v83
	v_cmp_gt_i64_e32 vcc, 0, v[82:83]
	v_ashrrev_i32_e32 v37, 31, v37
	v_and_b32_e32 v35, v35, v60
	v_xor_b32_e32 v60, vcc_hi, v37
	v_xor_b32_e32 v37, vcc_lo, v37
	v_lshlrev_b32_e32 v83, 27, v34
	v_and_b32_e32 v36, v36, v37
	v_not_b32_e32 v37, v83
	;; [unrolled: 8-line block ×3, first 2 shown]
	v_cmp_gt_i64_e32 vcc, 0, v[82:83]
	v_ashrrev_i32_e32 v37, 31, v37
	v_and_b32_e32 v35, v35, v60
	v_xor_b32_e32 v60, vcc_hi, v37
	v_xor_b32_e32 v37, vcc_lo, v37
	v_lshlrev_b32_e32 v83, 25, v34
	v_and_b32_e32 v36, v36, v37
	v_cmp_gt_i64_e32 vcc, 0, v[82:83]
	v_not_b32_e32 v37, v83
	v_lshlrev_b32_e32 v83, 24, v34
	v_ashrrev_i32_e32 v37, 31, v37
	v_not_b32_e32 v34, v83
	v_and_b32_e32 v35, v35, v60
	v_xor_b32_e32 v60, vcc_hi, v37
	v_xor_b32_e32 v37, vcc_lo, v37
	v_cmp_gt_i64_e32 vcc, 0, v[82:83]
	v_ashrrev_i32_e32 v34, 31, v34
	v_and_b32_e32 v36, v36, v37
	v_xor_b32_e32 v37, vcc_hi, v34
	v_xor_b32_e32 v34, vcc_lo, v34
	v_and_b32_e32 v35, v35, v60
	v_and_b32_e32 v34, v36, v34
	;; [unrolled: 1-line block ×3, first 2 shown]
	v_mbcnt_lo_u32_b32 v36, v34, 0
	v_mbcnt_hi_u32_b32 v60, v35, v36
	v_cmp_eq_u32_e32 vcc, 0, v60
	v_cmp_ne_u64_e64 s[4:5], 0, v[34:35]
	s_and_b64 s[62:63], s[4:5], vcc
	; wave barrier
	s_and_saveexec_b64 s[4:5], s[62:63]
	s_cbranch_execz .LBB155_62
; %bb.61:                               ;   in Loop: Header=BB155_46 Depth=1
	v_bcnt_u32_b32 v34, v34, 0
	v_bcnt_u32_b32 v34, v35, v34
	s_waitcnt lgkmcnt(0)
	v_add_u32_e32 v34, v58, v34
	ds_write_b32 v59, v34
.LBB155_62:                             ;   in Loop: Header=BB155_46 Depth=1
	s_or_b64 exec, exec, s[4:5]
	; wave barrier
	s_waitcnt lgkmcnt(0)
	s_barrier
	ds_read2_b32 v[36:37], v110 offset0:8 offset1:9
	ds_read2_b32 v[34:35], v124 offset0:2 offset1:3
	s_waitcnt lgkmcnt(1)
	v_add_u32_e32 v61, v37, v36
	s_waitcnt lgkmcnt(0)
	v_add3_u32 v35, v61, v34, v35
	s_nop 1
	v_mov_b32_dpp v61, v35 row_shr:1 row_mask:0xf bank_mask:0xf
	v_cndmask_b32_e64 v61, v61, 0, s[26:27]
	v_add_u32_e32 v35, v61, v35
	s_nop 1
	v_mov_b32_dpp v61, v35 row_shr:2 row_mask:0xf bank_mask:0xf
	v_cndmask_b32_e64 v61, 0, v61, s[28:29]
	v_add_u32_e32 v35, v35, v61
	s_nop 1
	v_mov_b32_dpp v61, v35 row_shr:4 row_mask:0xf bank_mask:0xf
	v_cndmask_b32_e64 v61, 0, v61, s[30:31]
	v_add_u32_e32 v35, v35, v61
	s_nop 1
	v_mov_b32_dpp v61, v35 row_shr:8 row_mask:0xf bank_mask:0xf
	v_cndmask_b32_e64 v61, 0, v61, s[34:35]
	v_add_u32_e32 v35, v35, v61
	s_nop 1
	v_mov_b32_dpp v61, v35 row_bcast:15 row_mask:0xf bank_mask:0xf
	v_cndmask_b32_e64 v61, v61, 0, s[36:37]
	v_add_u32_e32 v35, v35, v61
	s_nop 1
	v_mov_b32_dpp v61, v35 row_bcast:31 row_mask:0xf bank_mask:0xf
	v_cndmask_b32_e64 v61, 0, v61, s[16:17]
	v_add_u32_e32 v35, v35, v61
	s_and_saveexec_b64 s[4:5], s[38:39]
	s_cbranch_execz .LBB155_64
; %bb.63:                               ;   in Loop: Header=BB155_46 Depth=1
	ds_write_b32 v127, v35
.LBB155_64:                             ;   in Loop: Header=BB155_46 Depth=1
	s_or_b64 exec, exec, s[4:5]
	s_waitcnt lgkmcnt(0)
	s_barrier
	s_and_saveexec_b64 s[4:5], s[18:19]
	s_cbranch_execz .LBB155_66
; %bb.65:                               ;   in Loop: Header=BB155_46 Depth=1
	ds_read_b32 v61, v109
	s_waitcnt lgkmcnt(0)
	s_nop 0
	v_mov_b32_dpp v62, v61 row_shr:1 row_mask:0xf bank_mask:0xf
	v_cndmask_b32_e64 v62, v62, 0, s[40:41]
	v_add_u32_e32 v61, v62, v61
	s_nop 1
	v_mov_b32_dpp v62, v61 row_shr:2 row_mask:0xf bank_mask:0xf
	v_cndmask_b32_e64 v62, 0, v62, s[42:43]
	v_add_u32_e32 v61, v61, v62
	;; [unrolled: 4-line block ×3, first 2 shown]
	ds_write_b32 v109, v61
.LBB155_66:                             ;   in Loop: Header=BB155_46 Depth=1
	s_or_b64 exec, exec, s[4:5]
	v_mov_b32_e32 v61, 0
	s_waitcnt lgkmcnt(0)
	s_barrier
	s_and_saveexec_b64 s[4:5], s[20:21]
	s_cbranch_execz .LBB155_68
; %bb.67:                               ;   in Loop: Header=BB155_46 Depth=1
	ds_read_b32 v61, v128
.LBB155_68:                             ;   in Loop: Header=BB155_46 Depth=1
	s_or_b64 exec, exec, s[4:5]
	s_waitcnt lgkmcnt(0)
	v_add_u32_e32 v35, v61, v35
	ds_bpermute_b32 v35, v126, v35
	s_cmp_gt_u32 s54, 55
	s_waitcnt lgkmcnt(0)
	v_cndmask_b32_e64 v35, v35, v61, s[22:23]
	v_cndmask_b32_e64 v35, v35, 0, s[24:25]
	v_add_u32_e32 v36, v35, v36
	v_add_u32_e32 v37, v36, v37
	;; [unrolled: 1-line block ×3, first 2 shown]
	ds_write2_b32 v110, v35, v36 offset0:8 offset1:9
	ds_write2_b32 v124, v37, v34 offset0:2 offset1:3
	s_waitcnt lgkmcnt(0)
	s_barrier
	ds_read_b32 v34, v38
	ds_read_b32 v35, v41
	;; [unrolled: 1-line block ×8, first 2 shown]
	s_waitcnt lgkmcnt(7)
	v_add_u32_e32 v136, v34, v39
	s_waitcnt lgkmcnt(6)
	v_add3_u32 v135, v42, v40, v35
	s_waitcnt lgkmcnt(5)
	v_add3_u32 v134, v45, v43, v36
	;; [unrolled: 2-line block ×7, first 2 shown]
	s_cbranch_scc0 .LBB155_45
; %bb.69:
                                        ; implicit-def: $vgpr48_vgpr49
                                        ; implicit-def: $vgpr44_vgpr45
                                        ; implicit-def: $vgpr40_vgpr41
                                        ; implicit-def: $vgpr36_vgpr37
                                        ; implicit-def: $vgpr64_vgpr65
                                        ; implicit-def: $vgpr60_vgpr61
                                        ; implicit-def: $vgpr56_vgpr57
                                        ; implicit-def: $vgpr52_vgpr53
                                        ; implicit-def: $sgpr54_sgpr55
                                        ; implicit-def: $sgpr60
.LBB155_70:
	v_lshlrev_b32_e32 v34, 3, v136
	v_lshlrev_b32_e32 v35, 3, v135
	;; [unrolled: 1-line block ×9, first 2 shown]
	s_barrier
	ds_write_b64 v34, v[98:99]
	ds_write_b64 v35, v[96:97]
	;; [unrolled: 1-line block ×8, first 2 shown]
	s_waitcnt lgkmcnt(0)
	s_barrier
	ds_read2_b64 v[50:53], v46 offset1:1
	ds_read2_b64 v[54:57], v46 offset0:2 offset1:3
	ds_read2_b64 v[58:61], v46 offset0:4 offset1:5
	;; [unrolled: 1-line block ×3, first 2 shown]
	s_waitcnt lgkmcnt(0)
	s_barrier
	ds_write_b64 v34, v[80:81]
	ds_write_b64 v35, v[78:79]
	;; [unrolled: 1-line block ×8, first 2 shown]
	s_waitcnt lgkmcnt(0)
	s_barrier
	ds_read2_b64 v[34:37], v46 offset1:1
	ds_read2_b64 v[38:41], v46 offset0:2 offset1:3
	ds_read2_b64 v[42:45], v46 offset0:4 offset1:5
	ds_read2_b64 v[46:49], v46 offset0:6 offset1:7
	v_xor_b32_e32 v51, 0x80000000, v51
	v_xor_b32_e32 v53, 0x80000000, v53
	v_xor_b32_e32 v55, 0x80000000, v55
	v_xor_b32_e32 v57, 0x80000000, v57
	v_xor_b32_e32 v59, 0x80000000, v59
	v_xor_b32_e32 v61, 0x80000000, v61
	v_xor_b32_e32 v63, 0x80000000, v63
	v_xor_b32_e32 v65, 0x80000000, v65
	s_branch .LBB155_106
.LBB155_71:
	v_mad_u64_u32 v[2:3], s[16:17], v66, s50, 0
	v_mov_b32_e32 v4, v3
	v_mad_u64_u32 v[4:5], s[16:17], v66, s51, v[4:5]
	v_mov_b32_e32 v3, v4
	v_lshlrev_b64 v[2:3], 3, v[2:3]
	v_mov_b32_e32 v4, s58
	v_add_co_u32_e32 v2, vcc, s57, v2
	v_addc_co_u32_e32 v3, vcc, v4, v3, vcc
	global_load_dwordx2 v[2:3], v[2:3], off
	v_mov_b32_e32 v4, 0
	v_mov_b32_e32 v5, v4
	;; [unrolled: 1-line block ×14, first 2 shown]
	s_or_b64 exec, exec, s[4:5]
	s_and_saveexec_b64 s[4:5], s[2:3]
	s_cbranch_execz .LBB155_36
.LBB155_72:
	v_mad_u64_u32 v[4:5], s[16:17], v1, s50, 0
	v_mov_b32_e32 v40, v5
	v_mad_u64_u32 v[40:41], s[16:17], v1, s51, v[40:41]
	v_mov_b32_e32 v5, v40
	v_lshlrev_b64 v[4:5], 3, v[4:5]
	v_mov_b32_e32 v1, s58
	v_add_co_u32_e32 v4, vcc, s57, v4
	v_addc_co_u32_e32 v5, vcc, v1, v5, vcc
	global_load_dwordx2 v[4:5], v[4:5], off
	s_or_b64 exec, exec, s[4:5]
	s_and_saveexec_b64 s[4:5], s[46:47]
	s_cbranch_execz .LBB155_37
.LBB155_73:
	v_mad_u64_u32 v[6:7], s[16:17], v34, s50, 0
	v_mov_b32_e32 v40, v7
	v_mad_u64_u32 v[40:41], s[16:17], v34, s51, v[40:41]
	v_mov_b32_e32 v7, v40
	v_lshlrev_b64 v[6:7], 3, v[6:7]
	v_mov_b32_e32 v1, s58
	v_add_co_u32_e32 v6, vcc, s57, v6
	v_addc_co_u32_e32 v7, vcc, v1, v7, vcc
	global_load_dwordx2 v[6:7], v[6:7], off
	s_or_b64 exec, exec, s[4:5]
	s_and_saveexec_b64 s[4:5], s[6:7]
	s_cbranch_execz .LBB155_38
.LBB155_74:
	v_mad_u64_u32 v[8:9], s[16:17], v35, s50, 0
	v_mov_b32_e32 v34, v9
	v_mad_u64_u32 v[34:35], s[16:17], v35, s51, v[34:35]
	v_mov_b32_e32 v9, v34
	v_lshlrev_b64 v[8:9], 3, v[8:9]
	v_mov_b32_e32 v1, s58
	v_add_co_u32_e32 v8, vcc, s57, v8
	v_addc_co_u32_e32 v9, vcc, v1, v9, vcc
	global_load_dwordx2 v[8:9], v[8:9], off
	s_or_b64 exec, exec, s[4:5]
	s_and_saveexec_b64 s[4:5], s[8:9]
	s_cbranch_execz .LBB155_39
.LBB155_75:
	v_mad_u64_u32 v[10:11], s[16:17], v36, s50, 0
	v_mov_b32_e32 v34, v11
	v_mad_u64_u32 v[34:35], s[16:17], v36, s51, v[34:35]
	v_mov_b32_e32 v11, v34
	v_lshlrev_b64 v[10:11], 3, v[10:11]
	v_mov_b32_e32 v1, s58
	v_add_co_u32_e32 v10, vcc, s57, v10
	v_addc_co_u32_e32 v11, vcc, v1, v11, vcc
	global_load_dwordx2 v[10:11], v[10:11], off
	s_or_b64 exec, exec, s[4:5]
	s_and_saveexec_b64 s[4:5], s[10:11]
	s_cbranch_execz .LBB155_40
.LBB155_76:
	v_mad_u64_u32 v[12:13], s[16:17], v37, s50, 0
	v_mov_b32_e32 v34, v13
	v_mad_u64_u32 v[34:35], s[16:17], v37, s51, v[34:35]
	v_mov_b32_e32 v13, v34
	v_lshlrev_b64 v[12:13], 3, v[12:13]
	v_mov_b32_e32 v1, s58
	v_add_co_u32_e32 v12, vcc, s57, v12
	v_addc_co_u32_e32 v13, vcc, v1, v13, vcc
	global_load_dwordx2 v[12:13], v[12:13], off
	s_or_b64 exec, exec, s[4:5]
	s_and_saveexec_b64 s[4:5], s[12:13]
	s_cbranch_execz .LBB155_41
.LBB155_77:
	v_mad_u64_u32 v[14:15], s[16:17], v38, s50, 0
	v_mov_b32_e32 v34, v15
	v_mad_u64_u32 v[34:35], s[16:17], v38, s51, v[34:35]
	v_mov_b32_e32 v15, v34
	v_lshlrev_b64 v[14:15], 3, v[14:15]
	v_mov_b32_e32 v1, s58
	v_add_co_u32_e32 v14, vcc, s57, v14
	v_addc_co_u32_e32 v15, vcc, v1, v15, vcc
	global_load_dwordx2 v[14:15], v[14:15], off
	s_or_b64 exec, exec, s[4:5]
	s_xor_b64 s[4:5], s[34:35], -1
	s_and_saveexec_b64 s[16:17], s[14:15]
	s_cbranch_execnz .LBB155_42
	s_branch .LBB155_43
.LBB155_78:
                                        ; implicit-def: $vgpr64_vgpr65
                                        ; implicit-def: $vgpr60_vgpr61
                                        ; implicit-def: $vgpr56_vgpr57
                                        ; implicit-def: $vgpr52_vgpr53
                                        ; implicit-def: $vgpr48_vgpr49
                                        ; implicit-def: $vgpr44_vgpr45
                                        ; implicit-def: $vgpr40_vgpr41
                                        ; implicit-def: $vgpr36_vgpr37
	s_cbranch_execz .LBB155_106
; %bb.79:
	v_xor_b32_e32 v1, 0x7fffffff, v31
	v_xor_b32_e32 v0, -1, v30
	v_xor_b32_e32 v31, 0x7fffffff, v33
	v_xor_b32_e32 v30, -1, v32
	;; [unrolled: 2-line block ×8, first 2 shown]
	ds_write2_b64 v123, v[0:1], v[30:31] offset1:1
	ds_write2_b64 v123, v[26:27], v[28:29] offset0:2 offset1:3
	ds_write2_b64 v123, v[22:23], v[24:25] offset0:4 offset1:5
	;; [unrolled: 1-line block ×3, first 2 shown]
	; wave barrier
	ds_read2st64_b64 v[18:21], v122 offset1:1
	ds_read2st64_b64 v[22:25], v122 offset0:2 offset1:3
	ds_read2st64_b64 v[26:29], v122 offset0:4 offset1:5
	;; [unrolled: 1-line block ×3, first 2 shown]
	; wave barrier
	ds_write2_b64 v123, v[14:15], v[16:17] offset1:1
	ds_write2_b64 v123, v[10:11], v[12:13] offset0:2 offset1:3
	ds_write2_b64 v123, v[6:7], v[8:9] offset0:4 offset1:5
	ds_write2_b64 v123, v[2:3], v[4:5] offset0:6 offset1:7
	; wave barrier
	ds_read2st64_b64 v[0:3], v122 offset1:1
	ds_read2st64_b64 v[4:7], v122 offset0:2 offset1:3
	ds_read2st64_b64 v[8:11], v122 offset0:4 offset1:5
	ds_read2st64_b64 v[12:15], v122 offset0:6 offset1:7
	s_waitcnt lgkmcnt(0)
	s_barrier
	s_load_dword s16, s[52:53], 0xc
	s_getpc_b64 s[4:5]
	s_add_u32 s4, s4, _ZN7rocprim17ROCPRIM_400000_NS16block_radix_sortIlLj512ELj8ElLj1ELj1ELj0ELNS0_26block_radix_rank_algorithmE1ELNS0_18block_padding_hintE2ELNS0_4arch9wavefront6targetE1EE19radix_bits_per_passE@rel32@lo+4
	s_addc_u32 s5, s5, _ZN7rocprim17ROCPRIM_400000_NS16block_radix_sortIlLj512ELj8ElLj1ELj1ELj0ELNS0_26block_radix_rank_algorithmE1ELNS0_18block_padding_hintE2ELNS0_4arch9wavefront6targetE1EE19radix_bits_per_passE@rel32@hi+12
	s_load_dword s54, s[4:5], 0x0
	v_cmp_lt_i32_e32 vcc, v115, v117
	v_and_b32_e32 v71, 60, v116
	s_waitcnt lgkmcnt(0)
	s_lshr_b32 s4, s16, 16
	s_and_b32 s5, s16, 0xffff
	v_mad_u32_u24 v16, v121, s4, v120
	v_mad_u64_u32 v[16:17], s[4:5], v16, s5, v[66:67]
	v_lshrrev_b32_e32 v69, 6, v16
	v_min_u32_e32 v16, 0x1c0, v112
	v_or_b32_e32 v16, 63, v16
	v_cmp_eq_u32_e64 s[28:29], v16, v66
	v_cndmask_b32_e32 v16, v115, v111, vcc
	v_add_u32_e32 v68, 32, v110
	v_cmp_eq_u32_e64 s[16:17], 0, v118
	v_cmp_lt_u32_e64 s[18:19], 1, v118
	v_cmp_lt_u32_e64 s[20:21], 3, v118
	;; [unrolled: 1-line block ×3, first 2 shown]
	v_cmp_eq_u32_e64 s[24:25], 0, v119
	v_cmp_lt_u32_e64 s[26:27], 31, v111
	v_cmp_gt_u32_e64 s[30:31], 8, v66
	v_cmp_lt_u32_e64 s[34:35], 63, v66
	s_mov_b32 s55, 64
	v_lshlrev_b32_e32 v70, 2, v16
	v_cmp_eq_u32_e64 s[36:37], 0, v111
	v_cmp_eq_u32_e64 s[38:39], 0, v66
	;; [unrolled: 1-line block ×3, first 2 shown]
	v_cmp_lt_u32_e64 s[42:43], 1, v114
	v_cmp_lt_u32_e64 s[44:45], 3, v114
	v_add_u32_e32 v72, -4, v71
	v_lshlrev_b32_e32 v73, 3, v113
	s_mov_b64 s[52:53], 0
	v_mov_b32_e32 v42, 0
	s_branch .LBB155_81
.LBB155_80:                             ;   in Loop: Header=BB155_81 Depth=1
	v_lshlrev_b32_e32 v0, 3, v80
	v_lshlrev_b32_e32 v1, 3, v79
	;; [unrolled: 1-line block ×8, first 2 shown]
	s_barrier
	ds_write_b64 v0, v[64:65]
	ds_write_b64 v1, v[62:63]
	;; [unrolled: 1-line block ×8, first 2 shown]
	s_waitcnt lgkmcnt(0)
	s_barrier
	ds_read2st64_b64 v[18:21], v73 offset1:1
	ds_read2st64_b64 v[22:25], v73 offset0:2 offset1:3
	ds_read2st64_b64 v[26:29], v73 offset0:4 offset1:5
	;; [unrolled: 1-line block ×3, first 2 shown]
	s_waitcnt lgkmcnt(0)
	s_barrier
	ds_write_b64 v0, v[50:51]
	ds_write_b64 v1, v[48:49]
	;; [unrolled: 1-line block ×8, first 2 shown]
	s_waitcnt lgkmcnt(0)
	s_barrier
	ds_read2st64_b64 v[0:3], v73 offset1:1
	ds_read2st64_b64 v[4:7], v73 offset0:2 offset1:3
	ds_read2st64_b64 v[8:11], v73 offset0:4 offset1:5
	;; [unrolled: 1-line block ×3, first 2 shown]
	s_add_u32 s52, s52, 8
	s_addc_u32 s53, s53, 0
	s_add_i32 s55, s55, -8
	s_waitcnt lgkmcnt(0)
	s_barrier
	s_cbranch_execz .LBB155_105
.LBB155_81:                             ; =>This Inner Loop Header: Depth=1
	s_min_u32 s4, s54, s55
	v_pk_mov_b32 v[64:65], v[18:19], v[18:19] op_sel:[0,1]
	s_lshl_b32 s4, -1, s4
	v_pk_mov_b32 v[50:51], v[0:1], v[0:1] op_sel:[0,1]
	s_not_b32 s59, s4
	v_lshrrev_b64 v[0:1], s52, v[64:65]
	v_and_b32_e32 v0, s59, v0
	v_lshl_add_u32 v1, v0, 3, v69
	v_pk_mov_b32 v[44:45], v[4:5], v[4:5] op_sel:[0,1]
	v_lshl_add_u32 v4, v1, 2, 32
	v_and_b32_e32 v1, 1, v0
	v_pk_mov_b32 v[48:49], v[2:3], v[2:3] op_sel:[0,1]
	v_add_co_u32_e32 v2, vcc, -1, v1
	v_addc_co_u32_e64 v3, s[4:5], 0, -1, vcc
	v_cmp_ne_u32_e32 vcc, 0, v1
	v_lshlrev_b32_e32 v43, 30, v0
	v_xor_b32_e32 v1, vcc_hi, v3
	v_not_b32_e32 v3, v43
	v_xor_b32_e32 v2, vcc_lo, v2
	v_cmp_gt_i64_e32 vcc, 0, v[42:43]
	v_ashrrev_i32_e32 v3, 31, v3
	v_and_b32_e32 v2, exec_lo, v2
	v_xor_b32_e32 v5, vcc_hi, v3
	v_xor_b32_e32 v3, vcc_lo, v3
	v_lshlrev_b32_e32 v43, 29, v0
	v_and_b32_e32 v2, v2, v3
	v_not_b32_e32 v3, v43
	v_and_b32_e32 v1, exec_hi, v1
	v_cmp_gt_i64_e32 vcc, 0, v[42:43]
	v_ashrrev_i32_e32 v3, 31, v3
	v_and_b32_e32 v1, v1, v5
	v_xor_b32_e32 v5, vcc_hi, v3
	v_xor_b32_e32 v3, vcc_lo, v3
	v_lshlrev_b32_e32 v43, 28, v0
	v_and_b32_e32 v2, v2, v3
	v_not_b32_e32 v3, v43
	v_cmp_gt_i64_e32 vcc, 0, v[42:43]
	v_ashrrev_i32_e32 v3, 31, v3
	v_and_b32_e32 v1, v1, v5
	v_xor_b32_e32 v5, vcc_hi, v3
	v_xor_b32_e32 v3, vcc_lo, v3
	v_lshlrev_b32_e32 v43, 27, v0
	v_and_b32_e32 v2, v2, v3
	v_not_b32_e32 v3, v43
	;; [unrolled: 8-line block ×3, first 2 shown]
	v_cmp_gt_i64_e32 vcc, 0, v[42:43]
	v_ashrrev_i32_e32 v3, 31, v3
	v_and_b32_e32 v1, v1, v5
	v_xor_b32_e32 v5, vcc_hi, v3
	v_xor_b32_e32 v3, vcc_lo, v3
	v_lshlrev_b32_e32 v43, 25, v0
	v_and_b32_e32 v2, v2, v3
	v_cmp_gt_i64_e32 vcc, 0, v[42:43]
	v_not_b32_e32 v3, v43
	v_lshlrev_b32_e32 v43, 24, v0
	v_ashrrev_i32_e32 v3, 31, v3
	v_not_b32_e32 v0, v43
	v_and_b32_e32 v1, v1, v5
	v_xor_b32_e32 v5, vcc_hi, v3
	v_xor_b32_e32 v3, vcc_lo, v3
	v_cmp_gt_i64_e32 vcc, 0, v[42:43]
	v_ashrrev_i32_e32 v0, 31, v0
	v_and_b32_e32 v2, v2, v3
	v_xor_b32_e32 v3, vcc_hi, v0
	v_xor_b32_e32 v0, vcc_lo, v0
	v_and_b32_e32 v1, v1, v5
	v_and_b32_e32 v0, v2, v0
	v_and_b32_e32 v1, v1, v3
	v_mbcnt_lo_u32_b32 v2, v0, 0
	v_mbcnt_hi_u32_b32 v5, v1, v2
	v_cmp_eq_u32_e32 vcc, 0, v5
	v_cmp_ne_u64_e64 s[4:5], 0, v[0:1]
	v_pk_mov_b32 v[46:47], v[32:33], v[32:33] op_sel:[0,1]
	v_pk_mov_b32 v[52:53], v[30:31], v[30:31] op_sel:[0,1]
	;; [unrolled: 1-line block ×12, first 2 shown]
	s_and_b64 s[60:61], s[4:5], vcc
	ds_write2_b32 v110, v42, v42 offset0:8 offset1:9
	ds_write2_b32 v68, v42, v42 offset0:2 offset1:3
	s_waitcnt lgkmcnt(0)
	s_barrier
	s_waitcnt lgkmcnt(0)
	; wave barrier
	s_and_saveexec_b64 s[4:5], s[60:61]
	s_cbranch_execz .LBB155_83
; %bb.82:                               ;   in Loop: Header=BB155_81 Depth=1
	v_bcnt_u32_b32 v0, v0, 0
	v_bcnt_u32_b32 v0, v1, v0
	ds_write_b32 v4, v0
.LBB155_83:                             ;   in Loop: Header=BB155_81 Depth=1
	s_or_b64 exec, exec, s[4:5]
	v_lshrrev_b64 v[0:1], s52, v[62:63]
	v_and_b32_e32 v0, s59, v0
	v_lshlrev_b32_e32 v1, 3, v0
	v_add_lshl_u32 v1, v1, v69, 2
	; wave barrier
	v_add_u32_e32 v7, 32, v1
	ds_read_b32 v6, v1 offset:32
	v_and_b32_e32 v1, 1, v0
	v_add_co_u32_e32 v2, vcc, -1, v1
	v_addc_co_u32_e64 v3, s[4:5], 0, -1, vcc
	v_cmp_ne_u32_e32 vcc, 0, v1
	v_lshlrev_b32_e32 v43, 30, v0
	v_xor_b32_e32 v1, vcc_hi, v3
	v_not_b32_e32 v3, v43
	v_xor_b32_e32 v2, vcc_lo, v2
	v_cmp_gt_i64_e32 vcc, 0, v[42:43]
	v_ashrrev_i32_e32 v3, 31, v3
	v_and_b32_e32 v2, exec_lo, v2
	v_xor_b32_e32 v8, vcc_hi, v3
	v_xor_b32_e32 v3, vcc_lo, v3
	v_lshlrev_b32_e32 v43, 29, v0
	v_and_b32_e32 v2, v2, v3
	v_not_b32_e32 v3, v43
	v_and_b32_e32 v1, exec_hi, v1
	v_cmp_gt_i64_e32 vcc, 0, v[42:43]
	v_ashrrev_i32_e32 v3, 31, v3
	v_and_b32_e32 v1, v1, v8
	v_xor_b32_e32 v8, vcc_hi, v3
	v_xor_b32_e32 v3, vcc_lo, v3
	v_lshlrev_b32_e32 v43, 28, v0
	v_and_b32_e32 v2, v2, v3
	v_not_b32_e32 v3, v43
	v_cmp_gt_i64_e32 vcc, 0, v[42:43]
	v_ashrrev_i32_e32 v3, 31, v3
	v_and_b32_e32 v1, v1, v8
	v_xor_b32_e32 v8, vcc_hi, v3
	v_xor_b32_e32 v3, vcc_lo, v3
	v_lshlrev_b32_e32 v43, 27, v0
	v_and_b32_e32 v2, v2, v3
	v_not_b32_e32 v3, v43
	;; [unrolled: 8-line block ×3, first 2 shown]
	v_cmp_gt_i64_e32 vcc, 0, v[42:43]
	v_ashrrev_i32_e32 v3, 31, v3
	v_and_b32_e32 v1, v1, v8
	v_xor_b32_e32 v8, vcc_hi, v3
	v_xor_b32_e32 v3, vcc_lo, v3
	v_lshlrev_b32_e32 v43, 25, v0
	v_and_b32_e32 v2, v2, v3
	v_cmp_gt_i64_e32 vcc, 0, v[42:43]
	v_not_b32_e32 v3, v43
	v_lshlrev_b32_e32 v43, 24, v0
	v_ashrrev_i32_e32 v3, 31, v3
	v_not_b32_e32 v0, v43
	v_and_b32_e32 v1, v1, v8
	v_xor_b32_e32 v8, vcc_hi, v3
	v_xor_b32_e32 v3, vcc_lo, v3
	v_cmp_gt_i64_e32 vcc, 0, v[42:43]
	v_ashrrev_i32_e32 v0, 31, v0
	v_and_b32_e32 v2, v2, v3
	v_xor_b32_e32 v3, vcc_hi, v0
	v_xor_b32_e32 v0, vcc_lo, v0
	v_and_b32_e32 v1, v1, v8
	v_and_b32_e32 v0, v2, v0
	;; [unrolled: 1-line block ×3, first 2 shown]
	v_mbcnt_lo_u32_b32 v2, v0, 0
	v_mbcnt_hi_u32_b32 v8, v1, v2
	v_cmp_eq_u32_e32 vcc, 0, v8
	v_cmp_ne_u64_e64 s[4:5], 0, v[0:1]
	s_and_b64 s[60:61], s[4:5], vcc
	; wave barrier
	s_and_saveexec_b64 s[4:5], s[60:61]
	s_cbranch_execz .LBB155_85
; %bb.84:                               ;   in Loop: Header=BB155_81 Depth=1
	v_bcnt_u32_b32 v0, v0, 0
	v_bcnt_u32_b32 v0, v1, v0
	s_waitcnt lgkmcnt(0)
	v_add_u32_e32 v0, v6, v0
	ds_write_b32 v7, v0
.LBB155_85:                             ;   in Loop: Header=BB155_81 Depth=1
	s_or_b64 exec, exec, s[4:5]
	v_lshrrev_b64 v[0:1], s52, v[60:61]
	v_and_b32_e32 v0, s59, v0
	v_lshlrev_b32_e32 v1, 3, v0
	v_add_lshl_u32 v1, v1, v69, 2
	; wave barrier
	v_add_u32_e32 v10, 32, v1
	ds_read_b32 v9, v1 offset:32
	v_and_b32_e32 v1, 1, v0
	v_add_co_u32_e32 v2, vcc, -1, v1
	v_addc_co_u32_e64 v3, s[4:5], 0, -1, vcc
	v_cmp_ne_u32_e32 vcc, 0, v1
	v_lshlrev_b32_e32 v43, 30, v0
	v_xor_b32_e32 v1, vcc_hi, v3
	v_not_b32_e32 v3, v43
	v_xor_b32_e32 v2, vcc_lo, v2
	v_cmp_gt_i64_e32 vcc, 0, v[42:43]
	v_ashrrev_i32_e32 v3, 31, v3
	v_and_b32_e32 v2, exec_lo, v2
	v_xor_b32_e32 v11, vcc_hi, v3
	v_xor_b32_e32 v3, vcc_lo, v3
	v_lshlrev_b32_e32 v43, 29, v0
	v_and_b32_e32 v2, v2, v3
	v_not_b32_e32 v3, v43
	v_and_b32_e32 v1, exec_hi, v1
	v_cmp_gt_i64_e32 vcc, 0, v[42:43]
	v_ashrrev_i32_e32 v3, 31, v3
	v_and_b32_e32 v1, v1, v11
	v_xor_b32_e32 v11, vcc_hi, v3
	v_xor_b32_e32 v3, vcc_lo, v3
	v_lshlrev_b32_e32 v43, 28, v0
	v_and_b32_e32 v2, v2, v3
	v_not_b32_e32 v3, v43
	v_cmp_gt_i64_e32 vcc, 0, v[42:43]
	v_ashrrev_i32_e32 v3, 31, v3
	v_and_b32_e32 v1, v1, v11
	v_xor_b32_e32 v11, vcc_hi, v3
	v_xor_b32_e32 v3, vcc_lo, v3
	v_lshlrev_b32_e32 v43, 27, v0
	v_and_b32_e32 v2, v2, v3
	v_not_b32_e32 v3, v43
	v_cmp_gt_i64_e32 vcc, 0, v[42:43]
	v_ashrrev_i32_e32 v3, 31, v3
	v_and_b32_e32 v1, v1, v11
	v_xor_b32_e32 v11, vcc_hi, v3
	v_xor_b32_e32 v3, vcc_lo, v3
	v_lshlrev_b32_e32 v43, 26, v0
	v_and_b32_e32 v2, v2, v3
	v_not_b32_e32 v3, v43
	v_cmp_gt_i64_e32 vcc, 0, v[42:43]
	v_ashrrev_i32_e32 v3, 31, v3
	v_and_b32_e32 v1, v1, v11
	v_xor_b32_e32 v11, vcc_hi, v3
	v_xor_b32_e32 v3, vcc_lo, v3
	v_lshlrev_b32_e32 v43, 25, v0
	v_and_b32_e32 v2, v2, v3
	v_cmp_gt_i64_e32 vcc, 0, v[42:43]
	v_not_b32_e32 v3, v43
	v_lshlrev_b32_e32 v43, 24, v0
	v_ashrrev_i32_e32 v3, 31, v3
	v_not_b32_e32 v0, v43
	v_and_b32_e32 v1, v1, v11
	v_xor_b32_e32 v11, vcc_hi, v3
	v_xor_b32_e32 v3, vcc_lo, v3
	v_cmp_gt_i64_e32 vcc, 0, v[42:43]
	v_ashrrev_i32_e32 v0, 31, v0
	v_and_b32_e32 v2, v2, v3
	v_xor_b32_e32 v3, vcc_hi, v0
	v_xor_b32_e32 v0, vcc_lo, v0
	v_and_b32_e32 v1, v1, v11
	v_and_b32_e32 v0, v2, v0
	;; [unrolled: 1-line block ×3, first 2 shown]
	v_mbcnt_lo_u32_b32 v2, v0, 0
	v_mbcnt_hi_u32_b32 v11, v1, v2
	v_cmp_eq_u32_e32 vcc, 0, v11
	v_cmp_ne_u64_e64 s[4:5], 0, v[0:1]
	s_and_b64 s[60:61], s[4:5], vcc
	; wave barrier
	s_and_saveexec_b64 s[4:5], s[60:61]
	s_cbranch_execz .LBB155_87
; %bb.86:                               ;   in Loop: Header=BB155_81 Depth=1
	v_bcnt_u32_b32 v0, v0, 0
	v_bcnt_u32_b32 v0, v1, v0
	s_waitcnt lgkmcnt(0)
	v_add_u32_e32 v0, v9, v0
	ds_write_b32 v10, v0
.LBB155_87:                             ;   in Loop: Header=BB155_81 Depth=1
	s_or_b64 exec, exec, s[4:5]
	v_lshrrev_b64 v[0:1], s52, v[58:59]
	v_and_b32_e32 v0, s59, v0
	v_lshlrev_b32_e32 v1, 3, v0
	v_add_lshl_u32 v1, v1, v69, 2
	; wave barrier
	v_add_u32_e32 v13, 32, v1
	ds_read_b32 v12, v1 offset:32
	v_and_b32_e32 v1, 1, v0
	v_add_co_u32_e32 v2, vcc, -1, v1
	v_addc_co_u32_e64 v3, s[4:5], 0, -1, vcc
	v_cmp_ne_u32_e32 vcc, 0, v1
	v_lshlrev_b32_e32 v43, 30, v0
	v_xor_b32_e32 v1, vcc_hi, v3
	v_not_b32_e32 v3, v43
	v_xor_b32_e32 v2, vcc_lo, v2
	v_cmp_gt_i64_e32 vcc, 0, v[42:43]
	v_ashrrev_i32_e32 v3, 31, v3
	v_and_b32_e32 v2, exec_lo, v2
	v_xor_b32_e32 v14, vcc_hi, v3
	v_xor_b32_e32 v3, vcc_lo, v3
	v_lshlrev_b32_e32 v43, 29, v0
	v_and_b32_e32 v2, v2, v3
	v_not_b32_e32 v3, v43
	v_and_b32_e32 v1, exec_hi, v1
	v_cmp_gt_i64_e32 vcc, 0, v[42:43]
	v_ashrrev_i32_e32 v3, 31, v3
	v_and_b32_e32 v1, v1, v14
	v_xor_b32_e32 v14, vcc_hi, v3
	v_xor_b32_e32 v3, vcc_lo, v3
	v_lshlrev_b32_e32 v43, 28, v0
	v_and_b32_e32 v2, v2, v3
	v_not_b32_e32 v3, v43
	v_cmp_gt_i64_e32 vcc, 0, v[42:43]
	v_ashrrev_i32_e32 v3, 31, v3
	v_and_b32_e32 v1, v1, v14
	v_xor_b32_e32 v14, vcc_hi, v3
	v_xor_b32_e32 v3, vcc_lo, v3
	v_lshlrev_b32_e32 v43, 27, v0
	v_and_b32_e32 v2, v2, v3
	v_not_b32_e32 v3, v43
	;; [unrolled: 8-line block ×3, first 2 shown]
	v_cmp_gt_i64_e32 vcc, 0, v[42:43]
	v_ashrrev_i32_e32 v3, 31, v3
	v_and_b32_e32 v1, v1, v14
	v_xor_b32_e32 v14, vcc_hi, v3
	v_xor_b32_e32 v3, vcc_lo, v3
	v_lshlrev_b32_e32 v43, 25, v0
	v_and_b32_e32 v2, v2, v3
	v_cmp_gt_i64_e32 vcc, 0, v[42:43]
	v_not_b32_e32 v3, v43
	v_lshlrev_b32_e32 v43, 24, v0
	v_ashrrev_i32_e32 v3, 31, v3
	v_not_b32_e32 v0, v43
	v_and_b32_e32 v1, v1, v14
	v_xor_b32_e32 v14, vcc_hi, v3
	v_xor_b32_e32 v3, vcc_lo, v3
	v_cmp_gt_i64_e32 vcc, 0, v[42:43]
	v_ashrrev_i32_e32 v0, 31, v0
	v_and_b32_e32 v2, v2, v3
	v_xor_b32_e32 v3, vcc_hi, v0
	v_xor_b32_e32 v0, vcc_lo, v0
	v_and_b32_e32 v1, v1, v14
	v_and_b32_e32 v0, v2, v0
	;; [unrolled: 1-line block ×3, first 2 shown]
	v_mbcnt_lo_u32_b32 v2, v0, 0
	v_mbcnt_hi_u32_b32 v14, v1, v2
	v_cmp_eq_u32_e32 vcc, 0, v14
	v_cmp_ne_u64_e64 s[4:5], 0, v[0:1]
	s_and_b64 s[60:61], s[4:5], vcc
	; wave barrier
	s_and_saveexec_b64 s[4:5], s[60:61]
	s_cbranch_execz .LBB155_89
; %bb.88:                               ;   in Loop: Header=BB155_81 Depth=1
	v_bcnt_u32_b32 v0, v0, 0
	v_bcnt_u32_b32 v0, v1, v0
	s_waitcnt lgkmcnt(0)
	v_add_u32_e32 v0, v12, v0
	ds_write_b32 v13, v0
.LBB155_89:                             ;   in Loop: Header=BB155_81 Depth=1
	s_or_b64 exec, exec, s[4:5]
	v_lshrrev_b64 v[0:1], s52, v[56:57]
	v_and_b32_e32 v0, s59, v0
	v_lshlrev_b32_e32 v1, 3, v0
	v_add_lshl_u32 v1, v1, v69, 2
	; wave barrier
	v_add_u32_e32 v18, 32, v1
	ds_read_b32 v15, v1 offset:32
	v_and_b32_e32 v1, 1, v0
	v_add_co_u32_e32 v2, vcc, -1, v1
	v_addc_co_u32_e64 v3, s[4:5], 0, -1, vcc
	v_cmp_ne_u32_e32 vcc, 0, v1
	v_lshlrev_b32_e32 v43, 30, v0
	v_xor_b32_e32 v1, vcc_hi, v3
	v_not_b32_e32 v3, v43
	v_xor_b32_e32 v2, vcc_lo, v2
	v_cmp_gt_i64_e32 vcc, 0, v[42:43]
	v_ashrrev_i32_e32 v3, 31, v3
	v_and_b32_e32 v2, exec_lo, v2
	v_xor_b32_e32 v19, vcc_hi, v3
	v_xor_b32_e32 v3, vcc_lo, v3
	v_lshlrev_b32_e32 v43, 29, v0
	v_and_b32_e32 v2, v2, v3
	v_not_b32_e32 v3, v43
	v_and_b32_e32 v1, exec_hi, v1
	v_cmp_gt_i64_e32 vcc, 0, v[42:43]
	v_ashrrev_i32_e32 v3, 31, v3
	v_and_b32_e32 v1, v1, v19
	v_xor_b32_e32 v19, vcc_hi, v3
	v_xor_b32_e32 v3, vcc_lo, v3
	v_lshlrev_b32_e32 v43, 28, v0
	v_and_b32_e32 v2, v2, v3
	v_not_b32_e32 v3, v43
	v_cmp_gt_i64_e32 vcc, 0, v[42:43]
	v_ashrrev_i32_e32 v3, 31, v3
	v_and_b32_e32 v1, v1, v19
	v_xor_b32_e32 v19, vcc_hi, v3
	v_xor_b32_e32 v3, vcc_lo, v3
	v_lshlrev_b32_e32 v43, 27, v0
	v_and_b32_e32 v2, v2, v3
	v_not_b32_e32 v3, v43
	;; [unrolled: 8-line block ×3, first 2 shown]
	v_cmp_gt_i64_e32 vcc, 0, v[42:43]
	v_ashrrev_i32_e32 v3, 31, v3
	v_and_b32_e32 v1, v1, v19
	v_xor_b32_e32 v19, vcc_hi, v3
	v_xor_b32_e32 v3, vcc_lo, v3
	v_lshlrev_b32_e32 v43, 25, v0
	v_and_b32_e32 v2, v2, v3
	v_cmp_gt_i64_e32 vcc, 0, v[42:43]
	v_not_b32_e32 v3, v43
	v_lshlrev_b32_e32 v43, 24, v0
	v_ashrrev_i32_e32 v3, 31, v3
	v_not_b32_e32 v0, v43
	v_and_b32_e32 v1, v1, v19
	v_xor_b32_e32 v19, vcc_hi, v3
	v_xor_b32_e32 v3, vcc_lo, v3
	v_cmp_gt_i64_e32 vcc, 0, v[42:43]
	v_ashrrev_i32_e32 v0, 31, v0
	v_and_b32_e32 v2, v2, v3
	v_xor_b32_e32 v3, vcc_hi, v0
	v_xor_b32_e32 v0, vcc_lo, v0
	v_and_b32_e32 v1, v1, v19
	v_and_b32_e32 v0, v2, v0
	;; [unrolled: 1-line block ×3, first 2 shown]
	v_mbcnt_lo_u32_b32 v2, v0, 0
	v_mbcnt_hi_u32_b32 v19, v1, v2
	v_cmp_eq_u32_e32 vcc, 0, v19
	v_cmp_ne_u64_e64 s[4:5], 0, v[0:1]
	s_and_b64 s[60:61], s[4:5], vcc
	; wave barrier
	s_and_saveexec_b64 s[4:5], s[60:61]
	s_cbranch_execz .LBB155_91
; %bb.90:                               ;   in Loop: Header=BB155_81 Depth=1
	v_bcnt_u32_b32 v0, v0, 0
	v_bcnt_u32_b32 v0, v1, v0
	s_waitcnt lgkmcnt(0)
	v_add_u32_e32 v0, v15, v0
	ds_write_b32 v18, v0
.LBB155_91:                             ;   in Loop: Header=BB155_81 Depth=1
	s_or_b64 exec, exec, s[4:5]
	v_lshrrev_b64 v[0:1], s52, v[54:55]
	v_and_b32_e32 v0, s59, v0
	v_lshlrev_b32_e32 v1, 3, v0
	v_add_lshl_u32 v1, v1, v69, 2
	; wave barrier
	v_add_u32_e32 v21, 32, v1
	ds_read_b32 v20, v1 offset:32
	v_and_b32_e32 v1, 1, v0
	v_add_co_u32_e32 v2, vcc, -1, v1
	v_addc_co_u32_e64 v3, s[4:5], 0, -1, vcc
	v_cmp_ne_u32_e32 vcc, 0, v1
	v_lshlrev_b32_e32 v43, 30, v0
	v_xor_b32_e32 v1, vcc_hi, v3
	v_not_b32_e32 v3, v43
	v_xor_b32_e32 v2, vcc_lo, v2
	v_cmp_gt_i64_e32 vcc, 0, v[42:43]
	v_ashrrev_i32_e32 v3, 31, v3
	v_and_b32_e32 v2, exec_lo, v2
	v_xor_b32_e32 v22, vcc_hi, v3
	v_xor_b32_e32 v3, vcc_lo, v3
	v_lshlrev_b32_e32 v43, 29, v0
	v_and_b32_e32 v2, v2, v3
	v_not_b32_e32 v3, v43
	v_and_b32_e32 v1, exec_hi, v1
	v_cmp_gt_i64_e32 vcc, 0, v[42:43]
	v_ashrrev_i32_e32 v3, 31, v3
	v_and_b32_e32 v1, v1, v22
	v_xor_b32_e32 v22, vcc_hi, v3
	v_xor_b32_e32 v3, vcc_lo, v3
	v_lshlrev_b32_e32 v43, 28, v0
	v_and_b32_e32 v2, v2, v3
	v_not_b32_e32 v3, v43
	v_cmp_gt_i64_e32 vcc, 0, v[42:43]
	v_ashrrev_i32_e32 v3, 31, v3
	v_and_b32_e32 v1, v1, v22
	v_xor_b32_e32 v22, vcc_hi, v3
	v_xor_b32_e32 v3, vcc_lo, v3
	v_lshlrev_b32_e32 v43, 27, v0
	v_and_b32_e32 v2, v2, v3
	v_not_b32_e32 v3, v43
	;; [unrolled: 8-line block ×3, first 2 shown]
	v_cmp_gt_i64_e32 vcc, 0, v[42:43]
	v_ashrrev_i32_e32 v3, 31, v3
	v_and_b32_e32 v1, v1, v22
	v_xor_b32_e32 v22, vcc_hi, v3
	v_xor_b32_e32 v3, vcc_lo, v3
	v_lshlrev_b32_e32 v43, 25, v0
	v_and_b32_e32 v2, v2, v3
	v_cmp_gt_i64_e32 vcc, 0, v[42:43]
	v_not_b32_e32 v3, v43
	v_lshlrev_b32_e32 v43, 24, v0
	v_ashrrev_i32_e32 v3, 31, v3
	v_not_b32_e32 v0, v43
	v_and_b32_e32 v1, v1, v22
	v_xor_b32_e32 v22, vcc_hi, v3
	v_xor_b32_e32 v3, vcc_lo, v3
	v_cmp_gt_i64_e32 vcc, 0, v[42:43]
	v_ashrrev_i32_e32 v0, 31, v0
	v_and_b32_e32 v2, v2, v3
	v_xor_b32_e32 v3, vcc_hi, v0
	v_xor_b32_e32 v0, vcc_lo, v0
	v_and_b32_e32 v1, v1, v22
	v_and_b32_e32 v0, v2, v0
	;; [unrolled: 1-line block ×3, first 2 shown]
	v_mbcnt_lo_u32_b32 v2, v0, 0
	v_mbcnt_hi_u32_b32 v22, v1, v2
	v_cmp_eq_u32_e32 vcc, 0, v22
	v_cmp_ne_u64_e64 s[4:5], 0, v[0:1]
	s_and_b64 s[60:61], s[4:5], vcc
	; wave barrier
	s_and_saveexec_b64 s[4:5], s[60:61]
	s_cbranch_execz .LBB155_93
; %bb.92:                               ;   in Loop: Header=BB155_81 Depth=1
	v_bcnt_u32_b32 v0, v0, 0
	v_bcnt_u32_b32 v0, v1, v0
	s_waitcnt lgkmcnt(0)
	v_add_u32_e32 v0, v20, v0
	ds_write_b32 v21, v0
.LBB155_93:                             ;   in Loop: Header=BB155_81 Depth=1
	s_or_b64 exec, exec, s[4:5]
	v_lshrrev_b64 v[0:1], s52, v[52:53]
	v_and_b32_e32 v0, s59, v0
	v_lshlrev_b32_e32 v1, 3, v0
	v_add_lshl_u32 v1, v1, v69, 2
	; wave barrier
	v_add_u32_e32 v24, 32, v1
	ds_read_b32 v23, v1 offset:32
	v_and_b32_e32 v1, 1, v0
	v_add_co_u32_e32 v2, vcc, -1, v1
	v_addc_co_u32_e64 v3, s[4:5], 0, -1, vcc
	v_cmp_ne_u32_e32 vcc, 0, v1
	v_lshlrev_b32_e32 v43, 30, v0
	v_xor_b32_e32 v1, vcc_hi, v3
	v_not_b32_e32 v3, v43
	v_xor_b32_e32 v2, vcc_lo, v2
	v_cmp_gt_i64_e32 vcc, 0, v[42:43]
	v_ashrrev_i32_e32 v3, 31, v3
	v_and_b32_e32 v2, exec_lo, v2
	v_xor_b32_e32 v25, vcc_hi, v3
	v_xor_b32_e32 v3, vcc_lo, v3
	v_lshlrev_b32_e32 v43, 29, v0
	v_and_b32_e32 v2, v2, v3
	v_not_b32_e32 v3, v43
	v_and_b32_e32 v1, exec_hi, v1
	v_cmp_gt_i64_e32 vcc, 0, v[42:43]
	v_ashrrev_i32_e32 v3, 31, v3
	v_and_b32_e32 v1, v1, v25
	v_xor_b32_e32 v25, vcc_hi, v3
	v_xor_b32_e32 v3, vcc_lo, v3
	v_lshlrev_b32_e32 v43, 28, v0
	v_and_b32_e32 v2, v2, v3
	v_not_b32_e32 v3, v43
	v_cmp_gt_i64_e32 vcc, 0, v[42:43]
	v_ashrrev_i32_e32 v3, 31, v3
	v_and_b32_e32 v1, v1, v25
	v_xor_b32_e32 v25, vcc_hi, v3
	v_xor_b32_e32 v3, vcc_lo, v3
	v_lshlrev_b32_e32 v43, 27, v0
	v_and_b32_e32 v2, v2, v3
	v_not_b32_e32 v3, v43
	;; [unrolled: 8-line block ×3, first 2 shown]
	v_cmp_gt_i64_e32 vcc, 0, v[42:43]
	v_ashrrev_i32_e32 v3, 31, v3
	v_and_b32_e32 v1, v1, v25
	v_xor_b32_e32 v25, vcc_hi, v3
	v_xor_b32_e32 v3, vcc_lo, v3
	v_lshlrev_b32_e32 v43, 25, v0
	v_and_b32_e32 v2, v2, v3
	v_cmp_gt_i64_e32 vcc, 0, v[42:43]
	v_not_b32_e32 v3, v43
	v_lshlrev_b32_e32 v43, 24, v0
	v_ashrrev_i32_e32 v3, 31, v3
	v_not_b32_e32 v0, v43
	v_and_b32_e32 v1, v1, v25
	v_xor_b32_e32 v25, vcc_hi, v3
	v_xor_b32_e32 v3, vcc_lo, v3
	v_cmp_gt_i64_e32 vcc, 0, v[42:43]
	v_ashrrev_i32_e32 v0, 31, v0
	v_and_b32_e32 v2, v2, v3
	v_xor_b32_e32 v3, vcc_hi, v0
	v_xor_b32_e32 v0, vcc_lo, v0
	v_and_b32_e32 v1, v1, v25
	v_and_b32_e32 v0, v2, v0
	;; [unrolled: 1-line block ×3, first 2 shown]
	v_mbcnt_lo_u32_b32 v2, v0, 0
	v_mbcnt_hi_u32_b32 v25, v1, v2
	v_cmp_eq_u32_e32 vcc, 0, v25
	v_cmp_ne_u64_e64 s[4:5], 0, v[0:1]
	s_and_b64 s[60:61], s[4:5], vcc
	; wave barrier
	s_and_saveexec_b64 s[4:5], s[60:61]
	s_cbranch_execz .LBB155_95
; %bb.94:                               ;   in Loop: Header=BB155_81 Depth=1
	v_bcnt_u32_b32 v0, v0, 0
	v_bcnt_u32_b32 v0, v1, v0
	s_waitcnt lgkmcnt(0)
	v_add_u32_e32 v0, v23, v0
	ds_write_b32 v24, v0
.LBB155_95:                             ;   in Loop: Header=BB155_81 Depth=1
	s_or_b64 exec, exec, s[4:5]
	v_lshrrev_b64 v[0:1], s52, v[46:47]
	v_and_b32_e32 v0, s59, v0
	v_lshlrev_b32_e32 v1, 3, v0
	v_add_lshl_u32 v1, v1, v69, 2
	; wave barrier
	v_add_u32_e32 v27, 32, v1
	ds_read_b32 v26, v1 offset:32
	v_and_b32_e32 v1, 1, v0
	v_add_co_u32_e32 v2, vcc, -1, v1
	v_addc_co_u32_e64 v3, s[4:5], 0, -1, vcc
	v_cmp_ne_u32_e32 vcc, 0, v1
	v_lshlrev_b32_e32 v43, 30, v0
	v_xor_b32_e32 v1, vcc_hi, v3
	v_not_b32_e32 v3, v43
	v_xor_b32_e32 v2, vcc_lo, v2
	v_cmp_gt_i64_e32 vcc, 0, v[42:43]
	v_ashrrev_i32_e32 v3, 31, v3
	v_and_b32_e32 v2, exec_lo, v2
	v_xor_b32_e32 v28, vcc_hi, v3
	v_xor_b32_e32 v3, vcc_lo, v3
	v_lshlrev_b32_e32 v43, 29, v0
	v_and_b32_e32 v2, v2, v3
	v_not_b32_e32 v3, v43
	v_and_b32_e32 v1, exec_hi, v1
	v_cmp_gt_i64_e32 vcc, 0, v[42:43]
	v_ashrrev_i32_e32 v3, 31, v3
	v_and_b32_e32 v1, v1, v28
	v_xor_b32_e32 v28, vcc_hi, v3
	v_xor_b32_e32 v3, vcc_lo, v3
	v_lshlrev_b32_e32 v43, 28, v0
	v_and_b32_e32 v2, v2, v3
	v_not_b32_e32 v3, v43
	v_cmp_gt_i64_e32 vcc, 0, v[42:43]
	v_ashrrev_i32_e32 v3, 31, v3
	v_and_b32_e32 v1, v1, v28
	v_xor_b32_e32 v28, vcc_hi, v3
	v_xor_b32_e32 v3, vcc_lo, v3
	v_lshlrev_b32_e32 v43, 27, v0
	v_and_b32_e32 v2, v2, v3
	v_not_b32_e32 v3, v43
	;; [unrolled: 8-line block ×3, first 2 shown]
	v_cmp_gt_i64_e32 vcc, 0, v[42:43]
	v_ashrrev_i32_e32 v3, 31, v3
	v_and_b32_e32 v1, v1, v28
	v_xor_b32_e32 v28, vcc_hi, v3
	v_xor_b32_e32 v3, vcc_lo, v3
	v_lshlrev_b32_e32 v43, 25, v0
	v_and_b32_e32 v2, v2, v3
	v_cmp_gt_i64_e32 vcc, 0, v[42:43]
	v_not_b32_e32 v3, v43
	v_lshlrev_b32_e32 v43, 24, v0
	v_ashrrev_i32_e32 v3, 31, v3
	v_not_b32_e32 v0, v43
	v_and_b32_e32 v1, v1, v28
	v_xor_b32_e32 v28, vcc_hi, v3
	v_xor_b32_e32 v3, vcc_lo, v3
	v_cmp_gt_i64_e32 vcc, 0, v[42:43]
	v_ashrrev_i32_e32 v0, 31, v0
	v_and_b32_e32 v2, v2, v3
	v_xor_b32_e32 v3, vcc_hi, v0
	v_xor_b32_e32 v0, vcc_lo, v0
	v_and_b32_e32 v1, v1, v28
	v_and_b32_e32 v0, v2, v0
	;; [unrolled: 1-line block ×3, first 2 shown]
	v_mbcnt_lo_u32_b32 v2, v0, 0
	v_mbcnt_hi_u32_b32 v28, v1, v2
	v_cmp_eq_u32_e32 vcc, 0, v28
	v_cmp_ne_u64_e64 s[4:5], 0, v[0:1]
	s_and_b64 s[60:61], s[4:5], vcc
	; wave barrier
	s_and_saveexec_b64 s[4:5], s[60:61]
	s_cbranch_execz .LBB155_97
; %bb.96:                               ;   in Loop: Header=BB155_81 Depth=1
	v_bcnt_u32_b32 v0, v0, 0
	v_bcnt_u32_b32 v0, v1, v0
	s_waitcnt lgkmcnt(0)
	v_add_u32_e32 v0, v26, v0
	ds_write_b32 v27, v0
.LBB155_97:                             ;   in Loop: Header=BB155_81 Depth=1
	s_or_b64 exec, exec, s[4:5]
	; wave barrier
	s_waitcnt lgkmcnt(0)
	s_barrier
	ds_read2_b32 v[2:3], v110 offset0:8 offset1:9
	ds_read2_b32 v[0:1], v68 offset0:2 offset1:3
	s_waitcnt lgkmcnt(1)
	v_add_u32_e32 v29, v3, v2
	s_waitcnt lgkmcnt(0)
	v_add3_u32 v1, v29, v0, v1
	s_nop 1
	v_mov_b32_dpp v29, v1 row_shr:1 row_mask:0xf bank_mask:0xf
	v_cndmask_b32_e64 v29, v29, 0, s[16:17]
	v_add_u32_e32 v1, v29, v1
	s_nop 1
	v_mov_b32_dpp v29, v1 row_shr:2 row_mask:0xf bank_mask:0xf
	v_cndmask_b32_e64 v29, 0, v29, s[18:19]
	v_add_u32_e32 v1, v1, v29
	;; [unrolled: 4-line block ×4, first 2 shown]
	s_nop 1
	v_mov_b32_dpp v29, v1 row_bcast:15 row_mask:0xf bank_mask:0xf
	v_cndmask_b32_e64 v29, v29, 0, s[24:25]
	v_add_u32_e32 v1, v1, v29
	s_nop 1
	v_mov_b32_dpp v29, v1 row_bcast:31 row_mask:0xf bank_mask:0xf
	v_cndmask_b32_e64 v29, 0, v29, s[26:27]
	v_add_u32_e32 v1, v1, v29
	s_and_saveexec_b64 s[4:5], s[28:29]
	s_cbranch_execz .LBB155_99
; %bb.98:                               ;   in Loop: Header=BB155_81 Depth=1
	ds_write_b32 v71, v1
.LBB155_99:                             ;   in Loop: Header=BB155_81 Depth=1
	s_or_b64 exec, exec, s[4:5]
	s_waitcnt lgkmcnt(0)
	s_barrier
	s_and_saveexec_b64 s[4:5], s[30:31]
	s_cbranch_execz .LBB155_101
; %bb.100:                              ;   in Loop: Header=BB155_81 Depth=1
	ds_read_b32 v29, v109
	s_waitcnt lgkmcnt(0)
	s_nop 0
	v_mov_b32_dpp v30, v29 row_shr:1 row_mask:0xf bank_mask:0xf
	v_cndmask_b32_e64 v30, v30, 0, s[40:41]
	v_add_u32_e32 v29, v30, v29
	s_nop 1
	v_mov_b32_dpp v30, v29 row_shr:2 row_mask:0xf bank_mask:0xf
	v_cndmask_b32_e64 v30, 0, v30, s[42:43]
	v_add_u32_e32 v29, v29, v30
	;; [unrolled: 4-line block ×3, first 2 shown]
	ds_write_b32 v109, v29
.LBB155_101:                            ;   in Loop: Header=BB155_81 Depth=1
	s_or_b64 exec, exec, s[4:5]
	v_mov_b32_e32 v29, 0
	s_waitcnt lgkmcnt(0)
	s_barrier
	s_and_saveexec_b64 s[4:5], s[34:35]
	s_cbranch_execz .LBB155_103
; %bb.102:                              ;   in Loop: Header=BB155_81 Depth=1
	ds_read_b32 v29, v72
.LBB155_103:                            ;   in Loop: Header=BB155_81 Depth=1
	s_or_b64 exec, exec, s[4:5]
	s_waitcnt lgkmcnt(0)
	v_add_u32_e32 v1, v29, v1
	ds_bpermute_b32 v1, v70, v1
	s_cmp_gt_u32 s52, 55
	s_waitcnt lgkmcnt(0)
	v_cndmask_b32_e64 v1, v1, v29, s[36:37]
	v_cndmask_b32_e64 v1, v1, 0, s[38:39]
	v_add_u32_e32 v2, v1, v2
	v_add_u32_e32 v3, v2, v3
	;; [unrolled: 1-line block ×3, first 2 shown]
	ds_write2_b32 v110, v1, v2 offset0:8 offset1:9
	ds_write2_b32 v68, v3, v0 offset0:2 offset1:3
	s_waitcnt lgkmcnt(0)
	s_barrier
	ds_read_b32 v0, v4
	ds_read_b32 v1, v7
	;; [unrolled: 1-line block ×8, first 2 shown]
	s_waitcnt lgkmcnt(7)
	v_add_u32_e32 v80, v0, v5
	s_waitcnt lgkmcnt(6)
	v_add3_u32 v79, v8, v6, v1
	s_waitcnt lgkmcnt(5)
	v_add3_u32 v78, v11, v9, v2
	;; [unrolled: 2-line block ×7, first 2 shown]
	s_cbranch_scc0 .LBB155_80
; %bb.104:
                                        ; implicit-def: $vgpr32_vgpr33
                                        ; implicit-def: $vgpr28_vgpr29
                                        ; implicit-def: $vgpr24_vgpr25
                                        ; implicit-def: $vgpr20_vgpr21
                                        ; implicit-def: $vgpr14_vgpr15
                                        ; implicit-def: $vgpr10_vgpr11
                                        ; implicit-def: $vgpr6_vgpr7
                                        ; implicit-def: $vgpr2_vgpr3
                                        ; implicit-def: $sgpr52_sgpr53
                                        ; implicit-def: $sgpr55
.LBB155_105:
	v_lshlrev_b32_e32 v18, 3, v80
	v_lshlrev_b32_e32 v19, 3, v79
	;; [unrolled: 1-line block ×9, first 2 shown]
	s_barrier
	ds_write_b64 v18, v[64:65]
	ds_write_b64 v19, v[62:63]
	;; [unrolled: 1-line block ×8, first 2 shown]
	s_waitcnt lgkmcnt(0)
	s_barrier
	ds_read2_b64 v[0:3], v26 offset1:1
	ds_read2_b64 v[4:7], v26 offset0:2 offset1:3
	ds_read2_b64 v[8:11], v26 offset0:4 offset1:5
	;; [unrolled: 1-line block ×3, first 2 shown]
	s_waitcnt lgkmcnt(0)
	s_barrier
	ds_write_b64 v18, v[50:51]
	ds_write_b64 v19, v[48:49]
	;; [unrolled: 1-line block ×8, first 2 shown]
	s_waitcnt lgkmcnt(0)
	s_barrier
	ds_read2_b64 v[34:37], v26 offset1:1
	ds_read2_b64 v[38:41], v26 offset0:2 offset1:3
	ds_read2_b64 v[42:45], v26 offset0:4 offset1:5
	;; [unrolled: 1-line block ×3, first 2 shown]
	v_xor_b32_e32 v51, 0x7fffffff, v1
	v_xor_b32_e32 v50, -1, v0
	v_xor_b32_e32 v53, 0x7fffffff, v3
	v_xor_b32_e32 v52, -1, v2
	;; [unrolled: 2-line block ×8, first 2 shown]
.LBB155_106:
	s_waitcnt lgkmcnt(0)
	s_barrier
	ds_write2_b64 v107, v[50:51], v[52:53] offset1:1
	ds_write2_b64 v107, v[54:55], v[56:57] offset0:2 offset1:3
	ds_write2_b64 v107, v[58:59], v[60:61] offset0:4 offset1:5
	;; [unrolled: 1-line block ×3, first 2 shown]
	s_waitcnt lgkmcnt(0)
	s_barrier
	ds_read_b64 v[14:15], v100 offset:4096
	ds_read_b64 v[12:13], v101 offset:8192
	;; [unrolled: 1-line block ×7, first 2 shown]
	v_mad_u64_u32 v[4:5], s[4:5], v66, s48, 0
	v_mov_b32_e32 v16, v5
	v_mad_u64_u32 v[16:17], s[4:5], v66, s49, v[16:17]
	v_mov_b32_e32 v5, v16
	v_lshlrev_b64 v[4:5], 3, v[4:5]
	v_mov_b32_e32 v16, s56
	v_add_co_u32_e32 v4, vcc, s33, v4
	v_addc_co_u32_e32 v5, vcc, v16, v5, vcc
	s_and_saveexec_b64 s[4:5], s[0:1]
	s_cbranch_execnz .LBB155_125
; %bb.107:
	s_or_b64 exec, exec, s[4:5]
	s_and_saveexec_b64 s[4:5], s[2:3]
	s_cbranch_execnz .LBB155_126
.LBB155_108:
	s_or_b64 exec, exec, s[4:5]
	s_and_saveexec_b64 s[4:5], s[46:47]
	s_cbranch_execnz .LBB155_127
.LBB155_109:
	s_or_b64 exec, exec, s[4:5]
	s_and_saveexec_b64 s[4:5], s[6:7]
	s_cbranch_execnz .LBB155_128
.LBB155_110:
	s_or_b64 exec, exec, s[4:5]
	s_and_saveexec_b64 s[4:5], s[8:9]
	s_cbranch_execnz .LBB155_129
.LBB155_111:
	s_or_b64 exec, exec, s[4:5]
	s_and_saveexec_b64 s[4:5], s[10:11]
	s_cbranch_execnz .LBB155_130
.LBB155_112:
	s_or_b64 exec, exec, s[4:5]
	s_and_saveexec_b64 s[4:5], s[12:13]
	s_cbranch_execnz .LBB155_131
.LBB155_113:
	s_or_b64 exec, exec, s[4:5]
	s_and_saveexec_b64 s[4:5], s[14:15]
	s_cbranch_execz .LBB155_115
.LBB155_114:
	s_waitcnt lgkmcnt(1)
	v_mov_b32_e32 v2, 0x7000
	v_mad_u64_u32 v[2:3], s[16:17], s48, v2, v[4:5]
	s_mul_i32 s16, s49, 0x7000
	v_add_u32_e32 v3, s16, v3
	s_waitcnt lgkmcnt(0)
	global_store_dwordx2 v[2:3], v[0:1], off
.LBB155_115:
	s_or_b64 exec, exec, s[4:5]
	s_waitcnt lgkmcnt(0)
	s_barrier
	ds_write2_b64 v107, v[34:35], v[36:37] offset1:1
	ds_write2_b64 v107, v[38:39], v[40:41] offset0:2 offset1:3
	ds_write2_b64 v107, v[42:43], v[44:45] offset0:4 offset1:5
	;; [unrolled: 1-line block ×3, first 2 shown]
	s_waitcnt lgkmcnt(0)
	s_barrier
	ds_read_b64 v[14:15], v100 offset:4096
	ds_read_b64 v[12:13], v101 offset:8192
	ds_read_b64 v[10:11], v102 offset:12288
	ds_read_b64 v[8:9], v103 offset:16384
	ds_read_b64 v[6:7], v104 offset:20480
	ds_read_b64 v[2:3], v105 offset:24576
	ds_read_b64 v[0:1], v106 offset:28672
	v_mad_u64_u32 v[4:5], s[4:5], v66, s50, 0
	v_mov_b32_e32 v16, v5
	v_mad_u64_u32 v[16:17], s[4:5], v66, s51, v[16:17]
	v_mov_b32_e32 v5, v16
	v_lshlrev_b64 v[4:5], 3, v[4:5]
	v_mov_b32_e32 v16, s58
	v_add_co_u32_e32 v4, vcc, s57, v4
	v_addc_co_u32_e32 v5, vcc, v16, v5, vcc
	s_and_saveexec_b64 s[4:5], s[0:1]
	s_cbranch_execnz .LBB155_132
; %bb.116:
	s_or_b64 exec, exec, s[4:5]
	s_and_saveexec_b64 s[0:1], s[2:3]
	s_cbranch_execnz .LBB155_133
.LBB155_117:
	s_or_b64 exec, exec, s[0:1]
	s_and_saveexec_b64 s[0:1], s[46:47]
	s_cbranch_execnz .LBB155_134
.LBB155_118:
	s_or_b64 exec, exec, s[0:1]
	s_and_saveexec_b64 s[0:1], s[6:7]
	s_cbranch_execnz .LBB155_135
.LBB155_119:
	s_or_b64 exec, exec, s[0:1]
	s_and_saveexec_b64 s[0:1], s[8:9]
	s_cbranch_execnz .LBB155_136
.LBB155_120:
	s_or_b64 exec, exec, s[0:1]
	s_and_saveexec_b64 s[0:1], s[10:11]
	s_cbranch_execnz .LBB155_137
.LBB155_121:
	s_or_b64 exec, exec, s[0:1]
	s_and_saveexec_b64 s[0:1], s[12:13]
	s_cbranch_execnz .LBB155_138
.LBB155_122:
	s_or_b64 exec, exec, s[0:1]
	s_and_saveexec_b64 s[0:1], s[14:15]
	s_cbranch_execz .LBB155_124
.LBB155_123:
	s_waitcnt lgkmcnt(1)
	v_mov_b32_e32 v2, 0x7000
	v_mad_u64_u32 v[2:3], s[0:1], s50, v2, v[4:5]
	s_mul_i32 s0, s51, 0x7000
	v_add_u32_e32 v3, s0, v3
	s_waitcnt lgkmcnt(0)
	global_store_dwordx2 v[2:3], v[0:1], off
.LBB155_124:
	s_endpgm
.LBB155_125:
	ds_read_b64 v[16:17], v67
	s_waitcnt lgkmcnt(0)
	global_store_dwordx2 v[4:5], v[16:17], off
	s_or_b64 exec, exec, s[4:5]
	s_and_saveexec_b64 s[4:5], s[2:3]
	s_cbranch_execz .LBB155_108
.LBB155_126:
	s_lshl_b64 s[16:17], s[48:49], 12
	v_mov_b32_e32 v17, s17
	v_add_co_u32_e32 v16, vcc, s16, v4
	v_addc_co_u32_e32 v17, vcc, v5, v17, vcc
	s_waitcnt lgkmcnt(6)
	global_store_dwordx2 v[16:17], v[14:15], off
	s_or_b64 exec, exec, s[4:5]
	s_and_saveexec_b64 s[4:5], s[46:47]
	s_cbranch_execz .LBB155_109
.LBB155_127:
	s_lshl_b64 s[16:17], s[48:49], 13
	s_waitcnt lgkmcnt(6)
	v_mov_b32_e32 v15, s17
	v_add_co_u32_e32 v14, vcc, s16, v4
	v_addc_co_u32_e32 v15, vcc, v5, v15, vcc
	s_waitcnt lgkmcnt(5)
	global_store_dwordx2 v[14:15], v[12:13], off
	s_or_b64 exec, exec, s[4:5]
	s_and_saveexec_b64 s[4:5], s[6:7]
	s_cbranch_execz .LBB155_110
.LBB155_128:
	s_waitcnt lgkmcnt(5)
	v_mov_b32_e32 v12, 0x3000
	v_mad_u64_u32 v[12:13], s[16:17], s48, v12, v[4:5]
	s_mul_i32 s16, s49, 0x3000
	v_add_u32_e32 v13, s16, v13
	s_waitcnt lgkmcnt(4)
	global_store_dwordx2 v[12:13], v[10:11], off
	s_or_b64 exec, exec, s[4:5]
	s_and_saveexec_b64 s[4:5], s[8:9]
	s_cbranch_execz .LBB155_111
.LBB155_129:
	s_lshl_b64 s[16:17], s[48:49], 14
	s_waitcnt lgkmcnt(4)
	v_mov_b32_e32 v11, s17
	v_add_co_u32_e32 v10, vcc, s16, v4
	v_addc_co_u32_e32 v11, vcc, v5, v11, vcc
	s_waitcnt lgkmcnt(3)
	global_store_dwordx2 v[10:11], v[8:9], off
	s_or_b64 exec, exec, s[4:5]
	s_and_saveexec_b64 s[4:5], s[10:11]
	s_cbranch_execz .LBB155_112
.LBB155_130:
	s_waitcnt lgkmcnt(3)
	v_mov_b32_e32 v8, 0x5000
	v_mad_u64_u32 v[8:9], s[16:17], s48, v8, v[4:5]
	s_mul_i32 s16, s49, 0x5000
	v_add_u32_e32 v9, s16, v9
	s_waitcnt lgkmcnt(2)
	global_store_dwordx2 v[8:9], v[6:7], off
	s_or_b64 exec, exec, s[4:5]
	s_and_saveexec_b64 s[4:5], s[12:13]
	s_cbranch_execz .LBB155_113
.LBB155_131:
	s_waitcnt lgkmcnt(2)
	v_mov_b32_e32 v6, 0x6000
	v_mad_u64_u32 v[6:7], s[16:17], s48, v6, v[4:5]
	s_mul_i32 s16, s49, 0x6000
	v_add_u32_e32 v7, s16, v7
	s_waitcnt lgkmcnt(1)
	global_store_dwordx2 v[6:7], v[2:3], off
	s_or_b64 exec, exec, s[4:5]
	s_and_saveexec_b64 s[4:5], s[14:15]
	s_cbranch_execnz .LBB155_114
	s_branch .LBB155_115
.LBB155_132:
	ds_read_b64 v[16:17], v67
	s_waitcnt lgkmcnt(0)
	global_store_dwordx2 v[4:5], v[16:17], off
	s_or_b64 exec, exec, s[4:5]
	s_and_saveexec_b64 s[0:1], s[2:3]
	s_cbranch_execz .LBB155_117
.LBB155_133:
	s_lshl_b64 s[2:3], s[50:51], 12
	v_mov_b32_e32 v17, s3
	v_add_co_u32_e32 v16, vcc, s2, v4
	v_addc_co_u32_e32 v17, vcc, v5, v17, vcc
	s_waitcnt lgkmcnt(6)
	global_store_dwordx2 v[16:17], v[14:15], off
	s_or_b64 exec, exec, s[0:1]
	s_and_saveexec_b64 s[0:1], s[46:47]
	s_cbranch_execz .LBB155_118
.LBB155_134:
	s_lshl_b64 s[2:3], s[50:51], 13
	s_waitcnt lgkmcnt(6)
	v_mov_b32_e32 v15, s3
	v_add_co_u32_e32 v14, vcc, s2, v4
	v_addc_co_u32_e32 v15, vcc, v5, v15, vcc
	s_waitcnt lgkmcnt(5)
	global_store_dwordx2 v[14:15], v[12:13], off
	s_or_b64 exec, exec, s[0:1]
	s_and_saveexec_b64 s[0:1], s[6:7]
	s_cbranch_execz .LBB155_119
.LBB155_135:
	s_waitcnt lgkmcnt(5)
	v_mov_b32_e32 v12, 0x3000
	v_mad_u64_u32 v[12:13], s[2:3], s50, v12, v[4:5]
	s_mul_i32 s2, s51, 0x3000
	v_add_u32_e32 v13, s2, v13
	s_waitcnt lgkmcnt(4)
	global_store_dwordx2 v[12:13], v[10:11], off
	s_or_b64 exec, exec, s[0:1]
	s_and_saveexec_b64 s[0:1], s[8:9]
	s_cbranch_execz .LBB155_120
.LBB155_136:
	s_lshl_b64 s[2:3], s[50:51], 14
	s_waitcnt lgkmcnt(4)
	v_mov_b32_e32 v11, s3
	v_add_co_u32_e32 v10, vcc, s2, v4
	v_addc_co_u32_e32 v11, vcc, v5, v11, vcc
	s_waitcnt lgkmcnt(3)
	global_store_dwordx2 v[10:11], v[8:9], off
	s_or_b64 exec, exec, s[0:1]
	s_and_saveexec_b64 s[0:1], s[10:11]
	s_cbranch_execz .LBB155_121
.LBB155_137:
	s_waitcnt lgkmcnt(3)
	v_mov_b32_e32 v8, 0x5000
	v_mad_u64_u32 v[8:9], s[2:3], s50, v8, v[4:5]
	s_mul_i32 s2, s51, 0x5000
	v_add_u32_e32 v9, s2, v9
	s_waitcnt lgkmcnt(2)
	global_store_dwordx2 v[8:9], v[6:7], off
	s_or_b64 exec, exec, s[0:1]
	s_and_saveexec_b64 s[0:1], s[12:13]
	s_cbranch_execz .LBB155_122
.LBB155_138:
	s_waitcnt lgkmcnt(2)
	v_mov_b32_e32 v6, 0x6000
	v_mad_u64_u32 v[6:7], s[2:3], s50, v6, v[4:5]
	s_mul_i32 s2, s51, 0x6000
	v_add_u32_e32 v7, s2, v7
	s_waitcnt lgkmcnt(1)
	global_store_dwordx2 v[6:7], v[2:3], off
	s_or_b64 exec, exec, s[0:1]
	s_and_saveexec_b64 s[0:1], s[14:15]
	s_cbranch_execnz .LBB155_123
	s_branch .LBB155_124
	.section	.rodata,"a",@progbits
	.p2align	6, 0x0
	.amdhsa_kernel _ZN2at6native18radixSortKVInPlaceILin1ELin1ELi512ELi8EllmEEvNS_4cuda6detail10TensorInfoIT3_T5_EES6_S6_S6_NS4_IT4_S6_EES6_b
		.amdhsa_group_segment_fixed_size 33792
		.amdhsa_private_segment_fixed_size 0
		.amdhsa_kernarg_size 1128
		.amdhsa_user_sgpr_count 6
		.amdhsa_user_sgpr_private_segment_buffer 1
		.amdhsa_user_sgpr_dispatch_ptr 0
		.amdhsa_user_sgpr_queue_ptr 0
		.amdhsa_user_sgpr_kernarg_segment_ptr 1
		.amdhsa_user_sgpr_dispatch_id 0
		.amdhsa_user_sgpr_flat_scratch_init 0
		.amdhsa_user_sgpr_kernarg_preload_length 0
		.amdhsa_user_sgpr_kernarg_preload_offset 0
		.amdhsa_user_sgpr_private_segment_size 0
		.amdhsa_uses_dynamic_stack 0
		.amdhsa_system_sgpr_private_segment_wavefront_offset 0
		.amdhsa_system_sgpr_workgroup_id_x 1
		.amdhsa_system_sgpr_workgroup_id_y 1
		.amdhsa_system_sgpr_workgroup_id_z 1
		.amdhsa_system_sgpr_workgroup_info 0
		.amdhsa_system_vgpr_workitem_id 2
		.amdhsa_next_free_vgpr 137
		.amdhsa_next_free_sgpr 64
		.amdhsa_accum_offset 140
		.amdhsa_reserve_vcc 1
		.amdhsa_reserve_flat_scratch 0
		.amdhsa_float_round_mode_32 0
		.amdhsa_float_round_mode_16_64 0
		.amdhsa_float_denorm_mode_32 3
		.amdhsa_float_denorm_mode_16_64 3
		.amdhsa_dx10_clamp 1
		.amdhsa_ieee_mode 1
		.amdhsa_fp16_overflow 0
		.amdhsa_tg_split 0
		.amdhsa_exception_fp_ieee_invalid_op 0
		.amdhsa_exception_fp_denorm_src 0
		.amdhsa_exception_fp_ieee_div_zero 0
		.amdhsa_exception_fp_ieee_overflow 0
		.amdhsa_exception_fp_ieee_underflow 0
		.amdhsa_exception_fp_ieee_inexact 0
		.amdhsa_exception_int_div_zero 0
	.end_amdhsa_kernel
	.section	.text._ZN2at6native18radixSortKVInPlaceILin1ELin1ELi512ELi8EllmEEvNS_4cuda6detail10TensorInfoIT3_T5_EES6_S6_S6_NS4_IT4_S6_EES6_b,"axG",@progbits,_ZN2at6native18radixSortKVInPlaceILin1ELin1ELi512ELi8EllmEEvNS_4cuda6detail10TensorInfoIT3_T5_EES6_S6_S6_NS4_IT4_S6_EES6_b,comdat
.Lfunc_end155:
	.size	_ZN2at6native18radixSortKVInPlaceILin1ELin1ELi512ELi8EllmEEvNS_4cuda6detail10TensorInfoIT3_T5_EES6_S6_S6_NS4_IT4_S6_EES6_b, .Lfunc_end155-_ZN2at6native18radixSortKVInPlaceILin1ELin1ELi512ELi8EllmEEvNS_4cuda6detail10TensorInfoIT3_T5_EES6_S6_S6_NS4_IT4_S6_EES6_b
                                        ; -- End function
	.section	.AMDGPU.csdata,"",@progbits
; Kernel info:
; codeLenInByte = 14752
; NumSgprs: 68
; NumVgprs: 137
; NumAgprs: 0
; TotalNumVgprs: 137
; ScratchSize: 0
; MemoryBound: 0
; FloatMode: 240
; IeeeMode: 1
; LDSByteSize: 33792 bytes/workgroup (compile time only)
; SGPRBlocks: 8
; VGPRBlocks: 17
; NumSGPRsForWavesPerEU: 68
; NumVGPRsForWavesPerEU: 137
; AccumOffset: 140
; Occupancy: 2
; WaveLimiterHint : 1
; COMPUTE_PGM_RSRC2:SCRATCH_EN: 0
; COMPUTE_PGM_RSRC2:USER_SGPR: 6
; COMPUTE_PGM_RSRC2:TRAP_HANDLER: 0
; COMPUTE_PGM_RSRC2:TGID_X_EN: 1
; COMPUTE_PGM_RSRC2:TGID_Y_EN: 1
; COMPUTE_PGM_RSRC2:TGID_Z_EN: 1
; COMPUTE_PGM_RSRC2:TIDIG_COMP_CNT: 2
; COMPUTE_PGM_RSRC3_GFX90A:ACCUM_OFFSET: 34
; COMPUTE_PGM_RSRC3_GFX90A:TG_SPLIT: 0
	.section	.text._ZN2at6native18radixSortKVInPlaceILin1ELin1ELi256ELi8EllmEEvNS_4cuda6detail10TensorInfoIT3_T5_EES6_S6_S6_NS4_IT4_S6_EES6_b,"axG",@progbits,_ZN2at6native18radixSortKVInPlaceILin1ELin1ELi256ELi8EllmEEvNS_4cuda6detail10TensorInfoIT3_T5_EES6_S6_S6_NS4_IT4_S6_EES6_b,comdat
	.protected	_ZN2at6native18radixSortKVInPlaceILin1ELin1ELi256ELi8EllmEEvNS_4cuda6detail10TensorInfoIT3_T5_EES6_S6_S6_NS4_IT4_S6_EES6_b ; -- Begin function _ZN2at6native18radixSortKVInPlaceILin1ELin1ELi256ELi8EllmEEvNS_4cuda6detail10TensorInfoIT3_T5_EES6_S6_S6_NS4_IT4_S6_EES6_b
	.globl	_ZN2at6native18radixSortKVInPlaceILin1ELin1ELi256ELi8EllmEEvNS_4cuda6detail10TensorInfoIT3_T5_EES6_S6_S6_NS4_IT4_S6_EES6_b
	.p2align	8
	.type	_ZN2at6native18radixSortKVInPlaceILin1ELin1ELi256ELi8EllmEEvNS_4cuda6detail10TensorInfoIT3_T5_EES6_S6_S6_NS4_IT4_S6_EES6_b,@function
_ZN2at6native18radixSortKVInPlaceILin1ELin1ELi256ELi8EllmEEvNS_4cuda6detail10TensorInfoIT3_T5_EES6_S6_S6_NS4_IT4_S6_EES6_b: ; @_ZN2at6native18radixSortKVInPlaceILin1ELin1ELi256ELi8EllmEEvNS_4cuda6detail10TensorInfoIT3_T5_EES6_S6_S6_NS4_IT4_S6_EES6_b
; %bb.0:
	s_load_dwordx4 s[24:27], s[4:5], 0x1a0
	s_load_dwordx2 s[0:1], s[4:5], 0x368
	s_add_u32 s50, s4, 0x368
	s_addc_u32 s51, s5, 0
	s_waitcnt lgkmcnt(0)
	v_mov_b32_e32 v2, s24
	s_mul_i32 s1, s1, s8
	s_add_i32 s1, s1, s7
	s_mul_i32 s0, s1, s0
	v_mov_b32_e32 v3, s25
	s_add_i32 s6, s0, s6
	s_mov_b32 s7, 0
	v_cmp_ge_u64_e32 vcc, s[6:7], v[2:3]
	s_cbranch_vccnz .LBB156_124
; %bb.1:
	s_load_dword s0, s[4:5], 0x198
	s_load_dwordx2 s[46:47], s[4:5], 0x1b0
	s_mov_b64 s[2:3], 0
	s_mov_b64 s[8:9], s[6:7]
	s_waitcnt lgkmcnt(0)
	s_cmp_lt_i32 s0, 2
	s_cbranch_scc1 .LBB156_9
; %bb.2:
	s_mov_b32 s10, 0
	s_add_i32 s18, s0, 1
	s_add_i32 s0, s0, -1
	s_mov_b32 s1, s10
	s_lshl_b64 s[0:1], s[0:1], 3
	s_add_u32 s0, s0, s4
	s_addc_u32 s1, s1, s5
	s_add_u32 s12, s0, 8
	s_addc_u32 s13, s1, 0
	s_mov_b64 s[14:15], s[6:7]
.LBB156_3:                              ; =>This Inner Loop Header: Depth=1
	s_load_dwordx2 s[16:17], s[12:13], 0x0
	s_waitcnt lgkmcnt(0)
	s_or_b64 s[0:1], s[14:15], s[16:17]
	s_mov_b32 s11, s1
	s_cmp_lg_u64 s[10:11], 0
	s_cbranch_scc0 .LBB156_8
; %bb.4:                                ;   in Loop: Header=BB156_3 Depth=1
	v_cvt_f32_u32_e32 v1, s16
	v_cvt_f32_u32_e32 v2, s17
	s_sub_u32 s0, 0, s16
	s_subb_u32 s1, 0, s17
	v_mac_f32_e32 v1, 0x4f800000, v2
	v_rcp_f32_e32 v1, v1
	v_mul_f32_e32 v1, 0x5f7ffffc, v1
	v_mul_f32_e32 v2, 0x2f800000, v1
	v_trunc_f32_e32 v2, v2
	v_mac_f32_e32 v1, 0xcf800000, v2
	v_cvt_u32_f32_e32 v2, v2
	v_cvt_u32_f32_e32 v1, v1
	v_readfirstlane_b32 s8, v2
	v_readfirstlane_b32 s9, v1
	s_mul_i32 s11, s0, s8
	s_mul_hi_u32 s20, s0, s9
	s_mul_i32 s19, s1, s9
	s_add_i32 s11, s20, s11
	s_mul_i32 s21, s0, s9
	s_add_i32 s11, s11, s19
	s_mul_hi_u32 s19, s9, s11
	s_mul_i32 s20, s9, s11
	s_mul_hi_u32 s9, s9, s21
	s_add_u32 s9, s9, s20
	s_addc_u32 s19, 0, s19
	s_mul_hi_u32 s22, s8, s21
	s_mul_i32 s21, s8, s21
	s_add_u32 s9, s9, s21
	s_mul_hi_u32 s20, s8, s11
	s_addc_u32 s9, s19, s22
	s_addc_u32 s19, s20, 0
	s_mul_i32 s11, s8, s11
	s_add_u32 s9, s9, s11
	s_addc_u32 s11, 0, s19
	v_add_co_u32_e32 v1, vcc, s9, v1
	s_cmp_lg_u64 vcc, 0
	s_addc_u32 s8, s8, s11
	v_readfirstlane_b32 s11, v1
	s_mul_i32 s9, s0, s8
	s_mul_hi_u32 s19, s0, s11
	s_add_i32 s9, s19, s9
	s_mul_i32 s1, s1, s11
	s_add_i32 s9, s9, s1
	s_mul_i32 s0, s0, s11
	s_mul_hi_u32 s19, s8, s0
	s_mul_i32 s20, s8, s0
	s_mul_i32 s22, s11, s9
	s_mul_hi_u32 s0, s11, s0
	s_mul_hi_u32 s21, s11, s9
	s_add_u32 s0, s0, s22
	s_addc_u32 s11, 0, s21
	s_add_u32 s0, s0, s20
	s_mul_hi_u32 s1, s8, s9
	s_addc_u32 s0, s11, s19
	s_addc_u32 s1, s1, 0
	s_mul_i32 s9, s8, s9
	s_add_u32 s0, s0, s9
	s_addc_u32 s1, 0, s1
	v_add_co_u32_e32 v1, vcc, s0, v1
	s_cmp_lg_u64 vcc, 0
	s_addc_u32 s0, s8, s1
	v_readfirstlane_b32 s9, v1
	s_mul_i32 s8, s14, s0
	s_mul_hi_u32 s11, s14, s9
	s_mul_hi_u32 s1, s14, s0
	s_add_u32 s8, s11, s8
	s_addc_u32 s1, 0, s1
	s_mul_hi_u32 s19, s15, s9
	s_mul_i32 s9, s15, s9
	s_add_u32 s8, s8, s9
	s_mul_hi_u32 s11, s15, s0
	s_addc_u32 s1, s1, s19
	s_addc_u32 s8, s11, 0
	s_mul_i32 s0, s15, s0
	s_add_u32 s11, s1, s0
	s_addc_u32 s8, 0, s8
	s_mul_i32 s0, s16, s8
	s_mul_hi_u32 s1, s16, s11
	s_add_i32 s0, s1, s0
	s_mul_i32 s1, s17, s11
	s_add_i32 s9, s0, s1
	s_mul_i32 s1, s16, s11
	v_mov_b32_e32 v1, s1
	s_sub_i32 s0, s15, s9
	v_sub_co_u32_e32 v1, vcc, s14, v1
	s_cmp_lg_u64 vcc, 0
	s_subb_u32 s19, s0, s17
	v_subrev_co_u32_e64 v2, s[0:1], s16, v1
	s_cmp_lg_u64 s[0:1], 0
	s_subb_u32 s0, s19, 0
	s_cmp_ge_u32 s0, s17
	v_readfirstlane_b32 s19, v2
	s_cselect_b32 s1, -1, 0
	s_cmp_ge_u32 s19, s16
	s_cselect_b32 s19, -1, 0
	s_cmp_eq_u32 s0, s17
	s_cselect_b32 s0, s19, s1
	s_add_u32 s1, s11, 1
	s_addc_u32 s19, s8, 0
	s_add_u32 s20, s11, 2
	s_addc_u32 s21, s8, 0
	s_cmp_lg_u32 s0, 0
	s_cselect_b32 s0, s20, s1
	s_cselect_b32 s1, s21, s19
	s_cmp_lg_u64 vcc, 0
	s_subb_u32 s9, s15, s9
	s_cmp_ge_u32 s9, s17
	v_readfirstlane_b32 s20, v1
	s_cselect_b32 s19, -1, 0
	s_cmp_ge_u32 s20, s16
	s_cselect_b32 s20, -1, 0
	s_cmp_eq_u32 s9, s17
	s_cselect_b32 s9, s20, s19
	s_cmp_lg_u32 s9, 0
	s_cselect_b32 s9, s1, s8
	s_cselect_b32 s8, s0, s11
	s_cbranch_execnz .LBB156_6
.LBB156_5:                              ;   in Loop: Header=BB156_3 Depth=1
	v_cvt_f32_u32_e32 v1, s16
	s_sub_i32 s0, 0, s16
	v_rcp_iflag_f32_e32 v1, v1
	v_mul_f32_e32 v1, 0x4f7ffffe, v1
	v_cvt_u32_f32_e32 v1, v1
	v_readfirstlane_b32 s1, v1
	s_mul_i32 s0, s0, s1
	s_mul_hi_u32 s0, s1, s0
	s_add_i32 s1, s1, s0
	s_mul_hi_u32 s0, s14, s1
	s_mul_i32 s8, s0, s16
	s_sub_i32 s8, s14, s8
	s_add_i32 s1, s0, 1
	s_sub_i32 s9, s8, s16
	s_cmp_ge_u32 s8, s16
	s_cselect_b32 s0, s1, s0
	s_cselect_b32 s8, s9, s8
	s_add_i32 s1, s0, 1
	s_cmp_ge_u32 s8, s16
	s_cselect_b32 s8, s1, s0
	s_mov_b32 s9, s10
.LBB156_6:                              ;   in Loop: Header=BB156_3 Depth=1
	s_mul_i32 s0, s8, s17
	s_mul_hi_u32 s1, s8, s16
	s_add_i32 s11, s1, s0
	s_load_dwordx2 s[0:1], s[12:13], 0xc8
	s_mul_i32 s17, s9, s16
	s_add_i32 s11, s11, s17
	s_mul_i32 s16, s8, s16
	s_sub_u32 s14, s14, s16
	s_subb_u32 s11, s15, s11
	s_waitcnt lgkmcnt(0)
	s_mul_i32 s11, s0, s11
	s_mul_hi_u32 s15, s0, s14
	s_add_i32 s11, s15, s11
	s_mul_i32 s1, s1, s14
	s_add_i32 s11, s11, s1
	s_mul_i32 s0, s0, s14
	s_add_u32 s2, s0, s2
	s_addc_u32 s3, s11, s3
	s_add_i32 s18, s18, -1
	s_add_u32 s12, s12, -8
	s_addc_u32 s13, s13, -1
	s_cmp_gt_u32 s18, 2
	s_cbranch_scc0 .LBB156_9
; %bb.7:                                ;   in Loop: Header=BB156_3 Depth=1
	s_mov_b64 s[14:15], s[8:9]
	s_branch .LBB156_3
.LBB156_8:                              ;   in Loop: Header=BB156_3 Depth=1
                                        ; implicit-def: $sgpr8_sgpr9
	s_branch .LBB156_5
.LBB156_9:
	s_load_dword s0, s[4:5], 0x350
	s_load_dwordx2 s[10:11], s[4:5], 0xd0
	s_mov_b64 s[24:25], 0
	s_waitcnt lgkmcnt(0)
	s_cmp_lt_i32 s0, 2
	s_cbranch_scc1 .LBB156_17
; %bb.10:
	s_mov_b32 s12, 0
	s_add_i32 s18, s0, 1
	s_add_i32 s0, s0, -1
	s_mov_b32 s1, s12
	s_lshl_b64 s[0:1], s[0:1], 3
	s_add_u32 s0, s0, s4
	s_addc_u32 s1, s1, s5
	s_add_u32 s14, s0, 0x1c0
	s_addc_u32 s15, s1, 0
.LBB156_11:                             ; =>This Inner Loop Header: Depth=1
	s_load_dwordx2 s[16:17], s[14:15], 0x0
	s_waitcnt lgkmcnt(0)
	s_or_b64 s[0:1], s[6:7], s[16:17]
	s_mov_b32 s13, s1
	s_cmp_lg_u64 s[12:13], 0
	s_cbranch_scc0 .LBB156_16
; %bb.12:                               ;   in Loop: Header=BB156_11 Depth=1
	v_cvt_f32_u32_e32 v1, s16
	v_cvt_f32_u32_e32 v2, s17
	s_sub_u32 s0, 0, s16
	s_subb_u32 s1, 0, s17
	v_mac_f32_e32 v1, 0x4f800000, v2
	v_rcp_f32_e32 v1, v1
	v_mul_f32_e32 v1, 0x5f7ffffc, v1
	v_mul_f32_e32 v2, 0x2f800000, v1
	v_trunc_f32_e32 v2, v2
	v_mac_f32_e32 v1, 0xcf800000, v2
	v_cvt_u32_f32_e32 v2, v2
	v_cvt_u32_f32_e32 v1, v1
	v_readfirstlane_b32 s13, v2
	v_readfirstlane_b32 s19, v1
	s_mul_i32 s20, s0, s13
	s_mul_hi_u32 s22, s0, s19
	s_mul_i32 s21, s1, s19
	s_add_i32 s20, s22, s20
	s_mul_i32 s23, s0, s19
	s_add_i32 s20, s20, s21
	s_mul_hi_u32 s21, s19, s20
	s_mul_i32 s22, s19, s20
	s_mul_hi_u32 s19, s19, s23
	s_add_u32 s19, s19, s22
	s_addc_u32 s21, 0, s21
	s_mul_hi_u32 s27, s13, s23
	s_mul_i32 s23, s13, s23
	s_add_u32 s19, s19, s23
	s_mul_hi_u32 s22, s13, s20
	s_addc_u32 s19, s21, s27
	s_addc_u32 s21, s22, 0
	s_mul_i32 s20, s13, s20
	s_add_u32 s19, s19, s20
	s_addc_u32 s20, 0, s21
	v_add_co_u32_e32 v1, vcc, s19, v1
	s_cmp_lg_u64 vcc, 0
	s_addc_u32 s13, s13, s20
	v_readfirstlane_b32 s20, v1
	s_mul_i32 s19, s0, s13
	s_mul_hi_u32 s21, s0, s20
	s_add_i32 s19, s21, s19
	s_mul_i32 s1, s1, s20
	s_add_i32 s19, s19, s1
	s_mul_i32 s0, s0, s20
	s_mul_hi_u32 s21, s13, s0
	s_mul_i32 s22, s13, s0
	s_mul_i32 s27, s20, s19
	s_mul_hi_u32 s0, s20, s0
	s_mul_hi_u32 s23, s20, s19
	s_add_u32 s0, s0, s27
	s_addc_u32 s20, 0, s23
	s_add_u32 s0, s0, s22
	s_mul_hi_u32 s1, s13, s19
	s_addc_u32 s0, s20, s21
	s_addc_u32 s1, s1, 0
	s_mul_i32 s19, s13, s19
	s_add_u32 s0, s0, s19
	s_addc_u32 s1, 0, s1
	v_add_co_u32_e32 v1, vcc, s0, v1
	s_cmp_lg_u64 vcc, 0
	s_addc_u32 s0, s13, s1
	v_readfirstlane_b32 s19, v1
	s_mul_i32 s13, s6, s0
	s_mul_hi_u32 s20, s6, s19
	s_mul_hi_u32 s1, s6, s0
	s_add_u32 s13, s20, s13
	s_addc_u32 s1, 0, s1
	s_mul_hi_u32 s21, s7, s19
	s_mul_i32 s19, s7, s19
	s_add_u32 s13, s13, s19
	s_mul_hi_u32 s20, s7, s0
	s_addc_u32 s1, s1, s21
	s_addc_u32 s13, s20, 0
	s_mul_i32 s0, s7, s0
	s_add_u32 s19, s1, s0
	s_addc_u32 s13, 0, s13
	s_mul_i32 s0, s16, s13
	s_mul_hi_u32 s1, s16, s19
	s_add_i32 s0, s1, s0
	s_mul_i32 s1, s17, s19
	s_add_i32 s20, s0, s1
	s_mul_i32 s1, s16, s19
	v_mov_b32_e32 v1, s1
	s_sub_i32 s0, s7, s20
	v_sub_co_u32_e32 v1, vcc, s6, v1
	s_cmp_lg_u64 vcc, 0
	s_subb_u32 s21, s0, s17
	v_subrev_co_u32_e64 v2, s[0:1], s16, v1
	s_cmp_lg_u64 s[0:1], 0
	s_subb_u32 s0, s21, 0
	s_cmp_ge_u32 s0, s17
	v_readfirstlane_b32 s21, v2
	s_cselect_b32 s1, -1, 0
	s_cmp_ge_u32 s21, s16
	s_cselect_b32 s21, -1, 0
	s_cmp_eq_u32 s0, s17
	s_cselect_b32 s0, s21, s1
	s_add_u32 s1, s19, 1
	s_addc_u32 s21, s13, 0
	s_add_u32 s22, s19, 2
	s_addc_u32 s23, s13, 0
	s_cmp_lg_u32 s0, 0
	s_cselect_b32 s0, s22, s1
	s_cselect_b32 s1, s23, s21
	s_cmp_lg_u64 vcc, 0
	s_subb_u32 s20, s7, s20
	s_cmp_ge_u32 s20, s17
	v_readfirstlane_b32 s22, v1
	s_cselect_b32 s21, -1, 0
	s_cmp_ge_u32 s22, s16
	s_cselect_b32 s22, -1, 0
	s_cmp_eq_u32 s20, s17
	s_cselect_b32 s20, s22, s21
	s_cmp_lg_u32 s20, 0
	s_cselect_b32 s29, s1, s13
	s_cselect_b32 s28, s0, s19
	s_cbranch_execnz .LBB156_14
.LBB156_13:                             ;   in Loop: Header=BB156_11 Depth=1
	v_cvt_f32_u32_e32 v1, s16
	s_sub_i32 s0, 0, s16
	s_mov_b32 s29, s12
	v_rcp_iflag_f32_e32 v1, v1
	v_mul_f32_e32 v1, 0x4f7ffffe, v1
	v_cvt_u32_f32_e32 v1, v1
	v_readfirstlane_b32 s1, v1
	s_mul_i32 s0, s0, s1
	s_mul_hi_u32 s0, s1, s0
	s_add_i32 s1, s1, s0
	s_mul_hi_u32 s0, s6, s1
	s_mul_i32 s13, s0, s16
	s_sub_i32 s13, s6, s13
	s_add_i32 s1, s0, 1
	s_sub_i32 s19, s13, s16
	s_cmp_ge_u32 s13, s16
	s_cselect_b32 s0, s1, s0
	s_cselect_b32 s13, s19, s13
	s_add_i32 s1, s0, 1
	s_cmp_ge_u32 s13, s16
	s_cselect_b32 s28, s1, s0
.LBB156_14:                             ;   in Loop: Header=BB156_11 Depth=1
	s_mul_i32 s0, s28, s17
	s_mul_hi_u32 s1, s28, s16
	s_add_i32 s13, s1, s0
	s_load_dwordx2 s[0:1], s[14:15], 0xc8
	s_mul_i32 s17, s29, s16
	s_add_i32 s13, s13, s17
	s_mul_i32 s16, s28, s16
	s_sub_u32 s6, s6, s16
	s_subb_u32 s7, s7, s13
	s_waitcnt lgkmcnt(0)
	s_mul_i32 s7, s0, s7
	s_mul_hi_u32 s13, s0, s6
	s_add_i32 s7, s13, s7
	s_mul_i32 s1, s1, s6
	s_add_i32 s7, s7, s1
	s_mul_i32 s0, s0, s6
	s_add_u32 s24, s0, s24
	s_addc_u32 s25, s7, s25
	s_add_i32 s18, s18, -1
	s_add_u32 s14, s14, -8
	s_addc_u32 s15, s15, -1
	s_cmp_gt_u32 s18, 2
	s_cbranch_scc0 .LBB156_18
; %bb.15:                               ;   in Loop: Header=BB156_11 Depth=1
	s_mov_b64 s[6:7], s[28:29]
	s_branch .LBB156_11
.LBB156_16:                             ;   in Loop: Header=BB156_11 Depth=1
                                        ; implicit-def: $sgpr28_sgpr29
	s_branch .LBB156_13
.LBB156_17:
	s_mov_b64 s[28:29], s[6:7]
.LBB156_18:
	s_mul_i32 s0, s10, s9
	s_load_dword s9, s[4:5], 0x360
	s_load_dwordx2 s[6:7], s[4:5], 0x0
	s_mul_hi_u32 s1, s10, s8
	s_add_i32 s0, s1, s0
	s_mul_i32 s1, s11, s8
	s_add_i32 s1, s0, s1
	s_waitcnt lgkmcnt(0)
	s_bitcmp1_b32 s9, 0
	s_cselect_b64 s[34:35], -1, 0
	s_mul_i32 s0, s10, s8
	s_and_b64 s[8:9], s[34:35], exec
	s_brev_b32 s9, 1
	s_cselect_b32 s8, 0, -1
	s_cselect_b32 s9, s9, 0x7fffffff
	s_lshl_b64 s[0:1], s[0:1], 3
	s_add_u32 s6, s6, s0
	s_addc_u32 s7, s7, s1
	s_lshl_b64 s[0:1], s[2:3], 3
	s_add_u32 s33, s6, s0
	v_and_b32_e32 v66, 0x3ff, v0
	s_mov_b32 s10, s8
	s_mov_b32 s11, s9
	s_mov_b32 s12, s8
	s_mov_b32 s13, s9
	s_mov_b32 s14, s8
	s_mov_b32 s15, s9
	s_mov_b32 s16, s8
	s_mov_b32 s17, s9
	s_mov_b32 s18, s8
	s_mov_b32 s19, s9
	s_mov_b32 s20, s8
	s_mov_b32 s21, s9
	s_mov_b32 s22, s8
	s_mov_b32 s23, s9
	v_pk_mov_b32 v[2:3], s[8:9], s[8:9] op_sel:[0,1]
	s_addc_u32 s54, s7, s1
	v_cmp_gt_u32_e64 s[0:1], s26, v66
	v_pk_mov_b32 v[4:5], s[10:11], s[10:11] op_sel:[0,1]
	v_pk_mov_b32 v[6:7], s[12:13], s[12:13] op_sel:[0,1]
	v_pk_mov_b32 v[8:9], s[14:15], s[14:15] op_sel:[0,1]
	v_pk_mov_b32 v[10:11], s[16:17], s[16:17] op_sel:[0,1]
	v_pk_mov_b32 v[12:13], s[18:19], s[18:19] op_sel:[0,1]
	v_pk_mov_b32 v[14:15], s[20:21], s[20:21] op_sel:[0,1]
	v_pk_mov_b32 v[16:17], s[22:23], s[22:23] op_sel:[0,1]
	v_pk_mov_b32 v[18:19], s[8:9], s[8:9] op_sel:[0,1]
	s_and_saveexec_b64 s[2:3], s[0:1]
	s_cbranch_execz .LBB156_20
; %bb.19:
	v_mad_u64_u32 v[2:3], s[6:7], v66, s46, 0
	v_mov_b32_e32 v4, v3
	v_mad_u64_u32 v[4:5], s[6:7], v66, s47, v[4:5]
	v_mov_b32_e32 v3, v4
	v_lshlrev_b64 v[2:3], 3, v[2:3]
	v_mov_b32_e32 v1, s54
	v_add_co_u32_e32 v2, vcc, s33, v2
	v_addc_co_u32_e32 v3, vcc, v1, v3, vcc
	global_load_dwordx2 v[18:19], v[2:3], off
	v_pk_mov_b32 v[2:3], s[8:9], s[8:9] op_sel:[0,1]
	v_pk_mov_b32 v[4:5], s[10:11], s[10:11] op_sel:[0,1]
	;; [unrolled: 1-line block ×8, first 2 shown]
.LBB156_20:
	s_or_b64 exec, exec, s[2:3]
	v_add_u32_e32 v1, 0x100, v66
	v_cmp_gt_u32_e64 s[2:3], s26, v1
	s_and_saveexec_b64 s[6:7], s[2:3]
	s_cbranch_execz .LBB156_22
; %bb.21:
	v_mad_u64_u32 v[2:3], s[8:9], v1, s46, 0
	v_mov_b32_e32 v4, v3
	v_mad_u64_u32 v[4:5], s[8:9], v1, s47, v[4:5]
	v_mov_b32_e32 v3, v4
	v_lshlrev_b64 v[2:3], 3, v[2:3]
	v_mov_b32_e32 v4, s54
	v_add_co_u32_e32 v2, vcc, s33, v2
	v_addc_co_u32_e32 v3, vcc, v4, v3, vcc
	global_load_dwordx2 v[4:5], v[2:3], off
.LBB156_22:
	s_or_b64 exec, exec, s[6:7]
	v_add_u32_e32 v34, 0x200, v66
	v_cmp_gt_u32_e64 s[44:45], s26, v34
	s_and_saveexec_b64 s[6:7], s[44:45]
	s_cbranch_execz .LBB156_24
; %bb.23:
	v_mad_u64_u32 v[2:3], s[8:9], v34, s46, 0
	v_mov_b32_e32 v6, v3
	v_mad_u64_u32 v[6:7], s[8:9], v34, s47, v[6:7]
	v_mov_b32_e32 v3, v6
	v_lshlrev_b64 v[2:3], 3, v[2:3]
	v_mov_b32_e32 v6, s54
	v_add_co_u32_e32 v2, vcc, s33, v2
	v_addc_co_u32_e32 v3, vcc, v6, v3, vcc
	global_load_dwordx2 v[6:7], v[2:3], off
.LBB156_24:
	;; [unrolled: 16-line block ×3, first 2 shown]
	s_or_b64 exec, exec, s[8:9]
	v_or_b32_e32 v36, 0x400, v66
	v_cmp_gt_u32_e64 s[8:9], s26, v36
	s_and_saveexec_b64 s[10:11], s[8:9]
	s_cbranch_execz .LBB156_28
; %bb.27:
	v_mad_u64_u32 v[2:3], s[12:13], v36, s46, 0
	v_mov_b32_e32 v10, v3
	v_mad_u64_u32 v[10:11], s[12:13], v36, s47, v[10:11]
	v_mov_b32_e32 v3, v10
	v_lshlrev_b64 v[2:3], 3, v[2:3]
	v_mov_b32_e32 v10, s54
	v_add_co_u32_e32 v2, vcc, s33, v2
	v_addc_co_u32_e32 v3, vcc, v10, v3, vcc
	global_load_dwordx2 v[10:11], v[2:3], off
.LBB156_28:
	s_or_b64 exec, exec, s[10:11]
	v_add_u32_e32 v37, 0x500, v66
	v_cmp_gt_u32_e64 s[10:11], s26, v37
	s_and_saveexec_b64 s[12:13], s[10:11]
	s_cbranch_execz .LBB156_30
; %bb.29:
	v_mad_u64_u32 v[2:3], s[14:15], v37, s46, 0
	v_mov_b32_e32 v12, v3
	v_mad_u64_u32 v[12:13], s[14:15], v37, s47, v[12:13]
	v_mov_b32_e32 v3, v12
	v_lshlrev_b64 v[2:3], 3, v[2:3]
	v_mov_b32_e32 v12, s54
	v_add_co_u32_e32 v2, vcc, s33, v2
	v_addc_co_u32_e32 v3, vcc, v12, v3, vcc
	global_load_dwordx2 v[12:13], v[2:3], off
.LBB156_30:
	s_or_b64 exec, exec, s[12:13]
	s_load_dwordx2 s[18:19], s[4:5], 0x288
	s_load_dwordx2 s[16:17], s[4:5], 0x1b8
	v_add_u32_e32 v38, 0x600, v66
	v_cmp_gt_u32_e64 s[12:13], s26, v38
	s_and_saveexec_b64 s[14:15], s[12:13]
	s_cbranch_execz .LBB156_32
; %bb.31:
	v_mad_u64_u32 v[2:3], s[20:21], v38, s46, 0
	v_mov_b32_e32 v14, v3
	v_mad_u64_u32 v[14:15], s[20:21], v38, s47, v[14:15]
	v_mov_b32_e32 v3, v14
	v_lshlrev_b64 v[2:3], 3, v[2:3]
	v_mov_b32_e32 v14, s54
	v_add_co_u32_e32 v2, vcc, s33, v2
	v_addc_co_u32_e32 v3, vcc, v14, v3, vcc
	global_load_dwordx2 v[14:15], v[2:3], off
.LBB156_32:
	s_or_b64 exec, exec, s[14:15]
	v_add_u32_e32 v39, 0x700, v66
	v_cmp_gt_u32_e64 s[14:15], s26, v39
	s_and_saveexec_b64 s[20:21], s[14:15]
	s_cbranch_execz .LBB156_34
; %bb.33:
	v_mad_u64_u32 v[2:3], s[22:23], v39, s46, 0
	v_mov_b32_e32 v16, v3
	v_mad_u64_u32 v[16:17], s[22:23], v39, s47, v[16:17]
	v_mov_b32_e32 v3, v16
	v_lshlrev_b64 v[2:3], 3, v[2:3]
	v_mov_b32_e32 v16, s54
	v_add_co_u32_e32 v2, vcc, s33, v2
	v_addc_co_u32_e32 v3, vcc, v16, v3, vcc
	global_load_dwordx2 v[16:17], v[2:3], off
.LBB156_34:
	s_or_b64 exec, exec, s[20:21]
	v_lshrrev_b32_e32 v2, 5, v66
	v_add_lshl_u32 v67, v2, v66, 3
	v_lshrrev_b32_e32 v2, 5, v1
	v_add_lshl_u32 v100, v2, v66, 3
	;; [unrolled: 2-line block ×6, first 2 shown]
	v_lshrrev_b32_e32 v2, 5, v38
	s_waitcnt lgkmcnt(0)
	s_mul_i32 s20, s18, s29
	s_mul_hi_u32 s21, s18, s28
	v_add_lshl_u32 v105, v2, v66, 3
	v_lshrrev_b32_e32 v2, 5, v39
	s_add_i32 s20, s21, s20
	s_mul_i32 s19, s19, s28
	v_add_lshl_u32 v106, v2, v66, 3
	v_lshlrev_b32_e32 v108, 3, v66
	v_lshrrev_b32_e32 v2, 2, v66
	s_add_i32 s19, s20, s19
	s_mul_i32 s18, s18, s28
	v_add_lshl_u32 v107, v2, v108, 3
	s_lshl_b64 s[18:19], s[18:19], 3
	s_waitcnt vmcnt(0)
	ds_write_b64 v67, v[18:19]
	ds_write_b64 v100, v[4:5] offset:2048
	ds_write_b64 v101, v[6:7] offset:4096
	;; [unrolled: 1-line block ×7, first 2 shown]
	s_waitcnt lgkmcnt(0)
	s_barrier
	ds_read2_b64 v[30:33], v107 offset1:1
	ds_read2_b64 v[26:29], v107 offset0:2 offset1:3
	ds_read2_b64 v[22:25], v107 offset0:4 offset1:5
	ds_read2_b64 v[18:21], v107 offset0:6 offset1:7
	s_add_u32 s18, s16, s18
	s_addc_u32 s19, s17, s19
	s_lshl_b64 s[16:17], s[24:25], 3
	s_load_dwordx2 s[48:49], s[4:5], 0x358
	s_add_u32 s55, s18, s16
	s_mov_b32 s16, 0
	s_addc_u32 s56, s19, s17
	s_mov_b32 s17, s16
	s_mov_b32 s18, s16
	;; [unrolled: 1-line block ×15, first 2 shown]
	v_pk_mov_b32 v[2:3], s[16:17], s[16:17] op_sel:[0,1]
	v_pk_mov_b32 v[4:5], s[18:19], s[18:19] op_sel:[0,1]
	v_pk_mov_b32 v[6:7], s[20:21], s[20:21] op_sel:[0,1]
	v_pk_mov_b32 v[8:9], s[22:23], s[22:23] op_sel:[0,1]
	v_pk_mov_b32 v[10:11], s[24:25], s[24:25] op_sel:[0,1]
	v_pk_mov_b32 v[12:13], s[26:27], s[26:27] op_sel:[0,1]
	v_pk_mov_b32 v[14:15], s[28:29], s[28:29] op_sel:[0,1]
	v_pk_mov_b32 v[16:17], s[30:31], s[30:31] op_sel:[0,1]
	v_pk_mov_b32 v[2:3], 0, 0
	s_waitcnt lgkmcnt(0)
	s_barrier
	s_and_saveexec_b64 s[4:5], s[0:1]
	s_cbranch_execnz .LBB156_71
; %bb.35:
	s_or_b64 exec, exec, s[4:5]
	s_and_saveexec_b64 s[4:5], s[2:3]
	s_cbranch_execnz .LBB156_72
.LBB156_36:
	s_or_b64 exec, exec, s[4:5]
	s_and_saveexec_b64 s[4:5], s[44:45]
	s_cbranch_execnz .LBB156_73
.LBB156_37:
	s_or_b64 exec, exec, s[4:5]
	s_and_saveexec_b64 s[4:5], s[6:7]
	s_cbranch_execnz .LBB156_74
.LBB156_38:
	s_or_b64 exec, exec, s[4:5]
	s_and_saveexec_b64 s[4:5], s[8:9]
	s_cbranch_execnz .LBB156_75
.LBB156_39:
	s_or_b64 exec, exec, s[4:5]
	s_and_saveexec_b64 s[4:5], s[10:11]
	s_cbranch_execnz .LBB156_76
.LBB156_40:
	s_or_b64 exec, exec, s[4:5]
	s_and_saveexec_b64 s[4:5], s[12:13]
	s_cbranch_execnz .LBB156_77
.LBB156_41:
	s_or_b64 exec, exec, s[4:5]
	s_xor_b64 s[4:5], s[34:35], -1
	s_and_saveexec_b64 s[16:17], s[14:15]
	s_cbranch_execz .LBB156_43
.LBB156_42:
	v_mad_u64_u32 v[16:17], s[18:19], v39, s48, 0
	v_mov_b32_e32 v34, v17
	v_mad_u64_u32 v[34:35], s[18:19], v39, s49, v[34:35]
	v_mov_b32_e32 v17, v34
	v_lshlrev_b64 v[16:17], 3, v[16:17]
	v_mov_b32_e32 v1, s56
	v_add_co_u32_e32 v16, vcc, s55, v16
	v_addc_co_u32_e32 v17, vcc, v1, v17, vcc
	global_load_dwordx2 v[16:17], v[16:17], off
.LBB156_43:
	s_or_b64 exec, exec, s[16:17]
	s_waitcnt vmcnt(0)
	ds_write_b64 v67, v[2:3]
	ds_write_b64 v100, v[4:5] offset:2048
	ds_write_b64 v101, v[6:7] offset:4096
	;; [unrolled: 1-line block ×7, first 2 shown]
	s_waitcnt lgkmcnt(0)
	s_barrier
	ds_read2_b64 v[14:17], v107 offset1:1
	ds_read2_b64 v[10:13], v107 offset0:2 offset1:3
	ds_read2_b64 v[6:9], v107 offset0:4 offset1:5
	;; [unrolled: 1-line block ×3, first 2 shown]
	v_mbcnt_lo_u32_b32 v1, -1, 0
	v_mbcnt_hi_u32_b32 v111, -1, v1
	v_and_b32_e32 v1, 0x1e00, v108
	v_and_b32_e32 v112, 0x3c0, v66
	v_or_b32_e32 v34, v111, v1
	v_add_lshl_u32 v123, v111, v112, 6
	v_lshlrev_b32_e32 v122, 3, v34
	s_and_b64 vcc, exec, s[4:5]
	v_bfe_u32 v120, v0, 10, 10
	v_bfe_u32 v121, v0, 20, 10
	v_lshlrev_b32_e32 v109, 2, v66
	v_lshlrev_b32_e32 v110, 4, v66
	v_and_b32_e32 v118, 15, v111
	v_and_b32_e32 v119, 16, v111
	v_cmp_lt_u32_e64 s[16:17], 31, v111
	v_cmp_gt_u32_e64 s[18:19], 4, v66
	v_cmp_lt_u32_e64 s[20:21], 63, v66
	v_add_u32_e32 v115, -1, v111
	v_and_b32_e32 v117, 64, v111
	v_cmp_eq_u32_e64 s[22:23], 0, v111
	v_cmp_eq_u32_e64 s[24:25], 0, v66
	v_lshrrev_b32_e32 v116, 4, v66
	v_and_b32_e32 v114, 3, v111
	v_and_or_b32 v113, v111, 63, v1
	s_waitcnt lgkmcnt(0)
	s_barrier
	s_cbranch_vccz .LBB156_78
; %bb.44:
	v_xor_b32_e32 v1, 0x80000000, v31
	v_xor_b32_e32 v35, 0x80000000, v33
	;; [unrolled: 1-line block ×8, first 2 shown]
	v_mov_b32_e32 v0, v30
	v_mov_b32_e32 v34, v32
	;; [unrolled: 1-line block ×8, first 2 shown]
	ds_write2_b64 v123, v[0:1], v[34:35] offset1:1
	ds_write2_b64 v123, v[36:37], v[38:39] offset0:2 offset1:3
	ds_write2_b64 v123, v[40:41], v[42:43] offset0:4 offset1:5
	;; [unrolled: 1-line block ×3, first 2 shown]
	; wave barrier
	ds_read2st64_b64 v[34:37], v122 offset1:1
	ds_read2st64_b64 v[38:41], v122 offset0:2 offset1:3
	ds_read2st64_b64 v[42:45], v122 offset0:4 offset1:5
	;; [unrolled: 1-line block ×3, first 2 shown]
	; wave barrier
	ds_write2_b64 v123, v[14:15], v[16:17] offset1:1
	ds_write2_b64 v123, v[10:11], v[12:13] offset0:2 offset1:3
	ds_write2_b64 v123, v[6:7], v[8:9] offset0:4 offset1:5
	;; [unrolled: 1-line block ×3, first 2 shown]
	; wave barrier
	ds_read2st64_b64 v[50:53], v122 offset1:1
	ds_read2st64_b64 v[54:57], v122 offset0:2 offset1:3
	ds_read2st64_b64 v[58:61], v122 offset0:4 offset1:5
	;; [unrolled: 1-line block ×3, first 2 shown]
	s_waitcnt lgkmcnt(0)
	s_barrier
	s_load_dword s26, s[50:51], 0xc
	s_getpc_b64 s[4:5]
	s_add_u32 s4, s4, _ZN7rocprim17ROCPRIM_400000_NS16block_radix_sortIlLj256ELj8ElLj1ELj1ELj0ELNS0_26block_radix_rank_algorithmE1ELNS0_18block_padding_hintE2ELNS0_4arch9wavefront6targetE1EE19radix_bits_per_passE@rel32@lo+4
	s_addc_u32 s5, s5, _ZN7rocprim17ROCPRIM_400000_NS16block_radix_sortIlLj256ELj8ElLj1ELj1ELj0ELNS0_26block_radix_rank_algorithmE1ELNS0_18block_padding_hintE2ELNS0_4arch9wavefront6targetE1EE19radix_bits_per_passE@rel32@hi+12
	s_load_dword s57, s[4:5], 0x0
	v_cmp_lt_i32_e32 vcc, v115, v117
	v_and_b32_e32 v127, 60, v116
	s_waitcnt lgkmcnt(0)
	s_lshr_b32 s4, s26, 16
	s_and_b32 s5, s26, 0xffff
	v_mad_u32_u24 v0, v121, s4, v120
	v_mad_u64_u32 v[0:1], s[4:5], v0, s5, v[66:67]
	v_lshrrev_b32_e32 v125, 6, v0
	v_min_u32_e32 v0, 0xc0, v112
	v_or_b32_e32 v0, 63, v0
	v_cmp_eq_u32_e64 s[38:39], v0, v66
	v_cndmask_b32_e32 v0, v115, v111, vcc
	v_add_u32_e32 v124, 16, v110
	v_cmp_eq_u32_e64 s[26:27], 0, v118
	v_cmp_lt_u32_e64 s[28:29], 1, v118
	v_cmp_lt_u32_e64 s[30:31], 3, v118
	;; [unrolled: 1-line block ×3, first 2 shown]
	v_cmp_eq_u32_e64 s[36:37], 0, v119
	s_mov_b32 s58, 64
	v_lshlrev_b32_e32 v126, 2, v0
	v_cmp_eq_u32_e64 s[40:41], 0, v114
	v_cmp_lt_u32_e64 s[42:43], 1, v114
	v_add_u32_e32 v128, -4, v127
	v_lshlrev_b32_e32 v129, 3, v113
	s_mov_b64 s[52:53], 0
	v_mov_b32_e32 v82, 0
	s_branch .LBB156_46
.LBB156_45:                             ;   in Loop: Header=BB156_46 Depth=1
	v_lshlrev_b32_e32 v50, 3, v136
	v_lshlrev_b32_e32 v51, 3, v135
	;; [unrolled: 1-line block ×8, first 2 shown]
	s_barrier
	ds_write_b64 v50, v[98:99]
	ds_write_b64 v51, v[96:97]
	;; [unrolled: 1-line block ×8, first 2 shown]
	s_waitcnt lgkmcnt(0)
	s_barrier
	ds_read2st64_b64 v[34:37], v129 offset1:1
	ds_read2st64_b64 v[38:41], v129 offset0:2 offset1:3
	ds_read2st64_b64 v[42:45], v129 offset0:4 offset1:5
	;; [unrolled: 1-line block ×3, first 2 shown]
	s_waitcnt lgkmcnt(0)
	s_barrier
	ds_write_b64 v50, v[80:81]
	ds_write_b64 v51, v[78:79]
	;; [unrolled: 1-line block ×8, first 2 shown]
	s_waitcnt lgkmcnt(0)
	s_barrier
	ds_read2st64_b64 v[50:53], v129 offset1:1
	ds_read2st64_b64 v[54:57], v129 offset0:2 offset1:3
	ds_read2st64_b64 v[58:61], v129 offset0:4 offset1:5
	;; [unrolled: 1-line block ×3, first 2 shown]
	s_add_u32 s52, s52, 8
	s_addc_u32 s53, s53, 0
	s_add_i32 s58, s58, -8
	s_waitcnt lgkmcnt(0)
	s_barrier
	s_cbranch_execz .LBB156_70
.LBB156_46:                             ; =>This Inner Loop Header: Depth=1
	s_min_u32 s4, s57, s58
	v_pk_mov_b32 v[98:99], v[34:35], v[34:35] op_sel:[0,1]
	s_lshl_b32 s4, -1, s4
	s_not_b32 s59, s4
	v_lshrrev_b64 v[34:35], s52, v[98:99]
	v_and_b32_e32 v34, s59, v34
	v_lshl_add_u32 v35, v34, 2, v125
	v_pk_mov_b32 v[94:95], v[38:39], v[38:39] op_sel:[0,1]
	v_lshl_add_u32 v38, v35, 2, 16
	v_and_b32_e32 v35, 1, v34
	v_pk_mov_b32 v[96:97], v[36:37], v[36:37] op_sel:[0,1]
	v_add_co_u32_e32 v36, vcc, -1, v35
	v_addc_co_u32_e64 v37, s[4:5], 0, -1, vcc
	v_cmp_ne_u32_e32 vcc, 0, v35
	v_lshlrev_b32_e32 v83, 30, v34
	v_xor_b32_e32 v35, vcc_hi, v37
	v_not_b32_e32 v37, v83
	v_xor_b32_e32 v36, vcc_lo, v36
	v_cmp_gt_i64_e32 vcc, 0, v[82:83]
	v_ashrrev_i32_e32 v37, 31, v37
	v_and_b32_e32 v36, exec_lo, v36
	v_xor_b32_e32 v39, vcc_hi, v37
	v_xor_b32_e32 v37, vcc_lo, v37
	v_lshlrev_b32_e32 v83, 29, v34
	v_and_b32_e32 v36, v36, v37
	v_not_b32_e32 v37, v83
	v_and_b32_e32 v35, exec_hi, v35
	v_cmp_gt_i64_e32 vcc, 0, v[82:83]
	v_ashrrev_i32_e32 v37, 31, v37
	v_and_b32_e32 v35, v35, v39
	v_xor_b32_e32 v39, vcc_hi, v37
	v_xor_b32_e32 v37, vcc_lo, v37
	v_lshlrev_b32_e32 v83, 28, v34
	v_and_b32_e32 v36, v36, v37
	v_not_b32_e32 v37, v83
	v_cmp_gt_i64_e32 vcc, 0, v[82:83]
	v_ashrrev_i32_e32 v37, 31, v37
	v_and_b32_e32 v35, v35, v39
	v_xor_b32_e32 v39, vcc_hi, v37
	v_xor_b32_e32 v37, vcc_lo, v37
	v_lshlrev_b32_e32 v83, 27, v34
	v_and_b32_e32 v36, v36, v37
	v_not_b32_e32 v37, v83
	;; [unrolled: 8-line block ×3, first 2 shown]
	v_cmp_gt_i64_e32 vcc, 0, v[82:83]
	v_ashrrev_i32_e32 v37, 31, v37
	v_and_b32_e32 v35, v35, v39
	v_xor_b32_e32 v39, vcc_hi, v37
	v_xor_b32_e32 v37, vcc_lo, v37
	v_lshlrev_b32_e32 v83, 25, v34
	v_and_b32_e32 v36, v36, v37
	v_cmp_gt_i64_e32 vcc, 0, v[82:83]
	v_not_b32_e32 v37, v83
	v_lshlrev_b32_e32 v83, 24, v34
	v_ashrrev_i32_e32 v37, 31, v37
	v_not_b32_e32 v34, v83
	v_and_b32_e32 v35, v35, v39
	v_xor_b32_e32 v39, vcc_hi, v37
	v_xor_b32_e32 v37, vcc_lo, v37
	v_cmp_gt_i64_e32 vcc, 0, v[82:83]
	v_ashrrev_i32_e32 v34, 31, v34
	v_and_b32_e32 v36, v36, v37
	v_xor_b32_e32 v37, vcc_hi, v34
	v_xor_b32_e32 v34, vcc_lo, v34
	v_and_b32_e32 v35, v35, v39
	v_and_b32_e32 v34, v36, v34
	;; [unrolled: 1-line block ×3, first 2 shown]
	v_mbcnt_lo_u32_b32 v36, v34, 0
	v_mbcnt_hi_u32_b32 v39, v35, v36
	v_cmp_eq_u32_e32 vcc, 0, v39
	v_cmp_ne_u64_e64 s[4:5], 0, v[34:35]
	v_pk_mov_b32 v[84:85], v[48:49], v[48:49] op_sel:[0,1]
	v_pk_mov_b32 v[86:87], v[46:47], v[46:47] op_sel:[0,1]
	;; [unrolled: 1-line block ×13, first 2 shown]
	s_and_b64 s[60:61], s[4:5], vcc
	ds_write2_b32 v110, v82, v82 offset0:4 offset1:5
	ds_write2_b32 v124, v82, v82 offset0:2 offset1:3
	s_waitcnt lgkmcnt(0)
	s_barrier
	s_waitcnt lgkmcnt(0)
	; wave barrier
	s_and_saveexec_b64 s[4:5], s[60:61]
	s_cbranch_execz .LBB156_48
; %bb.47:                               ;   in Loop: Header=BB156_46 Depth=1
	v_bcnt_u32_b32 v34, v34, 0
	v_bcnt_u32_b32 v34, v35, v34
	ds_write_b32 v38, v34
.LBB156_48:                             ;   in Loop: Header=BB156_46 Depth=1
	s_or_b64 exec, exec, s[4:5]
	v_lshrrev_b64 v[34:35], s52, v[96:97]
	v_and_b32_e32 v34, s59, v34
	v_lshlrev_b32_e32 v35, 2, v34
	v_add_lshl_u32 v35, v35, v125, 2
	; wave barrier
	v_add_u32_e32 v41, 16, v35
	ds_read_b32 v40, v35 offset:16
	v_and_b32_e32 v35, 1, v34
	v_add_co_u32_e32 v36, vcc, -1, v35
	v_addc_co_u32_e64 v37, s[4:5], 0, -1, vcc
	v_cmp_ne_u32_e32 vcc, 0, v35
	v_lshlrev_b32_e32 v83, 30, v34
	v_xor_b32_e32 v35, vcc_hi, v37
	v_not_b32_e32 v37, v83
	v_xor_b32_e32 v36, vcc_lo, v36
	v_cmp_gt_i64_e32 vcc, 0, v[82:83]
	v_ashrrev_i32_e32 v37, 31, v37
	v_and_b32_e32 v36, exec_lo, v36
	v_xor_b32_e32 v42, vcc_hi, v37
	v_xor_b32_e32 v37, vcc_lo, v37
	v_lshlrev_b32_e32 v83, 29, v34
	v_and_b32_e32 v36, v36, v37
	v_not_b32_e32 v37, v83
	v_and_b32_e32 v35, exec_hi, v35
	v_cmp_gt_i64_e32 vcc, 0, v[82:83]
	v_ashrrev_i32_e32 v37, 31, v37
	v_and_b32_e32 v35, v35, v42
	v_xor_b32_e32 v42, vcc_hi, v37
	v_xor_b32_e32 v37, vcc_lo, v37
	v_lshlrev_b32_e32 v83, 28, v34
	v_and_b32_e32 v36, v36, v37
	v_not_b32_e32 v37, v83
	v_cmp_gt_i64_e32 vcc, 0, v[82:83]
	v_ashrrev_i32_e32 v37, 31, v37
	v_and_b32_e32 v35, v35, v42
	v_xor_b32_e32 v42, vcc_hi, v37
	v_xor_b32_e32 v37, vcc_lo, v37
	v_lshlrev_b32_e32 v83, 27, v34
	v_and_b32_e32 v36, v36, v37
	v_not_b32_e32 v37, v83
	;; [unrolled: 8-line block ×3, first 2 shown]
	v_cmp_gt_i64_e32 vcc, 0, v[82:83]
	v_ashrrev_i32_e32 v37, 31, v37
	v_and_b32_e32 v35, v35, v42
	v_xor_b32_e32 v42, vcc_hi, v37
	v_xor_b32_e32 v37, vcc_lo, v37
	v_lshlrev_b32_e32 v83, 25, v34
	v_and_b32_e32 v36, v36, v37
	v_cmp_gt_i64_e32 vcc, 0, v[82:83]
	v_not_b32_e32 v37, v83
	v_lshlrev_b32_e32 v83, 24, v34
	v_ashrrev_i32_e32 v37, 31, v37
	v_not_b32_e32 v34, v83
	v_and_b32_e32 v35, v35, v42
	v_xor_b32_e32 v42, vcc_hi, v37
	v_xor_b32_e32 v37, vcc_lo, v37
	v_cmp_gt_i64_e32 vcc, 0, v[82:83]
	v_ashrrev_i32_e32 v34, 31, v34
	v_and_b32_e32 v36, v36, v37
	v_xor_b32_e32 v37, vcc_hi, v34
	v_xor_b32_e32 v34, vcc_lo, v34
	v_and_b32_e32 v35, v35, v42
	v_and_b32_e32 v34, v36, v34
	;; [unrolled: 1-line block ×3, first 2 shown]
	v_mbcnt_lo_u32_b32 v36, v34, 0
	v_mbcnt_hi_u32_b32 v42, v35, v36
	v_cmp_eq_u32_e32 vcc, 0, v42
	v_cmp_ne_u64_e64 s[4:5], 0, v[34:35]
	s_and_b64 s[60:61], s[4:5], vcc
	; wave barrier
	s_and_saveexec_b64 s[4:5], s[60:61]
	s_cbranch_execz .LBB156_50
; %bb.49:                               ;   in Loop: Header=BB156_46 Depth=1
	v_bcnt_u32_b32 v34, v34, 0
	v_bcnt_u32_b32 v34, v35, v34
	s_waitcnt lgkmcnt(0)
	v_add_u32_e32 v34, v40, v34
	ds_write_b32 v41, v34
.LBB156_50:                             ;   in Loop: Header=BB156_46 Depth=1
	s_or_b64 exec, exec, s[4:5]
	v_lshrrev_b64 v[34:35], s52, v[94:95]
	v_and_b32_e32 v34, s59, v34
	v_lshlrev_b32_e32 v35, 2, v34
	v_add_lshl_u32 v35, v35, v125, 2
	; wave barrier
	v_add_u32_e32 v44, 16, v35
	ds_read_b32 v43, v35 offset:16
	v_and_b32_e32 v35, 1, v34
	v_add_co_u32_e32 v36, vcc, -1, v35
	v_addc_co_u32_e64 v37, s[4:5], 0, -1, vcc
	v_cmp_ne_u32_e32 vcc, 0, v35
	v_lshlrev_b32_e32 v83, 30, v34
	v_xor_b32_e32 v35, vcc_hi, v37
	v_not_b32_e32 v37, v83
	v_xor_b32_e32 v36, vcc_lo, v36
	v_cmp_gt_i64_e32 vcc, 0, v[82:83]
	v_ashrrev_i32_e32 v37, 31, v37
	v_and_b32_e32 v36, exec_lo, v36
	v_xor_b32_e32 v45, vcc_hi, v37
	v_xor_b32_e32 v37, vcc_lo, v37
	v_lshlrev_b32_e32 v83, 29, v34
	v_and_b32_e32 v36, v36, v37
	v_not_b32_e32 v37, v83
	v_and_b32_e32 v35, exec_hi, v35
	v_cmp_gt_i64_e32 vcc, 0, v[82:83]
	v_ashrrev_i32_e32 v37, 31, v37
	v_and_b32_e32 v35, v35, v45
	v_xor_b32_e32 v45, vcc_hi, v37
	v_xor_b32_e32 v37, vcc_lo, v37
	v_lshlrev_b32_e32 v83, 28, v34
	v_and_b32_e32 v36, v36, v37
	v_not_b32_e32 v37, v83
	v_cmp_gt_i64_e32 vcc, 0, v[82:83]
	v_ashrrev_i32_e32 v37, 31, v37
	v_and_b32_e32 v35, v35, v45
	v_xor_b32_e32 v45, vcc_hi, v37
	v_xor_b32_e32 v37, vcc_lo, v37
	v_lshlrev_b32_e32 v83, 27, v34
	v_and_b32_e32 v36, v36, v37
	v_not_b32_e32 v37, v83
	;; [unrolled: 8-line block ×3, first 2 shown]
	v_cmp_gt_i64_e32 vcc, 0, v[82:83]
	v_ashrrev_i32_e32 v37, 31, v37
	v_and_b32_e32 v35, v35, v45
	v_xor_b32_e32 v45, vcc_hi, v37
	v_xor_b32_e32 v37, vcc_lo, v37
	v_lshlrev_b32_e32 v83, 25, v34
	v_and_b32_e32 v36, v36, v37
	v_cmp_gt_i64_e32 vcc, 0, v[82:83]
	v_not_b32_e32 v37, v83
	v_lshlrev_b32_e32 v83, 24, v34
	v_ashrrev_i32_e32 v37, 31, v37
	v_not_b32_e32 v34, v83
	v_and_b32_e32 v35, v35, v45
	v_xor_b32_e32 v45, vcc_hi, v37
	v_xor_b32_e32 v37, vcc_lo, v37
	v_cmp_gt_i64_e32 vcc, 0, v[82:83]
	v_ashrrev_i32_e32 v34, 31, v34
	v_and_b32_e32 v36, v36, v37
	v_xor_b32_e32 v37, vcc_hi, v34
	v_xor_b32_e32 v34, vcc_lo, v34
	v_and_b32_e32 v35, v35, v45
	v_and_b32_e32 v34, v36, v34
	v_and_b32_e32 v35, v35, v37
	v_mbcnt_lo_u32_b32 v36, v34, 0
	v_mbcnt_hi_u32_b32 v45, v35, v36
	v_cmp_eq_u32_e32 vcc, 0, v45
	v_cmp_ne_u64_e64 s[4:5], 0, v[34:35]
	s_and_b64 s[60:61], s[4:5], vcc
	; wave barrier
	s_and_saveexec_b64 s[4:5], s[60:61]
	s_cbranch_execz .LBB156_52
; %bb.51:                               ;   in Loop: Header=BB156_46 Depth=1
	v_bcnt_u32_b32 v34, v34, 0
	v_bcnt_u32_b32 v34, v35, v34
	s_waitcnt lgkmcnt(0)
	v_add_u32_e32 v34, v43, v34
	ds_write_b32 v44, v34
.LBB156_52:                             ;   in Loop: Header=BB156_46 Depth=1
	s_or_b64 exec, exec, s[4:5]
	v_lshrrev_b64 v[34:35], s52, v[92:93]
	v_and_b32_e32 v34, s59, v34
	v_lshlrev_b32_e32 v35, 2, v34
	v_add_lshl_u32 v35, v35, v125, 2
	; wave barrier
	v_add_u32_e32 v47, 16, v35
	ds_read_b32 v46, v35 offset:16
	v_and_b32_e32 v35, 1, v34
	v_add_co_u32_e32 v36, vcc, -1, v35
	v_addc_co_u32_e64 v37, s[4:5], 0, -1, vcc
	v_cmp_ne_u32_e32 vcc, 0, v35
	v_lshlrev_b32_e32 v83, 30, v34
	v_xor_b32_e32 v35, vcc_hi, v37
	v_not_b32_e32 v37, v83
	v_xor_b32_e32 v36, vcc_lo, v36
	v_cmp_gt_i64_e32 vcc, 0, v[82:83]
	v_ashrrev_i32_e32 v37, 31, v37
	v_and_b32_e32 v36, exec_lo, v36
	v_xor_b32_e32 v48, vcc_hi, v37
	v_xor_b32_e32 v37, vcc_lo, v37
	v_lshlrev_b32_e32 v83, 29, v34
	v_and_b32_e32 v36, v36, v37
	v_not_b32_e32 v37, v83
	v_and_b32_e32 v35, exec_hi, v35
	v_cmp_gt_i64_e32 vcc, 0, v[82:83]
	v_ashrrev_i32_e32 v37, 31, v37
	v_and_b32_e32 v35, v35, v48
	v_xor_b32_e32 v48, vcc_hi, v37
	v_xor_b32_e32 v37, vcc_lo, v37
	v_lshlrev_b32_e32 v83, 28, v34
	v_and_b32_e32 v36, v36, v37
	v_not_b32_e32 v37, v83
	v_cmp_gt_i64_e32 vcc, 0, v[82:83]
	v_ashrrev_i32_e32 v37, 31, v37
	v_and_b32_e32 v35, v35, v48
	v_xor_b32_e32 v48, vcc_hi, v37
	v_xor_b32_e32 v37, vcc_lo, v37
	v_lshlrev_b32_e32 v83, 27, v34
	v_and_b32_e32 v36, v36, v37
	v_not_b32_e32 v37, v83
	;; [unrolled: 8-line block ×3, first 2 shown]
	v_cmp_gt_i64_e32 vcc, 0, v[82:83]
	v_ashrrev_i32_e32 v37, 31, v37
	v_and_b32_e32 v35, v35, v48
	v_xor_b32_e32 v48, vcc_hi, v37
	v_xor_b32_e32 v37, vcc_lo, v37
	v_lshlrev_b32_e32 v83, 25, v34
	v_and_b32_e32 v36, v36, v37
	v_cmp_gt_i64_e32 vcc, 0, v[82:83]
	v_not_b32_e32 v37, v83
	v_lshlrev_b32_e32 v83, 24, v34
	v_ashrrev_i32_e32 v37, 31, v37
	v_not_b32_e32 v34, v83
	v_and_b32_e32 v35, v35, v48
	v_xor_b32_e32 v48, vcc_hi, v37
	v_xor_b32_e32 v37, vcc_lo, v37
	v_cmp_gt_i64_e32 vcc, 0, v[82:83]
	v_ashrrev_i32_e32 v34, 31, v34
	v_and_b32_e32 v36, v36, v37
	v_xor_b32_e32 v37, vcc_hi, v34
	v_xor_b32_e32 v34, vcc_lo, v34
	v_and_b32_e32 v35, v35, v48
	v_and_b32_e32 v34, v36, v34
	;; [unrolled: 1-line block ×3, first 2 shown]
	v_mbcnt_lo_u32_b32 v36, v34, 0
	v_mbcnt_hi_u32_b32 v48, v35, v36
	v_cmp_eq_u32_e32 vcc, 0, v48
	v_cmp_ne_u64_e64 s[4:5], 0, v[34:35]
	s_and_b64 s[60:61], s[4:5], vcc
	; wave barrier
	s_and_saveexec_b64 s[4:5], s[60:61]
	s_cbranch_execz .LBB156_54
; %bb.53:                               ;   in Loop: Header=BB156_46 Depth=1
	v_bcnt_u32_b32 v34, v34, 0
	v_bcnt_u32_b32 v34, v35, v34
	s_waitcnt lgkmcnt(0)
	v_add_u32_e32 v34, v46, v34
	ds_write_b32 v47, v34
.LBB156_54:                             ;   in Loop: Header=BB156_46 Depth=1
	s_or_b64 exec, exec, s[4:5]
	v_lshrrev_b64 v[34:35], s52, v[90:91]
	v_and_b32_e32 v34, s59, v34
	v_lshlrev_b32_e32 v35, 2, v34
	v_add_lshl_u32 v35, v35, v125, 2
	; wave barrier
	v_add_u32_e32 v50, 16, v35
	ds_read_b32 v49, v35 offset:16
	v_and_b32_e32 v35, 1, v34
	v_add_co_u32_e32 v36, vcc, -1, v35
	v_addc_co_u32_e64 v37, s[4:5], 0, -1, vcc
	v_cmp_ne_u32_e32 vcc, 0, v35
	v_lshlrev_b32_e32 v83, 30, v34
	v_xor_b32_e32 v35, vcc_hi, v37
	v_not_b32_e32 v37, v83
	v_xor_b32_e32 v36, vcc_lo, v36
	v_cmp_gt_i64_e32 vcc, 0, v[82:83]
	v_ashrrev_i32_e32 v37, 31, v37
	v_and_b32_e32 v36, exec_lo, v36
	v_xor_b32_e32 v51, vcc_hi, v37
	v_xor_b32_e32 v37, vcc_lo, v37
	v_lshlrev_b32_e32 v83, 29, v34
	v_and_b32_e32 v36, v36, v37
	v_not_b32_e32 v37, v83
	v_and_b32_e32 v35, exec_hi, v35
	v_cmp_gt_i64_e32 vcc, 0, v[82:83]
	v_ashrrev_i32_e32 v37, 31, v37
	v_and_b32_e32 v35, v35, v51
	v_xor_b32_e32 v51, vcc_hi, v37
	v_xor_b32_e32 v37, vcc_lo, v37
	v_lshlrev_b32_e32 v83, 28, v34
	v_and_b32_e32 v36, v36, v37
	v_not_b32_e32 v37, v83
	v_cmp_gt_i64_e32 vcc, 0, v[82:83]
	v_ashrrev_i32_e32 v37, 31, v37
	v_and_b32_e32 v35, v35, v51
	v_xor_b32_e32 v51, vcc_hi, v37
	v_xor_b32_e32 v37, vcc_lo, v37
	v_lshlrev_b32_e32 v83, 27, v34
	v_and_b32_e32 v36, v36, v37
	v_not_b32_e32 v37, v83
	;; [unrolled: 8-line block ×3, first 2 shown]
	v_cmp_gt_i64_e32 vcc, 0, v[82:83]
	v_ashrrev_i32_e32 v37, 31, v37
	v_and_b32_e32 v35, v35, v51
	v_xor_b32_e32 v51, vcc_hi, v37
	v_xor_b32_e32 v37, vcc_lo, v37
	v_lshlrev_b32_e32 v83, 25, v34
	v_and_b32_e32 v36, v36, v37
	v_cmp_gt_i64_e32 vcc, 0, v[82:83]
	v_not_b32_e32 v37, v83
	v_lshlrev_b32_e32 v83, 24, v34
	v_ashrrev_i32_e32 v37, 31, v37
	v_not_b32_e32 v34, v83
	v_and_b32_e32 v35, v35, v51
	v_xor_b32_e32 v51, vcc_hi, v37
	v_xor_b32_e32 v37, vcc_lo, v37
	v_cmp_gt_i64_e32 vcc, 0, v[82:83]
	v_ashrrev_i32_e32 v34, 31, v34
	v_and_b32_e32 v36, v36, v37
	v_xor_b32_e32 v37, vcc_hi, v34
	v_xor_b32_e32 v34, vcc_lo, v34
	v_and_b32_e32 v35, v35, v51
	v_and_b32_e32 v34, v36, v34
	;; [unrolled: 1-line block ×3, first 2 shown]
	v_mbcnt_lo_u32_b32 v36, v34, 0
	v_mbcnt_hi_u32_b32 v51, v35, v36
	v_cmp_eq_u32_e32 vcc, 0, v51
	v_cmp_ne_u64_e64 s[4:5], 0, v[34:35]
	s_and_b64 s[60:61], s[4:5], vcc
	; wave barrier
	s_and_saveexec_b64 s[4:5], s[60:61]
	s_cbranch_execz .LBB156_56
; %bb.55:                               ;   in Loop: Header=BB156_46 Depth=1
	v_bcnt_u32_b32 v34, v34, 0
	v_bcnt_u32_b32 v34, v35, v34
	s_waitcnt lgkmcnt(0)
	v_add_u32_e32 v34, v49, v34
	ds_write_b32 v50, v34
.LBB156_56:                             ;   in Loop: Header=BB156_46 Depth=1
	s_or_b64 exec, exec, s[4:5]
	v_lshrrev_b64 v[34:35], s52, v[88:89]
	v_and_b32_e32 v34, s59, v34
	v_lshlrev_b32_e32 v35, 2, v34
	v_add_lshl_u32 v35, v35, v125, 2
	; wave barrier
	v_add_u32_e32 v53, 16, v35
	ds_read_b32 v52, v35 offset:16
	v_and_b32_e32 v35, 1, v34
	v_add_co_u32_e32 v36, vcc, -1, v35
	v_addc_co_u32_e64 v37, s[4:5], 0, -1, vcc
	v_cmp_ne_u32_e32 vcc, 0, v35
	v_lshlrev_b32_e32 v83, 30, v34
	v_xor_b32_e32 v35, vcc_hi, v37
	v_not_b32_e32 v37, v83
	v_xor_b32_e32 v36, vcc_lo, v36
	v_cmp_gt_i64_e32 vcc, 0, v[82:83]
	v_ashrrev_i32_e32 v37, 31, v37
	v_and_b32_e32 v36, exec_lo, v36
	v_xor_b32_e32 v54, vcc_hi, v37
	v_xor_b32_e32 v37, vcc_lo, v37
	v_lshlrev_b32_e32 v83, 29, v34
	v_and_b32_e32 v36, v36, v37
	v_not_b32_e32 v37, v83
	v_and_b32_e32 v35, exec_hi, v35
	v_cmp_gt_i64_e32 vcc, 0, v[82:83]
	v_ashrrev_i32_e32 v37, 31, v37
	v_and_b32_e32 v35, v35, v54
	v_xor_b32_e32 v54, vcc_hi, v37
	v_xor_b32_e32 v37, vcc_lo, v37
	v_lshlrev_b32_e32 v83, 28, v34
	v_and_b32_e32 v36, v36, v37
	v_not_b32_e32 v37, v83
	v_cmp_gt_i64_e32 vcc, 0, v[82:83]
	v_ashrrev_i32_e32 v37, 31, v37
	v_and_b32_e32 v35, v35, v54
	v_xor_b32_e32 v54, vcc_hi, v37
	v_xor_b32_e32 v37, vcc_lo, v37
	v_lshlrev_b32_e32 v83, 27, v34
	v_and_b32_e32 v36, v36, v37
	v_not_b32_e32 v37, v83
	v_cmp_gt_i64_e32 vcc, 0, v[82:83]
	v_ashrrev_i32_e32 v37, 31, v37
	v_and_b32_e32 v35, v35, v54
	v_xor_b32_e32 v54, vcc_hi, v37
	v_xor_b32_e32 v37, vcc_lo, v37
	v_lshlrev_b32_e32 v83, 26, v34
	v_and_b32_e32 v36, v36, v37
	v_not_b32_e32 v37, v83
	v_cmp_gt_i64_e32 vcc, 0, v[82:83]
	v_ashrrev_i32_e32 v37, 31, v37
	v_and_b32_e32 v35, v35, v54
	v_xor_b32_e32 v54, vcc_hi, v37
	v_xor_b32_e32 v37, vcc_lo, v37
	v_lshlrev_b32_e32 v83, 25, v34
	v_and_b32_e32 v36, v36, v37
	v_cmp_gt_i64_e32 vcc, 0, v[82:83]
	v_not_b32_e32 v37, v83
	v_lshlrev_b32_e32 v83, 24, v34
	v_ashrrev_i32_e32 v37, 31, v37
	v_not_b32_e32 v34, v83
	v_and_b32_e32 v35, v35, v54
	v_xor_b32_e32 v54, vcc_hi, v37
	v_xor_b32_e32 v37, vcc_lo, v37
	v_cmp_gt_i64_e32 vcc, 0, v[82:83]
	v_ashrrev_i32_e32 v34, 31, v34
	v_and_b32_e32 v36, v36, v37
	v_xor_b32_e32 v37, vcc_hi, v34
	v_xor_b32_e32 v34, vcc_lo, v34
	v_and_b32_e32 v35, v35, v54
	v_and_b32_e32 v34, v36, v34
	;; [unrolled: 1-line block ×3, first 2 shown]
	v_mbcnt_lo_u32_b32 v36, v34, 0
	v_mbcnt_hi_u32_b32 v54, v35, v36
	v_cmp_eq_u32_e32 vcc, 0, v54
	v_cmp_ne_u64_e64 s[4:5], 0, v[34:35]
	s_and_b64 s[60:61], s[4:5], vcc
	; wave barrier
	s_and_saveexec_b64 s[4:5], s[60:61]
	s_cbranch_execz .LBB156_58
; %bb.57:                               ;   in Loop: Header=BB156_46 Depth=1
	v_bcnt_u32_b32 v34, v34, 0
	v_bcnt_u32_b32 v34, v35, v34
	s_waitcnt lgkmcnt(0)
	v_add_u32_e32 v34, v52, v34
	ds_write_b32 v53, v34
.LBB156_58:                             ;   in Loop: Header=BB156_46 Depth=1
	s_or_b64 exec, exec, s[4:5]
	v_lshrrev_b64 v[34:35], s52, v[86:87]
	v_and_b32_e32 v34, s59, v34
	v_lshlrev_b32_e32 v35, 2, v34
	v_add_lshl_u32 v35, v35, v125, 2
	; wave barrier
	v_add_u32_e32 v56, 16, v35
	ds_read_b32 v55, v35 offset:16
	v_and_b32_e32 v35, 1, v34
	v_add_co_u32_e32 v36, vcc, -1, v35
	v_addc_co_u32_e64 v37, s[4:5], 0, -1, vcc
	v_cmp_ne_u32_e32 vcc, 0, v35
	v_lshlrev_b32_e32 v83, 30, v34
	v_xor_b32_e32 v35, vcc_hi, v37
	v_not_b32_e32 v37, v83
	v_xor_b32_e32 v36, vcc_lo, v36
	v_cmp_gt_i64_e32 vcc, 0, v[82:83]
	v_ashrrev_i32_e32 v37, 31, v37
	v_and_b32_e32 v36, exec_lo, v36
	v_xor_b32_e32 v57, vcc_hi, v37
	v_xor_b32_e32 v37, vcc_lo, v37
	v_lshlrev_b32_e32 v83, 29, v34
	v_and_b32_e32 v36, v36, v37
	v_not_b32_e32 v37, v83
	v_and_b32_e32 v35, exec_hi, v35
	v_cmp_gt_i64_e32 vcc, 0, v[82:83]
	v_ashrrev_i32_e32 v37, 31, v37
	v_and_b32_e32 v35, v35, v57
	v_xor_b32_e32 v57, vcc_hi, v37
	v_xor_b32_e32 v37, vcc_lo, v37
	v_lshlrev_b32_e32 v83, 28, v34
	v_and_b32_e32 v36, v36, v37
	v_not_b32_e32 v37, v83
	v_cmp_gt_i64_e32 vcc, 0, v[82:83]
	v_ashrrev_i32_e32 v37, 31, v37
	v_and_b32_e32 v35, v35, v57
	v_xor_b32_e32 v57, vcc_hi, v37
	v_xor_b32_e32 v37, vcc_lo, v37
	v_lshlrev_b32_e32 v83, 27, v34
	v_and_b32_e32 v36, v36, v37
	v_not_b32_e32 v37, v83
	;; [unrolled: 8-line block ×3, first 2 shown]
	v_cmp_gt_i64_e32 vcc, 0, v[82:83]
	v_ashrrev_i32_e32 v37, 31, v37
	v_and_b32_e32 v35, v35, v57
	v_xor_b32_e32 v57, vcc_hi, v37
	v_xor_b32_e32 v37, vcc_lo, v37
	v_lshlrev_b32_e32 v83, 25, v34
	v_and_b32_e32 v36, v36, v37
	v_cmp_gt_i64_e32 vcc, 0, v[82:83]
	v_not_b32_e32 v37, v83
	v_lshlrev_b32_e32 v83, 24, v34
	v_ashrrev_i32_e32 v37, 31, v37
	v_not_b32_e32 v34, v83
	v_and_b32_e32 v35, v35, v57
	v_xor_b32_e32 v57, vcc_hi, v37
	v_xor_b32_e32 v37, vcc_lo, v37
	v_cmp_gt_i64_e32 vcc, 0, v[82:83]
	v_ashrrev_i32_e32 v34, 31, v34
	v_and_b32_e32 v36, v36, v37
	v_xor_b32_e32 v37, vcc_hi, v34
	v_xor_b32_e32 v34, vcc_lo, v34
	v_and_b32_e32 v35, v35, v57
	v_and_b32_e32 v34, v36, v34
	;; [unrolled: 1-line block ×3, first 2 shown]
	v_mbcnt_lo_u32_b32 v36, v34, 0
	v_mbcnt_hi_u32_b32 v57, v35, v36
	v_cmp_eq_u32_e32 vcc, 0, v57
	v_cmp_ne_u64_e64 s[4:5], 0, v[34:35]
	s_and_b64 s[60:61], s[4:5], vcc
	; wave barrier
	s_and_saveexec_b64 s[4:5], s[60:61]
	s_cbranch_execz .LBB156_60
; %bb.59:                               ;   in Loop: Header=BB156_46 Depth=1
	v_bcnt_u32_b32 v34, v34, 0
	v_bcnt_u32_b32 v34, v35, v34
	s_waitcnt lgkmcnt(0)
	v_add_u32_e32 v34, v55, v34
	ds_write_b32 v56, v34
.LBB156_60:                             ;   in Loop: Header=BB156_46 Depth=1
	s_or_b64 exec, exec, s[4:5]
	v_lshrrev_b64 v[34:35], s52, v[84:85]
	v_and_b32_e32 v34, s59, v34
	v_lshlrev_b32_e32 v35, 2, v34
	v_add_lshl_u32 v35, v35, v125, 2
	; wave barrier
	v_add_u32_e32 v59, 16, v35
	ds_read_b32 v58, v35 offset:16
	v_and_b32_e32 v35, 1, v34
	v_add_co_u32_e32 v36, vcc, -1, v35
	v_addc_co_u32_e64 v37, s[4:5], 0, -1, vcc
	v_cmp_ne_u32_e32 vcc, 0, v35
	v_lshlrev_b32_e32 v83, 30, v34
	v_xor_b32_e32 v35, vcc_hi, v37
	v_not_b32_e32 v37, v83
	v_xor_b32_e32 v36, vcc_lo, v36
	v_cmp_gt_i64_e32 vcc, 0, v[82:83]
	v_ashrrev_i32_e32 v37, 31, v37
	v_and_b32_e32 v36, exec_lo, v36
	v_xor_b32_e32 v60, vcc_hi, v37
	v_xor_b32_e32 v37, vcc_lo, v37
	v_lshlrev_b32_e32 v83, 29, v34
	v_and_b32_e32 v36, v36, v37
	v_not_b32_e32 v37, v83
	v_and_b32_e32 v35, exec_hi, v35
	v_cmp_gt_i64_e32 vcc, 0, v[82:83]
	v_ashrrev_i32_e32 v37, 31, v37
	v_and_b32_e32 v35, v35, v60
	v_xor_b32_e32 v60, vcc_hi, v37
	v_xor_b32_e32 v37, vcc_lo, v37
	v_lshlrev_b32_e32 v83, 28, v34
	v_and_b32_e32 v36, v36, v37
	v_not_b32_e32 v37, v83
	v_cmp_gt_i64_e32 vcc, 0, v[82:83]
	v_ashrrev_i32_e32 v37, 31, v37
	v_and_b32_e32 v35, v35, v60
	v_xor_b32_e32 v60, vcc_hi, v37
	v_xor_b32_e32 v37, vcc_lo, v37
	v_lshlrev_b32_e32 v83, 27, v34
	v_and_b32_e32 v36, v36, v37
	v_not_b32_e32 v37, v83
	;; [unrolled: 8-line block ×3, first 2 shown]
	v_cmp_gt_i64_e32 vcc, 0, v[82:83]
	v_ashrrev_i32_e32 v37, 31, v37
	v_and_b32_e32 v35, v35, v60
	v_xor_b32_e32 v60, vcc_hi, v37
	v_xor_b32_e32 v37, vcc_lo, v37
	v_lshlrev_b32_e32 v83, 25, v34
	v_and_b32_e32 v36, v36, v37
	v_cmp_gt_i64_e32 vcc, 0, v[82:83]
	v_not_b32_e32 v37, v83
	v_lshlrev_b32_e32 v83, 24, v34
	v_ashrrev_i32_e32 v37, 31, v37
	v_not_b32_e32 v34, v83
	v_and_b32_e32 v35, v35, v60
	v_xor_b32_e32 v60, vcc_hi, v37
	v_xor_b32_e32 v37, vcc_lo, v37
	v_cmp_gt_i64_e32 vcc, 0, v[82:83]
	v_ashrrev_i32_e32 v34, 31, v34
	v_and_b32_e32 v36, v36, v37
	v_xor_b32_e32 v37, vcc_hi, v34
	v_xor_b32_e32 v34, vcc_lo, v34
	v_and_b32_e32 v35, v35, v60
	v_and_b32_e32 v34, v36, v34
	;; [unrolled: 1-line block ×3, first 2 shown]
	v_mbcnt_lo_u32_b32 v36, v34, 0
	v_mbcnt_hi_u32_b32 v60, v35, v36
	v_cmp_eq_u32_e32 vcc, 0, v60
	v_cmp_ne_u64_e64 s[4:5], 0, v[34:35]
	s_and_b64 s[60:61], s[4:5], vcc
	; wave barrier
	s_and_saveexec_b64 s[4:5], s[60:61]
	s_cbranch_execz .LBB156_62
; %bb.61:                               ;   in Loop: Header=BB156_46 Depth=1
	v_bcnt_u32_b32 v34, v34, 0
	v_bcnt_u32_b32 v34, v35, v34
	s_waitcnt lgkmcnt(0)
	v_add_u32_e32 v34, v58, v34
	ds_write_b32 v59, v34
.LBB156_62:                             ;   in Loop: Header=BB156_46 Depth=1
	s_or_b64 exec, exec, s[4:5]
	; wave barrier
	s_waitcnt lgkmcnt(0)
	s_barrier
	ds_read2_b32 v[36:37], v110 offset0:4 offset1:5
	ds_read2_b32 v[34:35], v124 offset0:2 offset1:3
	s_waitcnt lgkmcnt(1)
	v_add_u32_e32 v61, v37, v36
	s_waitcnt lgkmcnt(0)
	v_add3_u32 v35, v61, v34, v35
	s_nop 1
	v_mov_b32_dpp v61, v35 row_shr:1 row_mask:0xf bank_mask:0xf
	v_cndmask_b32_e64 v61, v61, 0, s[26:27]
	v_add_u32_e32 v35, v61, v35
	s_nop 1
	v_mov_b32_dpp v61, v35 row_shr:2 row_mask:0xf bank_mask:0xf
	v_cndmask_b32_e64 v61, 0, v61, s[28:29]
	v_add_u32_e32 v35, v35, v61
	;; [unrolled: 4-line block ×4, first 2 shown]
	s_nop 1
	v_mov_b32_dpp v61, v35 row_bcast:15 row_mask:0xf bank_mask:0xf
	v_cndmask_b32_e64 v61, v61, 0, s[36:37]
	v_add_u32_e32 v35, v35, v61
	s_nop 1
	v_mov_b32_dpp v61, v35 row_bcast:31 row_mask:0xf bank_mask:0xf
	v_cndmask_b32_e64 v61, 0, v61, s[16:17]
	v_add_u32_e32 v35, v35, v61
	s_and_saveexec_b64 s[4:5], s[38:39]
	s_cbranch_execz .LBB156_64
; %bb.63:                               ;   in Loop: Header=BB156_46 Depth=1
	ds_write_b32 v127, v35
.LBB156_64:                             ;   in Loop: Header=BB156_46 Depth=1
	s_or_b64 exec, exec, s[4:5]
	s_waitcnt lgkmcnt(0)
	s_barrier
	s_and_saveexec_b64 s[4:5], s[18:19]
	s_cbranch_execz .LBB156_66
; %bb.65:                               ;   in Loop: Header=BB156_46 Depth=1
	ds_read_b32 v61, v109
	s_waitcnt lgkmcnt(0)
	s_nop 0
	v_mov_b32_dpp v62, v61 row_shr:1 row_mask:0xf bank_mask:0xf
	v_cndmask_b32_e64 v62, v62, 0, s[40:41]
	v_add_u32_e32 v61, v62, v61
	s_nop 1
	v_mov_b32_dpp v62, v61 row_shr:2 row_mask:0xf bank_mask:0xf
	v_cndmask_b32_e64 v62, 0, v62, s[42:43]
	v_add_u32_e32 v61, v61, v62
	ds_write_b32 v109, v61
.LBB156_66:                             ;   in Loop: Header=BB156_46 Depth=1
	s_or_b64 exec, exec, s[4:5]
	v_mov_b32_e32 v61, 0
	s_waitcnt lgkmcnt(0)
	s_barrier
	s_and_saveexec_b64 s[4:5], s[20:21]
	s_cbranch_execz .LBB156_68
; %bb.67:                               ;   in Loop: Header=BB156_46 Depth=1
	ds_read_b32 v61, v128
.LBB156_68:                             ;   in Loop: Header=BB156_46 Depth=1
	s_or_b64 exec, exec, s[4:5]
	s_waitcnt lgkmcnt(0)
	v_add_u32_e32 v35, v61, v35
	ds_bpermute_b32 v35, v126, v35
	s_cmp_gt_u32 s52, 55
	s_waitcnt lgkmcnt(0)
	v_cndmask_b32_e64 v35, v35, v61, s[22:23]
	v_cndmask_b32_e64 v35, v35, 0, s[24:25]
	v_add_u32_e32 v36, v35, v36
	v_add_u32_e32 v37, v36, v37
	;; [unrolled: 1-line block ×3, first 2 shown]
	ds_write2_b32 v110, v35, v36 offset0:4 offset1:5
	ds_write2_b32 v124, v37, v34 offset0:2 offset1:3
	s_waitcnt lgkmcnt(0)
	s_barrier
	ds_read_b32 v34, v38
	ds_read_b32 v35, v41
	;; [unrolled: 1-line block ×8, first 2 shown]
	s_waitcnt lgkmcnt(7)
	v_add_u32_e32 v136, v34, v39
	s_waitcnt lgkmcnt(6)
	v_add3_u32 v135, v42, v40, v35
	s_waitcnt lgkmcnt(5)
	v_add3_u32 v134, v45, v43, v36
	;; [unrolled: 2-line block ×7, first 2 shown]
	s_cbranch_scc0 .LBB156_45
; %bb.69:
                                        ; implicit-def: $vgpr48_vgpr49
                                        ; implicit-def: $vgpr44_vgpr45
                                        ; implicit-def: $vgpr40_vgpr41
                                        ; implicit-def: $vgpr36_vgpr37
                                        ; implicit-def: $vgpr64_vgpr65
                                        ; implicit-def: $vgpr60_vgpr61
                                        ; implicit-def: $vgpr56_vgpr57
                                        ; implicit-def: $vgpr52_vgpr53
                                        ; implicit-def: $sgpr52_sgpr53
                                        ; implicit-def: $sgpr58
.LBB156_70:
	v_lshlrev_b32_e32 v34, 3, v136
	v_lshlrev_b32_e32 v35, 3, v135
	;; [unrolled: 1-line block ×9, first 2 shown]
	s_barrier
	ds_write_b64 v34, v[98:99]
	ds_write_b64 v35, v[96:97]
	;; [unrolled: 1-line block ×8, first 2 shown]
	s_waitcnt lgkmcnt(0)
	s_barrier
	ds_read2_b64 v[50:53], v46 offset1:1
	ds_read2_b64 v[54:57], v46 offset0:2 offset1:3
	ds_read2_b64 v[58:61], v46 offset0:4 offset1:5
	;; [unrolled: 1-line block ×3, first 2 shown]
	s_waitcnt lgkmcnt(0)
	s_barrier
	ds_write_b64 v34, v[80:81]
	ds_write_b64 v35, v[78:79]
	;; [unrolled: 1-line block ×8, first 2 shown]
	s_waitcnt lgkmcnt(0)
	s_barrier
	ds_read2_b64 v[34:37], v46 offset1:1
	ds_read2_b64 v[38:41], v46 offset0:2 offset1:3
	ds_read2_b64 v[42:45], v46 offset0:4 offset1:5
	;; [unrolled: 1-line block ×3, first 2 shown]
	v_xor_b32_e32 v51, 0x80000000, v51
	v_xor_b32_e32 v53, 0x80000000, v53
	;; [unrolled: 1-line block ×8, first 2 shown]
	s_branch .LBB156_106
.LBB156_71:
	v_mad_u64_u32 v[2:3], s[16:17], v66, s48, 0
	v_mov_b32_e32 v4, v3
	v_mad_u64_u32 v[4:5], s[16:17], v66, s49, v[4:5]
	v_mov_b32_e32 v3, v4
	v_lshlrev_b64 v[2:3], 3, v[2:3]
	v_mov_b32_e32 v4, s56
	v_add_co_u32_e32 v2, vcc, s55, v2
	v_addc_co_u32_e32 v3, vcc, v4, v3, vcc
	global_load_dwordx2 v[2:3], v[2:3], off
	v_mov_b32_e32 v4, 0
	v_mov_b32_e32 v5, v4
	;; [unrolled: 1-line block ×14, first 2 shown]
	s_or_b64 exec, exec, s[4:5]
	s_and_saveexec_b64 s[4:5], s[2:3]
	s_cbranch_execz .LBB156_36
.LBB156_72:
	v_mad_u64_u32 v[4:5], s[16:17], v1, s48, 0
	v_mov_b32_e32 v40, v5
	v_mad_u64_u32 v[40:41], s[16:17], v1, s49, v[40:41]
	v_mov_b32_e32 v5, v40
	v_lshlrev_b64 v[4:5], 3, v[4:5]
	v_mov_b32_e32 v1, s56
	v_add_co_u32_e32 v4, vcc, s55, v4
	v_addc_co_u32_e32 v5, vcc, v1, v5, vcc
	global_load_dwordx2 v[4:5], v[4:5], off
	s_or_b64 exec, exec, s[4:5]
	s_and_saveexec_b64 s[4:5], s[44:45]
	s_cbranch_execz .LBB156_37
.LBB156_73:
	v_mad_u64_u32 v[6:7], s[16:17], v34, s48, 0
	v_mov_b32_e32 v40, v7
	v_mad_u64_u32 v[40:41], s[16:17], v34, s49, v[40:41]
	v_mov_b32_e32 v7, v40
	v_lshlrev_b64 v[6:7], 3, v[6:7]
	v_mov_b32_e32 v1, s56
	v_add_co_u32_e32 v6, vcc, s55, v6
	v_addc_co_u32_e32 v7, vcc, v1, v7, vcc
	global_load_dwordx2 v[6:7], v[6:7], off
	s_or_b64 exec, exec, s[4:5]
	s_and_saveexec_b64 s[4:5], s[6:7]
	s_cbranch_execz .LBB156_38
.LBB156_74:
	v_mad_u64_u32 v[8:9], s[16:17], v35, s48, 0
	v_mov_b32_e32 v34, v9
	v_mad_u64_u32 v[34:35], s[16:17], v35, s49, v[34:35]
	v_mov_b32_e32 v9, v34
	v_lshlrev_b64 v[8:9], 3, v[8:9]
	v_mov_b32_e32 v1, s56
	v_add_co_u32_e32 v8, vcc, s55, v8
	v_addc_co_u32_e32 v9, vcc, v1, v9, vcc
	global_load_dwordx2 v[8:9], v[8:9], off
	s_or_b64 exec, exec, s[4:5]
	s_and_saveexec_b64 s[4:5], s[8:9]
	s_cbranch_execz .LBB156_39
.LBB156_75:
	v_mad_u64_u32 v[10:11], s[16:17], v36, s48, 0
	v_mov_b32_e32 v34, v11
	v_mad_u64_u32 v[34:35], s[16:17], v36, s49, v[34:35]
	v_mov_b32_e32 v11, v34
	v_lshlrev_b64 v[10:11], 3, v[10:11]
	v_mov_b32_e32 v1, s56
	v_add_co_u32_e32 v10, vcc, s55, v10
	v_addc_co_u32_e32 v11, vcc, v1, v11, vcc
	global_load_dwordx2 v[10:11], v[10:11], off
	s_or_b64 exec, exec, s[4:5]
	s_and_saveexec_b64 s[4:5], s[10:11]
	s_cbranch_execz .LBB156_40
.LBB156_76:
	v_mad_u64_u32 v[12:13], s[16:17], v37, s48, 0
	v_mov_b32_e32 v34, v13
	v_mad_u64_u32 v[34:35], s[16:17], v37, s49, v[34:35]
	v_mov_b32_e32 v13, v34
	v_lshlrev_b64 v[12:13], 3, v[12:13]
	v_mov_b32_e32 v1, s56
	v_add_co_u32_e32 v12, vcc, s55, v12
	v_addc_co_u32_e32 v13, vcc, v1, v13, vcc
	global_load_dwordx2 v[12:13], v[12:13], off
	s_or_b64 exec, exec, s[4:5]
	s_and_saveexec_b64 s[4:5], s[12:13]
	s_cbranch_execz .LBB156_41
.LBB156_77:
	v_mad_u64_u32 v[14:15], s[16:17], v38, s48, 0
	v_mov_b32_e32 v34, v15
	v_mad_u64_u32 v[34:35], s[16:17], v38, s49, v[34:35]
	v_mov_b32_e32 v15, v34
	v_lshlrev_b64 v[14:15], 3, v[14:15]
	v_mov_b32_e32 v1, s56
	v_add_co_u32_e32 v14, vcc, s55, v14
	v_addc_co_u32_e32 v15, vcc, v1, v15, vcc
	global_load_dwordx2 v[14:15], v[14:15], off
	s_or_b64 exec, exec, s[4:5]
	s_xor_b64 s[4:5], s[34:35], -1
	s_and_saveexec_b64 s[16:17], s[14:15]
	s_cbranch_execnz .LBB156_42
	s_branch .LBB156_43
.LBB156_78:
                                        ; implicit-def: $vgpr64_vgpr65
                                        ; implicit-def: $vgpr60_vgpr61
                                        ; implicit-def: $vgpr56_vgpr57
                                        ; implicit-def: $vgpr52_vgpr53
                                        ; implicit-def: $vgpr48_vgpr49
                                        ; implicit-def: $vgpr44_vgpr45
                                        ; implicit-def: $vgpr40_vgpr41
                                        ; implicit-def: $vgpr36_vgpr37
	s_cbranch_execz .LBB156_106
; %bb.79:
	v_xor_b32_e32 v1, 0x7fffffff, v31
	v_xor_b32_e32 v0, -1, v30
	v_xor_b32_e32 v31, 0x7fffffff, v33
	v_xor_b32_e32 v30, -1, v32
	;; [unrolled: 2-line block ×8, first 2 shown]
	ds_write2_b64 v123, v[0:1], v[30:31] offset1:1
	ds_write2_b64 v123, v[26:27], v[28:29] offset0:2 offset1:3
	ds_write2_b64 v123, v[22:23], v[24:25] offset0:4 offset1:5
	ds_write2_b64 v123, v[18:19], v[20:21] offset0:6 offset1:7
	; wave barrier
	ds_read2st64_b64 v[18:21], v122 offset1:1
	ds_read2st64_b64 v[22:25], v122 offset0:2 offset1:3
	ds_read2st64_b64 v[26:29], v122 offset0:4 offset1:5
	;; [unrolled: 1-line block ×3, first 2 shown]
	; wave barrier
	ds_write2_b64 v123, v[14:15], v[16:17] offset1:1
	ds_write2_b64 v123, v[10:11], v[12:13] offset0:2 offset1:3
	ds_write2_b64 v123, v[6:7], v[8:9] offset0:4 offset1:5
	;; [unrolled: 1-line block ×3, first 2 shown]
	; wave barrier
	ds_read2st64_b64 v[0:3], v122 offset1:1
	ds_read2st64_b64 v[4:7], v122 offset0:2 offset1:3
	ds_read2st64_b64 v[8:11], v122 offset0:4 offset1:5
	;; [unrolled: 1-line block ×3, first 2 shown]
	s_waitcnt lgkmcnt(0)
	s_barrier
	s_load_dword s16, s[50:51], 0xc
	s_getpc_b64 s[4:5]
	s_add_u32 s4, s4, _ZN7rocprim17ROCPRIM_400000_NS16block_radix_sortIlLj256ELj8ElLj1ELj1ELj0ELNS0_26block_radix_rank_algorithmE1ELNS0_18block_padding_hintE2ELNS0_4arch9wavefront6targetE1EE19radix_bits_per_passE@rel32@lo+4
	s_addc_u32 s5, s5, _ZN7rocprim17ROCPRIM_400000_NS16block_radix_sortIlLj256ELj8ElLj1ELj1ELj0ELNS0_26block_radix_rank_algorithmE1ELNS0_18block_padding_hintE2ELNS0_4arch9wavefront6targetE1EE19radix_bits_per_passE@rel32@hi+12
	s_load_dword s52, s[4:5], 0x0
	v_cmp_lt_i32_e32 vcc, v115, v117
	v_and_b32_e32 v71, 60, v116
	s_waitcnt lgkmcnt(0)
	s_lshr_b32 s4, s16, 16
	s_and_b32 s5, s16, 0xffff
	v_mad_u32_u24 v16, v121, s4, v120
	v_mad_u64_u32 v[16:17], s[4:5], v16, s5, v[66:67]
	v_lshrrev_b32_e32 v69, 6, v16
	v_min_u32_e32 v16, 0xc0, v112
	v_or_b32_e32 v16, 63, v16
	v_cmp_eq_u32_e64 s[28:29], v16, v66
	v_cndmask_b32_e32 v16, v115, v111, vcc
	v_add_u32_e32 v68, 16, v110
	v_cmp_eq_u32_e64 s[16:17], 0, v118
	v_cmp_lt_u32_e64 s[18:19], 1, v118
	v_cmp_lt_u32_e64 s[20:21], 3, v118
	;; [unrolled: 1-line block ×3, first 2 shown]
	v_cmp_eq_u32_e64 s[24:25], 0, v119
	v_cmp_lt_u32_e64 s[26:27], 31, v111
	v_cmp_gt_u32_e64 s[30:31], 4, v66
	v_cmp_lt_u32_e64 s[34:35], 63, v66
	s_mov_b32 s53, 64
	v_lshlrev_b32_e32 v70, 2, v16
	v_cmp_eq_u32_e64 s[36:37], 0, v111
	v_cmp_eq_u32_e64 s[38:39], 0, v66
	;; [unrolled: 1-line block ×3, first 2 shown]
	v_cmp_lt_u32_e64 s[42:43], 1, v114
	v_add_u32_e32 v72, -4, v71
	v_lshlrev_b32_e32 v73, 3, v113
	s_mov_b64 s[50:51], 0
	v_mov_b32_e32 v42, 0
	s_branch .LBB156_81
.LBB156_80:                             ;   in Loop: Header=BB156_81 Depth=1
	v_lshlrev_b32_e32 v0, 3, v80
	v_lshlrev_b32_e32 v1, 3, v79
	;; [unrolled: 1-line block ×8, first 2 shown]
	s_barrier
	ds_write_b64 v0, v[64:65]
	ds_write_b64 v1, v[62:63]
	ds_write_b64 v2, v[60:61]
	ds_write_b64 v3, v[58:59]
	ds_write_b64 v4, v[56:57]
	ds_write_b64 v5, v[54:55]
	ds_write_b64 v6, v[52:53]
	ds_write_b64 v7, v[46:47]
	s_waitcnt lgkmcnt(0)
	s_barrier
	ds_read2st64_b64 v[18:21], v73 offset1:1
	ds_read2st64_b64 v[22:25], v73 offset0:2 offset1:3
	ds_read2st64_b64 v[26:29], v73 offset0:4 offset1:5
	;; [unrolled: 1-line block ×3, first 2 shown]
	s_waitcnt lgkmcnt(0)
	s_barrier
	ds_write_b64 v0, v[50:51]
	ds_write_b64 v1, v[48:49]
	;; [unrolled: 1-line block ×8, first 2 shown]
	s_waitcnt lgkmcnt(0)
	s_barrier
	ds_read2st64_b64 v[0:3], v73 offset1:1
	ds_read2st64_b64 v[4:7], v73 offset0:2 offset1:3
	ds_read2st64_b64 v[8:11], v73 offset0:4 offset1:5
	;; [unrolled: 1-line block ×3, first 2 shown]
	s_add_u32 s50, s50, 8
	s_addc_u32 s51, s51, 0
	s_add_i32 s53, s53, -8
	s_waitcnt lgkmcnt(0)
	s_barrier
	s_cbranch_execz .LBB156_105
.LBB156_81:                             ; =>This Inner Loop Header: Depth=1
	s_min_u32 s4, s52, s53
	v_pk_mov_b32 v[64:65], v[18:19], v[18:19] op_sel:[0,1]
	s_lshl_b32 s4, -1, s4
	v_pk_mov_b32 v[50:51], v[0:1], v[0:1] op_sel:[0,1]
	s_not_b32 s57, s4
	v_lshrrev_b64 v[0:1], s50, v[64:65]
	v_and_b32_e32 v0, s57, v0
	v_lshl_add_u32 v1, v0, 2, v69
	v_pk_mov_b32 v[44:45], v[4:5], v[4:5] op_sel:[0,1]
	v_lshl_add_u32 v4, v1, 2, 16
	v_and_b32_e32 v1, 1, v0
	v_pk_mov_b32 v[48:49], v[2:3], v[2:3] op_sel:[0,1]
	v_add_co_u32_e32 v2, vcc, -1, v1
	v_addc_co_u32_e64 v3, s[4:5], 0, -1, vcc
	v_cmp_ne_u32_e32 vcc, 0, v1
	v_lshlrev_b32_e32 v43, 30, v0
	v_xor_b32_e32 v1, vcc_hi, v3
	v_not_b32_e32 v3, v43
	v_xor_b32_e32 v2, vcc_lo, v2
	v_cmp_gt_i64_e32 vcc, 0, v[42:43]
	v_ashrrev_i32_e32 v3, 31, v3
	v_and_b32_e32 v2, exec_lo, v2
	v_xor_b32_e32 v5, vcc_hi, v3
	v_xor_b32_e32 v3, vcc_lo, v3
	v_lshlrev_b32_e32 v43, 29, v0
	v_and_b32_e32 v2, v2, v3
	v_not_b32_e32 v3, v43
	v_and_b32_e32 v1, exec_hi, v1
	v_cmp_gt_i64_e32 vcc, 0, v[42:43]
	v_ashrrev_i32_e32 v3, 31, v3
	v_and_b32_e32 v1, v1, v5
	v_xor_b32_e32 v5, vcc_hi, v3
	v_xor_b32_e32 v3, vcc_lo, v3
	v_lshlrev_b32_e32 v43, 28, v0
	v_and_b32_e32 v2, v2, v3
	v_not_b32_e32 v3, v43
	v_cmp_gt_i64_e32 vcc, 0, v[42:43]
	v_ashrrev_i32_e32 v3, 31, v3
	v_and_b32_e32 v1, v1, v5
	v_xor_b32_e32 v5, vcc_hi, v3
	v_xor_b32_e32 v3, vcc_lo, v3
	v_lshlrev_b32_e32 v43, 27, v0
	v_and_b32_e32 v2, v2, v3
	v_not_b32_e32 v3, v43
	;; [unrolled: 8-line block ×3, first 2 shown]
	v_cmp_gt_i64_e32 vcc, 0, v[42:43]
	v_ashrrev_i32_e32 v3, 31, v3
	v_and_b32_e32 v1, v1, v5
	v_xor_b32_e32 v5, vcc_hi, v3
	v_xor_b32_e32 v3, vcc_lo, v3
	v_lshlrev_b32_e32 v43, 25, v0
	v_and_b32_e32 v2, v2, v3
	v_cmp_gt_i64_e32 vcc, 0, v[42:43]
	v_not_b32_e32 v3, v43
	v_lshlrev_b32_e32 v43, 24, v0
	v_ashrrev_i32_e32 v3, 31, v3
	v_not_b32_e32 v0, v43
	v_and_b32_e32 v1, v1, v5
	v_xor_b32_e32 v5, vcc_hi, v3
	v_xor_b32_e32 v3, vcc_lo, v3
	v_cmp_gt_i64_e32 vcc, 0, v[42:43]
	v_ashrrev_i32_e32 v0, 31, v0
	v_and_b32_e32 v2, v2, v3
	v_xor_b32_e32 v3, vcc_hi, v0
	v_xor_b32_e32 v0, vcc_lo, v0
	v_and_b32_e32 v1, v1, v5
	v_and_b32_e32 v0, v2, v0
	v_and_b32_e32 v1, v1, v3
	v_mbcnt_lo_u32_b32 v2, v0, 0
	v_mbcnt_hi_u32_b32 v5, v1, v2
	v_cmp_eq_u32_e32 vcc, 0, v5
	v_cmp_ne_u64_e64 s[4:5], 0, v[0:1]
	v_pk_mov_b32 v[46:47], v[32:33], v[32:33] op_sel:[0,1]
	v_pk_mov_b32 v[52:53], v[30:31], v[30:31] op_sel:[0,1]
	;; [unrolled: 1-line block ×12, first 2 shown]
	s_and_b64 s[58:59], s[4:5], vcc
	ds_write2_b32 v110, v42, v42 offset0:4 offset1:5
	ds_write2_b32 v68, v42, v42 offset0:2 offset1:3
	s_waitcnt lgkmcnt(0)
	s_barrier
	s_waitcnt lgkmcnt(0)
	; wave barrier
	s_and_saveexec_b64 s[4:5], s[58:59]
	s_cbranch_execz .LBB156_83
; %bb.82:                               ;   in Loop: Header=BB156_81 Depth=1
	v_bcnt_u32_b32 v0, v0, 0
	v_bcnt_u32_b32 v0, v1, v0
	ds_write_b32 v4, v0
.LBB156_83:                             ;   in Loop: Header=BB156_81 Depth=1
	s_or_b64 exec, exec, s[4:5]
	v_lshrrev_b64 v[0:1], s50, v[62:63]
	v_and_b32_e32 v0, s57, v0
	v_lshlrev_b32_e32 v1, 2, v0
	v_add_lshl_u32 v1, v1, v69, 2
	; wave barrier
	v_add_u32_e32 v7, 16, v1
	ds_read_b32 v6, v1 offset:16
	v_and_b32_e32 v1, 1, v0
	v_add_co_u32_e32 v2, vcc, -1, v1
	v_addc_co_u32_e64 v3, s[4:5], 0, -1, vcc
	v_cmp_ne_u32_e32 vcc, 0, v1
	v_lshlrev_b32_e32 v43, 30, v0
	v_xor_b32_e32 v1, vcc_hi, v3
	v_not_b32_e32 v3, v43
	v_xor_b32_e32 v2, vcc_lo, v2
	v_cmp_gt_i64_e32 vcc, 0, v[42:43]
	v_ashrrev_i32_e32 v3, 31, v3
	v_and_b32_e32 v2, exec_lo, v2
	v_xor_b32_e32 v8, vcc_hi, v3
	v_xor_b32_e32 v3, vcc_lo, v3
	v_lshlrev_b32_e32 v43, 29, v0
	v_and_b32_e32 v2, v2, v3
	v_not_b32_e32 v3, v43
	v_and_b32_e32 v1, exec_hi, v1
	v_cmp_gt_i64_e32 vcc, 0, v[42:43]
	v_ashrrev_i32_e32 v3, 31, v3
	v_and_b32_e32 v1, v1, v8
	v_xor_b32_e32 v8, vcc_hi, v3
	v_xor_b32_e32 v3, vcc_lo, v3
	v_lshlrev_b32_e32 v43, 28, v0
	v_and_b32_e32 v2, v2, v3
	v_not_b32_e32 v3, v43
	v_cmp_gt_i64_e32 vcc, 0, v[42:43]
	v_ashrrev_i32_e32 v3, 31, v3
	v_and_b32_e32 v1, v1, v8
	v_xor_b32_e32 v8, vcc_hi, v3
	v_xor_b32_e32 v3, vcc_lo, v3
	v_lshlrev_b32_e32 v43, 27, v0
	v_and_b32_e32 v2, v2, v3
	v_not_b32_e32 v3, v43
	;; [unrolled: 8-line block ×3, first 2 shown]
	v_cmp_gt_i64_e32 vcc, 0, v[42:43]
	v_ashrrev_i32_e32 v3, 31, v3
	v_and_b32_e32 v1, v1, v8
	v_xor_b32_e32 v8, vcc_hi, v3
	v_xor_b32_e32 v3, vcc_lo, v3
	v_lshlrev_b32_e32 v43, 25, v0
	v_and_b32_e32 v2, v2, v3
	v_cmp_gt_i64_e32 vcc, 0, v[42:43]
	v_not_b32_e32 v3, v43
	v_lshlrev_b32_e32 v43, 24, v0
	v_ashrrev_i32_e32 v3, 31, v3
	v_not_b32_e32 v0, v43
	v_and_b32_e32 v1, v1, v8
	v_xor_b32_e32 v8, vcc_hi, v3
	v_xor_b32_e32 v3, vcc_lo, v3
	v_cmp_gt_i64_e32 vcc, 0, v[42:43]
	v_ashrrev_i32_e32 v0, 31, v0
	v_and_b32_e32 v2, v2, v3
	v_xor_b32_e32 v3, vcc_hi, v0
	v_xor_b32_e32 v0, vcc_lo, v0
	v_and_b32_e32 v1, v1, v8
	v_and_b32_e32 v0, v2, v0
	;; [unrolled: 1-line block ×3, first 2 shown]
	v_mbcnt_lo_u32_b32 v2, v0, 0
	v_mbcnt_hi_u32_b32 v8, v1, v2
	v_cmp_eq_u32_e32 vcc, 0, v8
	v_cmp_ne_u64_e64 s[4:5], 0, v[0:1]
	s_and_b64 s[58:59], s[4:5], vcc
	; wave barrier
	s_and_saveexec_b64 s[4:5], s[58:59]
	s_cbranch_execz .LBB156_85
; %bb.84:                               ;   in Loop: Header=BB156_81 Depth=1
	v_bcnt_u32_b32 v0, v0, 0
	v_bcnt_u32_b32 v0, v1, v0
	s_waitcnt lgkmcnt(0)
	v_add_u32_e32 v0, v6, v0
	ds_write_b32 v7, v0
.LBB156_85:                             ;   in Loop: Header=BB156_81 Depth=1
	s_or_b64 exec, exec, s[4:5]
	v_lshrrev_b64 v[0:1], s50, v[60:61]
	v_and_b32_e32 v0, s57, v0
	v_lshlrev_b32_e32 v1, 2, v0
	v_add_lshl_u32 v1, v1, v69, 2
	; wave barrier
	v_add_u32_e32 v10, 16, v1
	ds_read_b32 v9, v1 offset:16
	v_and_b32_e32 v1, 1, v0
	v_add_co_u32_e32 v2, vcc, -1, v1
	v_addc_co_u32_e64 v3, s[4:5], 0, -1, vcc
	v_cmp_ne_u32_e32 vcc, 0, v1
	v_lshlrev_b32_e32 v43, 30, v0
	v_xor_b32_e32 v1, vcc_hi, v3
	v_not_b32_e32 v3, v43
	v_xor_b32_e32 v2, vcc_lo, v2
	v_cmp_gt_i64_e32 vcc, 0, v[42:43]
	v_ashrrev_i32_e32 v3, 31, v3
	v_and_b32_e32 v2, exec_lo, v2
	v_xor_b32_e32 v11, vcc_hi, v3
	v_xor_b32_e32 v3, vcc_lo, v3
	v_lshlrev_b32_e32 v43, 29, v0
	v_and_b32_e32 v2, v2, v3
	v_not_b32_e32 v3, v43
	v_and_b32_e32 v1, exec_hi, v1
	v_cmp_gt_i64_e32 vcc, 0, v[42:43]
	v_ashrrev_i32_e32 v3, 31, v3
	v_and_b32_e32 v1, v1, v11
	v_xor_b32_e32 v11, vcc_hi, v3
	v_xor_b32_e32 v3, vcc_lo, v3
	v_lshlrev_b32_e32 v43, 28, v0
	v_and_b32_e32 v2, v2, v3
	v_not_b32_e32 v3, v43
	v_cmp_gt_i64_e32 vcc, 0, v[42:43]
	v_ashrrev_i32_e32 v3, 31, v3
	v_and_b32_e32 v1, v1, v11
	v_xor_b32_e32 v11, vcc_hi, v3
	v_xor_b32_e32 v3, vcc_lo, v3
	v_lshlrev_b32_e32 v43, 27, v0
	v_and_b32_e32 v2, v2, v3
	v_not_b32_e32 v3, v43
	;; [unrolled: 8-line block ×3, first 2 shown]
	v_cmp_gt_i64_e32 vcc, 0, v[42:43]
	v_ashrrev_i32_e32 v3, 31, v3
	v_and_b32_e32 v1, v1, v11
	v_xor_b32_e32 v11, vcc_hi, v3
	v_xor_b32_e32 v3, vcc_lo, v3
	v_lshlrev_b32_e32 v43, 25, v0
	v_and_b32_e32 v2, v2, v3
	v_cmp_gt_i64_e32 vcc, 0, v[42:43]
	v_not_b32_e32 v3, v43
	v_lshlrev_b32_e32 v43, 24, v0
	v_ashrrev_i32_e32 v3, 31, v3
	v_not_b32_e32 v0, v43
	v_and_b32_e32 v1, v1, v11
	v_xor_b32_e32 v11, vcc_hi, v3
	v_xor_b32_e32 v3, vcc_lo, v3
	v_cmp_gt_i64_e32 vcc, 0, v[42:43]
	v_ashrrev_i32_e32 v0, 31, v0
	v_and_b32_e32 v2, v2, v3
	v_xor_b32_e32 v3, vcc_hi, v0
	v_xor_b32_e32 v0, vcc_lo, v0
	v_and_b32_e32 v1, v1, v11
	v_and_b32_e32 v0, v2, v0
	;; [unrolled: 1-line block ×3, first 2 shown]
	v_mbcnt_lo_u32_b32 v2, v0, 0
	v_mbcnt_hi_u32_b32 v11, v1, v2
	v_cmp_eq_u32_e32 vcc, 0, v11
	v_cmp_ne_u64_e64 s[4:5], 0, v[0:1]
	s_and_b64 s[58:59], s[4:5], vcc
	; wave barrier
	s_and_saveexec_b64 s[4:5], s[58:59]
	s_cbranch_execz .LBB156_87
; %bb.86:                               ;   in Loop: Header=BB156_81 Depth=1
	v_bcnt_u32_b32 v0, v0, 0
	v_bcnt_u32_b32 v0, v1, v0
	s_waitcnt lgkmcnt(0)
	v_add_u32_e32 v0, v9, v0
	ds_write_b32 v10, v0
.LBB156_87:                             ;   in Loop: Header=BB156_81 Depth=1
	s_or_b64 exec, exec, s[4:5]
	v_lshrrev_b64 v[0:1], s50, v[58:59]
	v_and_b32_e32 v0, s57, v0
	v_lshlrev_b32_e32 v1, 2, v0
	v_add_lshl_u32 v1, v1, v69, 2
	; wave barrier
	v_add_u32_e32 v13, 16, v1
	ds_read_b32 v12, v1 offset:16
	v_and_b32_e32 v1, 1, v0
	v_add_co_u32_e32 v2, vcc, -1, v1
	v_addc_co_u32_e64 v3, s[4:5], 0, -1, vcc
	v_cmp_ne_u32_e32 vcc, 0, v1
	v_lshlrev_b32_e32 v43, 30, v0
	v_xor_b32_e32 v1, vcc_hi, v3
	v_not_b32_e32 v3, v43
	v_xor_b32_e32 v2, vcc_lo, v2
	v_cmp_gt_i64_e32 vcc, 0, v[42:43]
	v_ashrrev_i32_e32 v3, 31, v3
	v_and_b32_e32 v2, exec_lo, v2
	v_xor_b32_e32 v14, vcc_hi, v3
	v_xor_b32_e32 v3, vcc_lo, v3
	v_lshlrev_b32_e32 v43, 29, v0
	v_and_b32_e32 v2, v2, v3
	v_not_b32_e32 v3, v43
	v_and_b32_e32 v1, exec_hi, v1
	v_cmp_gt_i64_e32 vcc, 0, v[42:43]
	v_ashrrev_i32_e32 v3, 31, v3
	v_and_b32_e32 v1, v1, v14
	v_xor_b32_e32 v14, vcc_hi, v3
	v_xor_b32_e32 v3, vcc_lo, v3
	v_lshlrev_b32_e32 v43, 28, v0
	v_and_b32_e32 v2, v2, v3
	v_not_b32_e32 v3, v43
	v_cmp_gt_i64_e32 vcc, 0, v[42:43]
	v_ashrrev_i32_e32 v3, 31, v3
	v_and_b32_e32 v1, v1, v14
	v_xor_b32_e32 v14, vcc_hi, v3
	v_xor_b32_e32 v3, vcc_lo, v3
	v_lshlrev_b32_e32 v43, 27, v0
	v_and_b32_e32 v2, v2, v3
	v_not_b32_e32 v3, v43
	;; [unrolled: 8-line block ×3, first 2 shown]
	v_cmp_gt_i64_e32 vcc, 0, v[42:43]
	v_ashrrev_i32_e32 v3, 31, v3
	v_and_b32_e32 v1, v1, v14
	v_xor_b32_e32 v14, vcc_hi, v3
	v_xor_b32_e32 v3, vcc_lo, v3
	v_lshlrev_b32_e32 v43, 25, v0
	v_and_b32_e32 v2, v2, v3
	v_cmp_gt_i64_e32 vcc, 0, v[42:43]
	v_not_b32_e32 v3, v43
	v_lshlrev_b32_e32 v43, 24, v0
	v_ashrrev_i32_e32 v3, 31, v3
	v_not_b32_e32 v0, v43
	v_and_b32_e32 v1, v1, v14
	v_xor_b32_e32 v14, vcc_hi, v3
	v_xor_b32_e32 v3, vcc_lo, v3
	v_cmp_gt_i64_e32 vcc, 0, v[42:43]
	v_ashrrev_i32_e32 v0, 31, v0
	v_and_b32_e32 v2, v2, v3
	v_xor_b32_e32 v3, vcc_hi, v0
	v_xor_b32_e32 v0, vcc_lo, v0
	v_and_b32_e32 v1, v1, v14
	v_and_b32_e32 v0, v2, v0
	;; [unrolled: 1-line block ×3, first 2 shown]
	v_mbcnt_lo_u32_b32 v2, v0, 0
	v_mbcnt_hi_u32_b32 v14, v1, v2
	v_cmp_eq_u32_e32 vcc, 0, v14
	v_cmp_ne_u64_e64 s[4:5], 0, v[0:1]
	s_and_b64 s[58:59], s[4:5], vcc
	; wave barrier
	s_and_saveexec_b64 s[4:5], s[58:59]
	s_cbranch_execz .LBB156_89
; %bb.88:                               ;   in Loop: Header=BB156_81 Depth=1
	v_bcnt_u32_b32 v0, v0, 0
	v_bcnt_u32_b32 v0, v1, v0
	s_waitcnt lgkmcnt(0)
	v_add_u32_e32 v0, v12, v0
	ds_write_b32 v13, v0
.LBB156_89:                             ;   in Loop: Header=BB156_81 Depth=1
	s_or_b64 exec, exec, s[4:5]
	v_lshrrev_b64 v[0:1], s50, v[56:57]
	v_and_b32_e32 v0, s57, v0
	v_lshlrev_b32_e32 v1, 2, v0
	v_add_lshl_u32 v1, v1, v69, 2
	; wave barrier
	v_add_u32_e32 v18, 16, v1
	ds_read_b32 v15, v1 offset:16
	v_and_b32_e32 v1, 1, v0
	v_add_co_u32_e32 v2, vcc, -1, v1
	v_addc_co_u32_e64 v3, s[4:5], 0, -1, vcc
	v_cmp_ne_u32_e32 vcc, 0, v1
	v_lshlrev_b32_e32 v43, 30, v0
	v_xor_b32_e32 v1, vcc_hi, v3
	v_not_b32_e32 v3, v43
	v_xor_b32_e32 v2, vcc_lo, v2
	v_cmp_gt_i64_e32 vcc, 0, v[42:43]
	v_ashrrev_i32_e32 v3, 31, v3
	v_and_b32_e32 v2, exec_lo, v2
	v_xor_b32_e32 v19, vcc_hi, v3
	v_xor_b32_e32 v3, vcc_lo, v3
	v_lshlrev_b32_e32 v43, 29, v0
	v_and_b32_e32 v2, v2, v3
	v_not_b32_e32 v3, v43
	v_and_b32_e32 v1, exec_hi, v1
	v_cmp_gt_i64_e32 vcc, 0, v[42:43]
	v_ashrrev_i32_e32 v3, 31, v3
	v_and_b32_e32 v1, v1, v19
	v_xor_b32_e32 v19, vcc_hi, v3
	v_xor_b32_e32 v3, vcc_lo, v3
	v_lshlrev_b32_e32 v43, 28, v0
	v_and_b32_e32 v2, v2, v3
	v_not_b32_e32 v3, v43
	v_cmp_gt_i64_e32 vcc, 0, v[42:43]
	v_ashrrev_i32_e32 v3, 31, v3
	v_and_b32_e32 v1, v1, v19
	v_xor_b32_e32 v19, vcc_hi, v3
	v_xor_b32_e32 v3, vcc_lo, v3
	v_lshlrev_b32_e32 v43, 27, v0
	v_and_b32_e32 v2, v2, v3
	v_not_b32_e32 v3, v43
	;; [unrolled: 8-line block ×3, first 2 shown]
	v_cmp_gt_i64_e32 vcc, 0, v[42:43]
	v_ashrrev_i32_e32 v3, 31, v3
	v_and_b32_e32 v1, v1, v19
	v_xor_b32_e32 v19, vcc_hi, v3
	v_xor_b32_e32 v3, vcc_lo, v3
	v_lshlrev_b32_e32 v43, 25, v0
	v_and_b32_e32 v2, v2, v3
	v_cmp_gt_i64_e32 vcc, 0, v[42:43]
	v_not_b32_e32 v3, v43
	v_lshlrev_b32_e32 v43, 24, v0
	v_ashrrev_i32_e32 v3, 31, v3
	v_not_b32_e32 v0, v43
	v_and_b32_e32 v1, v1, v19
	v_xor_b32_e32 v19, vcc_hi, v3
	v_xor_b32_e32 v3, vcc_lo, v3
	v_cmp_gt_i64_e32 vcc, 0, v[42:43]
	v_ashrrev_i32_e32 v0, 31, v0
	v_and_b32_e32 v2, v2, v3
	v_xor_b32_e32 v3, vcc_hi, v0
	v_xor_b32_e32 v0, vcc_lo, v0
	v_and_b32_e32 v1, v1, v19
	v_and_b32_e32 v0, v2, v0
	;; [unrolled: 1-line block ×3, first 2 shown]
	v_mbcnt_lo_u32_b32 v2, v0, 0
	v_mbcnt_hi_u32_b32 v19, v1, v2
	v_cmp_eq_u32_e32 vcc, 0, v19
	v_cmp_ne_u64_e64 s[4:5], 0, v[0:1]
	s_and_b64 s[58:59], s[4:5], vcc
	; wave barrier
	s_and_saveexec_b64 s[4:5], s[58:59]
	s_cbranch_execz .LBB156_91
; %bb.90:                               ;   in Loop: Header=BB156_81 Depth=1
	v_bcnt_u32_b32 v0, v0, 0
	v_bcnt_u32_b32 v0, v1, v0
	s_waitcnt lgkmcnt(0)
	v_add_u32_e32 v0, v15, v0
	ds_write_b32 v18, v0
.LBB156_91:                             ;   in Loop: Header=BB156_81 Depth=1
	s_or_b64 exec, exec, s[4:5]
	v_lshrrev_b64 v[0:1], s50, v[54:55]
	v_and_b32_e32 v0, s57, v0
	v_lshlrev_b32_e32 v1, 2, v0
	v_add_lshl_u32 v1, v1, v69, 2
	; wave barrier
	v_add_u32_e32 v21, 16, v1
	ds_read_b32 v20, v1 offset:16
	v_and_b32_e32 v1, 1, v0
	v_add_co_u32_e32 v2, vcc, -1, v1
	v_addc_co_u32_e64 v3, s[4:5], 0, -1, vcc
	v_cmp_ne_u32_e32 vcc, 0, v1
	v_lshlrev_b32_e32 v43, 30, v0
	v_xor_b32_e32 v1, vcc_hi, v3
	v_not_b32_e32 v3, v43
	v_xor_b32_e32 v2, vcc_lo, v2
	v_cmp_gt_i64_e32 vcc, 0, v[42:43]
	v_ashrrev_i32_e32 v3, 31, v3
	v_and_b32_e32 v2, exec_lo, v2
	v_xor_b32_e32 v22, vcc_hi, v3
	v_xor_b32_e32 v3, vcc_lo, v3
	v_lshlrev_b32_e32 v43, 29, v0
	v_and_b32_e32 v2, v2, v3
	v_not_b32_e32 v3, v43
	v_and_b32_e32 v1, exec_hi, v1
	v_cmp_gt_i64_e32 vcc, 0, v[42:43]
	v_ashrrev_i32_e32 v3, 31, v3
	v_and_b32_e32 v1, v1, v22
	v_xor_b32_e32 v22, vcc_hi, v3
	v_xor_b32_e32 v3, vcc_lo, v3
	v_lshlrev_b32_e32 v43, 28, v0
	v_and_b32_e32 v2, v2, v3
	v_not_b32_e32 v3, v43
	v_cmp_gt_i64_e32 vcc, 0, v[42:43]
	v_ashrrev_i32_e32 v3, 31, v3
	v_and_b32_e32 v1, v1, v22
	v_xor_b32_e32 v22, vcc_hi, v3
	v_xor_b32_e32 v3, vcc_lo, v3
	v_lshlrev_b32_e32 v43, 27, v0
	v_and_b32_e32 v2, v2, v3
	v_not_b32_e32 v3, v43
	;; [unrolled: 8-line block ×3, first 2 shown]
	v_cmp_gt_i64_e32 vcc, 0, v[42:43]
	v_ashrrev_i32_e32 v3, 31, v3
	v_and_b32_e32 v1, v1, v22
	v_xor_b32_e32 v22, vcc_hi, v3
	v_xor_b32_e32 v3, vcc_lo, v3
	v_lshlrev_b32_e32 v43, 25, v0
	v_and_b32_e32 v2, v2, v3
	v_cmp_gt_i64_e32 vcc, 0, v[42:43]
	v_not_b32_e32 v3, v43
	v_lshlrev_b32_e32 v43, 24, v0
	v_ashrrev_i32_e32 v3, 31, v3
	v_not_b32_e32 v0, v43
	v_and_b32_e32 v1, v1, v22
	v_xor_b32_e32 v22, vcc_hi, v3
	v_xor_b32_e32 v3, vcc_lo, v3
	v_cmp_gt_i64_e32 vcc, 0, v[42:43]
	v_ashrrev_i32_e32 v0, 31, v0
	v_and_b32_e32 v2, v2, v3
	v_xor_b32_e32 v3, vcc_hi, v0
	v_xor_b32_e32 v0, vcc_lo, v0
	v_and_b32_e32 v1, v1, v22
	v_and_b32_e32 v0, v2, v0
	;; [unrolled: 1-line block ×3, first 2 shown]
	v_mbcnt_lo_u32_b32 v2, v0, 0
	v_mbcnt_hi_u32_b32 v22, v1, v2
	v_cmp_eq_u32_e32 vcc, 0, v22
	v_cmp_ne_u64_e64 s[4:5], 0, v[0:1]
	s_and_b64 s[58:59], s[4:5], vcc
	; wave barrier
	s_and_saveexec_b64 s[4:5], s[58:59]
	s_cbranch_execz .LBB156_93
; %bb.92:                               ;   in Loop: Header=BB156_81 Depth=1
	v_bcnt_u32_b32 v0, v0, 0
	v_bcnt_u32_b32 v0, v1, v0
	s_waitcnt lgkmcnt(0)
	v_add_u32_e32 v0, v20, v0
	ds_write_b32 v21, v0
.LBB156_93:                             ;   in Loop: Header=BB156_81 Depth=1
	s_or_b64 exec, exec, s[4:5]
	v_lshrrev_b64 v[0:1], s50, v[52:53]
	v_and_b32_e32 v0, s57, v0
	v_lshlrev_b32_e32 v1, 2, v0
	v_add_lshl_u32 v1, v1, v69, 2
	; wave barrier
	v_add_u32_e32 v24, 16, v1
	ds_read_b32 v23, v1 offset:16
	v_and_b32_e32 v1, 1, v0
	v_add_co_u32_e32 v2, vcc, -1, v1
	v_addc_co_u32_e64 v3, s[4:5], 0, -1, vcc
	v_cmp_ne_u32_e32 vcc, 0, v1
	v_lshlrev_b32_e32 v43, 30, v0
	v_xor_b32_e32 v1, vcc_hi, v3
	v_not_b32_e32 v3, v43
	v_xor_b32_e32 v2, vcc_lo, v2
	v_cmp_gt_i64_e32 vcc, 0, v[42:43]
	v_ashrrev_i32_e32 v3, 31, v3
	v_and_b32_e32 v2, exec_lo, v2
	v_xor_b32_e32 v25, vcc_hi, v3
	v_xor_b32_e32 v3, vcc_lo, v3
	v_lshlrev_b32_e32 v43, 29, v0
	v_and_b32_e32 v2, v2, v3
	v_not_b32_e32 v3, v43
	v_and_b32_e32 v1, exec_hi, v1
	v_cmp_gt_i64_e32 vcc, 0, v[42:43]
	v_ashrrev_i32_e32 v3, 31, v3
	v_and_b32_e32 v1, v1, v25
	v_xor_b32_e32 v25, vcc_hi, v3
	v_xor_b32_e32 v3, vcc_lo, v3
	v_lshlrev_b32_e32 v43, 28, v0
	v_and_b32_e32 v2, v2, v3
	v_not_b32_e32 v3, v43
	v_cmp_gt_i64_e32 vcc, 0, v[42:43]
	v_ashrrev_i32_e32 v3, 31, v3
	v_and_b32_e32 v1, v1, v25
	v_xor_b32_e32 v25, vcc_hi, v3
	v_xor_b32_e32 v3, vcc_lo, v3
	v_lshlrev_b32_e32 v43, 27, v0
	v_and_b32_e32 v2, v2, v3
	v_not_b32_e32 v3, v43
	;; [unrolled: 8-line block ×3, first 2 shown]
	v_cmp_gt_i64_e32 vcc, 0, v[42:43]
	v_ashrrev_i32_e32 v3, 31, v3
	v_and_b32_e32 v1, v1, v25
	v_xor_b32_e32 v25, vcc_hi, v3
	v_xor_b32_e32 v3, vcc_lo, v3
	v_lshlrev_b32_e32 v43, 25, v0
	v_and_b32_e32 v2, v2, v3
	v_cmp_gt_i64_e32 vcc, 0, v[42:43]
	v_not_b32_e32 v3, v43
	v_lshlrev_b32_e32 v43, 24, v0
	v_ashrrev_i32_e32 v3, 31, v3
	v_not_b32_e32 v0, v43
	v_and_b32_e32 v1, v1, v25
	v_xor_b32_e32 v25, vcc_hi, v3
	v_xor_b32_e32 v3, vcc_lo, v3
	v_cmp_gt_i64_e32 vcc, 0, v[42:43]
	v_ashrrev_i32_e32 v0, 31, v0
	v_and_b32_e32 v2, v2, v3
	v_xor_b32_e32 v3, vcc_hi, v0
	v_xor_b32_e32 v0, vcc_lo, v0
	v_and_b32_e32 v1, v1, v25
	v_and_b32_e32 v0, v2, v0
	v_and_b32_e32 v1, v1, v3
	v_mbcnt_lo_u32_b32 v2, v0, 0
	v_mbcnt_hi_u32_b32 v25, v1, v2
	v_cmp_eq_u32_e32 vcc, 0, v25
	v_cmp_ne_u64_e64 s[4:5], 0, v[0:1]
	s_and_b64 s[58:59], s[4:5], vcc
	; wave barrier
	s_and_saveexec_b64 s[4:5], s[58:59]
	s_cbranch_execz .LBB156_95
; %bb.94:                               ;   in Loop: Header=BB156_81 Depth=1
	v_bcnt_u32_b32 v0, v0, 0
	v_bcnt_u32_b32 v0, v1, v0
	s_waitcnt lgkmcnt(0)
	v_add_u32_e32 v0, v23, v0
	ds_write_b32 v24, v0
.LBB156_95:                             ;   in Loop: Header=BB156_81 Depth=1
	s_or_b64 exec, exec, s[4:5]
	v_lshrrev_b64 v[0:1], s50, v[46:47]
	v_and_b32_e32 v0, s57, v0
	v_lshlrev_b32_e32 v1, 2, v0
	v_add_lshl_u32 v1, v1, v69, 2
	; wave barrier
	v_add_u32_e32 v27, 16, v1
	ds_read_b32 v26, v1 offset:16
	v_and_b32_e32 v1, 1, v0
	v_add_co_u32_e32 v2, vcc, -1, v1
	v_addc_co_u32_e64 v3, s[4:5], 0, -1, vcc
	v_cmp_ne_u32_e32 vcc, 0, v1
	v_lshlrev_b32_e32 v43, 30, v0
	v_xor_b32_e32 v1, vcc_hi, v3
	v_not_b32_e32 v3, v43
	v_xor_b32_e32 v2, vcc_lo, v2
	v_cmp_gt_i64_e32 vcc, 0, v[42:43]
	v_ashrrev_i32_e32 v3, 31, v3
	v_and_b32_e32 v2, exec_lo, v2
	v_xor_b32_e32 v28, vcc_hi, v3
	v_xor_b32_e32 v3, vcc_lo, v3
	v_lshlrev_b32_e32 v43, 29, v0
	v_and_b32_e32 v2, v2, v3
	v_not_b32_e32 v3, v43
	v_and_b32_e32 v1, exec_hi, v1
	v_cmp_gt_i64_e32 vcc, 0, v[42:43]
	v_ashrrev_i32_e32 v3, 31, v3
	v_and_b32_e32 v1, v1, v28
	v_xor_b32_e32 v28, vcc_hi, v3
	v_xor_b32_e32 v3, vcc_lo, v3
	v_lshlrev_b32_e32 v43, 28, v0
	v_and_b32_e32 v2, v2, v3
	v_not_b32_e32 v3, v43
	v_cmp_gt_i64_e32 vcc, 0, v[42:43]
	v_ashrrev_i32_e32 v3, 31, v3
	v_and_b32_e32 v1, v1, v28
	v_xor_b32_e32 v28, vcc_hi, v3
	v_xor_b32_e32 v3, vcc_lo, v3
	v_lshlrev_b32_e32 v43, 27, v0
	v_and_b32_e32 v2, v2, v3
	v_not_b32_e32 v3, v43
	;; [unrolled: 8-line block ×3, first 2 shown]
	v_cmp_gt_i64_e32 vcc, 0, v[42:43]
	v_ashrrev_i32_e32 v3, 31, v3
	v_and_b32_e32 v1, v1, v28
	v_xor_b32_e32 v28, vcc_hi, v3
	v_xor_b32_e32 v3, vcc_lo, v3
	v_lshlrev_b32_e32 v43, 25, v0
	v_and_b32_e32 v2, v2, v3
	v_cmp_gt_i64_e32 vcc, 0, v[42:43]
	v_not_b32_e32 v3, v43
	v_lshlrev_b32_e32 v43, 24, v0
	v_ashrrev_i32_e32 v3, 31, v3
	v_not_b32_e32 v0, v43
	v_and_b32_e32 v1, v1, v28
	v_xor_b32_e32 v28, vcc_hi, v3
	v_xor_b32_e32 v3, vcc_lo, v3
	v_cmp_gt_i64_e32 vcc, 0, v[42:43]
	v_ashrrev_i32_e32 v0, 31, v0
	v_and_b32_e32 v2, v2, v3
	v_xor_b32_e32 v3, vcc_hi, v0
	v_xor_b32_e32 v0, vcc_lo, v0
	v_and_b32_e32 v1, v1, v28
	v_and_b32_e32 v0, v2, v0
	;; [unrolled: 1-line block ×3, first 2 shown]
	v_mbcnt_lo_u32_b32 v2, v0, 0
	v_mbcnt_hi_u32_b32 v28, v1, v2
	v_cmp_eq_u32_e32 vcc, 0, v28
	v_cmp_ne_u64_e64 s[4:5], 0, v[0:1]
	s_and_b64 s[58:59], s[4:5], vcc
	; wave barrier
	s_and_saveexec_b64 s[4:5], s[58:59]
	s_cbranch_execz .LBB156_97
; %bb.96:                               ;   in Loop: Header=BB156_81 Depth=1
	v_bcnt_u32_b32 v0, v0, 0
	v_bcnt_u32_b32 v0, v1, v0
	s_waitcnt lgkmcnt(0)
	v_add_u32_e32 v0, v26, v0
	ds_write_b32 v27, v0
.LBB156_97:                             ;   in Loop: Header=BB156_81 Depth=1
	s_or_b64 exec, exec, s[4:5]
	; wave barrier
	s_waitcnt lgkmcnt(0)
	s_barrier
	ds_read2_b32 v[2:3], v110 offset0:4 offset1:5
	ds_read2_b32 v[0:1], v68 offset0:2 offset1:3
	s_waitcnt lgkmcnt(1)
	v_add_u32_e32 v29, v3, v2
	s_waitcnt lgkmcnt(0)
	v_add3_u32 v1, v29, v0, v1
	s_nop 1
	v_mov_b32_dpp v29, v1 row_shr:1 row_mask:0xf bank_mask:0xf
	v_cndmask_b32_e64 v29, v29, 0, s[16:17]
	v_add_u32_e32 v1, v29, v1
	s_nop 1
	v_mov_b32_dpp v29, v1 row_shr:2 row_mask:0xf bank_mask:0xf
	v_cndmask_b32_e64 v29, 0, v29, s[18:19]
	v_add_u32_e32 v1, v1, v29
	s_nop 1
	v_mov_b32_dpp v29, v1 row_shr:4 row_mask:0xf bank_mask:0xf
	v_cndmask_b32_e64 v29, 0, v29, s[20:21]
	v_add_u32_e32 v1, v1, v29
	s_nop 1
	v_mov_b32_dpp v29, v1 row_shr:8 row_mask:0xf bank_mask:0xf
	v_cndmask_b32_e64 v29, 0, v29, s[22:23]
	v_add_u32_e32 v1, v1, v29
	s_nop 1
	v_mov_b32_dpp v29, v1 row_bcast:15 row_mask:0xf bank_mask:0xf
	v_cndmask_b32_e64 v29, v29, 0, s[24:25]
	v_add_u32_e32 v1, v1, v29
	s_nop 1
	v_mov_b32_dpp v29, v1 row_bcast:31 row_mask:0xf bank_mask:0xf
	v_cndmask_b32_e64 v29, 0, v29, s[26:27]
	v_add_u32_e32 v1, v1, v29
	s_and_saveexec_b64 s[4:5], s[28:29]
	s_cbranch_execz .LBB156_99
; %bb.98:                               ;   in Loop: Header=BB156_81 Depth=1
	ds_write_b32 v71, v1
.LBB156_99:                             ;   in Loop: Header=BB156_81 Depth=1
	s_or_b64 exec, exec, s[4:5]
	s_waitcnt lgkmcnt(0)
	s_barrier
	s_and_saveexec_b64 s[4:5], s[30:31]
	s_cbranch_execz .LBB156_101
; %bb.100:                              ;   in Loop: Header=BB156_81 Depth=1
	ds_read_b32 v29, v109
	s_waitcnt lgkmcnt(0)
	s_nop 0
	v_mov_b32_dpp v30, v29 row_shr:1 row_mask:0xf bank_mask:0xf
	v_cndmask_b32_e64 v30, v30, 0, s[40:41]
	v_add_u32_e32 v29, v30, v29
	s_nop 1
	v_mov_b32_dpp v30, v29 row_shr:2 row_mask:0xf bank_mask:0xf
	v_cndmask_b32_e64 v30, 0, v30, s[42:43]
	v_add_u32_e32 v29, v29, v30
	ds_write_b32 v109, v29
.LBB156_101:                            ;   in Loop: Header=BB156_81 Depth=1
	s_or_b64 exec, exec, s[4:5]
	v_mov_b32_e32 v29, 0
	s_waitcnt lgkmcnt(0)
	s_barrier
	s_and_saveexec_b64 s[4:5], s[34:35]
	s_cbranch_execz .LBB156_103
; %bb.102:                              ;   in Loop: Header=BB156_81 Depth=1
	ds_read_b32 v29, v72
.LBB156_103:                            ;   in Loop: Header=BB156_81 Depth=1
	s_or_b64 exec, exec, s[4:5]
	s_waitcnt lgkmcnt(0)
	v_add_u32_e32 v1, v29, v1
	ds_bpermute_b32 v1, v70, v1
	s_cmp_gt_u32 s50, 55
	s_waitcnt lgkmcnt(0)
	v_cndmask_b32_e64 v1, v1, v29, s[36:37]
	v_cndmask_b32_e64 v1, v1, 0, s[38:39]
	v_add_u32_e32 v2, v1, v2
	v_add_u32_e32 v3, v2, v3
	;; [unrolled: 1-line block ×3, first 2 shown]
	ds_write2_b32 v110, v1, v2 offset0:4 offset1:5
	ds_write2_b32 v68, v3, v0 offset0:2 offset1:3
	s_waitcnt lgkmcnt(0)
	s_barrier
	ds_read_b32 v0, v4
	ds_read_b32 v1, v7
	;; [unrolled: 1-line block ×8, first 2 shown]
	s_waitcnt lgkmcnt(7)
	v_add_u32_e32 v80, v0, v5
	s_waitcnt lgkmcnt(6)
	v_add3_u32 v79, v8, v6, v1
	s_waitcnt lgkmcnt(5)
	v_add3_u32 v78, v11, v9, v2
	;; [unrolled: 2-line block ×7, first 2 shown]
	s_cbranch_scc0 .LBB156_80
; %bb.104:
                                        ; implicit-def: $vgpr32_vgpr33
                                        ; implicit-def: $vgpr28_vgpr29
                                        ; implicit-def: $vgpr24_vgpr25
                                        ; implicit-def: $vgpr20_vgpr21
                                        ; implicit-def: $vgpr14_vgpr15
                                        ; implicit-def: $vgpr10_vgpr11
                                        ; implicit-def: $vgpr6_vgpr7
                                        ; implicit-def: $vgpr2_vgpr3
                                        ; implicit-def: $sgpr50_sgpr51
                                        ; implicit-def: $sgpr53
.LBB156_105:
	v_lshlrev_b32_e32 v18, 3, v80
	v_lshlrev_b32_e32 v19, 3, v79
	;; [unrolled: 1-line block ×9, first 2 shown]
	s_barrier
	ds_write_b64 v18, v[64:65]
	ds_write_b64 v19, v[62:63]
	;; [unrolled: 1-line block ×8, first 2 shown]
	s_waitcnt lgkmcnt(0)
	s_barrier
	ds_read2_b64 v[0:3], v26 offset1:1
	ds_read2_b64 v[4:7], v26 offset0:2 offset1:3
	ds_read2_b64 v[8:11], v26 offset0:4 offset1:5
	;; [unrolled: 1-line block ×3, first 2 shown]
	s_waitcnt lgkmcnt(0)
	s_barrier
	ds_write_b64 v18, v[50:51]
	ds_write_b64 v19, v[48:49]
	;; [unrolled: 1-line block ×8, first 2 shown]
	s_waitcnt lgkmcnt(0)
	s_barrier
	ds_read2_b64 v[34:37], v26 offset1:1
	ds_read2_b64 v[38:41], v26 offset0:2 offset1:3
	ds_read2_b64 v[42:45], v26 offset0:4 offset1:5
	;; [unrolled: 1-line block ×3, first 2 shown]
	v_xor_b32_e32 v51, 0x7fffffff, v1
	v_xor_b32_e32 v50, -1, v0
	v_xor_b32_e32 v53, 0x7fffffff, v3
	v_xor_b32_e32 v52, -1, v2
	;; [unrolled: 2-line block ×8, first 2 shown]
.LBB156_106:
	s_waitcnt lgkmcnt(0)
	s_barrier
	ds_write2_b64 v107, v[50:51], v[52:53] offset1:1
	ds_write2_b64 v107, v[54:55], v[56:57] offset0:2 offset1:3
	ds_write2_b64 v107, v[58:59], v[60:61] offset0:4 offset1:5
	;; [unrolled: 1-line block ×3, first 2 shown]
	s_waitcnt lgkmcnt(0)
	s_barrier
	ds_read_b64 v[14:15], v100 offset:2048
	ds_read_b64 v[12:13], v101 offset:4096
	;; [unrolled: 1-line block ×7, first 2 shown]
	v_mad_u64_u32 v[4:5], s[4:5], v66, s46, 0
	v_mov_b32_e32 v16, v5
	v_mad_u64_u32 v[16:17], s[4:5], v66, s47, v[16:17]
	v_mov_b32_e32 v5, v16
	v_lshlrev_b64 v[4:5], 3, v[4:5]
	v_mov_b32_e32 v16, s54
	v_add_co_u32_e32 v4, vcc, s33, v4
	v_addc_co_u32_e32 v5, vcc, v16, v5, vcc
	s_and_saveexec_b64 s[4:5], s[0:1]
	s_cbranch_execnz .LBB156_125
; %bb.107:
	s_or_b64 exec, exec, s[4:5]
	s_and_saveexec_b64 s[4:5], s[2:3]
	s_cbranch_execnz .LBB156_126
.LBB156_108:
	s_or_b64 exec, exec, s[4:5]
	s_and_saveexec_b64 s[4:5], s[44:45]
	s_cbranch_execnz .LBB156_127
.LBB156_109:
	s_or_b64 exec, exec, s[4:5]
	s_and_saveexec_b64 s[4:5], s[6:7]
	s_cbranch_execnz .LBB156_128
.LBB156_110:
	s_or_b64 exec, exec, s[4:5]
	s_and_saveexec_b64 s[4:5], s[8:9]
	s_cbranch_execnz .LBB156_129
.LBB156_111:
	s_or_b64 exec, exec, s[4:5]
	s_and_saveexec_b64 s[4:5], s[10:11]
	s_cbranch_execnz .LBB156_130
.LBB156_112:
	s_or_b64 exec, exec, s[4:5]
	s_and_saveexec_b64 s[4:5], s[12:13]
	s_cbranch_execnz .LBB156_131
.LBB156_113:
	s_or_b64 exec, exec, s[4:5]
	s_and_saveexec_b64 s[4:5], s[14:15]
	s_cbranch_execz .LBB156_115
.LBB156_114:
	s_waitcnt lgkmcnt(1)
	v_mov_b32_e32 v2, 0x3800
	v_mad_u64_u32 v[2:3], s[16:17], s46, v2, v[4:5]
	s_mul_i32 s16, s47, 0x3800
	v_add_u32_e32 v3, s16, v3
	s_waitcnt lgkmcnt(0)
	global_store_dwordx2 v[2:3], v[0:1], off
.LBB156_115:
	s_or_b64 exec, exec, s[4:5]
	s_waitcnt lgkmcnt(0)
	s_barrier
	ds_write2_b64 v107, v[34:35], v[36:37] offset1:1
	ds_write2_b64 v107, v[38:39], v[40:41] offset0:2 offset1:3
	ds_write2_b64 v107, v[42:43], v[44:45] offset0:4 offset1:5
	;; [unrolled: 1-line block ×3, first 2 shown]
	s_waitcnt lgkmcnt(0)
	s_barrier
	ds_read_b64 v[14:15], v100 offset:2048
	ds_read_b64 v[12:13], v101 offset:4096
	;; [unrolled: 1-line block ×7, first 2 shown]
	v_mad_u64_u32 v[4:5], s[4:5], v66, s48, 0
	v_mov_b32_e32 v16, v5
	v_mad_u64_u32 v[16:17], s[4:5], v66, s49, v[16:17]
	v_mov_b32_e32 v5, v16
	v_lshlrev_b64 v[4:5], 3, v[4:5]
	v_mov_b32_e32 v16, s56
	v_add_co_u32_e32 v4, vcc, s55, v4
	v_addc_co_u32_e32 v5, vcc, v16, v5, vcc
	s_and_saveexec_b64 s[4:5], s[0:1]
	s_cbranch_execnz .LBB156_132
; %bb.116:
	s_or_b64 exec, exec, s[4:5]
	s_and_saveexec_b64 s[0:1], s[2:3]
	s_cbranch_execnz .LBB156_133
.LBB156_117:
	s_or_b64 exec, exec, s[0:1]
	s_and_saveexec_b64 s[0:1], s[44:45]
	s_cbranch_execnz .LBB156_134
.LBB156_118:
	s_or_b64 exec, exec, s[0:1]
	s_and_saveexec_b64 s[0:1], s[6:7]
	s_cbranch_execnz .LBB156_135
.LBB156_119:
	s_or_b64 exec, exec, s[0:1]
	s_and_saveexec_b64 s[0:1], s[8:9]
	s_cbranch_execnz .LBB156_136
.LBB156_120:
	s_or_b64 exec, exec, s[0:1]
	s_and_saveexec_b64 s[0:1], s[10:11]
	s_cbranch_execnz .LBB156_137
.LBB156_121:
	s_or_b64 exec, exec, s[0:1]
	s_and_saveexec_b64 s[0:1], s[12:13]
	s_cbranch_execnz .LBB156_138
.LBB156_122:
	s_or_b64 exec, exec, s[0:1]
	s_and_saveexec_b64 s[0:1], s[14:15]
	s_cbranch_execz .LBB156_124
.LBB156_123:
	s_waitcnt lgkmcnt(1)
	v_mov_b32_e32 v2, 0x3800
	v_mad_u64_u32 v[2:3], s[0:1], s48, v2, v[4:5]
	s_mul_i32 s0, s49, 0x3800
	v_add_u32_e32 v3, s0, v3
	s_waitcnt lgkmcnt(0)
	global_store_dwordx2 v[2:3], v[0:1], off
.LBB156_124:
	s_endpgm
.LBB156_125:
	ds_read_b64 v[16:17], v67
	s_waitcnt lgkmcnt(0)
	global_store_dwordx2 v[4:5], v[16:17], off
	s_or_b64 exec, exec, s[4:5]
	s_and_saveexec_b64 s[4:5], s[2:3]
	s_cbranch_execz .LBB156_108
.LBB156_126:
	s_lshl_b64 s[16:17], s[46:47], 11
	v_mov_b32_e32 v17, s17
	v_add_co_u32_e32 v16, vcc, s16, v4
	v_addc_co_u32_e32 v17, vcc, v5, v17, vcc
	s_waitcnt lgkmcnt(6)
	global_store_dwordx2 v[16:17], v[14:15], off
	s_or_b64 exec, exec, s[4:5]
	s_and_saveexec_b64 s[4:5], s[44:45]
	s_cbranch_execz .LBB156_109
.LBB156_127:
	s_lshl_b64 s[16:17], s[46:47], 12
	s_waitcnt lgkmcnt(6)
	v_mov_b32_e32 v15, s17
	v_add_co_u32_e32 v14, vcc, s16, v4
	v_addc_co_u32_e32 v15, vcc, v5, v15, vcc
	s_waitcnt lgkmcnt(5)
	global_store_dwordx2 v[14:15], v[12:13], off
	s_or_b64 exec, exec, s[4:5]
	s_and_saveexec_b64 s[4:5], s[6:7]
	s_cbranch_execz .LBB156_110
.LBB156_128:
	s_waitcnt lgkmcnt(5)
	v_mov_b32_e32 v12, 0x1800
	v_mad_u64_u32 v[12:13], s[16:17], s46, v12, v[4:5]
	s_mul_i32 s16, s47, 0x1800
	v_add_u32_e32 v13, s16, v13
	s_waitcnt lgkmcnt(4)
	global_store_dwordx2 v[12:13], v[10:11], off
	s_or_b64 exec, exec, s[4:5]
	s_and_saveexec_b64 s[4:5], s[8:9]
	s_cbranch_execz .LBB156_111
.LBB156_129:
	s_lshl_b64 s[16:17], s[46:47], 13
	s_waitcnt lgkmcnt(4)
	v_mov_b32_e32 v11, s17
	v_add_co_u32_e32 v10, vcc, s16, v4
	v_addc_co_u32_e32 v11, vcc, v5, v11, vcc
	s_waitcnt lgkmcnt(3)
	global_store_dwordx2 v[10:11], v[8:9], off
	s_or_b64 exec, exec, s[4:5]
	s_and_saveexec_b64 s[4:5], s[10:11]
	s_cbranch_execz .LBB156_112
.LBB156_130:
	s_waitcnt lgkmcnt(3)
	v_mov_b32_e32 v8, 0x2800
	v_mad_u64_u32 v[8:9], s[16:17], s46, v8, v[4:5]
	s_mul_i32 s16, s47, 0x2800
	v_add_u32_e32 v9, s16, v9
	s_waitcnt lgkmcnt(2)
	global_store_dwordx2 v[8:9], v[6:7], off
	s_or_b64 exec, exec, s[4:5]
	s_and_saveexec_b64 s[4:5], s[12:13]
	s_cbranch_execz .LBB156_113
.LBB156_131:
	s_waitcnt lgkmcnt(2)
	v_mov_b32_e32 v6, 0x3000
	v_mad_u64_u32 v[6:7], s[16:17], s46, v6, v[4:5]
	s_mul_i32 s16, s47, 0x3000
	v_add_u32_e32 v7, s16, v7
	s_waitcnt lgkmcnt(1)
	global_store_dwordx2 v[6:7], v[2:3], off
	s_or_b64 exec, exec, s[4:5]
	s_and_saveexec_b64 s[4:5], s[14:15]
	s_cbranch_execnz .LBB156_114
	s_branch .LBB156_115
.LBB156_132:
	ds_read_b64 v[16:17], v67
	s_waitcnt lgkmcnt(0)
	global_store_dwordx2 v[4:5], v[16:17], off
	s_or_b64 exec, exec, s[4:5]
	s_and_saveexec_b64 s[0:1], s[2:3]
	s_cbranch_execz .LBB156_117
.LBB156_133:
	s_lshl_b64 s[2:3], s[48:49], 11
	v_mov_b32_e32 v17, s3
	v_add_co_u32_e32 v16, vcc, s2, v4
	v_addc_co_u32_e32 v17, vcc, v5, v17, vcc
	s_waitcnt lgkmcnt(6)
	global_store_dwordx2 v[16:17], v[14:15], off
	s_or_b64 exec, exec, s[0:1]
	s_and_saveexec_b64 s[0:1], s[44:45]
	s_cbranch_execz .LBB156_118
.LBB156_134:
	s_lshl_b64 s[2:3], s[48:49], 12
	s_waitcnt lgkmcnt(6)
	v_mov_b32_e32 v15, s3
	v_add_co_u32_e32 v14, vcc, s2, v4
	v_addc_co_u32_e32 v15, vcc, v5, v15, vcc
	s_waitcnt lgkmcnt(5)
	global_store_dwordx2 v[14:15], v[12:13], off
	s_or_b64 exec, exec, s[0:1]
	s_and_saveexec_b64 s[0:1], s[6:7]
	s_cbranch_execz .LBB156_119
.LBB156_135:
	s_waitcnt lgkmcnt(5)
	v_mov_b32_e32 v12, 0x1800
	v_mad_u64_u32 v[12:13], s[2:3], s48, v12, v[4:5]
	s_mul_i32 s2, s49, 0x1800
	v_add_u32_e32 v13, s2, v13
	s_waitcnt lgkmcnt(4)
	global_store_dwordx2 v[12:13], v[10:11], off
	s_or_b64 exec, exec, s[0:1]
	s_and_saveexec_b64 s[0:1], s[8:9]
	s_cbranch_execz .LBB156_120
.LBB156_136:
	s_lshl_b64 s[2:3], s[48:49], 13
	s_waitcnt lgkmcnt(4)
	v_mov_b32_e32 v11, s3
	v_add_co_u32_e32 v10, vcc, s2, v4
	v_addc_co_u32_e32 v11, vcc, v5, v11, vcc
	s_waitcnt lgkmcnt(3)
	global_store_dwordx2 v[10:11], v[8:9], off
	s_or_b64 exec, exec, s[0:1]
	s_and_saveexec_b64 s[0:1], s[10:11]
	s_cbranch_execz .LBB156_121
.LBB156_137:
	s_waitcnt lgkmcnt(3)
	v_mov_b32_e32 v8, 0x2800
	v_mad_u64_u32 v[8:9], s[2:3], s48, v8, v[4:5]
	s_mul_i32 s2, s49, 0x2800
	v_add_u32_e32 v9, s2, v9
	s_waitcnt lgkmcnt(2)
	global_store_dwordx2 v[8:9], v[6:7], off
	s_or_b64 exec, exec, s[0:1]
	s_and_saveexec_b64 s[0:1], s[12:13]
	s_cbranch_execz .LBB156_122
.LBB156_138:
	s_waitcnt lgkmcnt(2)
	v_mov_b32_e32 v6, 0x3000
	v_mad_u64_u32 v[6:7], s[2:3], s48, v6, v[4:5]
	s_mul_i32 s2, s49, 0x3000
	v_add_u32_e32 v7, s2, v7
	s_waitcnt lgkmcnt(1)
	global_store_dwordx2 v[6:7], v[2:3], off
	s_or_b64 exec, exec, s[0:1]
	s_and_saveexec_b64 s[0:1], s[14:15]
	s_cbranch_execnz .LBB156_123
	s_branch .LBB156_124
	.section	.rodata,"a",@progbits
	.p2align	6, 0x0
	.amdhsa_kernel _ZN2at6native18radixSortKVInPlaceILin1ELin1ELi256ELi8EllmEEvNS_4cuda6detail10TensorInfoIT3_T5_EES6_S6_S6_NS4_IT4_S6_EES6_b
		.amdhsa_group_segment_fixed_size 16896
		.amdhsa_private_segment_fixed_size 0
		.amdhsa_kernarg_size 1128
		.amdhsa_user_sgpr_count 6
		.amdhsa_user_sgpr_private_segment_buffer 1
		.amdhsa_user_sgpr_dispatch_ptr 0
		.amdhsa_user_sgpr_queue_ptr 0
		.amdhsa_user_sgpr_kernarg_segment_ptr 1
		.amdhsa_user_sgpr_dispatch_id 0
		.amdhsa_user_sgpr_flat_scratch_init 0
		.amdhsa_user_sgpr_kernarg_preload_length 0
		.amdhsa_user_sgpr_kernarg_preload_offset 0
		.amdhsa_user_sgpr_private_segment_size 0
		.amdhsa_uses_dynamic_stack 0
		.amdhsa_system_sgpr_private_segment_wavefront_offset 0
		.amdhsa_system_sgpr_workgroup_id_x 1
		.amdhsa_system_sgpr_workgroup_id_y 1
		.amdhsa_system_sgpr_workgroup_id_z 1
		.amdhsa_system_sgpr_workgroup_info 0
		.amdhsa_system_vgpr_workitem_id 2
		.amdhsa_next_free_vgpr 137
		.amdhsa_next_free_sgpr 62
		.amdhsa_accum_offset 140
		.amdhsa_reserve_vcc 1
		.amdhsa_reserve_flat_scratch 0
		.amdhsa_float_round_mode_32 0
		.amdhsa_float_round_mode_16_64 0
		.amdhsa_float_denorm_mode_32 3
		.amdhsa_float_denorm_mode_16_64 3
		.amdhsa_dx10_clamp 1
		.amdhsa_ieee_mode 1
		.amdhsa_fp16_overflow 0
		.amdhsa_tg_split 0
		.amdhsa_exception_fp_ieee_invalid_op 0
		.amdhsa_exception_fp_denorm_src 0
		.amdhsa_exception_fp_ieee_div_zero 0
		.amdhsa_exception_fp_ieee_overflow 0
		.amdhsa_exception_fp_ieee_underflow 0
		.amdhsa_exception_fp_ieee_inexact 0
		.amdhsa_exception_int_div_zero 0
	.end_amdhsa_kernel
	.section	.text._ZN2at6native18radixSortKVInPlaceILin1ELin1ELi256ELi8EllmEEvNS_4cuda6detail10TensorInfoIT3_T5_EES6_S6_S6_NS4_IT4_S6_EES6_b,"axG",@progbits,_ZN2at6native18radixSortKVInPlaceILin1ELin1ELi256ELi8EllmEEvNS_4cuda6detail10TensorInfoIT3_T5_EES6_S6_S6_NS4_IT4_S6_EES6_b,comdat
.Lfunc_end156:
	.size	_ZN2at6native18radixSortKVInPlaceILin1ELin1ELi256ELi8EllmEEvNS_4cuda6detail10TensorInfoIT3_T5_EES6_S6_S6_NS4_IT4_S6_EES6_b, .Lfunc_end156-_ZN2at6native18radixSortKVInPlaceILin1ELin1ELi256ELi8EllmEEvNS_4cuda6detail10TensorInfoIT3_T5_EES6_S6_S6_NS4_IT4_S6_EES6_b
                                        ; -- End function
	.section	.AMDGPU.csdata,"",@progbits
; Kernel info:
; codeLenInByte = 14688
; NumSgprs: 66
; NumVgprs: 137
; NumAgprs: 0
; TotalNumVgprs: 137
; ScratchSize: 0
; MemoryBound: 0
; FloatMode: 240
; IeeeMode: 1
; LDSByteSize: 16896 bytes/workgroup (compile time only)
; SGPRBlocks: 8
; VGPRBlocks: 17
; NumSGPRsForWavesPerEU: 66
; NumVGPRsForWavesPerEU: 137
; AccumOffset: 140
; Occupancy: 3
; WaveLimiterHint : 1
; COMPUTE_PGM_RSRC2:SCRATCH_EN: 0
; COMPUTE_PGM_RSRC2:USER_SGPR: 6
; COMPUTE_PGM_RSRC2:TRAP_HANDLER: 0
; COMPUTE_PGM_RSRC2:TGID_X_EN: 1
; COMPUTE_PGM_RSRC2:TGID_Y_EN: 1
; COMPUTE_PGM_RSRC2:TGID_Z_EN: 1
; COMPUTE_PGM_RSRC2:TIDIG_COMP_CNT: 2
; COMPUTE_PGM_RSRC3_GFX90A:ACCUM_OFFSET: 34
; COMPUTE_PGM_RSRC3_GFX90A:TG_SPLIT: 0
	.section	.text._ZN2at6native18radixSortKVInPlaceILin1ELin1ELi128ELi8EllmEEvNS_4cuda6detail10TensorInfoIT3_T5_EES6_S6_S6_NS4_IT4_S6_EES6_b,"axG",@progbits,_ZN2at6native18radixSortKVInPlaceILin1ELin1ELi128ELi8EllmEEvNS_4cuda6detail10TensorInfoIT3_T5_EES6_S6_S6_NS4_IT4_S6_EES6_b,comdat
	.protected	_ZN2at6native18radixSortKVInPlaceILin1ELin1ELi128ELi8EllmEEvNS_4cuda6detail10TensorInfoIT3_T5_EES6_S6_S6_NS4_IT4_S6_EES6_b ; -- Begin function _ZN2at6native18radixSortKVInPlaceILin1ELin1ELi128ELi8EllmEEvNS_4cuda6detail10TensorInfoIT3_T5_EES6_S6_S6_NS4_IT4_S6_EES6_b
	.globl	_ZN2at6native18radixSortKVInPlaceILin1ELin1ELi128ELi8EllmEEvNS_4cuda6detail10TensorInfoIT3_T5_EES6_S6_S6_NS4_IT4_S6_EES6_b
	.p2align	8
	.type	_ZN2at6native18radixSortKVInPlaceILin1ELin1ELi128ELi8EllmEEvNS_4cuda6detail10TensorInfoIT3_T5_EES6_S6_S6_NS4_IT4_S6_EES6_b,@function
_ZN2at6native18radixSortKVInPlaceILin1ELin1ELi128ELi8EllmEEvNS_4cuda6detail10TensorInfoIT3_T5_EES6_S6_S6_NS4_IT4_S6_EES6_b: ; @_ZN2at6native18radixSortKVInPlaceILin1ELin1ELi128ELi8EllmEEvNS_4cuda6detail10TensorInfoIT3_T5_EES6_S6_S6_NS4_IT4_S6_EES6_b
; %bb.0:
	s_load_dwordx4 s[24:27], s[4:5], 0x1a0
	s_load_dwordx2 s[0:1], s[4:5], 0x368
	s_add_u32 s48, s4, 0x368
	s_addc_u32 s49, s5, 0
	s_waitcnt lgkmcnt(0)
	v_mov_b32_e32 v2, s24
	s_mul_i32 s1, s1, s8
	s_add_i32 s1, s1, s7
	s_mul_i32 s0, s1, s0
	v_mov_b32_e32 v3, s25
	s_add_i32 s6, s0, s6
	s_mov_b32 s7, 0
	v_cmp_ge_u64_e32 vcc, s[6:7], v[2:3]
	s_cbranch_vccnz .LBB157_124
; %bb.1:
	s_load_dword s0, s[4:5], 0x198
	s_load_dwordx2 s[44:45], s[4:5], 0x1b0
	s_mov_b64 s[2:3], 0
	s_mov_b64 s[8:9], s[6:7]
	s_waitcnt lgkmcnt(0)
	s_cmp_lt_i32 s0, 2
	s_cbranch_scc1 .LBB157_9
; %bb.2:
	s_mov_b32 s10, 0
	s_add_i32 s18, s0, 1
	s_add_i32 s0, s0, -1
	s_mov_b32 s1, s10
	s_lshl_b64 s[0:1], s[0:1], 3
	s_add_u32 s0, s0, s4
	s_addc_u32 s1, s1, s5
	s_add_u32 s12, s0, 8
	s_addc_u32 s13, s1, 0
	s_mov_b64 s[14:15], s[6:7]
.LBB157_3:                              ; =>This Inner Loop Header: Depth=1
	s_load_dwordx2 s[16:17], s[12:13], 0x0
	s_waitcnt lgkmcnt(0)
	s_or_b64 s[0:1], s[14:15], s[16:17]
	s_mov_b32 s11, s1
	s_cmp_lg_u64 s[10:11], 0
	s_cbranch_scc0 .LBB157_8
; %bb.4:                                ;   in Loop: Header=BB157_3 Depth=1
	v_cvt_f32_u32_e32 v1, s16
	v_cvt_f32_u32_e32 v2, s17
	s_sub_u32 s0, 0, s16
	s_subb_u32 s1, 0, s17
	v_mac_f32_e32 v1, 0x4f800000, v2
	v_rcp_f32_e32 v1, v1
	v_mul_f32_e32 v1, 0x5f7ffffc, v1
	v_mul_f32_e32 v2, 0x2f800000, v1
	v_trunc_f32_e32 v2, v2
	v_mac_f32_e32 v1, 0xcf800000, v2
	v_cvt_u32_f32_e32 v2, v2
	v_cvt_u32_f32_e32 v1, v1
	v_readfirstlane_b32 s8, v2
	v_readfirstlane_b32 s9, v1
	s_mul_i32 s11, s0, s8
	s_mul_hi_u32 s20, s0, s9
	s_mul_i32 s19, s1, s9
	s_add_i32 s11, s20, s11
	s_mul_i32 s21, s0, s9
	s_add_i32 s11, s11, s19
	s_mul_hi_u32 s19, s9, s11
	s_mul_i32 s20, s9, s11
	s_mul_hi_u32 s9, s9, s21
	s_add_u32 s9, s9, s20
	s_addc_u32 s19, 0, s19
	s_mul_hi_u32 s22, s8, s21
	s_mul_i32 s21, s8, s21
	s_add_u32 s9, s9, s21
	s_mul_hi_u32 s20, s8, s11
	s_addc_u32 s9, s19, s22
	s_addc_u32 s19, s20, 0
	s_mul_i32 s11, s8, s11
	s_add_u32 s9, s9, s11
	s_addc_u32 s11, 0, s19
	v_add_co_u32_e32 v1, vcc, s9, v1
	s_cmp_lg_u64 vcc, 0
	s_addc_u32 s8, s8, s11
	v_readfirstlane_b32 s11, v1
	s_mul_i32 s9, s0, s8
	s_mul_hi_u32 s19, s0, s11
	s_add_i32 s9, s19, s9
	s_mul_i32 s1, s1, s11
	s_add_i32 s9, s9, s1
	s_mul_i32 s0, s0, s11
	s_mul_hi_u32 s19, s8, s0
	s_mul_i32 s20, s8, s0
	s_mul_i32 s22, s11, s9
	s_mul_hi_u32 s0, s11, s0
	s_mul_hi_u32 s21, s11, s9
	s_add_u32 s0, s0, s22
	s_addc_u32 s11, 0, s21
	s_add_u32 s0, s0, s20
	s_mul_hi_u32 s1, s8, s9
	s_addc_u32 s0, s11, s19
	s_addc_u32 s1, s1, 0
	s_mul_i32 s9, s8, s9
	s_add_u32 s0, s0, s9
	s_addc_u32 s1, 0, s1
	v_add_co_u32_e32 v1, vcc, s0, v1
	s_cmp_lg_u64 vcc, 0
	s_addc_u32 s0, s8, s1
	v_readfirstlane_b32 s9, v1
	s_mul_i32 s8, s14, s0
	s_mul_hi_u32 s11, s14, s9
	s_mul_hi_u32 s1, s14, s0
	s_add_u32 s8, s11, s8
	s_addc_u32 s1, 0, s1
	s_mul_hi_u32 s19, s15, s9
	s_mul_i32 s9, s15, s9
	s_add_u32 s8, s8, s9
	s_mul_hi_u32 s11, s15, s0
	s_addc_u32 s1, s1, s19
	s_addc_u32 s8, s11, 0
	s_mul_i32 s0, s15, s0
	s_add_u32 s11, s1, s0
	s_addc_u32 s8, 0, s8
	s_mul_i32 s0, s16, s8
	s_mul_hi_u32 s1, s16, s11
	s_add_i32 s0, s1, s0
	s_mul_i32 s1, s17, s11
	s_add_i32 s9, s0, s1
	s_mul_i32 s1, s16, s11
	v_mov_b32_e32 v1, s1
	s_sub_i32 s0, s15, s9
	v_sub_co_u32_e32 v1, vcc, s14, v1
	s_cmp_lg_u64 vcc, 0
	s_subb_u32 s19, s0, s17
	v_subrev_co_u32_e64 v2, s[0:1], s16, v1
	s_cmp_lg_u64 s[0:1], 0
	s_subb_u32 s0, s19, 0
	s_cmp_ge_u32 s0, s17
	v_readfirstlane_b32 s19, v2
	s_cselect_b32 s1, -1, 0
	s_cmp_ge_u32 s19, s16
	s_cselect_b32 s19, -1, 0
	s_cmp_eq_u32 s0, s17
	s_cselect_b32 s0, s19, s1
	s_add_u32 s1, s11, 1
	s_addc_u32 s19, s8, 0
	s_add_u32 s20, s11, 2
	s_addc_u32 s21, s8, 0
	s_cmp_lg_u32 s0, 0
	s_cselect_b32 s0, s20, s1
	s_cselect_b32 s1, s21, s19
	s_cmp_lg_u64 vcc, 0
	s_subb_u32 s9, s15, s9
	s_cmp_ge_u32 s9, s17
	v_readfirstlane_b32 s20, v1
	s_cselect_b32 s19, -1, 0
	s_cmp_ge_u32 s20, s16
	s_cselect_b32 s20, -1, 0
	s_cmp_eq_u32 s9, s17
	s_cselect_b32 s9, s20, s19
	s_cmp_lg_u32 s9, 0
	s_cselect_b32 s9, s1, s8
	s_cselect_b32 s8, s0, s11
	s_cbranch_execnz .LBB157_6
.LBB157_5:                              ;   in Loop: Header=BB157_3 Depth=1
	v_cvt_f32_u32_e32 v1, s16
	s_sub_i32 s0, 0, s16
	v_rcp_iflag_f32_e32 v1, v1
	v_mul_f32_e32 v1, 0x4f7ffffe, v1
	v_cvt_u32_f32_e32 v1, v1
	v_readfirstlane_b32 s1, v1
	s_mul_i32 s0, s0, s1
	s_mul_hi_u32 s0, s1, s0
	s_add_i32 s1, s1, s0
	s_mul_hi_u32 s0, s14, s1
	s_mul_i32 s8, s0, s16
	s_sub_i32 s8, s14, s8
	s_add_i32 s1, s0, 1
	s_sub_i32 s9, s8, s16
	s_cmp_ge_u32 s8, s16
	s_cselect_b32 s0, s1, s0
	s_cselect_b32 s8, s9, s8
	s_add_i32 s1, s0, 1
	s_cmp_ge_u32 s8, s16
	s_cselect_b32 s8, s1, s0
	s_mov_b32 s9, s10
.LBB157_6:                              ;   in Loop: Header=BB157_3 Depth=1
	s_mul_i32 s0, s8, s17
	s_mul_hi_u32 s1, s8, s16
	s_add_i32 s11, s1, s0
	s_load_dwordx2 s[0:1], s[12:13], 0xc8
	s_mul_i32 s17, s9, s16
	s_add_i32 s11, s11, s17
	s_mul_i32 s16, s8, s16
	s_sub_u32 s14, s14, s16
	s_subb_u32 s11, s15, s11
	s_waitcnt lgkmcnt(0)
	s_mul_i32 s11, s0, s11
	s_mul_hi_u32 s15, s0, s14
	s_add_i32 s11, s15, s11
	s_mul_i32 s1, s1, s14
	s_add_i32 s11, s11, s1
	s_mul_i32 s0, s0, s14
	s_add_u32 s2, s0, s2
	s_addc_u32 s3, s11, s3
	s_add_i32 s18, s18, -1
	s_add_u32 s12, s12, -8
	s_addc_u32 s13, s13, -1
	s_cmp_gt_u32 s18, 2
	s_cbranch_scc0 .LBB157_9
; %bb.7:                                ;   in Loop: Header=BB157_3 Depth=1
	s_mov_b64 s[14:15], s[8:9]
	s_branch .LBB157_3
.LBB157_8:                              ;   in Loop: Header=BB157_3 Depth=1
                                        ; implicit-def: $sgpr8_sgpr9
	s_branch .LBB157_5
.LBB157_9:
	s_load_dword s0, s[4:5], 0x350
	s_load_dwordx2 s[10:11], s[4:5], 0xd0
	s_mov_b64 s[24:25], 0
	s_waitcnt lgkmcnt(0)
	s_cmp_lt_i32 s0, 2
	s_cbranch_scc1 .LBB157_17
; %bb.10:
	s_mov_b32 s12, 0
	s_add_i32 s18, s0, 1
	s_add_i32 s0, s0, -1
	s_mov_b32 s1, s12
	s_lshl_b64 s[0:1], s[0:1], 3
	s_add_u32 s0, s0, s4
	s_addc_u32 s1, s1, s5
	s_add_u32 s14, s0, 0x1c0
	s_addc_u32 s15, s1, 0
.LBB157_11:                             ; =>This Inner Loop Header: Depth=1
	s_load_dwordx2 s[16:17], s[14:15], 0x0
	s_waitcnt lgkmcnt(0)
	s_or_b64 s[0:1], s[6:7], s[16:17]
	s_mov_b32 s13, s1
	s_cmp_lg_u64 s[12:13], 0
	s_cbranch_scc0 .LBB157_16
; %bb.12:                               ;   in Loop: Header=BB157_11 Depth=1
	v_cvt_f32_u32_e32 v1, s16
	v_cvt_f32_u32_e32 v2, s17
	s_sub_u32 s0, 0, s16
	s_subb_u32 s1, 0, s17
	v_mac_f32_e32 v1, 0x4f800000, v2
	v_rcp_f32_e32 v1, v1
	v_mul_f32_e32 v1, 0x5f7ffffc, v1
	v_mul_f32_e32 v2, 0x2f800000, v1
	v_trunc_f32_e32 v2, v2
	v_mac_f32_e32 v1, 0xcf800000, v2
	v_cvt_u32_f32_e32 v2, v2
	v_cvt_u32_f32_e32 v1, v1
	v_readfirstlane_b32 s13, v2
	v_readfirstlane_b32 s19, v1
	s_mul_i32 s20, s0, s13
	s_mul_hi_u32 s22, s0, s19
	s_mul_i32 s21, s1, s19
	s_add_i32 s20, s22, s20
	s_mul_i32 s23, s0, s19
	s_add_i32 s20, s20, s21
	s_mul_hi_u32 s21, s19, s20
	s_mul_i32 s22, s19, s20
	s_mul_hi_u32 s19, s19, s23
	s_add_u32 s19, s19, s22
	s_addc_u32 s21, 0, s21
	s_mul_hi_u32 s27, s13, s23
	s_mul_i32 s23, s13, s23
	s_add_u32 s19, s19, s23
	s_mul_hi_u32 s22, s13, s20
	s_addc_u32 s19, s21, s27
	s_addc_u32 s21, s22, 0
	s_mul_i32 s20, s13, s20
	s_add_u32 s19, s19, s20
	s_addc_u32 s20, 0, s21
	v_add_co_u32_e32 v1, vcc, s19, v1
	s_cmp_lg_u64 vcc, 0
	s_addc_u32 s13, s13, s20
	v_readfirstlane_b32 s20, v1
	s_mul_i32 s19, s0, s13
	s_mul_hi_u32 s21, s0, s20
	s_add_i32 s19, s21, s19
	s_mul_i32 s1, s1, s20
	s_add_i32 s19, s19, s1
	s_mul_i32 s0, s0, s20
	s_mul_hi_u32 s21, s13, s0
	s_mul_i32 s22, s13, s0
	s_mul_i32 s27, s20, s19
	s_mul_hi_u32 s0, s20, s0
	s_mul_hi_u32 s23, s20, s19
	s_add_u32 s0, s0, s27
	s_addc_u32 s20, 0, s23
	s_add_u32 s0, s0, s22
	s_mul_hi_u32 s1, s13, s19
	s_addc_u32 s0, s20, s21
	s_addc_u32 s1, s1, 0
	s_mul_i32 s19, s13, s19
	s_add_u32 s0, s0, s19
	s_addc_u32 s1, 0, s1
	v_add_co_u32_e32 v1, vcc, s0, v1
	s_cmp_lg_u64 vcc, 0
	s_addc_u32 s0, s13, s1
	v_readfirstlane_b32 s19, v1
	s_mul_i32 s13, s6, s0
	s_mul_hi_u32 s20, s6, s19
	s_mul_hi_u32 s1, s6, s0
	s_add_u32 s13, s20, s13
	s_addc_u32 s1, 0, s1
	s_mul_hi_u32 s21, s7, s19
	s_mul_i32 s19, s7, s19
	s_add_u32 s13, s13, s19
	s_mul_hi_u32 s20, s7, s0
	s_addc_u32 s1, s1, s21
	s_addc_u32 s13, s20, 0
	s_mul_i32 s0, s7, s0
	s_add_u32 s19, s1, s0
	s_addc_u32 s13, 0, s13
	s_mul_i32 s0, s16, s13
	s_mul_hi_u32 s1, s16, s19
	s_add_i32 s0, s1, s0
	s_mul_i32 s1, s17, s19
	s_add_i32 s20, s0, s1
	s_mul_i32 s1, s16, s19
	v_mov_b32_e32 v1, s1
	s_sub_i32 s0, s7, s20
	v_sub_co_u32_e32 v1, vcc, s6, v1
	s_cmp_lg_u64 vcc, 0
	s_subb_u32 s21, s0, s17
	v_subrev_co_u32_e64 v2, s[0:1], s16, v1
	s_cmp_lg_u64 s[0:1], 0
	s_subb_u32 s0, s21, 0
	s_cmp_ge_u32 s0, s17
	v_readfirstlane_b32 s21, v2
	s_cselect_b32 s1, -1, 0
	s_cmp_ge_u32 s21, s16
	s_cselect_b32 s21, -1, 0
	s_cmp_eq_u32 s0, s17
	s_cselect_b32 s0, s21, s1
	s_add_u32 s1, s19, 1
	s_addc_u32 s21, s13, 0
	s_add_u32 s22, s19, 2
	s_addc_u32 s23, s13, 0
	s_cmp_lg_u32 s0, 0
	s_cselect_b32 s0, s22, s1
	s_cselect_b32 s1, s23, s21
	s_cmp_lg_u64 vcc, 0
	s_subb_u32 s20, s7, s20
	s_cmp_ge_u32 s20, s17
	v_readfirstlane_b32 s22, v1
	s_cselect_b32 s21, -1, 0
	s_cmp_ge_u32 s22, s16
	s_cselect_b32 s22, -1, 0
	s_cmp_eq_u32 s20, s17
	s_cselect_b32 s20, s22, s21
	s_cmp_lg_u32 s20, 0
	s_cselect_b32 s29, s1, s13
	s_cselect_b32 s28, s0, s19
	s_cbranch_execnz .LBB157_14
.LBB157_13:                             ;   in Loop: Header=BB157_11 Depth=1
	v_cvt_f32_u32_e32 v1, s16
	s_sub_i32 s0, 0, s16
	s_mov_b32 s29, s12
	v_rcp_iflag_f32_e32 v1, v1
	v_mul_f32_e32 v1, 0x4f7ffffe, v1
	v_cvt_u32_f32_e32 v1, v1
	v_readfirstlane_b32 s1, v1
	s_mul_i32 s0, s0, s1
	s_mul_hi_u32 s0, s1, s0
	s_add_i32 s1, s1, s0
	s_mul_hi_u32 s0, s6, s1
	s_mul_i32 s13, s0, s16
	s_sub_i32 s13, s6, s13
	s_add_i32 s1, s0, 1
	s_sub_i32 s19, s13, s16
	s_cmp_ge_u32 s13, s16
	s_cselect_b32 s0, s1, s0
	s_cselect_b32 s13, s19, s13
	s_add_i32 s1, s0, 1
	s_cmp_ge_u32 s13, s16
	s_cselect_b32 s28, s1, s0
.LBB157_14:                             ;   in Loop: Header=BB157_11 Depth=1
	s_mul_i32 s0, s28, s17
	s_mul_hi_u32 s1, s28, s16
	s_add_i32 s13, s1, s0
	s_load_dwordx2 s[0:1], s[14:15], 0xc8
	s_mul_i32 s17, s29, s16
	s_add_i32 s13, s13, s17
	s_mul_i32 s16, s28, s16
	s_sub_u32 s6, s6, s16
	s_subb_u32 s7, s7, s13
	s_waitcnt lgkmcnt(0)
	s_mul_i32 s7, s0, s7
	s_mul_hi_u32 s13, s0, s6
	s_add_i32 s7, s13, s7
	s_mul_i32 s1, s1, s6
	s_add_i32 s7, s7, s1
	s_mul_i32 s0, s0, s6
	s_add_u32 s24, s0, s24
	s_addc_u32 s25, s7, s25
	s_add_i32 s18, s18, -1
	s_add_u32 s14, s14, -8
	s_addc_u32 s15, s15, -1
	s_cmp_gt_u32 s18, 2
	s_cbranch_scc0 .LBB157_18
; %bb.15:                               ;   in Loop: Header=BB157_11 Depth=1
	s_mov_b64 s[6:7], s[28:29]
	s_branch .LBB157_11
.LBB157_16:                             ;   in Loop: Header=BB157_11 Depth=1
                                        ; implicit-def: $sgpr28_sgpr29
	s_branch .LBB157_13
.LBB157_17:
	s_mov_b64 s[28:29], s[6:7]
.LBB157_18:
	s_mul_i32 s0, s10, s9
	s_load_dword s9, s[4:5], 0x360
	s_load_dwordx2 s[6:7], s[4:5], 0x0
	s_mul_hi_u32 s1, s10, s8
	s_add_i32 s0, s1, s0
	s_mul_i32 s1, s11, s8
	s_add_i32 s1, s0, s1
	s_waitcnt lgkmcnt(0)
	s_bitcmp1_b32 s9, 0
	s_cselect_b64 s[34:35], -1, 0
	s_mul_i32 s0, s10, s8
	s_and_b64 s[8:9], s[34:35], exec
	s_brev_b32 s9, 1
	s_cselect_b32 s8, 0, -1
	s_cselect_b32 s9, s9, 0x7fffffff
	s_lshl_b64 s[0:1], s[0:1], 3
	s_add_u32 s6, s6, s0
	s_addc_u32 s7, s7, s1
	s_lshl_b64 s[0:1], s[2:3], 3
	s_add_u32 s33, s6, s0
	v_and_b32_e32 v66, 0x3ff, v0
	s_mov_b32 s10, s8
	s_mov_b32 s11, s9
	;; [unrolled: 1-line block ×14, first 2 shown]
	v_pk_mov_b32 v[2:3], s[8:9], s[8:9] op_sel:[0,1]
	s_addc_u32 s52, s7, s1
	v_cmp_gt_u32_e64 s[0:1], s26, v66
	v_pk_mov_b32 v[4:5], s[10:11], s[10:11] op_sel:[0,1]
	v_pk_mov_b32 v[6:7], s[12:13], s[12:13] op_sel:[0,1]
	;; [unrolled: 1-line block ×8, first 2 shown]
	s_and_saveexec_b64 s[2:3], s[0:1]
	s_cbranch_execz .LBB157_20
; %bb.19:
	v_mad_u64_u32 v[2:3], s[6:7], v66, s44, 0
	v_mov_b32_e32 v4, v3
	v_mad_u64_u32 v[4:5], s[6:7], v66, s45, v[4:5]
	v_mov_b32_e32 v3, v4
	v_lshlrev_b64 v[2:3], 3, v[2:3]
	v_mov_b32_e32 v1, s52
	v_add_co_u32_e32 v2, vcc, s33, v2
	v_addc_co_u32_e32 v3, vcc, v1, v3, vcc
	global_load_dwordx2 v[18:19], v[2:3], off
	v_pk_mov_b32 v[2:3], s[8:9], s[8:9] op_sel:[0,1]
	v_pk_mov_b32 v[4:5], s[10:11], s[10:11] op_sel:[0,1]
	;; [unrolled: 1-line block ×8, first 2 shown]
.LBB157_20:
	s_or_b64 exec, exec, s[2:3]
	v_add_u32_e32 v1, 0x80, v66
	v_cmp_gt_u32_e64 s[2:3], s26, v1
	s_and_saveexec_b64 s[6:7], s[2:3]
	s_cbranch_execz .LBB157_22
; %bb.21:
	v_mad_u64_u32 v[2:3], s[8:9], v1, s44, 0
	v_mov_b32_e32 v4, v3
	v_mad_u64_u32 v[4:5], s[8:9], v1, s45, v[4:5]
	v_mov_b32_e32 v3, v4
	v_lshlrev_b64 v[2:3], 3, v[2:3]
	v_mov_b32_e32 v4, s52
	v_add_co_u32_e32 v2, vcc, s33, v2
	v_addc_co_u32_e32 v3, vcc, v4, v3, vcc
	global_load_dwordx2 v[4:5], v[2:3], off
.LBB157_22:
	s_or_b64 exec, exec, s[6:7]
	v_add_u32_e32 v34, 0x100, v66
	v_cmp_gt_u32_e64 s[42:43], s26, v34
	s_and_saveexec_b64 s[6:7], s[42:43]
	s_cbranch_execz .LBB157_24
; %bb.23:
	v_mad_u64_u32 v[2:3], s[8:9], v34, s44, 0
	v_mov_b32_e32 v6, v3
	v_mad_u64_u32 v[6:7], s[8:9], v34, s45, v[6:7]
	v_mov_b32_e32 v3, v6
	v_lshlrev_b64 v[2:3], 3, v[2:3]
	v_mov_b32_e32 v6, s52
	v_add_co_u32_e32 v2, vcc, s33, v2
	v_addc_co_u32_e32 v3, vcc, v6, v3, vcc
	global_load_dwordx2 v[6:7], v[2:3], off
.LBB157_24:
	s_or_b64 exec, exec, s[6:7]
	v_add_u32_e32 v35, 0x180, v66
	v_cmp_gt_u32_e64 s[6:7], s26, v35
	s_and_saveexec_b64 s[8:9], s[6:7]
	s_cbranch_execz .LBB157_26
; %bb.25:
	v_mad_u64_u32 v[2:3], s[10:11], v35, s44, 0
	v_mov_b32_e32 v8, v3
	v_mad_u64_u32 v[8:9], s[10:11], v35, s45, v[8:9]
	v_mov_b32_e32 v3, v8
	v_lshlrev_b64 v[2:3], 3, v[2:3]
	v_mov_b32_e32 v8, s52
	v_add_co_u32_e32 v2, vcc, s33, v2
	v_addc_co_u32_e32 v3, vcc, v8, v3, vcc
	global_load_dwordx2 v[8:9], v[2:3], off
.LBB157_26:
	s_or_b64 exec, exec, s[8:9]
	v_add_u32_e32 v36, 0x200, v66
	v_cmp_gt_u32_e64 s[8:9], s26, v36
	s_and_saveexec_b64 s[10:11], s[8:9]
	s_cbranch_execz .LBB157_28
; %bb.27:
	v_mad_u64_u32 v[2:3], s[12:13], v36, s44, 0
	v_mov_b32_e32 v10, v3
	v_mad_u64_u32 v[10:11], s[12:13], v36, s45, v[10:11]
	v_mov_b32_e32 v3, v10
	v_lshlrev_b64 v[2:3], 3, v[2:3]
	v_mov_b32_e32 v10, s52
	v_add_co_u32_e32 v2, vcc, s33, v2
	v_addc_co_u32_e32 v3, vcc, v10, v3, vcc
	global_load_dwordx2 v[10:11], v[2:3], off
.LBB157_28:
	s_or_b64 exec, exec, s[10:11]
	v_add_u32_e32 v37, 0x280, v66
	v_cmp_gt_u32_e64 s[10:11], s26, v37
	s_and_saveexec_b64 s[12:13], s[10:11]
	s_cbranch_execz .LBB157_30
; %bb.29:
	v_mad_u64_u32 v[2:3], s[14:15], v37, s44, 0
	v_mov_b32_e32 v12, v3
	v_mad_u64_u32 v[12:13], s[14:15], v37, s45, v[12:13]
	v_mov_b32_e32 v3, v12
	v_lshlrev_b64 v[2:3], 3, v[2:3]
	v_mov_b32_e32 v12, s52
	v_add_co_u32_e32 v2, vcc, s33, v2
	v_addc_co_u32_e32 v3, vcc, v12, v3, vcc
	global_load_dwordx2 v[12:13], v[2:3], off
.LBB157_30:
	s_or_b64 exec, exec, s[12:13]
	s_load_dwordx2 s[18:19], s[4:5], 0x288
	s_load_dwordx2 s[16:17], s[4:5], 0x1b8
	v_add_u32_e32 v38, 0x300, v66
	v_cmp_gt_u32_e64 s[12:13], s26, v38
	s_and_saveexec_b64 s[14:15], s[12:13]
	s_cbranch_execz .LBB157_32
; %bb.31:
	v_mad_u64_u32 v[2:3], s[20:21], v38, s44, 0
	v_mov_b32_e32 v14, v3
	v_mad_u64_u32 v[14:15], s[20:21], v38, s45, v[14:15]
	v_mov_b32_e32 v3, v14
	v_lshlrev_b64 v[2:3], 3, v[2:3]
	v_mov_b32_e32 v14, s52
	v_add_co_u32_e32 v2, vcc, s33, v2
	v_addc_co_u32_e32 v3, vcc, v14, v3, vcc
	global_load_dwordx2 v[14:15], v[2:3], off
.LBB157_32:
	s_or_b64 exec, exec, s[14:15]
	v_add_u32_e32 v39, 0x380, v66
	v_cmp_gt_u32_e64 s[14:15], s26, v39
	s_and_saveexec_b64 s[20:21], s[14:15]
	s_cbranch_execz .LBB157_34
; %bb.33:
	v_mad_u64_u32 v[2:3], s[22:23], v39, s44, 0
	v_mov_b32_e32 v16, v3
	v_mad_u64_u32 v[16:17], s[22:23], v39, s45, v[16:17]
	v_mov_b32_e32 v3, v16
	v_lshlrev_b64 v[2:3], 3, v[2:3]
	v_mov_b32_e32 v16, s52
	v_add_co_u32_e32 v2, vcc, s33, v2
	v_addc_co_u32_e32 v3, vcc, v16, v3, vcc
	global_load_dwordx2 v[16:17], v[2:3], off
.LBB157_34:
	s_or_b64 exec, exec, s[20:21]
	v_lshrrev_b32_e32 v2, 5, v66
	v_add_lshl_u32 v67, v2, v66, 3
	v_lshrrev_b32_e32 v2, 5, v1
	v_add_lshl_u32 v100, v2, v66, 3
	;; [unrolled: 2-line block ×6, first 2 shown]
	v_lshrrev_b32_e32 v2, 5, v38
	s_waitcnt lgkmcnt(0)
	s_mul_i32 s20, s18, s29
	s_mul_hi_u32 s21, s18, s28
	v_add_lshl_u32 v105, v2, v66, 3
	v_lshrrev_b32_e32 v2, 5, v39
	s_add_i32 s20, s21, s20
	s_mul_i32 s19, s19, s28
	v_add_lshl_u32 v106, v2, v66, 3
	v_lshlrev_b32_e32 v108, 3, v66
	v_lshrrev_b32_e32 v2, 2, v66
	s_add_i32 s19, s20, s19
	s_mul_i32 s18, s18, s28
	v_add_lshl_u32 v107, v2, v108, 3
	s_lshl_b64 s[18:19], s[18:19], 3
	s_waitcnt vmcnt(0)
	ds_write_b64 v67, v[18:19]
	ds_write_b64 v100, v[4:5] offset:1024
	ds_write_b64 v101, v[6:7] offset:2048
	;; [unrolled: 1-line block ×7, first 2 shown]
	s_waitcnt lgkmcnt(0)
	s_barrier
	ds_read2_b64 v[30:33], v107 offset1:1
	ds_read2_b64 v[26:29], v107 offset0:2 offset1:3
	ds_read2_b64 v[22:25], v107 offset0:4 offset1:5
	;; [unrolled: 1-line block ×3, first 2 shown]
	s_add_u32 s18, s16, s18
	s_addc_u32 s19, s17, s19
	s_lshl_b64 s[16:17], s[24:25], 3
	s_load_dwordx2 s[46:47], s[4:5], 0x358
	s_add_u32 s53, s18, s16
	s_mov_b32 s16, 0
	s_addc_u32 s54, s19, s17
	s_mov_b32 s17, s16
	s_mov_b32 s18, s16
	;; [unrolled: 1-line block ×15, first 2 shown]
	v_pk_mov_b32 v[2:3], s[16:17], s[16:17] op_sel:[0,1]
	v_pk_mov_b32 v[4:5], s[18:19], s[18:19] op_sel:[0,1]
	;; [unrolled: 1-line block ×8, first 2 shown]
	v_pk_mov_b32 v[2:3], 0, 0
	s_waitcnt lgkmcnt(0)
	s_barrier
	s_and_saveexec_b64 s[4:5], s[0:1]
	s_cbranch_execnz .LBB157_71
; %bb.35:
	s_or_b64 exec, exec, s[4:5]
	s_and_saveexec_b64 s[4:5], s[2:3]
	s_cbranch_execnz .LBB157_72
.LBB157_36:
	s_or_b64 exec, exec, s[4:5]
	s_and_saveexec_b64 s[4:5], s[42:43]
	s_cbranch_execnz .LBB157_73
.LBB157_37:
	s_or_b64 exec, exec, s[4:5]
	s_and_saveexec_b64 s[4:5], s[6:7]
	s_cbranch_execnz .LBB157_74
.LBB157_38:
	s_or_b64 exec, exec, s[4:5]
	s_and_saveexec_b64 s[4:5], s[8:9]
	s_cbranch_execnz .LBB157_75
.LBB157_39:
	s_or_b64 exec, exec, s[4:5]
	s_and_saveexec_b64 s[4:5], s[10:11]
	s_cbranch_execnz .LBB157_76
.LBB157_40:
	s_or_b64 exec, exec, s[4:5]
	s_and_saveexec_b64 s[4:5], s[12:13]
	s_cbranch_execnz .LBB157_77
.LBB157_41:
	s_or_b64 exec, exec, s[4:5]
	s_xor_b64 s[4:5], s[34:35], -1
	s_and_saveexec_b64 s[16:17], s[14:15]
	s_cbranch_execz .LBB157_43
.LBB157_42:
	v_mad_u64_u32 v[16:17], s[18:19], v39, s46, 0
	v_mov_b32_e32 v34, v17
	v_mad_u64_u32 v[34:35], s[18:19], v39, s47, v[34:35]
	v_mov_b32_e32 v17, v34
	v_lshlrev_b64 v[16:17], 3, v[16:17]
	v_mov_b32_e32 v1, s54
	v_add_co_u32_e32 v16, vcc, s53, v16
	v_addc_co_u32_e32 v17, vcc, v1, v17, vcc
	global_load_dwordx2 v[16:17], v[16:17], off
.LBB157_43:
	s_or_b64 exec, exec, s[16:17]
	s_waitcnt vmcnt(0)
	ds_write_b64 v67, v[2:3]
	ds_write_b64 v100, v[4:5] offset:1024
	ds_write_b64 v101, v[6:7] offset:2048
	;; [unrolled: 1-line block ×7, first 2 shown]
	s_waitcnt lgkmcnt(0)
	s_barrier
	ds_read2_b64 v[14:17], v107 offset1:1
	ds_read2_b64 v[10:13], v107 offset0:2 offset1:3
	ds_read2_b64 v[6:9], v107 offset0:4 offset1:5
	;; [unrolled: 1-line block ×3, first 2 shown]
	v_mbcnt_lo_u32_b32 v1, -1, 0
	v_mbcnt_hi_u32_b32 v111, -1, v1
	v_and_b32_e32 v34, 0x1e00, v108
	v_and_b32_e32 v1, 0x3c0, v66
	v_or_b32_e32 v35, v111, v34
	v_add_lshl_u32 v123, v111, v1, 6
	v_lshlrev_b32_e32 v122, 3, v35
	s_and_b64 vcc, exec, s[4:5]
	v_bfe_u32 v120, v0, 10, 10
	v_bfe_u32 v121, v0, 20, 10
	v_lshlrev_b32_e32 v109, 2, v66
	v_lshlrev_b32_e32 v110, 4, v66
	v_and_b32_e32 v118, 15, v111
	v_and_b32_e32 v119, 16, v111
	v_cmp_lt_u32_e64 s[16:17], 31, v111
	v_min_u32_e32 v116, 64, v1
	v_cmp_gt_u32_e64 s[18:19], 2, v66
	v_cmp_lt_u32_e64 s[20:21], 63, v66
	v_add_u32_e32 v113, -1, v111
	v_and_b32_e32 v117, 64, v111
	v_cmp_eq_u32_e64 s[22:23], 0, v111
	v_cmp_eq_u32_e64 s[24:25], 0, v66
	v_lshrrev_b32_e32 v114, 4, v66
	v_and_b32_e32 v115, 1, v111
	v_and_or_b32 v112, v111, 63, v34
	s_waitcnt lgkmcnt(0)
	s_barrier
	s_cbranch_vccz .LBB157_78
; %bb.44:
	v_xor_b32_e32 v1, 0x80000000, v31
	v_xor_b32_e32 v35, 0x80000000, v33
	;; [unrolled: 1-line block ×8, first 2 shown]
	v_mov_b32_e32 v0, v30
	v_mov_b32_e32 v34, v32
	;; [unrolled: 1-line block ×8, first 2 shown]
	ds_write2_b64 v123, v[0:1], v[34:35] offset1:1
	ds_write2_b64 v123, v[36:37], v[38:39] offset0:2 offset1:3
	ds_write2_b64 v123, v[40:41], v[42:43] offset0:4 offset1:5
	;; [unrolled: 1-line block ×3, first 2 shown]
	; wave barrier
	ds_read2st64_b64 v[34:37], v122 offset1:1
	ds_read2st64_b64 v[38:41], v122 offset0:2 offset1:3
	ds_read2st64_b64 v[42:45], v122 offset0:4 offset1:5
	;; [unrolled: 1-line block ×3, first 2 shown]
	; wave barrier
	ds_write2_b64 v123, v[14:15], v[16:17] offset1:1
	ds_write2_b64 v123, v[10:11], v[12:13] offset0:2 offset1:3
	ds_write2_b64 v123, v[6:7], v[8:9] offset0:4 offset1:5
	;; [unrolled: 1-line block ×3, first 2 shown]
	; wave barrier
	ds_read2st64_b64 v[50:53], v122 offset1:1
	ds_read2st64_b64 v[54:57], v122 offset0:2 offset1:3
	ds_read2st64_b64 v[58:61], v122 offset0:4 offset1:5
	;; [unrolled: 1-line block ×3, first 2 shown]
	s_waitcnt lgkmcnt(0)
	s_barrier
	s_load_dword s26, s[48:49], 0xc
	s_getpc_b64 s[4:5]
	s_add_u32 s4, s4, _ZN7rocprim17ROCPRIM_400000_NS16block_radix_sortIlLj128ELj8ElLj1ELj1ELj0ELNS0_26block_radix_rank_algorithmE1ELNS0_18block_padding_hintE2ELNS0_4arch9wavefront6targetE1EE19radix_bits_per_passE@rel32@lo+4
	s_addc_u32 s5, s5, _ZN7rocprim17ROCPRIM_400000_NS16block_radix_sortIlLj128ELj8ElLj1ELj1ELj0ELNS0_26block_radix_rank_algorithmE1ELNS0_18block_padding_hintE2ELNS0_4arch9wavefront6targetE1EE19radix_bits_per_passE@rel32@hi+12
	s_load_dword s55, s[4:5], 0x0
	v_cmp_lt_i32_e32 vcc, v113, v117
	v_and_b32_e32 v127, 60, v114
	s_waitcnt lgkmcnt(0)
	s_lshr_b32 s4, s26, 16
	s_and_b32 s5, s26, 0xffff
	v_mad_u32_u24 v0, v121, s4, v120
	v_mad_u64_u32 v[0:1], s[4:5], v0, s5, v[66:67]
	v_lshrrev_b32_e32 v125, 6, v0
	v_or_b32_e32 v0, 63, v116
	v_cmp_eq_u32_e64 s[38:39], v0, v66
	v_cndmask_b32_e32 v0, v113, v111, vcc
	v_or_b32_e32 v124, 8, v110
	v_cmp_eq_u32_e64 s[26:27], 0, v118
	v_cmp_lt_u32_e64 s[28:29], 1, v118
	v_cmp_lt_u32_e64 s[30:31], 3, v118
	;; [unrolled: 1-line block ×3, first 2 shown]
	v_cmp_eq_u32_e64 s[36:37], 0, v119
	s_mov_b32 s56, 64
	v_lshlrev_b32_e32 v126, 2, v0
	v_cmp_eq_u32_e64 s[40:41], 0, v115
	v_add_u32_e32 v128, -4, v127
	v_lshlrev_b32_e32 v129, 3, v112
	s_mov_b64 s[50:51], 0
	v_mov_b32_e32 v82, 0
	s_branch .LBB157_46
.LBB157_45:                             ;   in Loop: Header=BB157_46 Depth=1
	v_lshlrev_b32_e32 v50, 3, v136
	v_lshlrev_b32_e32 v51, 3, v135
	;; [unrolled: 1-line block ×8, first 2 shown]
	s_barrier
	ds_write_b64 v50, v[98:99]
	ds_write_b64 v51, v[96:97]
	ds_write_b64 v52, v[94:95]
	ds_write_b64 v53, v[92:93]
	ds_write_b64 v54, v[90:91]
	ds_write_b64 v55, v[88:89]
	ds_write_b64 v56, v[86:87]
	ds_write_b64 v57, v[84:85]
	s_waitcnt lgkmcnt(0)
	s_barrier
	ds_read2st64_b64 v[34:37], v129 offset1:1
	ds_read2st64_b64 v[38:41], v129 offset0:2 offset1:3
	ds_read2st64_b64 v[42:45], v129 offset0:4 offset1:5
	;; [unrolled: 1-line block ×3, first 2 shown]
	s_waitcnt lgkmcnt(0)
	s_barrier
	ds_write_b64 v50, v[80:81]
	ds_write_b64 v51, v[78:79]
	;; [unrolled: 1-line block ×8, first 2 shown]
	s_waitcnt lgkmcnt(0)
	s_barrier
	ds_read2st64_b64 v[50:53], v129 offset1:1
	ds_read2st64_b64 v[54:57], v129 offset0:2 offset1:3
	ds_read2st64_b64 v[58:61], v129 offset0:4 offset1:5
	;; [unrolled: 1-line block ×3, first 2 shown]
	s_add_u32 s50, s50, 8
	s_addc_u32 s51, s51, 0
	s_add_i32 s56, s56, -8
	s_waitcnt lgkmcnt(0)
	s_barrier
	s_cbranch_execz .LBB157_70
.LBB157_46:                             ; =>This Inner Loop Header: Depth=1
	s_min_u32 s4, s55, s56
	v_pk_mov_b32 v[98:99], v[34:35], v[34:35] op_sel:[0,1]
	s_lshl_b32 s4, -1, s4
	s_not_b32 s57, s4
	v_lshrrev_b64 v[34:35], s50, v[98:99]
	v_and_b32_e32 v34, s57, v34
	v_lshl_add_u32 v35, v34, 1, v125
	v_pk_mov_b32 v[94:95], v[38:39], v[38:39] op_sel:[0,1]
	v_lshl_add_u32 v38, v35, 2, 8
	v_and_b32_e32 v35, 1, v34
	v_pk_mov_b32 v[96:97], v[36:37], v[36:37] op_sel:[0,1]
	v_add_co_u32_e32 v36, vcc, -1, v35
	v_addc_co_u32_e64 v37, s[4:5], 0, -1, vcc
	v_cmp_ne_u32_e32 vcc, 0, v35
	v_lshlrev_b32_e32 v83, 30, v34
	v_xor_b32_e32 v35, vcc_hi, v37
	v_not_b32_e32 v37, v83
	v_xor_b32_e32 v36, vcc_lo, v36
	v_cmp_gt_i64_e32 vcc, 0, v[82:83]
	v_ashrrev_i32_e32 v37, 31, v37
	v_and_b32_e32 v36, exec_lo, v36
	v_xor_b32_e32 v39, vcc_hi, v37
	v_xor_b32_e32 v37, vcc_lo, v37
	v_lshlrev_b32_e32 v83, 29, v34
	v_and_b32_e32 v36, v36, v37
	v_not_b32_e32 v37, v83
	v_and_b32_e32 v35, exec_hi, v35
	v_cmp_gt_i64_e32 vcc, 0, v[82:83]
	v_ashrrev_i32_e32 v37, 31, v37
	v_and_b32_e32 v35, v35, v39
	v_xor_b32_e32 v39, vcc_hi, v37
	v_xor_b32_e32 v37, vcc_lo, v37
	v_lshlrev_b32_e32 v83, 28, v34
	v_and_b32_e32 v36, v36, v37
	v_not_b32_e32 v37, v83
	v_cmp_gt_i64_e32 vcc, 0, v[82:83]
	v_ashrrev_i32_e32 v37, 31, v37
	v_and_b32_e32 v35, v35, v39
	v_xor_b32_e32 v39, vcc_hi, v37
	v_xor_b32_e32 v37, vcc_lo, v37
	v_lshlrev_b32_e32 v83, 27, v34
	v_and_b32_e32 v36, v36, v37
	v_not_b32_e32 v37, v83
	;; [unrolled: 8-line block ×3, first 2 shown]
	v_cmp_gt_i64_e32 vcc, 0, v[82:83]
	v_ashrrev_i32_e32 v37, 31, v37
	v_and_b32_e32 v35, v35, v39
	v_xor_b32_e32 v39, vcc_hi, v37
	v_xor_b32_e32 v37, vcc_lo, v37
	v_lshlrev_b32_e32 v83, 25, v34
	v_and_b32_e32 v36, v36, v37
	v_cmp_gt_i64_e32 vcc, 0, v[82:83]
	v_not_b32_e32 v37, v83
	v_lshlrev_b32_e32 v83, 24, v34
	v_ashrrev_i32_e32 v37, 31, v37
	v_not_b32_e32 v34, v83
	v_and_b32_e32 v35, v35, v39
	v_xor_b32_e32 v39, vcc_hi, v37
	v_xor_b32_e32 v37, vcc_lo, v37
	v_cmp_gt_i64_e32 vcc, 0, v[82:83]
	v_ashrrev_i32_e32 v34, 31, v34
	v_and_b32_e32 v36, v36, v37
	v_xor_b32_e32 v37, vcc_hi, v34
	v_xor_b32_e32 v34, vcc_lo, v34
	v_and_b32_e32 v35, v35, v39
	v_and_b32_e32 v34, v36, v34
	;; [unrolled: 1-line block ×3, first 2 shown]
	v_mbcnt_lo_u32_b32 v36, v34, 0
	v_mbcnt_hi_u32_b32 v39, v35, v36
	v_cmp_eq_u32_e32 vcc, 0, v39
	v_cmp_ne_u64_e64 s[4:5], 0, v[34:35]
	v_pk_mov_b32 v[84:85], v[48:49], v[48:49] op_sel:[0,1]
	v_pk_mov_b32 v[86:87], v[46:47], v[46:47] op_sel:[0,1]
	;; [unrolled: 1-line block ×13, first 2 shown]
	s_and_b64 s[58:59], s[4:5], vcc
	ds_write2_b32 v110, v82, v82 offset0:2 offset1:3
	ds_write2_b32 v124, v82, v82 offset0:2 offset1:3
	s_waitcnt lgkmcnt(0)
	s_barrier
	s_waitcnt lgkmcnt(0)
	; wave barrier
	s_and_saveexec_b64 s[4:5], s[58:59]
	s_cbranch_execz .LBB157_48
; %bb.47:                               ;   in Loop: Header=BB157_46 Depth=1
	v_bcnt_u32_b32 v34, v34, 0
	v_bcnt_u32_b32 v34, v35, v34
	ds_write_b32 v38, v34
.LBB157_48:                             ;   in Loop: Header=BB157_46 Depth=1
	s_or_b64 exec, exec, s[4:5]
	v_lshrrev_b64 v[34:35], s50, v[96:97]
	v_and_b32_e32 v34, s57, v34
	v_lshlrev_b32_e32 v35, 1, v34
	v_add_lshl_u32 v35, v35, v125, 2
	; wave barrier
	v_add_u32_e32 v41, 8, v35
	ds_read_b32 v40, v35 offset:8
	v_and_b32_e32 v35, 1, v34
	v_add_co_u32_e32 v36, vcc, -1, v35
	v_addc_co_u32_e64 v37, s[4:5], 0, -1, vcc
	v_cmp_ne_u32_e32 vcc, 0, v35
	v_lshlrev_b32_e32 v83, 30, v34
	v_xor_b32_e32 v35, vcc_hi, v37
	v_not_b32_e32 v37, v83
	v_xor_b32_e32 v36, vcc_lo, v36
	v_cmp_gt_i64_e32 vcc, 0, v[82:83]
	v_ashrrev_i32_e32 v37, 31, v37
	v_and_b32_e32 v36, exec_lo, v36
	v_xor_b32_e32 v42, vcc_hi, v37
	v_xor_b32_e32 v37, vcc_lo, v37
	v_lshlrev_b32_e32 v83, 29, v34
	v_and_b32_e32 v36, v36, v37
	v_not_b32_e32 v37, v83
	v_and_b32_e32 v35, exec_hi, v35
	v_cmp_gt_i64_e32 vcc, 0, v[82:83]
	v_ashrrev_i32_e32 v37, 31, v37
	v_and_b32_e32 v35, v35, v42
	v_xor_b32_e32 v42, vcc_hi, v37
	v_xor_b32_e32 v37, vcc_lo, v37
	v_lshlrev_b32_e32 v83, 28, v34
	v_and_b32_e32 v36, v36, v37
	v_not_b32_e32 v37, v83
	v_cmp_gt_i64_e32 vcc, 0, v[82:83]
	v_ashrrev_i32_e32 v37, 31, v37
	v_and_b32_e32 v35, v35, v42
	v_xor_b32_e32 v42, vcc_hi, v37
	v_xor_b32_e32 v37, vcc_lo, v37
	v_lshlrev_b32_e32 v83, 27, v34
	v_and_b32_e32 v36, v36, v37
	v_not_b32_e32 v37, v83
	;; [unrolled: 8-line block ×3, first 2 shown]
	v_cmp_gt_i64_e32 vcc, 0, v[82:83]
	v_ashrrev_i32_e32 v37, 31, v37
	v_and_b32_e32 v35, v35, v42
	v_xor_b32_e32 v42, vcc_hi, v37
	v_xor_b32_e32 v37, vcc_lo, v37
	v_lshlrev_b32_e32 v83, 25, v34
	v_and_b32_e32 v36, v36, v37
	v_cmp_gt_i64_e32 vcc, 0, v[82:83]
	v_not_b32_e32 v37, v83
	v_lshlrev_b32_e32 v83, 24, v34
	v_ashrrev_i32_e32 v37, 31, v37
	v_not_b32_e32 v34, v83
	v_and_b32_e32 v35, v35, v42
	v_xor_b32_e32 v42, vcc_hi, v37
	v_xor_b32_e32 v37, vcc_lo, v37
	v_cmp_gt_i64_e32 vcc, 0, v[82:83]
	v_ashrrev_i32_e32 v34, 31, v34
	v_and_b32_e32 v36, v36, v37
	v_xor_b32_e32 v37, vcc_hi, v34
	v_xor_b32_e32 v34, vcc_lo, v34
	v_and_b32_e32 v35, v35, v42
	v_and_b32_e32 v34, v36, v34
	;; [unrolled: 1-line block ×3, first 2 shown]
	v_mbcnt_lo_u32_b32 v36, v34, 0
	v_mbcnt_hi_u32_b32 v42, v35, v36
	v_cmp_eq_u32_e32 vcc, 0, v42
	v_cmp_ne_u64_e64 s[4:5], 0, v[34:35]
	s_and_b64 s[58:59], s[4:5], vcc
	; wave barrier
	s_and_saveexec_b64 s[4:5], s[58:59]
	s_cbranch_execz .LBB157_50
; %bb.49:                               ;   in Loop: Header=BB157_46 Depth=1
	v_bcnt_u32_b32 v34, v34, 0
	v_bcnt_u32_b32 v34, v35, v34
	s_waitcnt lgkmcnt(0)
	v_add_u32_e32 v34, v40, v34
	ds_write_b32 v41, v34
.LBB157_50:                             ;   in Loop: Header=BB157_46 Depth=1
	s_or_b64 exec, exec, s[4:5]
	v_lshrrev_b64 v[34:35], s50, v[94:95]
	v_and_b32_e32 v34, s57, v34
	v_lshlrev_b32_e32 v35, 1, v34
	v_add_lshl_u32 v35, v35, v125, 2
	; wave barrier
	v_add_u32_e32 v44, 8, v35
	ds_read_b32 v43, v35 offset:8
	v_and_b32_e32 v35, 1, v34
	v_add_co_u32_e32 v36, vcc, -1, v35
	v_addc_co_u32_e64 v37, s[4:5], 0, -1, vcc
	v_cmp_ne_u32_e32 vcc, 0, v35
	v_lshlrev_b32_e32 v83, 30, v34
	v_xor_b32_e32 v35, vcc_hi, v37
	v_not_b32_e32 v37, v83
	v_xor_b32_e32 v36, vcc_lo, v36
	v_cmp_gt_i64_e32 vcc, 0, v[82:83]
	v_ashrrev_i32_e32 v37, 31, v37
	v_and_b32_e32 v36, exec_lo, v36
	v_xor_b32_e32 v45, vcc_hi, v37
	v_xor_b32_e32 v37, vcc_lo, v37
	v_lshlrev_b32_e32 v83, 29, v34
	v_and_b32_e32 v36, v36, v37
	v_not_b32_e32 v37, v83
	v_and_b32_e32 v35, exec_hi, v35
	v_cmp_gt_i64_e32 vcc, 0, v[82:83]
	v_ashrrev_i32_e32 v37, 31, v37
	v_and_b32_e32 v35, v35, v45
	v_xor_b32_e32 v45, vcc_hi, v37
	v_xor_b32_e32 v37, vcc_lo, v37
	v_lshlrev_b32_e32 v83, 28, v34
	v_and_b32_e32 v36, v36, v37
	v_not_b32_e32 v37, v83
	v_cmp_gt_i64_e32 vcc, 0, v[82:83]
	v_ashrrev_i32_e32 v37, 31, v37
	v_and_b32_e32 v35, v35, v45
	v_xor_b32_e32 v45, vcc_hi, v37
	v_xor_b32_e32 v37, vcc_lo, v37
	v_lshlrev_b32_e32 v83, 27, v34
	v_and_b32_e32 v36, v36, v37
	v_not_b32_e32 v37, v83
	;; [unrolled: 8-line block ×3, first 2 shown]
	v_cmp_gt_i64_e32 vcc, 0, v[82:83]
	v_ashrrev_i32_e32 v37, 31, v37
	v_and_b32_e32 v35, v35, v45
	v_xor_b32_e32 v45, vcc_hi, v37
	v_xor_b32_e32 v37, vcc_lo, v37
	v_lshlrev_b32_e32 v83, 25, v34
	v_and_b32_e32 v36, v36, v37
	v_cmp_gt_i64_e32 vcc, 0, v[82:83]
	v_not_b32_e32 v37, v83
	v_lshlrev_b32_e32 v83, 24, v34
	v_ashrrev_i32_e32 v37, 31, v37
	v_not_b32_e32 v34, v83
	v_and_b32_e32 v35, v35, v45
	v_xor_b32_e32 v45, vcc_hi, v37
	v_xor_b32_e32 v37, vcc_lo, v37
	v_cmp_gt_i64_e32 vcc, 0, v[82:83]
	v_ashrrev_i32_e32 v34, 31, v34
	v_and_b32_e32 v36, v36, v37
	v_xor_b32_e32 v37, vcc_hi, v34
	v_xor_b32_e32 v34, vcc_lo, v34
	v_and_b32_e32 v35, v35, v45
	v_and_b32_e32 v34, v36, v34
	;; [unrolled: 1-line block ×3, first 2 shown]
	v_mbcnt_lo_u32_b32 v36, v34, 0
	v_mbcnt_hi_u32_b32 v45, v35, v36
	v_cmp_eq_u32_e32 vcc, 0, v45
	v_cmp_ne_u64_e64 s[4:5], 0, v[34:35]
	s_and_b64 s[58:59], s[4:5], vcc
	; wave barrier
	s_and_saveexec_b64 s[4:5], s[58:59]
	s_cbranch_execz .LBB157_52
; %bb.51:                               ;   in Loop: Header=BB157_46 Depth=1
	v_bcnt_u32_b32 v34, v34, 0
	v_bcnt_u32_b32 v34, v35, v34
	s_waitcnt lgkmcnt(0)
	v_add_u32_e32 v34, v43, v34
	ds_write_b32 v44, v34
.LBB157_52:                             ;   in Loop: Header=BB157_46 Depth=1
	s_or_b64 exec, exec, s[4:5]
	v_lshrrev_b64 v[34:35], s50, v[92:93]
	v_and_b32_e32 v34, s57, v34
	v_lshlrev_b32_e32 v35, 1, v34
	v_add_lshl_u32 v35, v35, v125, 2
	; wave barrier
	v_add_u32_e32 v47, 8, v35
	ds_read_b32 v46, v35 offset:8
	v_and_b32_e32 v35, 1, v34
	v_add_co_u32_e32 v36, vcc, -1, v35
	v_addc_co_u32_e64 v37, s[4:5], 0, -1, vcc
	v_cmp_ne_u32_e32 vcc, 0, v35
	v_lshlrev_b32_e32 v83, 30, v34
	v_xor_b32_e32 v35, vcc_hi, v37
	v_not_b32_e32 v37, v83
	v_xor_b32_e32 v36, vcc_lo, v36
	v_cmp_gt_i64_e32 vcc, 0, v[82:83]
	v_ashrrev_i32_e32 v37, 31, v37
	v_and_b32_e32 v36, exec_lo, v36
	v_xor_b32_e32 v48, vcc_hi, v37
	v_xor_b32_e32 v37, vcc_lo, v37
	v_lshlrev_b32_e32 v83, 29, v34
	v_and_b32_e32 v36, v36, v37
	v_not_b32_e32 v37, v83
	v_and_b32_e32 v35, exec_hi, v35
	v_cmp_gt_i64_e32 vcc, 0, v[82:83]
	v_ashrrev_i32_e32 v37, 31, v37
	v_and_b32_e32 v35, v35, v48
	v_xor_b32_e32 v48, vcc_hi, v37
	v_xor_b32_e32 v37, vcc_lo, v37
	v_lshlrev_b32_e32 v83, 28, v34
	v_and_b32_e32 v36, v36, v37
	v_not_b32_e32 v37, v83
	v_cmp_gt_i64_e32 vcc, 0, v[82:83]
	v_ashrrev_i32_e32 v37, 31, v37
	v_and_b32_e32 v35, v35, v48
	v_xor_b32_e32 v48, vcc_hi, v37
	v_xor_b32_e32 v37, vcc_lo, v37
	v_lshlrev_b32_e32 v83, 27, v34
	v_and_b32_e32 v36, v36, v37
	v_not_b32_e32 v37, v83
	;; [unrolled: 8-line block ×3, first 2 shown]
	v_cmp_gt_i64_e32 vcc, 0, v[82:83]
	v_ashrrev_i32_e32 v37, 31, v37
	v_and_b32_e32 v35, v35, v48
	v_xor_b32_e32 v48, vcc_hi, v37
	v_xor_b32_e32 v37, vcc_lo, v37
	v_lshlrev_b32_e32 v83, 25, v34
	v_and_b32_e32 v36, v36, v37
	v_cmp_gt_i64_e32 vcc, 0, v[82:83]
	v_not_b32_e32 v37, v83
	v_lshlrev_b32_e32 v83, 24, v34
	v_ashrrev_i32_e32 v37, 31, v37
	v_not_b32_e32 v34, v83
	v_and_b32_e32 v35, v35, v48
	v_xor_b32_e32 v48, vcc_hi, v37
	v_xor_b32_e32 v37, vcc_lo, v37
	v_cmp_gt_i64_e32 vcc, 0, v[82:83]
	v_ashrrev_i32_e32 v34, 31, v34
	v_and_b32_e32 v36, v36, v37
	v_xor_b32_e32 v37, vcc_hi, v34
	v_xor_b32_e32 v34, vcc_lo, v34
	v_and_b32_e32 v35, v35, v48
	v_and_b32_e32 v34, v36, v34
	;; [unrolled: 1-line block ×3, first 2 shown]
	v_mbcnt_lo_u32_b32 v36, v34, 0
	v_mbcnt_hi_u32_b32 v48, v35, v36
	v_cmp_eq_u32_e32 vcc, 0, v48
	v_cmp_ne_u64_e64 s[4:5], 0, v[34:35]
	s_and_b64 s[58:59], s[4:5], vcc
	; wave barrier
	s_and_saveexec_b64 s[4:5], s[58:59]
	s_cbranch_execz .LBB157_54
; %bb.53:                               ;   in Loop: Header=BB157_46 Depth=1
	v_bcnt_u32_b32 v34, v34, 0
	v_bcnt_u32_b32 v34, v35, v34
	s_waitcnt lgkmcnt(0)
	v_add_u32_e32 v34, v46, v34
	ds_write_b32 v47, v34
.LBB157_54:                             ;   in Loop: Header=BB157_46 Depth=1
	s_or_b64 exec, exec, s[4:5]
	v_lshrrev_b64 v[34:35], s50, v[90:91]
	v_and_b32_e32 v34, s57, v34
	v_lshlrev_b32_e32 v35, 1, v34
	v_add_lshl_u32 v35, v35, v125, 2
	; wave barrier
	v_add_u32_e32 v50, 8, v35
	ds_read_b32 v49, v35 offset:8
	v_and_b32_e32 v35, 1, v34
	v_add_co_u32_e32 v36, vcc, -1, v35
	v_addc_co_u32_e64 v37, s[4:5], 0, -1, vcc
	v_cmp_ne_u32_e32 vcc, 0, v35
	v_lshlrev_b32_e32 v83, 30, v34
	v_xor_b32_e32 v35, vcc_hi, v37
	v_not_b32_e32 v37, v83
	v_xor_b32_e32 v36, vcc_lo, v36
	v_cmp_gt_i64_e32 vcc, 0, v[82:83]
	v_ashrrev_i32_e32 v37, 31, v37
	v_and_b32_e32 v36, exec_lo, v36
	v_xor_b32_e32 v51, vcc_hi, v37
	v_xor_b32_e32 v37, vcc_lo, v37
	v_lshlrev_b32_e32 v83, 29, v34
	v_and_b32_e32 v36, v36, v37
	v_not_b32_e32 v37, v83
	v_and_b32_e32 v35, exec_hi, v35
	v_cmp_gt_i64_e32 vcc, 0, v[82:83]
	v_ashrrev_i32_e32 v37, 31, v37
	v_and_b32_e32 v35, v35, v51
	v_xor_b32_e32 v51, vcc_hi, v37
	v_xor_b32_e32 v37, vcc_lo, v37
	v_lshlrev_b32_e32 v83, 28, v34
	v_and_b32_e32 v36, v36, v37
	v_not_b32_e32 v37, v83
	v_cmp_gt_i64_e32 vcc, 0, v[82:83]
	v_ashrrev_i32_e32 v37, 31, v37
	v_and_b32_e32 v35, v35, v51
	v_xor_b32_e32 v51, vcc_hi, v37
	v_xor_b32_e32 v37, vcc_lo, v37
	v_lshlrev_b32_e32 v83, 27, v34
	v_and_b32_e32 v36, v36, v37
	v_not_b32_e32 v37, v83
	;; [unrolled: 8-line block ×3, first 2 shown]
	v_cmp_gt_i64_e32 vcc, 0, v[82:83]
	v_ashrrev_i32_e32 v37, 31, v37
	v_and_b32_e32 v35, v35, v51
	v_xor_b32_e32 v51, vcc_hi, v37
	v_xor_b32_e32 v37, vcc_lo, v37
	v_lshlrev_b32_e32 v83, 25, v34
	v_and_b32_e32 v36, v36, v37
	v_cmp_gt_i64_e32 vcc, 0, v[82:83]
	v_not_b32_e32 v37, v83
	v_lshlrev_b32_e32 v83, 24, v34
	v_ashrrev_i32_e32 v37, 31, v37
	v_not_b32_e32 v34, v83
	v_and_b32_e32 v35, v35, v51
	v_xor_b32_e32 v51, vcc_hi, v37
	v_xor_b32_e32 v37, vcc_lo, v37
	v_cmp_gt_i64_e32 vcc, 0, v[82:83]
	v_ashrrev_i32_e32 v34, 31, v34
	v_and_b32_e32 v36, v36, v37
	v_xor_b32_e32 v37, vcc_hi, v34
	v_xor_b32_e32 v34, vcc_lo, v34
	v_and_b32_e32 v35, v35, v51
	v_and_b32_e32 v34, v36, v34
	;; [unrolled: 1-line block ×3, first 2 shown]
	v_mbcnt_lo_u32_b32 v36, v34, 0
	v_mbcnt_hi_u32_b32 v51, v35, v36
	v_cmp_eq_u32_e32 vcc, 0, v51
	v_cmp_ne_u64_e64 s[4:5], 0, v[34:35]
	s_and_b64 s[58:59], s[4:5], vcc
	; wave barrier
	s_and_saveexec_b64 s[4:5], s[58:59]
	s_cbranch_execz .LBB157_56
; %bb.55:                               ;   in Loop: Header=BB157_46 Depth=1
	v_bcnt_u32_b32 v34, v34, 0
	v_bcnt_u32_b32 v34, v35, v34
	s_waitcnt lgkmcnt(0)
	v_add_u32_e32 v34, v49, v34
	ds_write_b32 v50, v34
.LBB157_56:                             ;   in Loop: Header=BB157_46 Depth=1
	s_or_b64 exec, exec, s[4:5]
	v_lshrrev_b64 v[34:35], s50, v[88:89]
	v_and_b32_e32 v34, s57, v34
	v_lshlrev_b32_e32 v35, 1, v34
	v_add_lshl_u32 v35, v35, v125, 2
	; wave barrier
	v_add_u32_e32 v53, 8, v35
	ds_read_b32 v52, v35 offset:8
	v_and_b32_e32 v35, 1, v34
	v_add_co_u32_e32 v36, vcc, -1, v35
	v_addc_co_u32_e64 v37, s[4:5], 0, -1, vcc
	v_cmp_ne_u32_e32 vcc, 0, v35
	v_lshlrev_b32_e32 v83, 30, v34
	v_xor_b32_e32 v35, vcc_hi, v37
	v_not_b32_e32 v37, v83
	v_xor_b32_e32 v36, vcc_lo, v36
	v_cmp_gt_i64_e32 vcc, 0, v[82:83]
	v_ashrrev_i32_e32 v37, 31, v37
	v_and_b32_e32 v36, exec_lo, v36
	v_xor_b32_e32 v54, vcc_hi, v37
	v_xor_b32_e32 v37, vcc_lo, v37
	v_lshlrev_b32_e32 v83, 29, v34
	v_and_b32_e32 v36, v36, v37
	v_not_b32_e32 v37, v83
	v_and_b32_e32 v35, exec_hi, v35
	v_cmp_gt_i64_e32 vcc, 0, v[82:83]
	v_ashrrev_i32_e32 v37, 31, v37
	v_and_b32_e32 v35, v35, v54
	v_xor_b32_e32 v54, vcc_hi, v37
	v_xor_b32_e32 v37, vcc_lo, v37
	v_lshlrev_b32_e32 v83, 28, v34
	v_and_b32_e32 v36, v36, v37
	v_not_b32_e32 v37, v83
	v_cmp_gt_i64_e32 vcc, 0, v[82:83]
	v_ashrrev_i32_e32 v37, 31, v37
	v_and_b32_e32 v35, v35, v54
	v_xor_b32_e32 v54, vcc_hi, v37
	v_xor_b32_e32 v37, vcc_lo, v37
	v_lshlrev_b32_e32 v83, 27, v34
	v_and_b32_e32 v36, v36, v37
	v_not_b32_e32 v37, v83
	;; [unrolled: 8-line block ×3, first 2 shown]
	v_cmp_gt_i64_e32 vcc, 0, v[82:83]
	v_ashrrev_i32_e32 v37, 31, v37
	v_and_b32_e32 v35, v35, v54
	v_xor_b32_e32 v54, vcc_hi, v37
	v_xor_b32_e32 v37, vcc_lo, v37
	v_lshlrev_b32_e32 v83, 25, v34
	v_and_b32_e32 v36, v36, v37
	v_cmp_gt_i64_e32 vcc, 0, v[82:83]
	v_not_b32_e32 v37, v83
	v_lshlrev_b32_e32 v83, 24, v34
	v_ashrrev_i32_e32 v37, 31, v37
	v_not_b32_e32 v34, v83
	v_and_b32_e32 v35, v35, v54
	v_xor_b32_e32 v54, vcc_hi, v37
	v_xor_b32_e32 v37, vcc_lo, v37
	v_cmp_gt_i64_e32 vcc, 0, v[82:83]
	v_ashrrev_i32_e32 v34, 31, v34
	v_and_b32_e32 v36, v36, v37
	v_xor_b32_e32 v37, vcc_hi, v34
	v_xor_b32_e32 v34, vcc_lo, v34
	v_and_b32_e32 v35, v35, v54
	v_and_b32_e32 v34, v36, v34
	;; [unrolled: 1-line block ×3, first 2 shown]
	v_mbcnt_lo_u32_b32 v36, v34, 0
	v_mbcnt_hi_u32_b32 v54, v35, v36
	v_cmp_eq_u32_e32 vcc, 0, v54
	v_cmp_ne_u64_e64 s[4:5], 0, v[34:35]
	s_and_b64 s[58:59], s[4:5], vcc
	; wave barrier
	s_and_saveexec_b64 s[4:5], s[58:59]
	s_cbranch_execz .LBB157_58
; %bb.57:                               ;   in Loop: Header=BB157_46 Depth=1
	v_bcnt_u32_b32 v34, v34, 0
	v_bcnt_u32_b32 v34, v35, v34
	s_waitcnt lgkmcnt(0)
	v_add_u32_e32 v34, v52, v34
	ds_write_b32 v53, v34
.LBB157_58:                             ;   in Loop: Header=BB157_46 Depth=1
	s_or_b64 exec, exec, s[4:5]
	v_lshrrev_b64 v[34:35], s50, v[86:87]
	v_and_b32_e32 v34, s57, v34
	v_lshlrev_b32_e32 v35, 1, v34
	v_add_lshl_u32 v35, v35, v125, 2
	; wave barrier
	v_add_u32_e32 v56, 8, v35
	ds_read_b32 v55, v35 offset:8
	v_and_b32_e32 v35, 1, v34
	v_add_co_u32_e32 v36, vcc, -1, v35
	v_addc_co_u32_e64 v37, s[4:5], 0, -1, vcc
	v_cmp_ne_u32_e32 vcc, 0, v35
	v_lshlrev_b32_e32 v83, 30, v34
	v_xor_b32_e32 v35, vcc_hi, v37
	v_not_b32_e32 v37, v83
	v_xor_b32_e32 v36, vcc_lo, v36
	v_cmp_gt_i64_e32 vcc, 0, v[82:83]
	v_ashrrev_i32_e32 v37, 31, v37
	v_and_b32_e32 v36, exec_lo, v36
	v_xor_b32_e32 v57, vcc_hi, v37
	v_xor_b32_e32 v37, vcc_lo, v37
	v_lshlrev_b32_e32 v83, 29, v34
	v_and_b32_e32 v36, v36, v37
	v_not_b32_e32 v37, v83
	v_and_b32_e32 v35, exec_hi, v35
	v_cmp_gt_i64_e32 vcc, 0, v[82:83]
	v_ashrrev_i32_e32 v37, 31, v37
	v_and_b32_e32 v35, v35, v57
	v_xor_b32_e32 v57, vcc_hi, v37
	v_xor_b32_e32 v37, vcc_lo, v37
	v_lshlrev_b32_e32 v83, 28, v34
	v_and_b32_e32 v36, v36, v37
	v_not_b32_e32 v37, v83
	v_cmp_gt_i64_e32 vcc, 0, v[82:83]
	v_ashrrev_i32_e32 v37, 31, v37
	v_and_b32_e32 v35, v35, v57
	v_xor_b32_e32 v57, vcc_hi, v37
	v_xor_b32_e32 v37, vcc_lo, v37
	v_lshlrev_b32_e32 v83, 27, v34
	v_and_b32_e32 v36, v36, v37
	v_not_b32_e32 v37, v83
	;; [unrolled: 8-line block ×3, first 2 shown]
	v_cmp_gt_i64_e32 vcc, 0, v[82:83]
	v_ashrrev_i32_e32 v37, 31, v37
	v_and_b32_e32 v35, v35, v57
	v_xor_b32_e32 v57, vcc_hi, v37
	v_xor_b32_e32 v37, vcc_lo, v37
	v_lshlrev_b32_e32 v83, 25, v34
	v_and_b32_e32 v36, v36, v37
	v_cmp_gt_i64_e32 vcc, 0, v[82:83]
	v_not_b32_e32 v37, v83
	v_lshlrev_b32_e32 v83, 24, v34
	v_ashrrev_i32_e32 v37, 31, v37
	v_not_b32_e32 v34, v83
	v_and_b32_e32 v35, v35, v57
	v_xor_b32_e32 v57, vcc_hi, v37
	v_xor_b32_e32 v37, vcc_lo, v37
	v_cmp_gt_i64_e32 vcc, 0, v[82:83]
	v_ashrrev_i32_e32 v34, 31, v34
	v_and_b32_e32 v36, v36, v37
	v_xor_b32_e32 v37, vcc_hi, v34
	v_xor_b32_e32 v34, vcc_lo, v34
	v_and_b32_e32 v35, v35, v57
	v_and_b32_e32 v34, v36, v34
	;; [unrolled: 1-line block ×3, first 2 shown]
	v_mbcnt_lo_u32_b32 v36, v34, 0
	v_mbcnt_hi_u32_b32 v57, v35, v36
	v_cmp_eq_u32_e32 vcc, 0, v57
	v_cmp_ne_u64_e64 s[4:5], 0, v[34:35]
	s_and_b64 s[58:59], s[4:5], vcc
	; wave barrier
	s_and_saveexec_b64 s[4:5], s[58:59]
	s_cbranch_execz .LBB157_60
; %bb.59:                               ;   in Loop: Header=BB157_46 Depth=1
	v_bcnt_u32_b32 v34, v34, 0
	v_bcnt_u32_b32 v34, v35, v34
	s_waitcnt lgkmcnt(0)
	v_add_u32_e32 v34, v55, v34
	ds_write_b32 v56, v34
.LBB157_60:                             ;   in Loop: Header=BB157_46 Depth=1
	s_or_b64 exec, exec, s[4:5]
	v_lshrrev_b64 v[34:35], s50, v[84:85]
	v_and_b32_e32 v34, s57, v34
	v_lshlrev_b32_e32 v35, 1, v34
	v_add_lshl_u32 v35, v35, v125, 2
	; wave barrier
	v_add_u32_e32 v59, 8, v35
	ds_read_b32 v58, v35 offset:8
	v_and_b32_e32 v35, 1, v34
	v_add_co_u32_e32 v36, vcc, -1, v35
	v_addc_co_u32_e64 v37, s[4:5], 0, -1, vcc
	v_cmp_ne_u32_e32 vcc, 0, v35
	v_lshlrev_b32_e32 v83, 30, v34
	v_xor_b32_e32 v35, vcc_hi, v37
	v_not_b32_e32 v37, v83
	v_xor_b32_e32 v36, vcc_lo, v36
	v_cmp_gt_i64_e32 vcc, 0, v[82:83]
	v_ashrrev_i32_e32 v37, 31, v37
	v_and_b32_e32 v36, exec_lo, v36
	v_xor_b32_e32 v60, vcc_hi, v37
	v_xor_b32_e32 v37, vcc_lo, v37
	v_lshlrev_b32_e32 v83, 29, v34
	v_and_b32_e32 v36, v36, v37
	v_not_b32_e32 v37, v83
	v_and_b32_e32 v35, exec_hi, v35
	v_cmp_gt_i64_e32 vcc, 0, v[82:83]
	v_ashrrev_i32_e32 v37, 31, v37
	v_and_b32_e32 v35, v35, v60
	v_xor_b32_e32 v60, vcc_hi, v37
	v_xor_b32_e32 v37, vcc_lo, v37
	v_lshlrev_b32_e32 v83, 28, v34
	v_and_b32_e32 v36, v36, v37
	v_not_b32_e32 v37, v83
	v_cmp_gt_i64_e32 vcc, 0, v[82:83]
	v_ashrrev_i32_e32 v37, 31, v37
	v_and_b32_e32 v35, v35, v60
	v_xor_b32_e32 v60, vcc_hi, v37
	v_xor_b32_e32 v37, vcc_lo, v37
	v_lshlrev_b32_e32 v83, 27, v34
	v_and_b32_e32 v36, v36, v37
	v_not_b32_e32 v37, v83
	v_cmp_gt_i64_e32 vcc, 0, v[82:83]
	v_ashrrev_i32_e32 v37, 31, v37
	v_and_b32_e32 v35, v35, v60
	v_xor_b32_e32 v60, vcc_hi, v37
	v_xor_b32_e32 v37, vcc_lo, v37
	v_lshlrev_b32_e32 v83, 26, v34
	v_and_b32_e32 v36, v36, v37
	v_not_b32_e32 v37, v83
	v_cmp_gt_i64_e32 vcc, 0, v[82:83]
	v_ashrrev_i32_e32 v37, 31, v37
	v_and_b32_e32 v35, v35, v60
	v_xor_b32_e32 v60, vcc_hi, v37
	v_xor_b32_e32 v37, vcc_lo, v37
	v_lshlrev_b32_e32 v83, 25, v34
	v_and_b32_e32 v36, v36, v37
	v_cmp_gt_i64_e32 vcc, 0, v[82:83]
	v_not_b32_e32 v37, v83
	v_lshlrev_b32_e32 v83, 24, v34
	v_ashrrev_i32_e32 v37, 31, v37
	v_not_b32_e32 v34, v83
	v_and_b32_e32 v35, v35, v60
	v_xor_b32_e32 v60, vcc_hi, v37
	v_xor_b32_e32 v37, vcc_lo, v37
	v_cmp_gt_i64_e32 vcc, 0, v[82:83]
	v_ashrrev_i32_e32 v34, 31, v34
	v_and_b32_e32 v36, v36, v37
	v_xor_b32_e32 v37, vcc_hi, v34
	v_xor_b32_e32 v34, vcc_lo, v34
	v_and_b32_e32 v35, v35, v60
	v_and_b32_e32 v34, v36, v34
	;; [unrolled: 1-line block ×3, first 2 shown]
	v_mbcnt_lo_u32_b32 v36, v34, 0
	v_mbcnt_hi_u32_b32 v60, v35, v36
	v_cmp_eq_u32_e32 vcc, 0, v60
	v_cmp_ne_u64_e64 s[4:5], 0, v[34:35]
	s_and_b64 s[58:59], s[4:5], vcc
	; wave barrier
	s_and_saveexec_b64 s[4:5], s[58:59]
	s_cbranch_execz .LBB157_62
; %bb.61:                               ;   in Loop: Header=BB157_46 Depth=1
	v_bcnt_u32_b32 v34, v34, 0
	v_bcnt_u32_b32 v34, v35, v34
	s_waitcnt lgkmcnt(0)
	v_add_u32_e32 v34, v58, v34
	ds_write_b32 v59, v34
.LBB157_62:                             ;   in Loop: Header=BB157_46 Depth=1
	s_or_b64 exec, exec, s[4:5]
	; wave barrier
	s_waitcnt lgkmcnt(0)
	s_barrier
	ds_read2_b32 v[36:37], v110 offset0:2 offset1:3
	ds_read2_b32 v[34:35], v124 offset0:2 offset1:3
	s_waitcnt lgkmcnt(1)
	v_add_u32_e32 v61, v37, v36
	s_waitcnt lgkmcnt(0)
	v_add3_u32 v35, v61, v34, v35
	s_nop 1
	v_mov_b32_dpp v61, v35 row_shr:1 row_mask:0xf bank_mask:0xf
	v_cndmask_b32_e64 v61, v61, 0, s[26:27]
	v_add_u32_e32 v35, v61, v35
	s_nop 1
	v_mov_b32_dpp v61, v35 row_shr:2 row_mask:0xf bank_mask:0xf
	v_cndmask_b32_e64 v61, 0, v61, s[28:29]
	v_add_u32_e32 v35, v35, v61
	;; [unrolled: 4-line block ×4, first 2 shown]
	s_nop 1
	v_mov_b32_dpp v61, v35 row_bcast:15 row_mask:0xf bank_mask:0xf
	v_cndmask_b32_e64 v61, v61, 0, s[36:37]
	v_add_u32_e32 v35, v35, v61
	s_nop 1
	v_mov_b32_dpp v61, v35 row_bcast:31 row_mask:0xf bank_mask:0xf
	v_cndmask_b32_e64 v61, 0, v61, s[16:17]
	v_add_u32_e32 v35, v35, v61
	s_and_saveexec_b64 s[4:5], s[38:39]
	s_cbranch_execz .LBB157_64
; %bb.63:                               ;   in Loop: Header=BB157_46 Depth=1
	ds_write_b32 v127, v35
.LBB157_64:                             ;   in Loop: Header=BB157_46 Depth=1
	s_or_b64 exec, exec, s[4:5]
	s_waitcnt lgkmcnt(0)
	s_barrier
	s_and_saveexec_b64 s[4:5], s[18:19]
	s_cbranch_execz .LBB157_66
; %bb.65:                               ;   in Loop: Header=BB157_46 Depth=1
	ds_read_b32 v61, v109
	s_waitcnt lgkmcnt(0)
	s_nop 0
	v_mov_b32_dpp v62, v61 row_shr:1 row_mask:0xf bank_mask:0xf
	v_cndmask_b32_e64 v62, v62, 0, s[40:41]
	v_add_u32_e32 v61, v62, v61
	ds_write_b32 v109, v61
.LBB157_66:                             ;   in Loop: Header=BB157_46 Depth=1
	s_or_b64 exec, exec, s[4:5]
	v_mov_b32_e32 v61, 0
	s_waitcnt lgkmcnt(0)
	s_barrier
	s_and_saveexec_b64 s[4:5], s[20:21]
	s_cbranch_execz .LBB157_68
; %bb.67:                               ;   in Loop: Header=BB157_46 Depth=1
	ds_read_b32 v61, v128
.LBB157_68:                             ;   in Loop: Header=BB157_46 Depth=1
	s_or_b64 exec, exec, s[4:5]
	s_waitcnt lgkmcnt(0)
	v_add_u32_e32 v35, v61, v35
	ds_bpermute_b32 v35, v126, v35
	s_cmp_gt_u32 s50, 55
	s_waitcnt lgkmcnt(0)
	v_cndmask_b32_e64 v35, v35, v61, s[22:23]
	v_cndmask_b32_e64 v35, v35, 0, s[24:25]
	v_add_u32_e32 v36, v35, v36
	v_add_u32_e32 v37, v36, v37
	;; [unrolled: 1-line block ×3, first 2 shown]
	ds_write2_b32 v110, v35, v36 offset0:2 offset1:3
	ds_write2_b32 v124, v37, v34 offset0:2 offset1:3
	s_waitcnt lgkmcnt(0)
	s_barrier
	ds_read_b32 v34, v38
	ds_read_b32 v35, v41
	ds_read_b32 v36, v44
	ds_read_b32 v37, v47
	ds_read_b32 v38, v50
	ds_read_b32 v41, v53
	ds_read_b32 v44, v56
	ds_read_b32 v47, v59
	s_waitcnt lgkmcnt(7)
	v_add_u32_e32 v136, v34, v39
	s_waitcnt lgkmcnt(6)
	v_add3_u32 v135, v42, v40, v35
	s_waitcnt lgkmcnt(5)
	v_add3_u32 v134, v45, v43, v36
	;; [unrolled: 2-line block ×7, first 2 shown]
	s_cbranch_scc0 .LBB157_45
; %bb.69:
                                        ; implicit-def: $vgpr48_vgpr49
                                        ; implicit-def: $vgpr44_vgpr45
                                        ; implicit-def: $vgpr40_vgpr41
                                        ; implicit-def: $vgpr36_vgpr37
                                        ; implicit-def: $vgpr64_vgpr65
                                        ; implicit-def: $vgpr60_vgpr61
                                        ; implicit-def: $vgpr56_vgpr57
                                        ; implicit-def: $vgpr52_vgpr53
                                        ; implicit-def: $sgpr50_sgpr51
                                        ; implicit-def: $sgpr56
.LBB157_70:
	v_lshlrev_b32_e32 v34, 3, v136
	v_lshlrev_b32_e32 v35, 3, v135
	;; [unrolled: 1-line block ×9, first 2 shown]
	s_barrier
	ds_write_b64 v34, v[98:99]
	ds_write_b64 v35, v[96:97]
	;; [unrolled: 1-line block ×8, first 2 shown]
	s_waitcnt lgkmcnt(0)
	s_barrier
	ds_read2_b64 v[50:53], v46 offset1:1
	ds_read2_b64 v[54:57], v46 offset0:2 offset1:3
	ds_read2_b64 v[58:61], v46 offset0:4 offset1:5
	ds_read2_b64 v[62:65], v46 offset0:6 offset1:7
	s_waitcnt lgkmcnt(0)
	s_barrier
	ds_write_b64 v34, v[80:81]
	ds_write_b64 v35, v[78:79]
	;; [unrolled: 1-line block ×8, first 2 shown]
	s_waitcnt lgkmcnt(0)
	s_barrier
	ds_read2_b64 v[34:37], v46 offset1:1
	ds_read2_b64 v[38:41], v46 offset0:2 offset1:3
	ds_read2_b64 v[42:45], v46 offset0:4 offset1:5
	ds_read2_b64 v[46:49], v46 offset0:6 offset1:7
	v_xor_b32_e32 v51, 0x80000000, v51
	v_xor_b32_e32 v53, 0x80000000, v53
	;; [unrolled: 1-line block ×8, first 2 shown]
	s_branch .LBB157_106
.LBB157_71:
	v_mad_u64_u32 v[2:3], s[16:17], v66, s46, 0
	v_mov_b32_e32 v4, v3
	v_mad_u64_u32 v[4:5], s[16:17], v66, s47, v[4:5]
	v_mov_b32_e32 v3, v4
	v_lshlrev_b64 v[2:3], 3, v[2:3]
	v_mov_b32_e32 v4, s54
	v_add_co_u32_e32 v2, vcc, s53, v2
	v_addc_co_u32_e32 v3, vcc, v4, v3, vcc
	global_load_dwordx2 v[2:3], v[2:3], off
	v_mov_b32_e32 v4, 0
	v_mov_b32_e32 v5, v4
	;; [unrolled: 1-line block ×14, first 2 shown]
	s_or_b64 exec, exec, s[4:5]
	s_and_saveexec_b64 s[4:5], s[2:3]
	s_cbranch_execz .LBB157_36
.LBB157_72:
	v_mad_u64_u32 v[4:5], s[16:17], v1, s46, 0
	v_mov_b32_e32 v40, v5
	v_mad_u64_u32 v[40:41], s[16:17], v1, s47, v[40:41]
	v_mov_b32_e32 v5, v40
	v_lshlrev_b64 v[4:5], 3, v[4:5]
	v_mov_b32_e32 v1, s54
	v_add_co_u32_e32 v4, vcc, s53, v4
	v_addc_co_u32_e32 v5, vcc, v1, v5, vcc
	global_load_dwordx2 v[4:5], v[4:5], off
	s_or_b64 exec, exec, s[4:5]
	s_and_saveexec_b64 s[4:5], s[42:43]
	s_cbranch_execz .LBB157_37
.LBB157_73:
	v_mad_u64_u32 v[6:7], s[16:17], v34, s46, 0
	v_mov_b32_e32 v40, v7
	v_mad_u64_u32 v[40:41], s[16:17], v34, s47, v[40:41]
	v_mov_b32_e32 v7, v40
	v_lshlrev_b64 v[6:7], 3, v[6:7]
	v_mov_b32_e32 v1, s54
	v_add_co_u32_e32 v6, vcc, s53, v6
	v_addc_co_u32_e32 v7, vcc, v1, v7, vcc
	global_load_dwordx2 v[6:7], v[6:7], off
	s_or_b64 exec, exec, s[4:5]
	s_and_saveexec_b64 s[4:5], s[6:7]
	s_cbranch_execz .LBB157_38
.LBB157_74:
	v_mad_u64_u32 v[8:9], s[16:17], v35, s46, 0
	v_mov_b32_e32 v34, v9
	v_mad_u64_u32 v[34:35], s[16:17], v35, s47, v[34:35]
	v_mov_b32_e32 v9, v34
	v_lshlrev_b64 v[8:9], 3, v[8:9]
	v_mov_b32_e32 v1, s54
	v_add_co_u32_e32 v8, vcc, s53, v8
	v_addc_co_u32_e32 v9, vcc, v1, v9, vcc
	global_load_dwordx2 v[8:9], v[8:9], off
	s_or_b64 exec, exec, s[4:5]
	s_and_saveexec_b64 s[4:5], s[8:9]
	s_cbranch_execz .LBB157_39
.LBB157_75:
	v_mad_u64_u32 v[10:11], s[16:17], v36, s46, 0
	v_mov_b32_e32 v34, v11
	v_mad_u64_u32 v[34:35], s[16:17], v36, s47, v[34:35]
	v_mov_b32_e32 v11, v34
	v_lshlrev_b64 v[10:11], 3, v[10:11]
	v_mov_b32_e32 v1, s54
	v_add_co_u32_e32 v10, vcc, s53, v10
	v_addc_co_u32_e32 v11, vcc, v1, v11, vcc
	global_load_dwordx2 v[10:11], v[10:11], off
	s_or_b64 exec, exec, s[4:5]
	s_and_saveexec_b64 s[4:5], s[10:11]
	s_cbranch_execz .LBB157_40
.LBB157_76:
	v_mad_u64_u32 v[12:13], s[16:17], v37, s46, 0
	v_mov_b32_e32 v34, v13
	v_mad_u64_u32 v[34:35], s[16:17], v37, s47, v[34:35]
	v_mov_b32_e32 v13, v34
	v_lshlrev_b64 v[12:13], 3, v[12:13]
	v_mov_b32_e32 v1, s54
	v_add_co_u32_e32 v12, vcc, s53, v12
	v_addc_co_u32_e32 v13, vcc, v1, v13, vcc
	global_load_dwordx2 v[12:13], v[12:13], off
	s_or_b64 exec, exec, s[4:5]
	s_and_saveexec_b64 s[4:5], s[12:13]
	s_cbranch_execz .LBB157_41
.LBB157_77:
	v_mad_u64_u32 v[14:15], s[16:17], v38, s46, 0
	v_mov_b32_e32 v34, v15
	v_mad_u64_u32 v[34:35], s[16:17], v38, s47, v[34:35]
	v_mov_b32_e32 v15, v34
	v_lshlrev_b64 v[14:15], 3, v[14:15]
	v_mov_b32_e32 v1, s54
	v_add_co_u32_e32 v14, vcc, s53, v14
	v_addc_co_u32_e32 v15, vcc, v1, v15, vcc
	global_load_dwordx2 v[14:15], v[14:15], off
	s_or_b64 exec, exec, s[4:5]
	s_xor_b64 s[4:5], s[34:35], -1
	s_and_saveexec_b64 s[16:17], s[14:15]
	s_cbranch_execnz .LBB157_42
	s_branch .LBB157_43
.LBB157_78:
                                        ; implicit-def: $vgpr64_vgpr65
                                        ; implicit-def: $vgpr60_vgpr61
                                        ; implicit-def: $vgpr56_vgpr57
                                        ; implicit-def: $vgpr52_vgpr53
                                        ; implicit-def: $vgpr48_vgpr49
                                        ; implicit-def: $vgpr44_vgpr45
                                        ; implicit-def: $vgpr40_vgpr41
                                        ; implicit-def: $vgpr36_vgpr37
	s_cbranch_execz .LBB157_106
; %bb.79:
	v_xor_b32_e32 v1, 0x7fffffff, v31
	v_xor_b32_e32 v0, -1, v30
	v_xor_b32_e32 v31, 0x7fffffff, v33
	v_xor_b32_e32 v30, -1, v32
	;; [unrolled: 2-line block ×8, first 2 shown]
	ds_write2_b64 v123, v[0:1], v[30:31] offset1:1
	ds_write2_b64 v123, v[26:27], v[28:29] offset0:2 offset1:3
	ds_write2_b64 v123, v[22:23], v[24:25] offset0:4 offset1:5
	;; [unrolled: 1-line block ×3, first 2 shown]
	; wave barrier
	ds_read2st64_b64 v[18:21], v122 offset1:1
	ds_read2st64_b64 v[22:25], v122 offset0:2 offset1:3
	ds_read2st64_b64 v[26:29], v122 offset0:4 offset1:5
	ds_read2st64_b64 v[30:33], v122 offset0:6 offset1:7
	; wave barrier
	ds_write2_b64 v123, v[14:15], v[16:17] offset1:1
	ds_write2_b64 v123, v[10:11], v[12:13] offset0:2 offset1:3
	ds_write2_b64 v123, v[6:7], v[8:9] offset0:4 offset1:5
	ds_write2_b64 v123, v[2:3], v[4:5] offset0:6 offset1:7
	; wave barrier
	ds_read2st64_b64 v[0:3], v122 offset1:1
	ds_read2st64_b64 v[4:7], v122 offset0:2 offset1:3
	ds_read2st64_b64 v[8:11], v122 offset0:4 offset1:5
	;; [unrolled: 1-line block ×3, first 2 shown]
	s_waitcnt lgkmcnt(0)
	s_barrier
	s_load_dword s16, s[48:49], 0xc
	s_getpc_b64 s[4:5]
	s_add_u32 s4, s4, _ZN7rocprim17ROCPRIM_400000_NS16block_radix_sortIlLj128ELj8ElLj1ELj1ELj0ELNS0_26block_radix_rank_algorithmE1ELNS0_18block_padding_hintE2ELNS0_4arch9wavefront6targetE1EE19radix_bits_per_passE@rel32@lo+4
	s_addc_u32 s5, s5, _ZN7rocprim17ROCPRIM_400000_NS16block_radix_sortIlLj128ELj8ElLj1ELj1ELj0ELNS0_26block_radix_rank_algorithmE1ELNS0_18block_padding_hintE2ELNS0_4arch9wavefront6targetE1EE19radix_bits_per_passE@rel32@hi+12
	s_load_dword s50, s[4:5], 0x0
	v_cmp_lt_i32_e32 vcc, v113, v117
	v_and_b32_e32 v71, 60, v114
	s_waitcnt lgkmcnt(0)
	s_lshr_b32 s4, s16, 16
	s_and_b32 s5, s16, 0xffff
	v_mad_u32_u24 v16, v121, s4, v120
	v_mad_u64_u32 v[16:17], s[4:5], v16, s5, v[66:67]
	v_lshrrev_b32_e32 v69, 6, v16
	v_or_b32_e32 v16, 63, v116
	v_cmp_eq_u32_e64 s[28:29], v16, v66
	v_cndmask_b32_e32 v16, v113, v111, vcc
	v_or_b32_e32 v68, 8, v110
	v_cmp_eq_u32_e64 s[16:17], 0, v118
	v_cmp_lt_u32_e64 s[18:19], 1, v118
	v_cmp_lt_u32_e64 s[20:21], 3, v118
	;; [unrolled: 1-line block ×3, first 2 shown]
	v_cmp_eq_u32_e64 s[24:25], 0, v119
	v_cmp_lt_u32_e64 s[26:27], 31, v111
	s_mov_b32 s51, 64
	v_cmp_gt_u32_e64 s[30:31], 2, v66
	v_cmp_lt_u32_e64 s[34:35], 63, v66
	v_lshlrev_b32_e32 v70, 2, v16
	v_cmp_eq_u32_e64 s[36:37], 0, v111
	v_cmp_eq_u32_e64 s[38:39], 0, v66
	;; [unrolled: 1-line block ×3, first 2 shown]
	v_add_u32_e32 v72, -4, v71
	v_lshlrev_b32_e32 v73, 3, v112
	s_mov_b64 s[48:49], 0
	v_mov_b32_e32 v42, 0
	s_branch .LBB157_81
.LBB157_80:                             ;   in Loop: Header=BB157_81 Depth=1
	v_lshlrev_b32_e32 v0, 3, v80
	v_lshlrev_b32_e32 v1, 3, v79
	;; [unrolled: 1-line block ×8, first 2 shown]
	s_barrier
	ds_write_b64 v0, v[64:65]
	ds_write_b64 v1, v[62:63]
	;; [unrolled: 1-line block ×8, first 2 shown]
	s_waitcnt lgkmcnt(0)
	s_barrier
	ds_read2st64_b64 v[18:21], v73 offset1:1
	ds_read2st64_b64 v[22:25], v73 offset0:2 offset1:3
	ds_read2st64_b64 v[26:29], v73 offset0:4 offset1:5
	;; [unrolled: 1-line block ×3, first 2 shown]
	s_waitcnt lgkmcnt(0)
	s_barrier
	ds_write_b64 v0, v[50:51]
	ds_write_b64 v1, v[48:49]
	;; [unrolled: 1-line block ×8, first 2 shown]
	s_waitcnt lgkmcnt(0)
	s_barrier
	ds_read2st64_b64 v[0:3], v73 offset1:1
	ds_read2st64_b64 v[4:7], v73 offset0:2 offset1:3
	ds_read2st64_b64 v[8:11], v73 offset0:4 offset1:5
	;; [unrolled: 1-line block ×3, first 2 shown]
	s_add_u32 s48, s48, 8
	s_addc_u32 s49, s49, 0
	s_add_i32 s51, s51, -8
	s_waitcnt lgkmcnt(0)
	s_barrier
	s_cbranch_execz .LBB157_105
.LBB157_81:                             ; =>This Inner Loop Header: Depth=1
	s_min_u32 s4, s50, s51
	v_pk_mov_b32 v[64:65], v[18:19], v[18:19] op_sel:[0,1]
	s_lshl_b32 s4, -1, s4
	v_pk_mov_b32 v[50:51], v[0:1], v[0:1] op_sel:[0,1]
	s_not_b32 s55, s4
	v_lshrrev_b64 v[0:1], s48, v[64:65]
	v_and_b32_e32 v0, s55, v0
	v_lshl_add_u32 v1, v0, 1, v69
	v_pk_mov_b32 v[44:45], v[4:5], v[4:5] op_sel:[0,1]
	v_lshl_add_u32 v4, v1, 2, 8
	v_and_b32_e32 v1, 1, v0
	v_pk_mov_b32 v[48:49], v[2:3], v[2:3] op_sel:[0,1]
	v_add_co_u32_e32 v2, vcc, -1, v1
	v_addc_co_u32_e64 v3, s[4:5], 0, -1, vcc
	v_cmp_ne_u32_e32 vcc, 0, v1
	v_lshlrev_b32_e32 v43, 30, v0
	v_xor_b32_e32 v1, vcc_hi, v3
	v_not_b32_e32 v3, v43
	v_xor_b32_e32 v2, vcc_lo, v2
	v_cmp_gt_i64_e32 vcc, 0, v[42:43]
	v_ashrrev_i32_e32 v3, 31, v3
	v_and_b32_e32 v2, exec_lo, v2
	v_xor_b32_e32 v5, vcc_hi, v3
	v_xor_b32_e32 v3, vcc_lo, v3
	v_lshlrev_b32_e32 v43, 29, v0
	v_and_b32_e32 v2, v2, v3
	v_not_b32_e32 v3, v43
	v_and_b32_e32 v1, exec_hi, v1
	v_cmp_gt_i64_e32 vcc, 0, v[42:43]
	v_ashrrev_i32_e32 v3, 31, v3
	v_and_b32_e32 v1, v1, v5
	v_xor_b32_e32 v5, vcc_hi, v3
	v_xor_b32_e32 v3, vcc_lo, v3
	v_lshlrev_b32_e32 v43, 28, v0
	v_and_b32_e32 v2, v2, v3
	v_not_b32_e32 v3, v43
	v_cmp_gt_i64_e32 vcc, 0, v[42:43]
	v_ashrrev_i32_e32 v3, 31, v3
	v_and_b32_e32 v1, v1, v5
	v_xor_b32_e32 v5, vcc_hi, v3
	v_xor_b32_e32 v3, vcc_lo, v3
	v_lshlrev_b32_e32 v43, 27, v0
	v_and_b32_e32 v2, v2, v3
	v_not_b32_e32 v3, v43
	;; [unrolled: 8-line block ×3, first 2 shown]
	v_cmp_gt_i64_e32 vcc, 0, v[42:43]
	v_ashrrev_i32_e32 v3, 31, v3
	v_and_b32_e32 v1, v1, v5
	v_xor_b32_e32 v5, vcc_hi, v3
	v_xor_b32_e32 v3, vcc_lo, v3
	v_lshlrev_b32_e32 v43, 25, v0
	v_and_b32_e32 v2, v2, v3
	v_cmp_gt_i64_e32 vcc, 0, v[42:43]
	v_not_b32_e32 v3, v43
	v_lshlrev_b32_e32 v43, 24, v0
	v_ashrrev_i32_e32 v3, 31, v3
	v_not_b32_e32 v0, v43
	v_and_b32_e32 v1, v1, v5
	v_xor_b32_e32 v5, vcc_hi, v3
	v_xor_b32_e32 v3, vcc_lo, v3
	v_cmp_gt_i64_e32 vcc, 0, v[42:43]
	v_ashrrev_i32_e32 v0, 31, v0
	v_and_b32_e32 v2, v2, v3
	v_xor_b32_e32 v3, vcc_hi, v0
	v_xor_b32_e32 v0, vcc_lo, v0
	v_and_b32_e32 v1, v1, v5
	v_and_b32_e32 v0, v2, v0
	;; [unrolled: 1-line block ×3, first 2 shown]
	v_mbcnt_lo_u32_b32 v2, v0, 0
	v_mbcnt_hi_u32_b32 v5, v1, v2
	v_cmp_eq_u32_e32 vcc, 0, v5
	v_cmp_ne_u64_e64 s[4:5], 0, v[0:1]
	v_pk_mov_b32 v[46:47], v[32:33], v[32:33] op_sel:[0,1]
	v_pk_mov_b32 v[52:53], v[30:31], v[30:31] op_sel:[0,1]
	;; [unrolled: 1-line block ×12, first 2 shown]
	s_and_b64 s[56:57], s[4:5], vcc
	ds_write2_b32 v110, v42, v42 offset0:2 offset1:3
	ds_write2_b32 v68, v42, v42 offset0:2 offset1:3
	s_waitcnt lgkmcnt(0)
	s_barrier
	s_waitcnt lgkmcnt(0)
	; wave barrier
	s_and_saveexec_b64 s[4:5], s[56:57]
	s_cbranch_execz .LBB157_83
; %bb.82:                               ;   in Loop: Header=BB157_81 Depth=1
	v_bcnt_u32_b32 v0, v0, 0
	v_bcnt_u32_b32 v0, v1, v0
	ds_write_b32 v4, v0
.LBB157_83:                             ;   in Loop: Header=BB157_81 Depth=1
	s_or_b64 exec, exec, s[4:5]
	v_lshrrev_b64 v[0:1], s48, v[62:63]
	v_and_b32_e32 v0, s55, v0
	v_lshlrev_b32_e32 v1, 1, v0
	v_add_lshl_u32 v1, v1, v69, 2
	; wave barrier
	v_add_u32_e32 v7, 8, v1
	ds_read_b32 v6, v1 offset:8
	v_and_b32_e32 v1, 1, v0
	v_add_co_u32_e32 v2, vcc, -1, v1
	v_addc_co_u32_e64 v3, s[4:5], 0, -1, vcc
	v_cmp_ne_u32_e32 vcc, 0, v1
	v_lshlrev_b32_e32 v43, 30, v0
	v_xor_b32_e32 v1, vcc_hi, v3
	v_not_b32_e32 v3, v43
	v_xor_b32_e32 v2, vcc_lo, v2
	v_cmp_gt_i64_e32 vcc, 0, v[42:43]
	v_ashrrev_i32_e32 v3, 31, v3
	v_and_b32_e32 v2, exec_lo, v2
	v_xor_b32_e32 v8, vcc_hi, v3
	v_xor_b32_e32 v3, vcc_lo, v3
	v_lshlrev_b32_e32 v43, 29, v0
	v_and_b32_e32 v2, v2, v3
	v_not_b32_e32 v3, v43
	v_and_b32_e32 v1, exec_hi, v1
	v_cmp_gt_i64_e32 vcc, 0, v[42:43]
	v_ashrrev_i32_e32 v3, 31, v3
	v_and_b32_e32 v1, v1, v8
	v_xor_b32_e32 v8, vcc_hi, v3
	v_xor_b32_e32 v3, vcc_lo, v3
	v_lshlrev_b32_e32 v43, 28, v0
	v_and_b32_e32 v2, v2, v3
	v_not_b32_e32 v3, v43
	v_cmp_gt_i64_e32 vcc, 0, v[42:43]
	v_ashrrev_i32_e32 v3, 31, v3
	v_and_b32_e32 v1, v1, v8
	v_xor_b32_e32 v8, vcc_hi, v3
	v_xor_b32_e32 v3, vcc_lo, v3
	v_lshlrev_b32_e32 v43, 27, v0
	v_and_b32_e32 v2, v2, v3
	v_not_b32_e32 v3, v43
	;; [unrolled: 8-line block ×3, first 2 shown]
	v_cmp_gt_i64_e32 vcc, 0, v[42:43]
	v_ashrrev_i32_e32 v3, 31, v3
	v_and_b32_e32 v1, v1, v8
	v_xor_b32_e32 v8, vcc_hi, v3
	v_xor_b32_e32 v3, vcc_lo, v3
	v_lshlrev_b32_e32 v43, 25, v0
	v_and_b32_e32 v2, v2, v3
	v_cmp_gt_i64_e32 vcc, 0, v[42:43]
	v_not_b32_e32 v3, v43
	v_lshlrev_b32_e32 v43, 24, v0
	v_ashrrev_i32_e32 v3, 31, v3
	v_not_b32_e32 v0, v43
	v_and_b32_e32 v1, v1, v8
	v_xor_b32_e32 v8, vcc_hi, v3
	v_xor_b32_e32 v3, vcc_lo, v3
	v_cmp_gt_i64_e32 vcc, 0, v[42:43]
	v_ashrrev_i32_e32 v0, 31, v0
	v_and_b32_e32 v2, v2, v3
	v_xor_b32_e32 v3, vcc_hi, v0
	v_xor_b32_e32 v0, vcc_lo, v0
	v_and_b32_e32 v1, v1, v8
	v_and_b32_e32 v0, v2, v0
	v_and_b32_e32 v1, v1, v3
	v_mbcnt_lo_u32_b32 v2, v0, 0
	v_mbcnt_hi_u32_b32 v8, v1, v2
	v_cmp_eq_u32_e32 vcc, 0, v8
	v_cmp_ne_u64_e64 s[4:5], 0, v[0:1]
	s_and_b64 s[56:57], s[4:5], vcc
	; wave barrier
	s_and_saveexec_b64 s[4:5], s[56:57]
	s_cbranch_execz .LBB157_85
; %bb.84:                               ;   in Loop: Header=BB157_81 Depth=1
	v_bcnt_u32_b32 v0, v0, 0
	v_bcnt_u32_b32 v0, v1, v0
	s_waitcnt lgkmcnt(0)
	v_add_u32_e32 v0, v6, v0
	ds_write_b32 v7, v0
.LBB157_85:                             ;   in Loop: Header=BB157_81 Depth=1
	s_or_b64 exec, exec, s[4:5]
	v_lshrrev_b64 v[0:1], s48, v[60:61]
	v_and_b32_e32 v0, s55, v0
	v_lshlrev_b32_e32 v1, 1, v0
	v_add_lshl_u32 v1, v1, v69, 2
	; wave barrier
	v_add_u32_e32 v10, 8, v1
	ds_read_b32 v9, v1 offset:8
	v_and_b32_e32 v1, 1, v0
	v_add_co_u32_e32 v2, vcc, -1, v1
	v_addc_co_u32_e64 v3, s[4:5], 0, -1, vcc
	v_cmp_ne_u32_e32 vcc, 0, v1
	v_lshlrev_b32_e32 v43, 30, v0
	v_xor_b32_e32 v1, vcc_hi, v3
	v_not_b32_e32 v3, v43
	v_xor_b32_e32 v2, vcc_lo, v2
	v_cmp_gt_i64_e32 vcc, 0, v[42:43]
	v_ashrrev_i32_e32 v3, 31, v3
	v_and_b32_e32 v2, exec_lo, v2
	v_xor_b32_e32 v11, vcc_hi, v3
	v_xor_b32_e32 v3, vcc_lo, v3
	v_lshlrev_b32_e32 v43, 29, v0
	v_and_b32_e32 v2, v2, v3
	v_not_b32_e32 v3, v43
	v_and_b32_e32 v1, exec_hi, v1
	v_cmp_gt_i64_e32 vcc, 0, v[42:43]
	v_ashrrev_i32_e32 v3, 31, v3
	v_and_b32_e32 v1, v1, v11
	v_xor_b32_e32 v11, vcc_hi, v3
	v_xor_b32_e32 v3, vcc_lo, v3
	v_lshlrev_b32_e32 v43, 28, v0
	v_and_b32_e32 v2, v2, v3
	v_not_b32_e32 v3, v43
	v_cmp_gt_i64_e32 vcc, 0, v[42:43]
	v_ashrrev_i32_e32 v3, 31, v3
	v_and_b32_e32 v1, v1, v11
	v_xor_b32_e32 v11, vcc_hi, v3
	v_xor_b32_e32 v3, vcc_lo, v3
	v_lshlrev_b32_e32 v43, 27, v0
	v_and_b32_e32 v2, v2, v3
	v_not_b32_e32 v3, v43
	;; [unrolled: 8-line block ×3, first 2 shown]
	v_cmp_gt_i64_e32 vcc, 0, v[42:43]
	v_ashrrev_i32_e32 v3, 31, v3
	v_and_b32_e32 v1, v1, v11
	v_xor_b32_e32 v11, vcc_hi, v3
	v_xor_b32_e32 v3, vcc_lo, v3
	v_lshlrev_b32_e32 v43, 25, v0
	v_and_b32_e32 v2, v2, v3
	v_cmp_gt_i64_e32 vcc, 0, v[42:43]
	v_not_b32_e32 v3, v43
	v_lshlrev_b32_e32 v43, 24, v0
	v_ashrrev_i32_e32 v3, 31, v3
	v_not_b32_e32 v0, v43
	v_and_b32_e32 v1, v1, v11
	v_xor_b32_e32 v11, vcc_hi, v3
	v_xor_b32_e32 v3, vcc_lo, v3
	v_cmp_gt_i64_e32 vcc, 0, v[42:43]
	v_ashrrev_i32_e32 v0, 31, v0
	v_and_b32_e32 v2, v2, v3
	v_xor_b32_e32 v3, vcc_hi, v0
	v_xor_b32_e32 v0, vcc_lo, v0
	v_and_b32_e32 v1, v1, v11
	v_and_b32_e32 v0, v2, v0
	v_and_b32_e32 v1, v1, v3
	v_mbcnt_lo_u32_b32 v2, v0, 0
	v_mbcnt_hi_u32_b32 v11, v1, v2
	v_cmp_eq_u32_e32 vcc, 0, v11
	v_cmp_ne_u64_e64 s[4:5], 0, v[0:1]
	s_and_b64 s[56:57], s[4:5], vcc
	; wave barrier
	s_and_saveexec_b64 s[4:5], s[56:57]
	s_cbranch_execz .LBB157_87
; %bb.86:                               ;   in Loop: Header=BB157_81 Depth=1
	v_bcnt_u32_b32 v0, v0, 0
	v_bcnt_u32_b32 v0, v1, v0
	s_waitcnt lgkmcnt(0)
	v_add_u32_e32 v0, v9, v0
	ds_write_b32 v10, v0
.LBB157_87:                             ;   in Loop: Header=BB157_81 Depth=1
	s_or_b64 exec, exec, s[4:5]
	v_lshrrev_b64 v[0:1], s48, v[58:59]
	v_and_b32_e32 v0, s55, v0
	v_lshlrev_b32_e32 v1, 1, v0
	v_add_lshl_u32 v1, v1, v69, 2
	; wave barrier
	v_add_u32_e32 v13, 8, v1
	ds_read_b32 v12, v1 offset:8
	v_and_b32_e32 v1, 1, v0
	v_add_co_u32_e32 v2, vcc, -1, v1
	v_addc_co_u32_e64 v3, s[4:5], 0, -1, vcc
	v_cmp_ne_u32_e32 vcc, 0, v1
	v_lshlrev_b32_e32 v43, 30, v0
	v_xor_b32_e32 v1, vcc_hi, v3
	v_not_b32_e32 v3, v43
	v_xor_b32_e32 v2, vcc_lo, v2
	v_cmp_gt_i64_e32 vcc, 0, v[42:43]
	v_ashrrev_i32_e32 v3, 31, v3
	v_and_b32_e32 v2, exec_lo, v2
	v_xor_b32_e32 v14, vcc_hi, v3
	v_xor_b32_e32 v3, vcc_lo, v3
	v_lshlrev_b32_e32 v43, 29, v0
	v_and_b32_e32 v2, v2, v3
	v_not_b32_e32 v3, v43
	v_and_b32_e32 v1, exec_hi, v1
	v_cmp_gt_i64_e32 vcc, 0, v[42:43]
	v_ashrrev_i32_e32 v3, 31, v3
	v_and_b32_e32 v1, v1, v14
	v_xor_b32_e32 v14, vcc_hi, v3
	v_xor_b32_e32 v3, vcc_lo, v3
	v_lshlrev_b32_e32 v43, 28, v0
	v_and_b32_e32 v2, v2, v3
	v_not_b32_e32 v3, v43
	v_cmp_gt_i64_e32 vcc, 0, v[42:43]
	v_ashrrev_i32_e32 v3, 31, v3
	v_and_b32_e32 v1, v1, v14
	v_xor_b32_e32 v14, vcc_hi, v3
	v_xor_b32_e32 v3, vcc_lo, v3
	v_lshlrev_b32_e32 v43, 27, v0
	v_and_b32_e32 v2, v2, v3
	v_not_b32_e32 v3, v43
	;; [unrolled: 8-line block ×3, first 2 shown]
	v_cmp_gt_i64_e32 vcc, 0, v[42:43]
	v_ashrrev_i32_e32 v3, 31, v3
	v_and_b32_e32 v1, v1, v14
	v_xor_b32_e32 v14, vcc_hi, v3
	v_xor_b32_e32 v3, vcc_lo, v3
	v_lshlrev_b32_e32 v43, 25, v0
	v_and_b32_e32 v2, v2, v3
	v_cmp_gt_i64_e32 vcc, 0, v[42:43]
	v_not_b32_e32 v3, v43
	v_lshlrev_b32_e32 v43, 24, v0
	v_ashrrev_i32_e32 v3, 31, v3
	v_not_b32_e32 v0, v43
	v_and_b32_e32 v1, v1, v14
	v_xor_b32_e32 v14, vcc_hi, v3
	v_xor_b32_e32 v3, vcc_lo, v3
	v_cmp_gt_i64_e32 vcc, 0, v[42:43]
	v_ashrrev_i32_e32 v0, 31, v0
	v_and_b32_e32 v2, v2, v3
	v_xor_b32_e32 v3, vcc_hi, v0
	v_xor_b32_e32 v0, vcc_lo, v0
	v_and_b32_e32 v1, v1, v14
	v_and_b32_e32 v0, v2, v0
	;; [unrolled: 1-line block ×3, first 2 shown]
	v_mbcnt_lo_u32_b32 v2, v0, 0
	v_mbcnt_hi_u32_b32 v14, v1, v2
	v_cmp_eq_u32_e32 vcc, 0, v14
	v_cmp_ne_u64_e64 s[4:5], 0, v[0:1]
	s_and_b64 s[56:57], s[4:5], vcc
	; wave barrier
	s_and_saveexec_b64 s[4:5], s[56:57]
	s_cbranch_execz .LBB157_89
; %bb.88:                               ;   in Loop: Header=BB157_81 Depth=1
	v_bcnt_u32_b32 v0, v0, 0
	v_bcnt_u32_b32 v0, v1, v0
	s_waitcnt lgkmcnt(0)
	v_add_u32_e32 v0, v12, v0
	ds_write_b32 v13, v0
.LBB157_89:                             ;   in Loop: Header=BB157_81 Depth=1
	s_or_b64 exec, exec, s[4:5]
	v_lshrrev_b64 v[0:1], s48, v[56:57]
	v_and_b32_e32 v0, s55, v0
	v_lshlrev_b32_e32 v1, 1, v0
	v_add_lshl_u32 v1, v1, v69, 2
	; wave barrier
	v_add_u32_e32 v18, 8, v1
	ds_read_b32 v15, v1 offset:8
	v_and_b32_e32 v1, 1, v0
	v_add_co_u32_e32 v2, vcc, -1, v1
	v_addc_co_u32_e64 v3, s[4:5], 0, -1, vcc
	v_cmp_ne_u32_e32 vcc, 0, v1
	v_lshlrev_b32_e32 v43, 30, v0
	v_xor_b32_e32 v1, vcc_hi, v3
	v_not_b32_e32 v3, v43
	v_xor_b32_e32 v2, vcc_lo, v2
	v_cmp_gt_i64_e32 vcc, 0, v[42:43]
	v_ashrrev_i32_e32 v3, 31, v3
	v_and_b32_e32 v2, exec_lo, v2
	v_xor_b32_e32 v19, vcc_hi, v3
	v_xor_b32_e32 v3, vcc_lo, v3
	v_lshlrev_b32_e32 v43, 29, v0
	v_and_b32_e32 v2, v2, v3
	v_not_b32_e32 v3, v43
	v_and_b32_e32 v1, exec_hi, v1
	v_cmp_gt_i64_e32 vcc, 0, v[42:43]
	v_ashrrev_i32_e32 v3, 31, v3
	v_and_b32_e32 v1, v1, v19
	v_xor_b32_e32 v19, vcc_hi, v3
	v_xor_b32_e32 v3, vcc_lo, v3
	v_lshlrev_b32_e32 v43, 28, v0
	v_and_b32_e32 v2, v2, v3
	v_not_b32_e32 v3, v43
	v_cmp_gt_i64_e32 vcc, 0, v[42:43]
	v_ashrrev_i32_e32 v3, 31, v3
	v_and_b32_e32 v1, v1, v19
	v_xor_b32_e32 v19, vcc_hi, v3
	v_xor_b32_e32 v3, vcc_lo, v3
	v_lshlrev_b32_e32 v43, 27, v0
	v_and_b32_e32 v2, v2, v3
	v_not_b32_e32 v3, v43
	;; [unrolled: 8-line block ×3, first 2 shown]
	v_cmp_gt_i64_e32 vcc, 0, v[42:43]
	v_ashrrev_i32_e32 v3, 31, v3
	v_and_b32_e32 v1, v1, v19
	v_xor_b32_e32 v19, vcc_hi, v3
	v_xor_b32_e32 v3, vcc_lo, v3
	v_lshlrev_b32_e32 v43, 25, v0
	v_and_b32_e32 v2, v2, v3
	v_cmp_gt_i64_e32 vcc, 0, v[42:43]
	v_not_b32_e32 v3, v43
	v_lshlrev_b32_e32 v43, 24, v0
	v_ashrrev_i32_e32 v3, 31, v3
	v_not_b32_e32 v0, v43
	v_and_b32_e32 v1, v1, v19
	v_xor_b32_e32 v19, vcc_hi, v3
	v_xor_b32_e32 v3, vcc_lo, v3
	v_cmp_gt_i64_e32 vcc, 0, v[42:43]
	v_ashrrev_i32_e32 v0, 31, v0
	v_and_b32_e32 v2, v2, v3
	v_xor_b32_e32 v3, vcc_hi, v0
	v_xor_b32_e32 v0, vcc_lo, v0
	v_and_b32_e32 v1, v1, v19
	v_and_b32_e32 v0, v2, v0
	;; [unrolled: 1-line block ×3, first 2 shown]
	v_mbcnt_lo_u32_b32 v2, v0, 0
	v_mbcnt_hi_u32_b32 v19, v1, v2
	v_cmp_eq_u32_e32 vcc, 0, v19
	v_cmp_ne_u64_e64 s[4:5], 0, v[0:1]
	s_and_b64 s[56:57], s[4:5], vcc
	; wave barrier
	s_and_saveexec_b64 s[4:5], s[56:57]
	s_cbranch_execz .LBB157_91
; %bb.90:                               ;   in Loop: Header=BB157_81 Depth=1
	v_bcnt_u32_b32 v0, v0, 0
	v_bcnt_u32_b32 v0, v1, v0
	s_waitcnt lgkmcnt(0)
	v_add_u32_e32 v0, v15, v0
	ds_write_b32 v18, v0
.LBB157_91:                             ;   in Loop: Header=BB157_81 Depth=1
	s_or_b64 exec, exec, s[4:5]
	v_lshrrev_b64 v[0:1], s48, v[54:55]
	v_and_b32_e32 v0, s55, v0
	v_lshlrev_b32_e32 v1, 1, v0
	v_add_lshl_u32 v1, v1, v69, 2
	; wave barrier
	v_add_u32_e32 v21, 8, v1
	ds_read_b32 v20, v1 offset:8
	v_and_b32_e32 v1, 1, v0
	v_add_co_u32_e32 v2, vcc, -1, v1
	v_addc_co_u32_e64 v3, s[4:5], 0, -1, vcc
	v_cmp_ne_u32_e32 vcc, 0, v1
	v_lshlrev_b32_e32 v43, 30, v0
	v_xor_b32_e32 v1, vcc_hi, v3
	v_not_b32_e32 v3, v43
	v_xor_b32_e32 v2, vcc_lo, v2
	v_cmp_gt_i64_e32 vcc, 0, v[42:43]
	v_ashrrev_i32_e32 v3, 31, v3
	v_and_b32_e32 v2, exec_lo, v2
	v_xor_b32_e32 v22, vcc_hi, v3
	v_xor_b32_e32 v3, vcc_lo, v3
	v_lshlrev_b32_e32 v43, 29, v0
	v_and_b32_e32 v2, v2, v3
	v_not_b32_e32 v3, v43
	v_and_b32_e32 v1, exec_hi, v1
	v_cmp_gt_i64_e32 vcc, 0, v[42:43]
	v_ashrrev_i32_e32 v3, 31, v3
	v_and_b32_e32 v1, v1, v22
	v_xor_b32_e32 v22, vcc_hi, v3
	v_xor_b32_e32 v3, vcc_lo, v3
	v_lshlrev_b32_e32 v43, 28, v0
	v_and_b32_e32 v2, v2, v3
	v_not_b32_e32 v3, v43
	v_cmp_gt_i64_e32 vcc, 0, v[42:43]
	v_ashrrev_i32_e32 v3, 31, v3
	v_and_b32_e32 v1, v1, v22
	v_xor_b32_e32 v22, vcc_hi, v3
	v_xor_b32_e32 v3, vcc_lo, v3
	v_lshlrev_b32_e32 v43, 27, v0
	v_and_b32_e32 v2, v2, v3
	v_not_b32_e32 v3, v43
	;; [unrolled: 8-line block ×3, first 2 shown]
	v_cmp_gt_i64_e32 vcc, 0, v[42:43]
	v_ashrrev_i32_e32 v3, 31, v3
	v_and_b32_e32 v1, v1, v22
	v_xor_b32_e32 v22, vcc_hi, v3
	v_xor_b32_e32 v3, vcc_lo, v3
	v_lshlrev_b32_e32 v43, 25, v0
	v_and_b32_e32 v2, v2, v3
	v_cmp_gt_i64_e32 vcc, 0, v[42:43]
	v_not_b32_e32 v3, v43
	v_lshlrev_b32_e32 v43, 24, v0
	v_ashrrev_i32_e32 v3, 31, v3
	v_not_b32_e32 v0, v43
	v_and_b32_e32 v1, v1, v22
	v_xor_b32_e32 v22, vcc_hi, v3
	v_xor_b32_e32 v3, vcc_lo, v3
	v_cmp_gt_i64_e32 vcc, 0, v[42:43]
	v_ashrrev_i32_e32 v0, 31, v0
	v_and_b32_e32 v2, v2, v3
	v_xor_b32_e32 v3, vcc_hi, v0
	v_xor_b32_e32 v0, vcc_lo, v0
	v_and_b32_e32 v1, v1, v22
	v_and_b32_e32 v0, v2, v0
	;; [unrolled: 1-line block ×3, first 2 shown]
	v_mbcnt_lo_u32_b32 v2, v0, 0
	v_mbcnt_hi_u32_b32 v22, v1, v2
	v_cmp_eq_u32_e32 vcc, 0, v22
	v_cmp_ne_u64_e64 s[4:5], 0, v[0:1]
	s_and_b64 s[56:57], s[4:5], vcc
	; wave barrier
	s_and_saveexec_b64 s[4:5], s[56:57]
	s_cbranch_execz .LBB157_93
; %bb.92:                               ;   in Loop: Header=BB157_81 Depth=1
	v_bcnt_u32_b32 v0, v0, 0
	v_bcnt_u32_b32 v0, v1, v0
	s_waitcnt lgkmcnt(0)
	v_add_u32_e32 v0, v20, v0
	ds_write_b32 v21, v0
.LBB157_93:                             ;   in Loop: Header=BB157_81 Depth=1
	s_or_b64 exec, exec, s[4:5]
	v_lshrrev_b64 v[0:1], s48, v[52:53]
	v_and_b32_e32 v0, s55, v0
	v_lshlrev_b32_e32 v1, 1, v0
	v_add_lshl_u32 v1, v1, v69, 2
	; wave barrier
	v_add_u32_e32 v24, 8, v1
	ds_read_b32 v23, v1 offset:8
	v_and_b32_e32 v1, 1, v0
	v_add_co_u32_e32 v2, vcc, -1, v1
	v_addc_co_u32_e64 v3, s[4:5], 0, -1, vcc
	v_cmp_ne_u32_e32 vcc, 0, v1
	v_lshlrev_b32_e32 v43, 30, v0
	v_xor_b32_e32 v1, vcc_hi, v3
	v_not_b32_e32 v3, v43
	v_xor_b32_e32 v2, vcc_lo, v2
	v_cmp_gt_i64_e32 vcc, 0, v[42:43]
	v_ashrrev_i32_e32 v3, 31, v3
	v_and_b32_e32 v2, exec_lo, v2
	v_xor_b32_e32 v25, vcc_hi, v3
	v_xor_b32_e32 v3, vcc_lo, v3
	v_lshlrev_b32_e32 v43, 29, v0
	v_and_b32_e32 v2, v2, v3
	v_not_b32_e32 v3, v43
	v_and_b32_e32 v1, exec_hi, v1
	v_cmp_gt_i64_e32 vcc, 0, v[42:43]
	v_ashrrev_i32_e32 v3, 31, v3
	v_and_b32_e32 v1, v1, v25
	v_xor_b32_e32 v25, vcc_hi, v3
	v_xor_b32_e32 v3, vcc_lo, v3
	v_lshlrev_b32_e32 v43, 28, v0
	v_and_b32_e32 v2, v2, v3
	v_not_b32_e32 v3, v43
	v_cmp_gt_i64_e32 vcc, 0, v[42:43]
	v_ashrrev_i32_e32 v3, 31, v3
	v_and_b32_e32 v1, v1, v25
	v_xor_b32_e32 v25, vcc_hi, v3
	v_xor_b32_e32 v3, vcc_lo, v3
	v_lshlrev_b32_e32 v43, 27, v0
	v_and_b32_e32 v2, v2, v3
	v_not_b32_e32 v3, v43
	;; [unrolled: 8-line block ×3, first 2 shown]
	v_cmp_gt_i64_e32 vcc, 0, v[42:43]
	v_ashrrev_i32_e32 v3, 31, v3
	v_and_b32_e32 v1, v1, v25
	v_xor_b32_e32 v25, vcc_hi, v3
	v_xor_b32_e32 v3, vcc_lo, v3
	v_lshlrev_b32_e32 v43, 25, v0
	v_and_b32_e32 v2, v2, v3
	v_cmp_gt_i64_e32 vcc, 0, v[42:43]
	v_not_b32_e32 v3, v43
	v_lshlrev_b32_e32 v43, 24, v0
	v_ashrrev_i32_e32 v3, 31, v3
	v_not_b32_e32 v0, v43
	v_and_b32_e32 v1, v1, v25
	v_xor_b32_e32 v25, vcc_hi, v3
	v_xor_b32_e32 v3, vcc_lo, v3
	v_cmp_gt_i64_e32 vcc, 0, v[42:43]
	v_ashrrev_i32_e32 v0, 31, v0
	v_and_b32_e32 v2, v2, v3
	v_xor_b32_e32 v3, vcc_hi, v0
	v_xor_b32_e32 v0, vcc_lo, v0
	v_and_b32_e32 v1, v1, v25
	v_and_b32_e32 v0, v2, v0
	;; [unrolled: 1-line block ×3, first 2 shown]
	v_mbcnt_lo_u32_b32 v2, v0, 0
	v_mbcnt_hi_u32_b32 v25, v1, v2
	v_cmp_eq_u32_e32 vcc, 0, v25
	v_cmp_ne_u64_e64 s[4:5], 0, v[0:1]
	s_and_b64 s[56:57], s[4:5], vcc
	; wave barrier
	s_and_saveexec_b64 s[4:5], s[56:57]
	s_cbranch_execz .LBB157_95
; %bb.94:                               ;   in Loop: Header=BB157_81 Depth=1
	v_bcnt_u32_b32 v0, v0, 0
	v_bcnt_u32_b32 v0, v1, v0
	s_waitcnt lgkmcnt(0)
	v_add_u32_e32 v0, v23, v0
	ds_write_b32 v24, v0
.LBB157_95:                             ;   in Loop: Header=BB157_81 Depth=1
	s_or_b64 exec, exec, s[4:5]
	v_lshrrev_b64 v[0:1], s48, v[46:47]
	v_and_b32_e32 v0, s55, v0
	v_lshlrev_b32_e32 v1, 1, v0
	v_add_lshl_u32 v1, v1, v69, 2
	; wave barrier
	v_add_u32_e32 v27, 8, v1
	ds_read_b32 v26, v1 offset:8
	v_and_b32_e32 v1, 1, v0
	v_add_co_u32_e32 v2, vcc, -1, v1
	v_addc_co_u32_e64 v3, s[4:5], 0, -1, vcc
	v_cmp_ne_u32_e32 vcc, 0, v1
	v_lshlrev_b32_e32 v43, 30, v0
	v_xor_b32_e32 v1, vcc_hi, v3
	v_not_b32_e32 v3, v43
	v_xor_b32_e32 v2, vcc_lo, v2
	v_cmp_gt_i64_e32 vcc, 0, v[42:43]
	v_ashrrev_i32_e32 v3, 31, v3
	v_and_b32_e32 v2, exec_lo, v2
	v_xor_b32_e32 v28, vcc_hi, v3
	v_xor_b32_e32 v3, vcc_lo, v3
	v_lshlrev_b32_e32 v43, 29, v0
	v_and_b32_e32 v2, v2, v3
	v_not_b32_e32 v3, v43
	v_and_b32_e32 v1, exec_hi, v1
	v_cmp_gt_i64_e32 vcc, 0, v[42:43]
	v_ashrrev_i32_e32 v3, 31, v3
	v_and_b32_e32 v1, v1, v28
	v_xor_b32_e32 v28, vcc_hi, v3
	v_xor_b32_e32 v3, vcc_lo, v3
	v_lshlrev_b32_e32 v43, 28, v0
	v_and_b32_e32 v2, v2, v3
	v_not_b32_e32 v3, v43
	v_cmp_gt_i64_e32 vcc, 0, v[42:43]
	v_ashrrev_i32_e32 v3, 31, v3
	v_and_b32_e32 v1, v1, v28
	v_xor_b32_e32 v28, vcc_hi, v3
	v_xor_b32_e32 v3, vcc_lo, v3
	v_lshlrev_b32_e32 v43, 27, v0
	v_and_b32_e32 v2, v2, v3
	v_not_b32_e32 v3, v43
	;; [unrolled: 8-line block ×3, first 2 shown]
	v_cmp_gt_i64_e32 vcc, 0, v[42:43]
	v_ashrrev_i32_e32 v3, 31, v3
	v_and_b32_e32 v1, v1, v28
	v_xor_b32_e32 v28, vcc_hi, v3
	v_xor_b32_e32 v3, vcc_lo, v3
	v_lshlrev_b32_e32 v43, 25, v0
	v_and_b32_e32 v2, v2, v3
	v_cmp_gt_i64_e32 vcc, 0, v[42:43]
	v_not_b32_e32 v3, v43
	v_lshlrev_b32_e32 v43, 24, v0
	v_ashrrev_i32_e32 v3, 31, v3
	v_not_b32_e32 v0, v43
	v_and_b32_e32 v1, v1, v28
	v_xor_b32_e32 v28, vcc_hi, v3
	v_xor_b32_e32 v3, vcc_lo, v3
	v_cmp_gt_i64_e32 vcc, 0, v[42:43]
	v_ashrrev_i32_e32 v0, 31, v0
	v_and_b32_e32 v2, v2, v3
	v_xor_b32_e32 v3, vcc_hi, v0
	v_xor_b32_e32 v0, vcc_lo, v0
	v_and_b32_e32 v1, v1, v28
	v_and_b32_e32 v0, v2, v0
	;; [unrolled: 1-line block ×3, first 2 shown]
	v_mbcnt_lo_u32_b32 v2, v0, 0
	v_mbcnt_hi_u32_b32 v28, v1, v2
	v_cmp_eq_u32_e32 vcc, 0, v28
	v_cmp_ne_u64_e64 s[4:5], 0, v[0:1]
	s_and_b64 s[56:57], s[4:5], vcc
	; wave barrier
	s_and_saveexec_b64 s[4:5], s[56:57]
	s_cbranch_execz .LBB157_97
; %bb.96:                               ;   in Loop: Header=BB157_81 Depth=1
	v_bcnt_u32_b32 v0, v0, 0
	v_bcnt_u32_b32 v0, v1, v0
	s_waitcnt lgkmcnt(0)
	v_add_u32_e32 v0, v26, v0
	ds_write_b32 v27, v0
.LBB157_97:                             ;   in Loop: Header=BB157_81 Depth=1
	s_or_b64 exec, exec, s[4:5]
	; wave barrier
	s_waitcnt lgkmcnt(0)
	s_barrier
	ds_read2_b32 v[2:3], v110 offset0:2 offset1:3
	ds_read2_b32 v[0:1], v68 offset0:2 offset1:3
	s_waitcnt lgkmcnt(1)
	v_add_u32_e32 v29, v3, v2
	s_waitcnt lgkmcnt(0)
	v_add3_u32 v1, v29, v0, v1
	s_nop 1
	v_mov_b32_dpp v29, v1 row_shr:1 row_mask:0xf bank_mask:0xf
	v_cndmask_b32_e64 v29, v29, 0, s[16:17]
	v_add_u32_e32 v1, v29, v1
	s_nop 1
	v_mov_b32_dpp v29, v1 row_shr:2 row_mask:0xf bank_mask:0xf
	v_cndmask_b32_e64 v29, 0, v29, s[18:19]
	v_add_u32_e32 v1, v1, v29
	;; [unrolled: 4-line block ×4, first 2 shown]
	s_nop 1
	v_mov_b32_dpp v29, v1 row_bcast:15 row_mask:0xf bank_mask:0xf
	v_cndmask_b32_e64 v29, v29, 0, s[24:25]
	v_add_u32_e32 v1, v1, v29
	s_nop 1
	v_mov_b32_dpp v29, v1 row_bcast:31 row_mask:0xf bank_mask:0xf
	v_cndmask_b32_e64 v29, 0, v29, s[26:27]
	v_add_u32_e32 v1, v1, v29
	s_and_saveexec_b64 s[4:5], s[28:29]
	s_cbranch_execz .LBB157_99
; %bb.98:                               ;   in Loop: Header=BB157_81 Depth=1
	ds_write_b32 v71, v1
.LBB157_99:                             ;   in Loop: Header=BB157_81 Depth=1
	s_or_b64 exec, exec, s[4:5]
	s_waitcnt lgkmcnt(0)
	s_barrier
	s_and_saveexec_b64 s[4:5], s[30:31]
	s_cbranch_execz .LBB157_101
; %bb.100:                              ;   in Loop: Header=BB157_81 Depth=1
	ds_read_b32 v29, v109
	s_waitcnt lgkmcnt(0)
	s_nop 0
	v_mov_b32_dpp v30, v29 row_shr:1 row_mask:0xf bank_mask:0xf
	v_cndmask_b32_e64 v30, v30, 0, s[40:41]
	v_add_u32_e32 v29, v30, v29
	ds_write_b32 v109, v29
.LBB157_101:                            ;   in Loop: Header=BB157_81 Depth=1
	s_or_b64 exec, exec, s[4:5]
	v_mov_b32_e32 v29, 0
	s_waitcnt lgkmcnt(0)
	s_barrier
	s_and_saveexec_b64 s[4:5], s[34:35]
	s_cbranch_execz .LBB157_103
; %bb.102:                              ;   in Loop: Header=BB157_81 Depth=1
	ds_read_b32 v29, v72
.LBB157_103:                            ;   in Loop: Header=BB157_81 Depth=1
	s_or_b64 exec, exec, s[4:5]
	s_waitcnt lgkmcnt(0)
	v_add_u32_e32 v1, v29, v1
	ds_bpermute_b32 v1, v70, v1
	s_cmp_gt_u32 s48, 55
	s_waitcnt lgkmcnt(0)
	v_cndmask_b32_e64 v1, v1, v29, s[36:37]
	v_cndmask_b32_e64 v1, v1, 0, s[38:39]
	v_add_u32_e32 v2, v1, v2
	v_add_u32_e32 v3, v2, v3
	;; [unrolled: 1-line block ×3, first 2 shown]
	ds_write2_b32 v110, v1, v2 offset0:2 offset1:3
	ds_write2_b32 v68, v3, v0 offset0:2 offset1:3
	s_waitcnt lgkmcnt(0)
	s_barrier
	ds_read_b32 v0, v4
	ds_read_b32 v1, v7
	;; [unrolled: 1-line block ×8, first 2 shown]
	s_waitcnt lgkmcnt(7)
	v_add_u32_e32 v80, v0, v5
	s_waitcnt lgkmcnt(6)
	v_add3_u32 v79, v8, v6, v1
	s_waitcnt lgkmcnt(5)
	v_add3_u32 v78, v11, v9, v2
	;; [unrolled: 2-line block ×7, first 2 shown]
	s_cbranch_scc0 .LBB157_80
; %bb.104:
                                        ; implicit-def: $vgpr32_vgpr33
                                        ; implicit-def: $vgpr28_vgpr29
                                        ; implicit-def: $vgpr24_vgpr25
                                        ; implicit-def: $vgpr20_vgpr21
                                        ; implicit-def: $vgpr14_vgpr15
                                        ; implicit-def: $vgpr10_vgpr11
                                        ; implicit-def: $vgpr6_vgpr7
                                        ; implicit-def: $vgpr2_vgpr3
                                        ; implicit-def: $sgpr48_sgpr49
                                        ; implicit-def: $sgpr51
.LBB157_105:
	v_lshlrev_b32_e32 v18, 3, v80
	v_lshlrev_b32_e32 v19, 3, v79
	;; [unrolled: 1-line block ×9, first 2 shown]
	s_barrier
	ds_write_b64 v18, v[64:65]
	ds_write_b64 v19, v[62:63]
	;; [unrolled: 1-line block ×8, first 2 shown]
	s_waitcnt lgkmcnt(0)
	s_barrier
	ds_read2_b64 v[0:3], v26 offset1:1
	ds_read2_b64 v[4:7], v26 offset0:2 offset1:3
	ds_read2_b64 v[8:11], v26 offset0:4 offset1:5
	;; [unrolled: 1-line block ×3, first 2 shown]
	s_waitcnt lgkmcnt(0)
	s_barrier
	ds_write_b64 v18, v[50:51]
	ds_write_b64 v19, v[48:49]
	;; [unrolled: 1-line block ×8, first 2 shown]
	s_waitcnt lgkmcnt(0)
	s_barrier
	ds_read2_b64 v[34:37], v26 offset1:1
	ds_read2_b64 v[38:41], v26 offset0:2 offset1:3
	ds_read2_b64 v[42:45], v26 offset0:4 offset1:5
	;; [unrolled: 1-line block ×3, first 2 shown]
	v_xor_b32_e32 v51, 0x7fffffff, v1
	v_xor_b32_e32 v50, -1, v0
	v_xor_b32_e32 v53, 0x7fffffff, v3
	v_xor_b32_e32 v52, -1, v2
	;; [unrolled: 2-line block ×8, first 2 shown]
.LBB157_106:
	s_waitcnt lgkmcnt(0)
	s_barrier
	ds_write2_b64 v107, v[50:51], v[52:53] offset1:1
	ds_write2_b64 v107, v[54:55], v[56:57] offset0:2 offset1:3
	ds_write2_b64 v107, v[58:59], v[60:61] offset0:4 offset1:5
	;; [unrolled: 1-line block ×3, first 2 shown]
	s_waitcnt lgkmcnt(0)
	s_barrier
	ds_read_b64 v[14:15], v100 offset:1024
	ds_read_b64 v[12:13], v101 offset:2048
	;; [unrolled: 1-line block ×7, first 2 shown]
	v_mad_u64_u32 v[4:5], s[4:5], v66, s44, 0
	v_mov_b32_e32 v16, v5
	v_mad_u64_u32 v[16:17], s[4:5], v66, s45, v[16:17]
	v_mov_b32_e32 v5, v16
	v_lshlrev_b64 v[4:5], 3, v[4:5]
	v_mov_b32_e32 v16, s52
	v_add_co_u32_e32 v4, vcc, s33, v4
	v_addc_co_u32_e32 v5, vcc, v16, v5, vcc
	s_and_saveexec_b64 s[4:5], s[0:1]
	s_cbranch_execnz .LBB157_125
; %bb.107:
	s_or_b64 exec, exec, s[4:5]
	s_and_saveexec_b64 s[4:5], s[2:3]
	s_cbranch_execnz .LBB157_126
.LBB157_108:
	s_or_b64 exec, exec, s[4:5]
	s_and_saveexec_b64 s[4:5], s[42:43]
	s_cbranch_execnz .LBB157_127
.LBB157_109:
	s_or_b64 exec, exec, s[4:5]
	s_and_saveexec_b64 s[4:5], s[6:7]
	s_cbranch_execnz .LBB157_128
.LBB157_110:
	s_or_b64 exec, exec, s[4:5]
	s_and_saveexec_b64 s[4:5], s[8:9]
	s_cbranch_execnz .LBB157_129
.LBB157_111:
	s_or_b64 exec, exec, s[4:5]
	s_and_saveexec_b64 s[4:5], s[10:11]
	s_cbranch_execnz .LBB157_130
.LBB157_112:
	s_or_b64 exec, exec, s[4:5]
	s_and_saveexec_b64 s[4:5], s[12:13]
	s_cbranch_execnz .LBB157_131
.LBB157_113:
	s_or_b64 exec, exec, s[4:5]
	s_and_saveexec_b64 s[4:5], s[14:15]
	s_cbranch_execz .LBB157_115
.LBB157_114:
	s_waitcnt lgkmcnt(1)
	v_mov_b32_e32 v2, 0x1c00
	v_mad_u64_u32 v[2:3], s[16:17], s44, v2, v[4:5]
	s_mul_i32 s16, s45, 0x1c00
	v_add_u32_e32 v3, s16, v3
	s_waitcnt lgkmcnt(0)
	global_store_dwordx2 v[2:3], v[0:1], off
.LBB157_115:
	s_or_b64 exec, exec, s[4:5]
	s_waitcnt lgkmcnt(0)
	s_barrier
	ds_write2_b64 v107, v[34:35], v[36:37] offset1:1
	ds_write2_b64 v107, v[38:39], v[40:41] offset0:2 offset1:3
	ds_write2_b64 v107, v[42:43], v[44:45] offset0:4 offset1:5
	;; [unrolled: 1-line block ×3, first 2 shown]
	s_waitcnt lgkmcnt(0)
	s_barrier
	ds_read_b64 v[14:15], v100 offset:1024
	ds_read_b64 v[12:13], v101 offset:2048
	;; [unrolled: 1-line block ×7, first 2 shown]
	v_mad_u64_u32 v[4:5], s[4:5], v66, s46, 0
	v_mov_b32_e32 v16, v5
	v_mad_u64_u32 v[16:17], s[4:5], v66, s47, v[16:17]
	v_mov_b32_e32 v5, v16
	v_lshlrev_b64 v[4:5], 3, v[4:5]
	v_mov_b32_e32 v16, s54
	v_add_co_u32_e32 v4, vcc, s53, v4
	v_addc_co_u32_e32 v5, vcc, v16, v5, vcc
	s_and_saveexec_b64 s[4:5], s[0:1]
	s_cbranch_execnz .LBB157_132
; %bb.116:
	s_or_b64 exec, exec, s[4:5]
	s_and_saveexec_b64 s[0:1], s[2:3]
	s_cbranch_execnz .LBB157_133
.LBB157_117:
	s_or_b64 exec, exec, s[0:1]
	s_and_saveexec_b64 s[0:1], s[42:43]
	s_cbranch_execnz .LBB157_134
.LBB157_118:
	s_or_b64 exec, exec, s[0:1]
	s_and_saveexec_b64 s[0:1], s[6:7]
	s_cbranch_execnz .LBB157_135
.LBB157_119:
	s_or_b64 exec, exec, s[0:1]
	s_and_saveexec_b64 s[0:1], s[8:9]
	s_cbranch_execnz .LBB157_136
.LBB157_120:
	s_or_b64 exec, exec, s[0:1]
	s_and_saveexec_b64 s[0:1], s[10:11]
	s_cbranch_execnz .LBB157_137
.LBB157_121:
	s_or_b64 exec, exec, s[0:1]
	s_and_saveexec_b64 s[0:1], s[12:13]
	s_cbranch_execnz .LBB157_138
.LBB157_122:
	s_or_b64 exec, exec, s[0:1]
	s_and_saveexec_b64 s[0:1], s[14:15]
	s_cbranch_execz .LBB157_124
.LBB157_123:
	s_waitcnt lgkmcnt(1)
	v_mov_b32_e32 v2, 0x1c00
	v_mad_u64_u32 v[2:3], s[0:1], s46, v2, v[4:5]
	s_mul_i32 s0, s47, 0x1c00
	v_add_u32_e32 v3, s0, v3
	s_waitcnt lgkmcnt(0)
	global_store_dwordx2 v[2:3], v[0:1], off
.LBB157_124:
	s_endpgm
.LBB157_125:
	ds_read_b64 v[16:17], v67
	s_waitcnt lgkmcnt(0)
	global_store_dwordx2 v[4:5], v[16:17], off
	s_or_b64 exec, exec, s[4:5]
	s_and_saveexec_b64 s[4:5], s[2:3]
	s_cbranch_execz .LBB157_108
.LBB157_126:
	s_lshl_b64 s[16:17], s[44:45], 10
	v_mov_b32_e32 v17, s17
	v_add_co_u32_e32 v16, vcc, s16, v4
	v_addc_co_u32_e32 v17, vcc, v5, v17, vcc
	s_waitcnt lgkmcnt(6)
	global_store_dwordx2 v[16:17], v[14:15], off
	s_or_b64 exec, exec, s[4:5]
	s_and_saveexec_b64 s[4:5], s[42:43]
	s_cbranch_execz .LBB157_109
.LBB157_127:
	s_lshl_b64 s[16:17], s[44:45], 11
	s_waitcnt lgkmcnt(6)
	v_mov_b32_e32 v15, s17
	v_add_co_u32_e32 v14, vcc, s16, v4
	v_addc_co_u32_e32 v15, vcc, v5, v15, vcc
	s_waitcnt lgkmcnt(5)
	global_store_dwordx2 v[14:15], v[12:13], off
	s_or_b64 exec, exec, s[4:5]
	s_and_saveexec_b64 s[4:5], s[6:7]
	s_cbranch_execz .LBB157_110
.LBB157_128:
	s_waitcnt lgkmcnt(5)
	v_mov_b32_e32 v12, 0xc00
	v_mad_u64_u32 v[12:13], s[16:17], s44, v12, v[4:5]
	s_mul_i32 s16, s45, 0xc00
	v_add_u32_e32 v13, s16, v13
	s_waitcnt lgkmcnt(4)
	global_store_dwordx2 v[12:13], v[10:11], off
	s_or_b64 exec, exec, s[4:5]
	s_and_saveexec_b64 s[4:5], s[8:9]
	s_cbranch_execz .LBB157_111
.LBB157_129:
	s_lshl_b64 s[16:17], s[44:45], 12
	s_waitcnt lgkmcnt(4)
	v_mov_b32_e32 v11, s17
	v_add_co_u32_e32 v10, vcc, s16, v4
	v_addc_co_u32_e32 v11, vcc, v5, v11, vcc
	s_waitcnt lgkmcnt(3)
	global_store_dwordx2 v[10:11], v[8:9], off
	s_or_b64 exec, exec, s[4:5]
	s_and_saveexec_b64 s[4:5], s[10:11]
	s_cbranch_execz .LBB157_112
.LBB157_130:
	s_waitcnt lgkmcnt(3)
	v_mov_b32_e32 v8, 0x1400
	v_mad_u64_u32 v[8:9], s[16:17], s44, v8, v[4:5]
	s_mul_i32 s16, s45, 0x1400
	v_add_u32_e32 v9, s16, v9
	s_waitcnt lgkmcnt(2)
	global_store_dwordx2 v[8:9], v[6:7], off
	s_or_b64 exec, exec, s[4:5]
	s_and_saveexec_b64 s[4:5], s[12:13]
	s_cbranch_execz .LBB157_113
.LBB157_131:
	s_waitcnt lgkmcnt(2)
	v_mov_b32_e32 v6, 0x1800
	v_mad_u64_u32 v[6:7], s[16:17], s44, v6, v[4:5]
	s_mul_i32 s16, s45, 0x1800
	v_add_u32_e32 v7, s16, v7
	s_waitcnt lgkmcnt(1)
	global_store_dwordx2 v[6:7], v[2:3], off
	s_or_b64 exec, exec, s[4:5]
	s_and_saveexec_b64 s[4:5], s[14:15]
	s_cbranch_execnz .LBB157_114
	s_branch .LBB157_115
.LBB157_132:
	ds_read_b64 v[16:17], v67
	s_waitcnt lgkmcnt(0)
	global_store_dwordx2 v[4:5], v[16:17], off
	s_or_b64 exec, exec, s[4:5]
	s_and_saveexec_b64 s[0:1], s[2:3]
	s_cbranch_execz .LBB157_117
.LBB157_133:
	s_lshl_b64 s[2:3], s[46:47], 10
	v_mov_b32_e32 v17, s3
	v_add_co_u32_e32 v16, vcc, s2, v4
	v_addc_co_u32_e32 v17, vcc, v5, v17, vcc
	s_waitcnt lgkmcnt(6)
	global_store_dwordx2 v[16:17], v[14:15], off
	s_or_b64 exec, exec, s[0:1]
	s_and_saveexec_b64 s[0:1], s[42:43]
	s_cbranch_execz .LBB157_118
.LBB157_134:
	s_lshl_b64 s[2:3], s[46:47], 11
	s_waitcnt lgkmcnt(6)
	v_mov_b32_e32 v15, s3
	v_add_co_u32_e32 v14, vcc, s2, v4
	v_addc_co_u32_e32 v15, vcc, v5, v15, vcc
	s_waitcnt lgkmcnt(5)
	global_store_dwordx2 v[14:15], v[12:13], off
	s_or_b64 exec, exec, s[0:1]
	s_and_saveexec_b64 s[0:1], s[6:7]
	s_cbranch_execz .LBB157_119
.LBB157_135:
	s_waitcnt lgkmcnt(5)
	v_mov_b32_e32 v12, 0xc00
	v_mad_u64_u32 v[12:13], s[2:3], s46, v12, v[4:5]
	s_mul_i32 s2, s47, 0xc00
	v_add_u32_e32 v13, s2, v13
	s_waitcnt lgkmcnt(4)
	global_store_dwordx2 v[12:13], v[10:11], off
	s_or_b64 exec, exec, s[0:1]
	s_and_saveexec_b64 s[0:1], s[8:9]
	s_cbranch_execz .LBB157_120
.LBB157_136:
	s_lshl_b64 s[2:3], s[46:47], 12
	s_waitcnt lgkmcnt(4)
	v_mov_b32_e32 v11, s3
	v_add_co_u32_e32 v10, vcc, s2, v4
	v_addc_co_u32_e32 v11, vcc, v5, v11, vcc
	s_waitcnt lgkmcnt(3)
	global_store_dwordx2 v[10:11], v[8:9], off
	s_or_b64 exec, exec, s[0:1]
	s_and_saveexec_b64 s[0:1], s[10:11]
	s_cbranch_execz .LBB157_121
.LBB157_137:
	s_waitcnt lgkmcnt(3)
	v_mov_b32_e32 v8, 0x1400
	v_mad_u64_u32 v[8:9], s[2:3], s46, v8, v[4:5]
	s_mul_i32 s2, s47, 0x1400
	v_add_u32_e32 v9, s2, v9
	s_waitcnt lgkmcnt(2)
	global_store_dwordx2 v[8:9], v[6:7], off
	s_or_b64 exec, exec, s[0:1]
	s_and_saveexec_b64 s[0:1], s[12:13]
	s_cbranch_execz .LBB157_122
.LBB157_138:
	s_waitcnt lgkmcnt(2)
	v_mov_b32_e32 v6, 0x1800
	v_mad_u64_u32 v[6:7], s[2:3], s46, v6, v[4:5]
	s_mul_i32 s2, s47, 0x1800
	v_add_u32_e32 v7, s2, v7
	s_waitcnt lgkmcnt(1)
	global_store_dwordx2 v[6:7], v[2:3], off
	s_or_b64 exec, exec, s[0:1]
	s_and_saveexec_b64 s[0:1], s[14:15]
	s_cbranch_execnz .LBB157_123
	s_branch .LBB157_124
	.section	.rodata,"a",@progbits
	.p2align	6, 0x0
	.amdhsa_kernel _ZN2at6native18radixSortKVInPlaceILin1ELin1ELi128ELi8EllmEEvNS_4cuda6detail10TensorInfoIT3_T5_EES6_S6_S6_NS4_IT4_S6_EES6_b
		.amdhsa_group_segment_fixed_size 8448
		.amdhsa_private_segment_fixed_size 0
		.amdhsa_kernarg_size 1128
		.amdhsa_user_sgpr_count 6
		.amdhsa_user_sgpr_private_segment_buffer 1
		.amdhsa_user_sgpr_dispatch_ptr 0
		.amdhsa_user_sgpr_queue_ptr 0
		.amdhsa_user_sgpr_kernarg_segment_ptr 1
		.amdhsa_user_sgpr_dispatch_id 0
		.amdhsa_user_sgpr_flat_scratch_init 0
		.amdhsa_user_sgpr_kernarg_preload_length 0
		.amdhsa_user_sgpr_kernarg_preload_offset 0
		.amdhsa_user_sgpr_private_segment_size 0
		.amdhsa_uses_dynamic_stack 0
		.amdhsa_system_sgpr_private_segment_wavefront_offset 0
		.amdhsa_system_sgpr_workgroup_id_x 1
		.amdhsa_system_sgpr_workgroup_id_y 1
		.amdhsa_system_sgpr_workgroup_id_z 1
		.amdhsa_system_sgpr_workgroup_info 0
		.amdhsa_system_vgpr_workitem_id 2
		.amdhsa_next_free_vgpr 137
		.amdhsa_next_free_sgpr 60
		.amdhsa_accum_offset 140
		.amdhsa_reserve_vcc 1
		.amdhsa_reserve_flat_scratch 0
		.amdhsa_float_round_mode_32 0
		.amdhsa_float_round_mode_16_64 0
		.amdhsa_float_denorm_mode_32 3
		.amdhsa_float_denorm_mode_16_64 3
		.amdhsa_dx10_clamp 1
		.amdhsa_ieee_mode 1
		.amdhsa_fp16_overflow 0
		.amdhsa_tg_split 0
		.amdhsa_exception_fp_ieee_invalid_op 0
		.amdhsa_exception_fp_denorm_src 0
		.amdhsa_exception_fp_ieee_div_zero 0
		.amdhsa_exception_fp_ieee_overflow 0
		.amdhsa_exception_fp_ieee_underflow 0
		.amdhsa_exception_fp_ieee_inexact 0
		.amdhsa_exception_int_div_zero 0
	.end_amdhsa_kernel
	.section	.text._ZN2at6native18radixSortKVInPlaceILin1ELin1ELi128ELi8EllmEEvNS_4cuda6detail10TensorInfoIT3_T5_EES6_S6_S6_NS4_IT4_S6_EES6_b,"axG",@progbits,_ZN2at6native18radixSortKVInPlaceILin1ELin1ELi128ELi8EllmEEvNS_4cuda6detail10TensorInfoIT3_T5_EES6_S6_S6_NS4_IT4_S6_EES6_b,comdat
.Lfunc_end157:
	.size	_ZN2at6native18radixSortKVInPlaceILin1ELin1ELi128ELi8EllmEEvNS_4cuda6detail10TensorInfoIT3_T5_EES6_S6_S6_NS4_IT4_S6_EES6_b, .Lfunc_end157-_ZN2at6native18radixSortKVInPlaceILin1ELin1ELi128ELi8EllmEEvNS_4cuda6detail10TensorInfoIT3_T5_EES6_S6_S6_NS4_IT4_S6_EES6_b
                                        ; -- End function
	.section	.AMDGPU.csdata,"",@progbits
; Kernel info:
; codeLenInByte = 14612
; NumSgprs: 64
; NumVgprs: 137
; NumAgprs: 0
; TotalNumVgprs: 137
; ScratchSize: 0
; MemoryBound: 0
; FloatMode: 240
; IeeeMode: 1
; LDSByteSize: 8448 bytes/workgroup (compile time only)
; SGPRBlocks: 7
; VGPRBlocks: 17
; NumSGPRsForWavesPerEU: 64
; NumVGPRsForWavesPerEU: 137
; AccumOffset: 140
; Occupancy: 3
; WaveLimiterHint : 1
; COMPUTE_PGM_RSRC2:SCRATCH_EN: 0
; COMPUTE_PGM_RSRC2:USER_SGPR: 6
; COMPUTE_PGM_RSRC2:TRAP_HANDLER: 0
; COMPUTE_PGM_RSRC2:TGID_X_EN: 1
; COMPUTE_PGM_RSRC2:TGID_Y_EN: 1
; COMPUTE_PGM_RSRC2:TGID_Z_EN: 1
; COMPUTE_PGM_RSRC2:TIDIG_COMP_CNT: 2
; COMPUTE_PGM_RSRC3_GFX90A:ACCUM_OFFSET: 34
; COMPUTE_PGM_RSRC3_GFX90A:TG_SPLIT: 0
	.section	.text._ZN2at6native18radixSortKVInPlaceILin1ELin1ELi32ELi4EllmEEvNS_4cuda6detail10TensorInfoIT3_T5_EES6_S6_S6_NS4_IT4_S6_EES6_b,"axG",@progbits,_ZN2at6native18radixSortKVInPlaceILin1ELin1ELi32ELi4EllmEEvNS_4cuda6detail10TensorInfoIT3_T5_EES6_S6_S6_NS4_IT4_S6_EES6_b,comdat
	.protected	_ZN2at6native18radixSortKVInPlaceILin1ELin1ELi32ELi4EllmEEvNS_4cuda6detail10TensorInfoIT3_T5_EES6_S6_S6_NS4_IT4_S6_EES6_b ; -- Begin function _ZN2at6native18radixSortKVInPlaceILin1ELin1ELi32ELi4EllmEEvNS_4cuda6detail10TensorInfoIT3_T5_EES6_S6_S6_NS4_IT4_S6_EES6_b
	.globl	_ZN2at6native18radixSortKVInPlaceILin1ELin1ELi32ELi4EllmEEvNS_4cuda6detail10TensorInfoIT3_T5_EES6_S6_S6_NS4_IT4_S6_EES6_b
	.p2align	8
	.type	_ZN2at6native18radixSortKVInPlaceILin1ELin1ELi32ELi4EllmEEvNS_4cuda6detail10TensorInfoIT3_T5_EES6_S6_S6_NS4_IT4_S6_EES6_b,@function
_ZN2at6native18radixSortKVInPlaceILin1ELin1ELi32ELi4EllmEEvNS_4cuda6detail10TensorInfoIT3_T5_EES6_S6_S6_NS4_IT4_S6_EES6_b: ; @_ZN2at6native18radixSortKVInPlaceILin1ELin1ELi32ELi4EllmEEvNS_4cuda6detail10TensorInfoIT3_T5_EES6_S6_S6_NS4_IT4_S6_EES6_b
; %bb.0:
	s_load_dwordx4 s[16:19], s[4:5], 0x1a0
	s_load_dwordx2 s[0:1], s[4:5], 0x368
	s_waitcnt lgkmcnt(0)
	v_mov_b32_e32 v2, s16
	s_mul_i32 s1, s1, s8
	s_add_i32 s1, s1, s7
	s_mul_i32 s0, s1, s0
	v_mov_b32_e32 v3, s17
	s_add_i32 s6, s0, s6
	s_mov_b32 s7, 0
	v_cmp_ge_u64_e32 vcc, s[6:7], v[2:3]
	s_cbranch_vccnz .LBB158_74
; %bb.1:
	s_load_dword s0, s[4:5], 0x198
	s_load_dwordx2 s[26:27], s[4:5], 0x1b0
	s_mov_b64 s[2:3], 0
	s_mov_b64 s[8:9], s[6:7]
	s_waitcnt lgkmcnt(0)
	s_cmp_lt_i32 s0, 2
	s_cbranch_scc1 .LBB158_9
; %bb.2:
	s_mov_b32 s10, 0
	s_add_i32 s19, s0, 1
	s_add_i32 s0, s0, -1
	s_mov_b32 s1, s10
	s_lshl_b64 s[0:1], s[0:1], 3
	s_add_u32 s0, s0, s4
	s_addc_u32 s1, s1, s5
	s_add_u32 s12, s0, 8
	s_addc_u32 s13, s1, 0
	s_mov_b64 s[14:15], s[6:7]
.LBB158_3:                              ; =>This Inner Loop Header: Depth=1
	s_load_dwordx2 s[16:17], s[12:13], 0x0
	s_waitcnt lgkmcnt(0)
	s_or_b64 s[0:1], s[14:15], s[16:17]
	s_mov_b32 s11, s1
	s_cmp_lg_u64 s[10:11], 0
	s_cbranch_scc0 .LBB158_8
; %bb.4:                                ;   in Loop: Header=BB158_3 Depth=1
	v_cvt_f32_u32_e32 v1, s16
	v_cvt_f32_u32_e32 v2, s17
	s_sub_u32 s0, 0, s16
	s_subb_u32 s1, 0, s17
	v_mac_f32_e32 v1, 0x4f800000, v2
	v_rcp_f32_e32 v1, v1
	v_mul_f32_e32 v1, 0x5f7ffffc, v1
	v_mul_f32_e32 v2, 0x2f800000, v1
	v_trunc_f32_e32 v2, v2
	v_mac_f32_e32 v1, 0xcf800000, v2
	v_cvt_u32_f32_e32 v2, v2
	v_cvt_u32_f32_e32 v1, v1
	v_readfirstlane_b32 s8, v2
	v_readfirstlane_b32 s9, v1
	s_mul_i32 s11, s0, s8
	s_mul_hi_u32 s21, s0, s9
	s_mul_i32 s20, s1, s9
	s_add_i32 s11, s21, s11
	s_mul_i32 s22, s0, s9
	s_add_i32 s11, s11, s20
	s_mul_hi_u32 s20, s9, s11
	s_mul_i32 s21, s9, s11
	s_mul_hi_u32 s9, s9, s22
	s_add_u32 s9, s9, s21
	s_addc_u32 s20, 0, s20
	s_mul_hi_u32 s23, s8, s22
	s_mul_i32 s22, s8, s22
	s_add_u32 s9, s9, s22
	s_mul_hi_u32 s21, s8, s11
	s_addc_u32 s9, s20, s23
	s_addc_u32 s20, s21, 0
	s_mul_i32 s11, s8, s11
	s_add_u32 s9, s9, s11
	s_addc_u32 s11, 0, s20
	v_add_co_u32_e32 v1, vcc, s9, v1
	s_cmp_lg_u64 vcc, 0
	s_addc_u32 s8, s8, s11
	v_readfirstlane_b32 s11, v1
	s_mul_i32 s9, s0, s8
	s_mul_hi_u32 s20, s0, s11
	s_add_i32 s9, s20, s9
	s_mul_i32 s1, s1, s11
	s_add_i32 s9, s9, s1
	s_mul_i32 s0, s0, s11
	s_mul_hi_u32 s20, s8, s0
	s_mul_i32 s21, s8, s0
	s_mul_i32 s23, s11, s9
	s_mul_hi_u32 s0, s11, s0
	s_mul_hi_u32 s22, s11, s9
	s_add_u32 s0, s0, s23
	s_addc_u32 s11, 0, s22
	s_add_u32 s0, s0, s21
	s_mul_hi_u32 s1, s8, s9
	s_addc_u32 s0, s11, s20
	s_addc_u32 s1, s1, 0
	s_mul_i32 s9, s8, s9
	s_add_u32 s0, s0, s9
	s_addc_u32 s1, 0, s1
	v_add_co_u32_e32 v1, vcc, s0, v1
	s_cmp_lg_u64 vcc, 0
	s_addc_u32 s0, s8, s1
	v_readfirstlane_b32 s9, v1
	s_mul_i32 s8, s14, s0
	s_mul_hi_u32 s11, s14, s9
	s_mul_hi_u32 s1, s14, s0
	s_add_u32 s8, s11, s8
	s_addc_u32 s1, 0, s1
	s_mul_hi_u32 s20, s15, s9
	s_mul_i32 s9, s15, s9
	s_add_u32 s8, s8, s9
	s_mul_hi_u32 s11, s15, s0
	s_addc_u32 s1, s1, s20
	s_addc_u32 s8, s11, 0
	s_mul_i32 s0, s15, s0
	s_add_u32 s11, s1, s0
	s_addc_u32 s8, 0, s8
	s_mul_i32 s0, s16, s8
	s_mul_hi_u32 s1, s16, s11
	s_add_i32 s0, s1, s0
	s_mul_i32 s1, s17, s11
	s_add_i32 s9, s0, s1
	s_mul_i32 s1, s16, s11
	v_mov_b32_e32 v1, s1
	s_sub_i32 s0, s15, s9
	v_sub_co_u32_e32 v1, vcc, s14, v1
	s_cmp_lg_u64 vcc, 0
	s_subb_u32 s20, s0, s17
	v_subrev_co_u32_e64 v2, s[0:1], s16, v1
	s_cmp_lg_u64 s[0:1], 0
	s_subb_u32 s0, s20, 0
	s_cmp_ge_u32 s0, s17
	v_readfirstlane_b32 s20, v2
	s_cselect_b32 s1, -1, 0
	s_cmp_ge_u32 s20, s16
	s_cselect_b32 s20, -1, 0
	s_cmp_eq_u32 s0, s17
	s_cselect_b32 s0, s20, s1
	s_add_u32 s1, s11, 1
	s_addc_u32 s20, s8, 0
	s_add_u32 s21, s11, 2
	s_addc_u32 s22, s8, 0
	s_cmp_lg_u32 s0, 0
	s_cselect_b32 s0, s21, s1
	s_cselect_b32 s1, s22, s20
	s_cmp_lg_u64 vcc, 0
	s_subb_u32 s9, s15, s9
	s_cmp_ge_u32 s9, s17
	v_readfirstlane_b32 s21, v1
	s_cselect_b32 s20, -1, 0
	s_cmp_ge_u32 s21, s16
	s_cselect_b32 s21, -1, 0
	s_cmp_eq_u32 s9, s17
	s_cselect_b32 s9, s21, s20
	s_cmp_lg_u32 s9, 0
	s_cselect_b32 s9, s1, s8
	s_cselect_b32 s8, s0, s11
	s_cbranch_execnz .LBB158_6
.LBB158_5:                              ;   in Loop: Header=BB158_3 Depth=1
	v_cvt_f32_u32_e32 v1, s16
	s_sub_i32 s0, 0, s16
	v_rcp_iflag_f32_e32 v1, v1
	v_mul_f32_e32 v1, 0x4f7ffffe, v1
	v_cvt_u32_f32_e32 v1, v1
	v_readfirstlane_b32 s1, v1
	s_mul_i32 s0, s0, s1
	s_mul_hi_u32 s0, s1, s0
	s_add_i32 s1, s1, s0
	s_mul_hi_u32 s0, s14, s1
	s_mul_i32 s8, s0, s16
	s_sub_i32 s8, s14, s8
	s_add_i32 s1, s0, 1
	s_sub_i32 s9, s8, s16
	s_cmp_ge_u32 s8, s16
	s_cselect_b32 s0, s1, s0
	s_cselect_b32 s8, s9, s8
	s_add_i32 s1, s0, 1
	s_cmp_ge_u32 s8, s16
	s_cselect_b32 s8, s1, s0
	s_mov_b32 s9, s10
.LBB158_6:                              ;   in Loop: Header=BB158_3 Depth=1
	s_mul_i32 s0, s8, s17
	s_mul_hi_u32 s1, s8, s16
	s_add_i32 s11, s1, s0
	s_load_dwordx2 s[0:1], s[12:13], 0xc8
	s_mul_i32 s17, s9, s16
	s_add_i32 s11, s11, s17
	s_mul_i32 s16, s8, s16
	s_sub_u32 s14, s14, s16
	s_subb_u32 s11, s15, s11
	s_waitcnt lgkmcnt(0)
	s_mul_i32 s11, s0, s11
	s_mul_hi_u32 s15, s0, s14
	s_add_i32 s11, s15, s11
	s_mul_i32 s1, s1, s14
	s_add_i32 s11, s11, s1
	s_mul_i32 s0, s0, s14
	s_add_u32 s2, s0, s2
	s_addc_u32 s3, s11, s3
	s_add_i32 s19, s19, -1
	s_add_u32 s12, s12, -8
	s_addc_u32 s13, s13, -1
	s_cmp_gt_u32 s19, 2
	s_cbranch_scc0 .LBB158_9
; %bb.7:                                ;   in Loop: Header=BB158_3 Depth=1
	s_mov_b64 s[14:15], s[8:9]
	s_branch .LBB158_3
.LBB158_8:                              ;   in Loop: Header=BB158_3 Depth=1
                                        ; implicit-def: $sgpr8_sgpr9
	s_branch .LBB158_5
.LBB158_9:
	s_load_dword s0, s[4:5], 0x350
	s_load_dwordx2 s[10:11], s[4:5], 0xd0
	s_mov_b64 s[16:17], 0
	s_waitcnt lgkmcnt(0)
	s_cmp_lt_i32 s0, 2
	s_cbranch_scc1 .LBB158_17
; %bb.10:
	s_mov_b32 s12, 0
	s_add_i32 s19, s0, 1
	s_add_i32 s0, s0, -1
	s_mov_b32 s1, s12
	s_lshl_b64 s[0:1], s[0:1], 3
	s_add_u32 s0, s0, s4
	s_addc_u32 s1, s1, s5
	s_add_u32 s14, s0, 0x1c0
	s_addc_u32 s15, s1, 0
.LBB158_11:                             ; =>This Inner Loop Header: Depth=1
	s_load_dwordx2 s[20:21], s[14:15], 0x0
	s_waitcnt lgkmcnt(0)
	s_or_b64 s[0:1], s[6:7], s[20:21]
	s_mov_b32 s13, s1
	s_cmp_lg_u64 s[12:13], 0
	s_cbranch_scc0 .LBB158_16
; %bb.12:                               ;   in Loop: Header=BB158_11 Depth=1
	v_cvt_f32_u32_e32 v1, s20
	v_cvt_f32_u32_e32 v2, s21
	s_sub_u32 s0, 0, s20
	s_subb_u32 s1, 0, s21
	v_mac_f32_e32 v1, 0x4f800000, v2
	v_rcp_f32_e32 v1, v1
	v_mul_f32_e32 v1, 0x5f7ffffc, v1
	v_mul_f32_e32 v2, 0x2f800000, v1
	v_trunc_f32_e32 v2, v2
	v_mac_f32_e32 v1, 0xcf800000, v2
	v_cvt_u32_f32_e32 v2, v2
	v_cvt_u32_f32_e32 v1, v1
	v_readfirstlane_b32 s13, v2
	v_readfirstlane_b32 s22, v1
	s_mul_i32 s23, s0, s13
	s_mul_hi_u32 s25, s0, s22
	s_mul_i32 s24, s1, s22
	s_add_i32 s23, s25, s23
	s_mul_i32 s28, s0, s22
	s_add_i32 s23, s23, s24
	s_mul_hi_u32 s24, s22, s23
	s_mul_i32 s25, s22, s23
	s_mul_hi_u32 s22, s22, s28
	s_add_u32 s22, s22, s25
	s_addc_u32 s24, 0, s24
	s_mul_hi_u32 s29, s13, s28
	s_mul_i32 s28, s13, s28
	s_add_u32 s22, s22, s28
	s_mul_hi_u32 s25, s13, s23
	s_addc_u32 s22, s24, s29
	s_addc_u32 s24, s25, 0
	s_mul_i32 s23, s13, s23
	s_add_u32 s22, s22, s23
	s_addc_u32 s23, 0, s24
	v_add_co_u32_e32 v1, vcc, s22, v1
	s_cmp_lg_u64 vcc, 0
	s_addc_u32 s13, s13, s23
	v_readfirstlane_b32 s23, v1
	s_mul_i32 s22, s0, s13
	s_mul_hi_u32 s24, s0, s23
	s_add_i32 s22, s24, s22
	s_mul_i32 s1, s1, s23
	s_add_i32 s22, s22, s1
	s_mul_i32 s0, s0, s23
	s_mul_hi_u32 s24, s13, s0
	s_mul_i32 s25, s13, s0
	s_mul_i32 s29, s23, s22
	s_mul_hi_u32 s0, s23, s0
	s_mul_hi_u32 s28, s23, s22
	s_add_u32 s0, s0, s29
	s_addc_u32 s23, 0, s28
	s_add_u32 s0, s0, s25
	s_mul_hi_u32 s1, s13, s22
	s_addc_u32 s0, s23, s24
	s_addc_u32 s1, s1, 0
	s_mul_i32 s22, s13, s22
	s_add_u32 s0, s0, s22
	s_addc_u32 s1, 0, s1
	v_add_co_u32_e32 v1, vcc, s0, v1
	s_cmp_lg_u64 vcc, 0
	s_addc_u32 s0, s13, s1
	v_readfirstlane_b32 s22, v1
	s_mul_i32 s13, s6, s0
	s_mul_hi_u32 s23, s6, s22
	s_mul_hi_u32 s1, s6, s0
	s_add_u32 s13, s23, s13
	s_addc_u32 s1, 0, s1
	s_mul_hi_u32 s24, s7, s22
	s_mul_i32 s22, s7, s22
	s_add_u32 s13, s13, s22
	s_mul_hi_u32 s23, s7, s0
	s_addc_u32 s1, s1, s24
	s_addc_u32 s13, s23, 0
	s_mul_i32 s0, s7, s0
	s_add_u32 s22, s1, s0
	s_addc_u32 s13, 0, s13
	s_mul_i32 s0, s20, s13
	s_mul_hi_u32 s1, s20, s22
	s_add_i32 s0, s1, s0
	s_mul_i32 s1, s21, s22
	s_add_i32 s23, s0, s1
	s_mul_i32 s1, s20, s22
	v_mov_b32_e32 v1, s1
	s_sub_i32 s0, s7, s23
	v_sub_co_u32_e32 v1, vcc, s6, v1
	s_cmp_lg_u64 vcc, 0
	s_subb_u32 s24, s0, s21
	v_subrev_co_u32_e64 v2, s[0:1], s20, v1
	s_cmp_lg_u64 s[0:1], 0
	s_subb_u32 s0, s24, 0
	s_cmp_ge_u32 s0, s21
	v_readfirstlane_b32 s24, v2
	s_cselect_b32 s1, -1, 0
	s_cmp_ge_u32 s24, s20
	s_cselect_b32 s24, -1, 0
	s_cmp_eq_u32 s0, s21
	s_cselect_b32 s0, s24, s1
	s_add_u32 s1, s22, 1
	s_addc_u32 s24, s13, 0
	s_add_u32 s25, s22, 2
	s_addc_u32 s28, s13, 0
	s_cmp_lg_u32 s0, 0
	s_cselect_b32 s0, s25, s1
	s_cselect_b32 s1, s28, s24
	s_cmp_lg_u64 vcc, 0
	s_subb_u32 s23, s7, s23
	s_cmp_ge_u32 s23, s21
	v_readfirstlane_b32 s25, v1
	s_cselect_b32 s24, -1, 0
	s_cmp_ge_u32 s25, s20
	s_cselect_b32 s25, -1, 0
	s_cmp_eq_u32 s23, s21
	s_cselect_b32 s23, s25, s24
	s_cmp_lg_u32 s23, 0
	s_cselect_b32 s23, s1, s13
	s_cselect_b32 s22, s0, s22
	s_cbranch_execnz .LBB158_14
.LBB158_13:                             ;   in Loop: Header=BB158_11 Depth=1
	v_cvt_f32_u32_e32 v1, s20
	s_sub_i32 s0, 0, s20
	s_mov_b32 s23, s12
	v_rcp_iflag_f32_e32 v1, v1
	v_mul_f32_e32 v1, 0x4f7ffffe, v1
	v_cvt_u32_f32_e32 v1, v1
	v_readfirstlane_b32 s1, v1
	s_mul_i32 s0, s0, s1
	s_mul_hi_u32 s0, s1, s0
	s_add_i32 s1, s1, s0
	s_mul_hi_u32 s0, s6, s1
	s_mul_i32 s13, s0, s20
	s_sub_i32 s13, s6, s13
	s_add_i32 s1, s0, 1
	s_sub_i32 s22, s13, s20
	s_cmp_ge_u32 s13, s20
	s_cselect_b32 s0, s1, s0
	s_cselect_b32 s13, s22, s13
	s_add_i32 s1, s0, 1
	s_cmp_ge_u32 s13, s20
	s_cselect_b32 s22, s1, s0
.LBB158_14:                             ;   in Loop: Header=BB158_11 Depth=1
	s_mul_i32 s0, s22, s21
	s_mul_hi_u32 s1, s22, s20
	s_add_i32 s13, s1, s0
	s_load_dwordx2 s[0:1], s[14:15], 0xc8
	s_mul_i32 s21, s23, s20
	s_add_i32 s13, s13, s21
	s_mul_i32 s20, s22, s20
	s_sub_u32 s6, s6, s20
	s_subb_u32 s7, s7, s13
	s_waitcnt lgkmcnt(0)
	s_mul_i32 s7, s0, s7
	s_mul_hi_u32 s13, s0, s6
	s_add_i32 s7, s13, s7
	s_mul_i32 s1, s1, s6
	s_add_i32 s7, s7, s1
	s_mul_i32 s0, s0, s6
	s_add_u32 s16, s0, s16
	s_addc_u32 s17, s7, s17
	s_add_i32 s19, s19, -1
	s_add_u32 s14, s14, -8
	s_addc_u32 s15, s15, -1
	s_cmp_gt_u32 s19, 2
	s_cbranch_scc0 .LBB158_18
; %bb.15:                               ;   in Loop: Header=BB158_11 Depth=1
	s_mov_b64 s[6:7], s[22:23]
	s_branch .LBB158_11
.LBB158_16:                             ;   in Loop: Header=BB158_11 Depth=1
                                        ; implicit-def: $sgpr22_sgpr23
	s_branch .LBB158_13
.LBB158_17:
	s_mov_b64 s[22:23], s[6:7]
.LBB158_18:
	s_mul_i32 s0, s10, s9
	s_load_dword s9, s[4:5], 0x360
	s_load_dwordx2 s[6:7], s[4:5], 0x0
	s_mul_hi_u32 s1, s10, s8
	s_add_i32 s0, s1, s0
	s_mul_i32 s1, s11, s8
	s_add_i32 s1, s0, s1
	s_waitcnt lgkmcnt(0)
	s_bitcmp1_b32 s9, 0
	s_cselect_b64 s[20:21], -1, 0
	s_mul_i32 s0, s10, s8
	s_and_b64 s[8:9], s[20:21], exec
	s_brev_b32 s9, 1
	s_cselect_b32 s8, 0, -1
	s_cselect_b32 s9, s9, 0x7fffffff
	s_lshl_b64 s[0:1], s[0:1], 3
	s_add_u32 s6, s6, s0
	s_addc_u32 s7, s7, s1
	s_lshl_b64 s[0:1], s[2:3], 3
	s_add_u32 s33, s6, s0
	s_mov_b32 s10, s8
	s_mov_b32 s11, s9
	;; [unrolled: 1-line block ×6, first 2 shown]
	v_pk_mov_b32 v[2:3], s[8:9], s[8:9] op_sel:[0,1]
	s_addc_u32 s38, s7, s1
	v_cmp_gt_u32_e64 s[0:1], s18, v0
	v_pk_mov_b32 v[4:5], s[10:11], s[10:11] op_sel:[0,1]
	v_pk_mov_b32 v[6:7], s[12:13], s[12:13] op_sel:[0,1]
	;; [unrolled: 1-line block ×4, first 2 shown]
	s_and_saveexec_b64 s[2:3], s[0:1]
	s_cbranch_execz .LBB158_20
; %bb.19:
	v_mad_u64_u32 v[2:3], s[6:7], v0, s26, 0
	v_mov_b32_e32 v4, v3
	v_mad_u64_u32 v[4:5], s[6:7], v0, s27, v[4:5]
	v_mov_b32_e32 v3, v4
	v_lshlrev_b64 v[2:3], 3, v[2:3]
	v_mov_b32_e32 v1, s38
	v_add_co_u32_e32 v2, vcc, s33, v2
	v_addc_co_u32_e32 v3, vcc, v1, v3, vcc
	global_load_dwordx2 v[10:11], v[2:3], off
	v_pk_mov_b32 v[2:3], s[8:9], s[8:9] op_sel:[0,1]
	v_pk_mov_b32 v[4:5], s[10:11], s[10:11] op_sel:[0,1]
	;; [unrolled: 1-line block ×4, first 2 shown]
.LBB158_20:
	s_or_b64 exec, exec, s[2:3]
	v_or_b32_e32 v1, 32, v0
	v_cmp_gt_u32_e64 s[2:3], s18, v1
	s_and_saveexec_b64 s[6:7], s[2:3]
	s_cbranch_execz .LBB158_22
; %bb.21:
	v_mad_u64_u32 v[2:3], s[8:9], v1, s26, 0
	v_mov_b32_e32 v4, v3
	v_mad_u64_u32 v[4:5], s[8:9], v1, s27, v[4:5]
	v_mov_b32_e32 v3, v4
	v_lshlrev_b64 v[2:3], 3, v[2:3]
	v_mov_b32_e32 v4, s38
	v_add_co_u32_e32 v2, vcc, s33, v2
	v_addc_co_u32_e32 v3, vcc, v4, v3, vcc
	global_load_dwordx2 v[4:5], v[2:3], off
.LBB158_22:
	s_or_b64 exec, exec, s[6:7]
	s_load_dwordx2 s[10:11], s[4:5], 0x288
	s_load_dwordx2 s[8:9], s[4:5], 0x1b8
	v_or_b32_e32 v19, 64, v0
	v_cmp_gt_u32_e64 s[24:25], s18, v19
	s_and_saveexec_b64 s[6:7], s[24:25]
	s_cbranch_execz .LBB158_24
; %bb.23:
	v_mad_u64_u32 v[2:3], s[12:13], v19, s26, 0
	v_mov_b32_e32 v6, v3
	v_mad_u64_u32 v[6:7], s[12:13], v19, s27, v[6:7]
	v_mov_b32_e32 v3, v6
	v_lshlrev_b64 v[2:3], 3, v[2:3]
	v_mov_b32_e32 v6, s38
	v_add_co_u32_e32 v2, vcc, s33, v2
	v_addc_co_u32_e32 v3, vcc, v6, v3, vcc
	global_load_dwordx2 v[6:7], v[2:3], off
.LBB158_24:
	s_or_b64 exec, exec, s[6:7]
	v_or_b32_e32 v20, 0x60, v0
	v_cmp_gt_u32_e64 s[6:7], s18, v20
	s_and_saveexec_b64 s[12:13], s[6:7]
	s_cbranch_execz .LBB158_26
; %bb.25:
	v_mad_u64_u32 v[2:3], s[14:15], v20, s26, 0
	v_mov_b32_e32 v8, v3
	v_mad_u64_u32 v[8:9], s[14:15], v20, s27, v[8:9]
	v_mov_b32_e32 v3, v8
	v_lshlrev_b64 v[2:3], 3, v[2:3]
	v_mov_b32_e32 v8, s38
	v_add_co_u32_e32 v2, vcc, s33, v2
	v_addc_co_u32_e32 v3, vcc, v8, v3, vcc
	global_load_dwordx2 v[8:9], v[2:3], off
.LBB158_26:
	s_or_b64 exec, exec, s[12:13]
	v_lshrrev_b32_e32 v2, 5, v1
	s_waitcnt lgkmcnt(0)
	s_mul_i32 s12, s10, s23
	s_mul_hi_u32 s13, s10, s22
	v_add_lshl_u32 v51, v2, v0, 3
	v_lshrrev_b32_e32 v2, 5, v19
	s_add_i32 s12, s13, s12
	s_mul_i32 s11, s11, s22
	v_add_lshl_u32 v52, v2, v0, 3
	v_lshrrev_b32_e32 v2, 5, v20
	s_add_i32 s11, s12, s11
	s_mul_i32 s10, s10, s22
	v_add_lshl_u32 v53, v2, v0, 3
	v_lshlrev_b32_e32 v18, 2, v0
	v_lshrrev_b32_e32 v2, 3, v0
	s_lshl_b64 s[10:11], s[10:11], 3
	v_or_b32_e32 v2, v2, v18
	s_add_u32 s10, s8, s10
	v_lshlrev_b32_e32 v50, 3, v0
	v_lshlrev_b32_e32 v54, 3, v2
	s_addc_u32 s11, s9, s11
	s_lshl_b64 s[8:9], s[16:17], 3
	s_load_dwordx2 s[4:5], s[4:5], 0x358
	s_waitcnt vmcnt(0)
	ds_write_b64 v50, v[10:11]
	ds_write_b64 v51, v[4:5] offset:256
	ds_write_b64 v52, v[6:7] offset:512
	;; [unrolled: 1-line block ×3, first 2 shown]
	s_waitcnt lgkmcnt(0)
	; wave barrier
	s_waitcnt lgkmcnt(0)
	ds_read2_b64 v[14:17], v54 offset1:1
	ds_read2_b64 v[10:13], v54 offset0:2 offset1:3
	s_add_u32 s39, s10, s8
	s_mov_b32 s8, 0
	s_addc_u32 s40, s11, s9
	s_mov_b32 s9, s8
	s_mov_b32 s10, s8
	;; [unrolled: 1-line block ×7, first 2 shown]
	v_pk_mov_b32 v[2:3], s[8:9], s[8:9] op_sel:[0,1]
	v_pk_mov_b32 v[4:5], s[10:11], s[10:11] op_sel:[0,1]
	;; [unrolled: 1-line block ×4, first 2 shown]
	v_pk_mov_b32 v[2:3], 0, 0
	s_waitcnt lgkmcnt(0)
	; wave barrier
	s_waitcnt lgkmcnt(0)
	s_and_saveexec_b64 s[8:9], s[0:1]
	s_cbranch_execnz .LBB158_46
; %bb.27:
	s_or_b64 exec, exec, s[8:9]
	s_and_saveexec_b64 s[8:9], s[2:3]
	s_cbranch_execnz .LBB158_47
.LBB158_28:
	s_or_b64 exec, exec, s[8:9]
	s_and_saveexec_b64 s[8:9], s[24:25]
	s_cbranch_execnz .LBB158_48
.LBB158_29:
	s_or_b64 exec, exec, s[8:9]
	s_xor_b64 s[28:29], s[20:21], -1
	s_and_saveexec_b64 s[8:9], s[6:7]
	s_cbranch_execz .LBB158_31
.LBB158_30:
	v_mad_u64_u32 v[8:9], s[10:11], v20, s4, 0
	v_mov_b32_e32 v22, v9
	v_mad_u64_u32 v[20:21], s[10:11], v20, s5, v[22:23]
	v_mov_b32_e32 v9, v20
	v_lshlrev_b64 v[8:9], 3, v[8:9]
	v_mov_b32_e32 v19, s40
	v_add_co_u32_e32 v8, vcc, s39, v8
	v_addc_co_u32_e32 v9, vcc, v19, v9, vcc
	global_load_dwordx2 v[8:9], v[8:9], off
.LBB158_31:
	s_or_b64 exec, exec, s[8:9]
	v_mbcnt_lo_u32_b32 v19, -1, 0
	v_mbcnt_hi_u32_b32 v19, -1, v19
	s_getpc_b64 s[8:9]
	s_add_u32 s8, s8, _ZN7rocprim17ROCPRIM_400000_NS16block_radix_sortIlLj32ELj4ElLj1ELj1ELj0ELNS0_26block_radix_rank_algorithmE1ELNS0_18block_padding_hintE2ELNS0_4arch9wavefront6targetE1EE19radix_bits_per_passE@rel32@lo+4
	s_addc_u32 s9, s9, _ZN7rocprim17ROCPRIM_400000_NS16block_radix_sortIlLj32ELj4ElLj1ELj1ELj0ELNS0_26block_radix_rank_algorithmE1ELNS0_18block_padding_hintE2ELNS0_4arch9wavefront6targetE1EE19radix_bits_per_passE@rel32@hi+12
	v_and_b32_e32 v20, 15, v19
	s_waitcnt vmcnt(0)
	ds_write_b64 v50, v[2:3]
	ds_write_b64 v51, v[4:5] offset:256
	ds_write_b64 v52, v[6:7] offset:512
	;; [unrolled: 1-line block ×3, first 2 shown]
	s_waitcnt lgkmcnt(0)
	; wave barrier
	s_waitcnt lgkmcnt(0)
	ds_read2_b64 v[2:5], v54 offset1:1
	ds_read2_b64 v[6:9], v54 offset0:2 offset1:3
	s_load_dword s41, s[8:9], 0x0
	v_cmp_eq_u32_e64 s[10:11], 0, v20
	v_cmp_lt_u32_e64 s[12:13], 1, v20
	v_cmp_lt_u32_e64 s[14:15], 3, v20
	;; [unrolled: 1-line block ×3, first 2 shown]
	v_and_b32_e32 v20, 16, v19
	v_cmp_eq_u32_e64 s[18:19], 0, v20
	v_add_u32_e32 v20, -1, v19
	v_and_b32_e32 v21, 0x60, v19
	v_cmp_lt_i32_e32 vcc, v20, v21
	s_movk_i32 s8, 0x100
	v_cndmask_b32_e32 v20, v20, v19, vcc
	v_cmp_gt_u32_e64 s[8:9], s8, v0
	v_lshlrev_b32_e32 v56, 5, v0
	s_mov_b32 s42, 0
	v_cmp_eq_u32_e64 s[20:21], 31, v0
	v_lshlrev_b32_e32 v57, 2, v20
	v_cmp_eq_u32_e64 s[22:23], 0, v19
	v_lshlrev_b32_e32 v55, 3, v18
	s_and_b64 vcc, exec, s[28:29]
	v_add_u32_e64 v58, 7, 2
	s_waitcnt lgkmcnt(0)
	; wave barrier
	s_waitcnt lgkmcnt(0)
	s_cbranch_vccz .LBB158_49
; %bb.32:
	v_xor_b32_e32 v19, 0x80000000, v15
	v_mov_b32_e32 v18, v14
	v_xor_b32_e32 v21, 0x80000000, v17
	v_mov_b32_e32 v20, v16
	;; [unrolled: 2-line block ×4, first 2 shown]
	v_and_b32_e32 v59, 14, v58
	v_mov_b32_e32 v60, 0
	s_movk_i32 s43, 0xe0
	v_pk_mov_b32 v[26:27], v[2:3], v[2:3] op_sel:[0,1]
	v_pk_mov_b32 v[28:29], v[4:5], v[4:5] op_sel:[0,1]
	v_pk_mov_b32 v[30:31], v[6:7], v[6:7] op_sel:[0,1]
	v_pk_mov_b32 v[32:33], v[8:9], v[8:9] op_sel:[0,1]
	s_branch .LBB158_34
.LBB158_33:                             ;   in Loop: Header=BB158_34 Depth=1
	v_lshlrev_b32_e32 v26, 3, v64
	v_lshlrev_b32_e32 v27, 3, v62
	v_lshlrev_b32_e32 v28, 3, v61
	v_lshlrev_b32_e32 v29, 3, v63
	s_waitcnt lgkmcnt(0)
	; wave barrier
	ds_write_b64 v26, v[48:49]
	ds_write_b64 v27, v[46:47]
	;; [unrolled: 1-line block ×4, first 2 shown]
	s_waitcnt lgkmcnt(0)
	; wave barrier
	s_waitcnt lgkmcnt(0)
	ds_read2_b64 v[18:21], v55 offset1:1
	ds_read2_b64 v[22:25], v55 offset0:2 offset1:3
	s_waitcnt lgkmcnt(0)
	; wave barrier
	s_waitcnt lgkmcnt(0)
	ds_write_b64 v26, v[40:41]
	ds_write_b64 v27, v[38:39]
	ds_write_b64 v28, v[36:37]
	ds_write_b64 v29, v[34:35]
	s_waitcnt lgkmcnt(0)
	; wave barrier
	s_waitcnt lgkmcnt(0)
	ds_read2_b64 v[26:29], v55 offset1:1
	ds_read2_b64 v[30:33], v55 offset0:2 offset1:3
	s_add_i32 s42, s42, 4
	s_waitcnt lgkmcnt(0)
	; wave barrier
	s_waitcnt lgkmcnt(0)
	s_cbranch_execz .LBB158_45
.LBB158_34:                             ; =>This Loop Header: Depth=1
                                        ;     Child Loop BB158_37 Depth 2
	v_pk_mov_b32 v[42:43], v[24:25], v[24:25] op_sel:[0,1]
	v_pk_mov_b32 v[44:45], v[22:23], v[22:23] op_sel:[0,1]
	;; [unrolled: 1-line block ×8, first 2 shown]
	s_and_saveexec_b64 s[28:29], s[8:9]
	s_cbranch_execz .LBB158_41
; %bb.35:                               ;   in Loop: Header=BB158_34 Depth=1
	s_mov_b32 s44, 0
	s_mov_b64 s[30:31], 0
	v_pk_mov_b32 v[18:19], v[0:1], v[0:1] op_sel:[0,1]
	s_branch .LBB158_37
.LBB158_36:                             ;   in Loop: Header=BB158_37 Depth=2
	s_or_b64 exec, exec, s[36:37]
	s_add_i32 s44, s44, 2
	v_cmp_eq_u32_e32 vcc, s44, v59
	v_add_u32_e32 v19, 64, v19
	s_or_b64 s[30:31], vcc, s[30:31]
	v_add_u32_e32 v18, 64, v18
	s_andn2_b64 exec, exec, s[30:31]
	s_cbranch_execz .LBB158_41
.LBB158_37:                             ;   Parent Loop BB158_34 Depth=1
                                        ; =>  This Inner Loop Header: Depth=2
	s_or_b32 s34, s44, 1
	v_cmp_le_u32_e64 s[34:35], s34, 7
	v_cmp_le_u32_e64 s[46:47], s44, 7
	s_and_saveexec_b64 s[36:37], s[46:47]
	s_cbranch_execz .LBB158_39
; %bb.38:                               ;   in Loop: Header=BB158_37 Depth=2
	v_lshlrev_b32_e32 v20, 2, v18
	ds_write_b32 v20, v60
.LBB158_39:                             ;   in Loop: Header=BB158_37 Depth=2
	s_or_b64 exec, exec, s[36:37]
	s_and_saveexec_b64 s[36:37], s[34:35]
	s_cbranch_execz .LBB158_36
; %bb.40:                               ;   in Loop: Header=BB158_37 Depth=2
	v_lshlrev_b32_e32 v20, 2, v19
	ds_write_b32 v20, v60
	s_branch .LBB158_36
.LBB158_41:                             ;   in Loop: Header=BB158_34 Depth=1
	s_or_b64 exec, exec, s[28:29]
	s_sub_i32 s28, 64, s42
	s_min_u32 s28, s41, s28
	s_lshl_b32 s28, -1, s28
	s_not_b32 s28, s28
	v_lshrrev_b64 v[18:19], s42, v[48:49]
	v_and_b32_e32 v18, s28, v18
	v_lshrrev_b32_e32 v19, 3, v18
	v_lshlrev_b32_e32 v18, 5, v18
	v_and_or_b32 v18, v18, s43, v0
	v_lshlrev_b32_e32 v18, 1, v18
	v_add_lshl_u32 v27, v18, v19, 1
	ds_read_u16 v26, v27
	v_lshrrev_b64 v[18:19], s42, v[46:47]
	v_and_b32_e32 v18, s28, v18
	s_waitcnt lgkmcnt(0)
	v_add_u16_e32 v19, 1, v26
	ds_write_b16 v27, v19
	v_lshrrev_b32_e32 v19, 3, v18
	v_lshlrev_b32_e32 v18, 5, v18
	v_and_or_b32 v18, v18, s43, v0
	v_lshlrev_b32_e32 v18, 1, v18
	v_add_lshl_u32 v29, v18, v19, 1
	ds_read_u16 v28, v29
	s_waitcnt lgkmcnt(0)
	v_add_u16_e32 v18, 1, v28
	ds_write_b16 v29, v18
	v_lshrrev_b64 v[18:19], s42, v[44:45]
	v_and_b32_e32 v18, s28, v18
	v_lshrrev_b32_e32 v19, 3, v18
	v_lshlrev_b32_e32 v18, 5, v18
	v_and_or_b32 v18, v18, s43, v0
	v_lshlrev_b32_e32 v18, 1, v18
	v_add_lshl_u32 v31, v18, v19, 1
	ds_read_u16 v30, v31
	s_waitcnt lgkmcnt(0)
	v_add_u16_e32 v18, 1, v30
	ds_write_b16 v31, v18
	v_lshrrev_b64 v[18:19], s42, v[42:43]
	v_and_b32_e32 v18, s28, v18
	v_lshrrev_b32_e32 v19, 3, v18
	v_lshlrev_b32_e32 v18, 5, v18
	v_and_or_b32 v18, v18, s43, v0
	v_lshlrev_b32_e32 v18, 1, v18
	v_add_lshl_u32 v33, v18, v19, 1
	ds_read_u16 v32, v33
	s_waitcnt lgkmcnt(0)
	v_add_u16_e32 v18, 1, v32
	ds_write_b16 v33, v18
	s_waitcnt lgkmcnt(0)
	; wave barrier
	s_waitcnt lgkmcnt(0)
	ds_read2_b32 v[24:25], v56 offset1:1
	ds_read2_b32 v[22:23], v56 offset0:2 offset1:3
	ds_read2_b32 v[18:19], v56 offset0:4 offset1:5
	;; [unrolled: 1-line block ×3, first 2 shown]
	s_waitcnt lgkmcnt(3)
	v_add_u32_e32 v61, v25, v24
	s_waitcnt lgkmcnt(2)
	v_add3_u32 v61, v61, v22, v23
	s_waitcnt lgkmcnt(1)
	v_add3_u32 v61, v61, v18, v19
	;; [unrolled: 2-line block ×3, first 2 shown]
	s_nop 1
	v_mov_b32_dpp v61, v21 row_shr:1 row_mask:0xf bank_mask:0xf
	v_cndmask_b32_e64 v61, v61, 0, s[10:11]
	v_add_u32_e32 v21, v61, v21
	s_nop 1
	v_mov_b32_dpp v61, v21 row_shr:2 row_mask:0xf bank_mask:0xf
	v_cndmask_b32_e64 v61, 0, v61, s[12:13]
	v_add_u32_e32 v21, v21, v61
	;; [unrolled: 4-line block ×4, first 2 shown]
	s_nop 1
	v_mov_b32_dpp v61, v21 row_bcast:15 row_mask:0xf bank_mask:0xf
	v_cndmask_b32_e64 v61, v61, 0, s[18:19]
	v_add_u32_e32 v21, v21, v61
	s_and_saveexec_b64 s[28:29], s[20:21]
	s_cbranch_execz .LBB158_43
; %bb.42:                               ;   in Loop: Header=BB158_34 Depth=1
	ds_write_b32 v60, v21 offset:1024
.LBB158_43:                             ;   in Loop: Header=BB158_34 Depth=1
	s_or_b64 exec, exec, s[28:29]
	ds_bpermute_b32 v21, v57, v21
	s_waitcnt lgkmcnt(0)
	; wave barrier
	s_waitcnt lgkmcnt(0)
	ds_read_b32 v61, v60 offset:1024
	s_cmp_gt_u32 s42, 59
	v_cndmask_b32_e64 v21, v21, 0, s[22:23]
	s_waitcnt lgkmcnt(0)
	v_lshl_add_u32 v21, v61, 16, v21
	v_add_u32_e32 v24, v21, v24
	v_add_u32_e32 v25, v24, v25
	ds_write2_b32 v56, v21, v24 offset1:1
	v_add_u32_e32 v21, v25, v22
	v_add_u32_e32 v22, v21, v23
	;; [unrolled: 1-line block ×5, first 2 shown]
	ds_write2_b32 v56, v25, v21 offset0:2 offset1:3
	ds_write2_b32 v56, v22, v18 offset0:4 offset1:5
	;; [unrolled: 1-line block ×3, first 2 shown]
	s_waitcnt lgkmcnt(0)
	; wave barrier
	s_waitcnt lgkmcnt(0)
	ds_read_u16 v18, v27
	ds_read_u16 v19, v29
	;; [unrolled: 1-line block ×4, first 2 shown]
	s_waitcnt lgkmcnt(3)
	v_add_u32_sdwa v64, v18, v26 dst_sel:DWORD dst_unused:UNUSED_PAD src0_sel:DWORD src1_sel:WORD_0
	s_waitcnt lgkmcnt(2)
	v_add_u32_sdwa v62, v19, v28 dst_sel:DWORD dst_unused:UNUSED_PAD src0_sel:DWORD src1_sel:WORD_0
	s_waitcnt lgkmcnt(1)
	v_add_u32_sdwa v61, v20, v30 dst_sel:DWORD dst_unused:UNUSED_PAD src0_sel:DWORD src1_sel:WORD_0
	s_waitcnt lgkmcnt(0)
	v_add_u32_sdwa v63, v21, v32 dst_sel:DWORD dst_unused:UNUSED_PAD src0_sel:DWORD src1_sel:WORD_0
	s_cbranch_scc0 .LBB158_33
; %bb.44:
                                        ; implicit-def: $vgpr24_vgpr25
                                        ; implicit-def: $vgpr20_vgpr21
                                        ; implicit-def: $vgpr32_vgpr33
                                        ; implicit-def: $vgpr28_vgpr29
                                        ; implicit-def: $sgpr42
.LBB158_45:
	v_lshlrev_b32_e32 v18, 3, v64
	v_lshlrev_b32_e32 v19, 3, v62
	;; [unrolled: 1-line block ×4, first 2 shown]
	s_waitcnt lgkmcnt(0)
	; wave barrier
	ds_write_b64 v18, v[48:49]
	ds_write_b64 v19, v[46:47]
	ds_write_b64 v20, v[44:45]
	ds_write_b64 v21, v[42:43]
	s_waitcnt lgkmcnt(0)
	; wave barrier
	s_waitcnt lgkmcnt(0)
	ds_read2_b64 v[26:29], v55 offset1:1
	ds_read2_b64 v[30:33], v55 offset0:2 offset1:3
	s_waitcnt lgkmcnt(0)
	; wave barrier
	s_waitcnt lgkmcnt(0)
	ds_write_b64 v18, v[40:41]
	ds_write_b64 v19, v[38:39]
	;; [unrolled: 1-line block ×4, first 2 shown]
	s_waitcnt lgkmcnt(0)
	; wave barrier
	s_waitcnt lgkmcnt(0)
	ds_read2_b64 v[18:21], v55 offset1:1
	ds_read2_b64 v[22:25], v55 offset0:2 offset1:3
	v_xor_b32_e32 v27, 0x80000000, v27
	v_xor_b32_e32 v29, 0x80000000, v29
	;; [unrolled: 1-line block ×4, first 2 shown]
	s_branch .LBB158_64
.LBB158_46:
	v_mad_u64_u32 v[2:3], s[10:11], v0, s4, 0
	v_mov_b32_e32 v4, v3
	v_mad_u64_u32 v[4:5], s[10:11], v0, s5, v[4:5]
	v_mov_b32_e32 v3, v4
	v_lshlrev_b64 v[2:3], 3, v[2:3]
	v_mov_b32_e32 v4, s40
	v_add_co_u32_e32 v2, vcc, s39, v2
	v_addc_co_u32_e32 v3, vcc, v4, v3, vcc
	global_load_dwordx2 v[2:3], v[2:3], off
	v_mov_b32_e32 v4, 0
	v_mov_b32_e32 v5, v4
	;; [unrolled: 1-line block ×6, first 2 shown]
	s_or_b64 exec, exec, s[8:9]
	s_and_saveexec_b64 s[8:9], s[2:3]
	s_cbranch_execz .LBB158_28
.LBB158_47:
	v_mad_u64_u32 v[4:5], s[10:11], v1, s4, 0
	v_mov_b32_e32 v22, v5
	v_mad_u64_u32 v[22:23], s[10:11], v1, s5, v[22:23]
	v_mov_b32_e32 v5, v22
	v_lshlrev_b64 v[4:5], 3, v[4:5]
	v_mov_b32_e32 v21, s40
	v_add_co_u32_e32 v4, vcc, s39, v4
	v_addc_co_u32_e32 v5, vcc, v21, v5, vcc
	global_load_dwordx2 v[4:5], v[4:5], off
	s_or_b64 exec, exec, s[8:9]
	s_and_saveexec_b64 s[8:9], s[24:25]
	s_cbranch_execz .LBB158_29
.LBB158_48:
	v_mad_u64_u32 v[6:7], s[10:11], v19, s4, 0
	v_mov_b32_e32 v22, v7
	v_mad_u64_u32 v[22:23], s[10:11], v19, s5, v[22:23]
	v_mov_b32_e32 v7, v22
	v_lshlrev_b64 v[6:7], 3, v[6:7]
	v_mov_b32_e32 v19, s40
	v_add_co_u32_e32 v6, vcc, s39, v6
	v_addc_co_u32_e32 v7, vcc, v19, v7, vcc
	global_load_dwordx2 v[6:7], v[6:7], off
	s_or_b64 exec, exec, s[8:9]
	s_xor_b64 s[28:29], s[20:21], -1
	s_and_saveexec_b64 s[8:9], s[6:7]
	s_cbranch_execnz .LBB158_30
	s_branch .LBB158_31
.LBB158_49:
                                        ; implicit-def: $vgpr32_vgpr33
                                        ; implicit-def: $vgpr28_vgpr29
                                        ; implicit-def: $vgpr24_vgpr25
                                        ; implicit-def: $vgpr20_vgpr21
	s_cbranch_execz .LBB158_64
; %bb.50:
	v_xor_b32_e32 v15, 0x7fffffff, v15
	v_xor_b32_e32 v14, -1, v14
	v_xor_b32_e32 v17, 0x7fffffff, v17
	v_xor_b32_e32 v16, -1, v16
	;; [unrolled: 2-line block ×4, first 2 shown]
	v_and_b32_e32 v34, 14, v58
	s_mov_b32 s43, 0
	v_mov_b32_e32 v35, 0
	s_movk_i32 s42, 0xe0
	s_branch .LBB158_52
.LBB158_51:                             ;   in Loop: Header=BB158_52 Depth=1
	v_lshlrev_b32_e32 v2, 3, v39
	v_lshlrev_b32_e32 v3, 3, v37
	;; [unrolled: 1-line block ×4, first 2 shown]
	s_waitcnt lgkmcnt(0)
	; wave barrier
	ds_write_b64 v2, v[32:33]
	ds_write_b64 v3, v[30:31]
	;; [unrolled: 1-line block ×4, first 2 shown]
	s_waitcnt lgkmcnt(0)
	; wave barrier
	s_waitcnt lgkmcnt(0)
	ds_read2_b64 v[14:17], v55 offset1:1
	ds_read2_b64 v[10:13], v55 offset0:2 offset1:3
	s_waitcnt lgkmcnt(0)
	; wave barrier
	s_waitcnt lgkmcnt(0)
	ds_write_b64 v2, v[24:25]
	ds_write_b64 v3, v[22:23]
	;; [unrolled: 1-line block ×4, first 2 shown]
	s_waitcnt lgkmcnt(0)
	; wave barrier
	s_waitcnt lgkmcnt(0)
	ds_read2_b64 v[2:5], v55 offset1:1
	ds_read2_b64 v[6:9], v55 offset0:2 offset1:3
	s_add_i32 s43, s43, 4
	s_waitcnt lgkmcnt(0)
	; wave barrier
	s_waitcnt lgkmcnt(0)
	s_cbranch_execz .LBB158_63
.LBB158_52:                             ; =>This Loop Header: Depth=1
                                        ;     Child Loop BB158_55 Depth 2
	v_pk_mov_b32 v[26:27], v[12:13], v[12:13] op_sel:[0,1]
	v_pk_mov_b32 v[28:29], v[10:11], v[10:11] op_sel:[0,1]
	;; [unrolled: 1-line block ×4, first 2 shown]
	s_waitcnt lgkmcnt(1)
	v_pk_mov_b32 v[18:19], v[8:9], v[8:9] op_sel:[0,1]
	v_pk_mov_b32 v[20:21], v[6:7], v[6:7] op_sel:[0,1]
	s_waitcnt lgkmcnt(0)
	v_pk_mov_b32 v[22:23], v[4:5], v[4:5] op_sel:[0,1]
	v_pk_mov_b32 v[24:25], v[2:3], v[2:3] op_sel:[0,1]
	s_and_saveexec_b64 s[28:29], s[8:9]
	s_cbranch_execz .LBB158_59
; %bb.53:                               ;   in Loop: Header=BB158_52 Depth=1
	s_mov_b32 s44, 0
	s_mov_b64 s[30:31], 0
	v_pk_mov_b32 v[2:3], v[0:1], v[0:1] op_sel:[0,1]
	s_branch .LBB158_55
.LBB158_54:                             ;   in Loop: Header=BB158_55 Depth=2
	s_or_b64 exec, exec, s[36:37]
	s_add_i32 s44, s44, 2
	v_cmp_eq_u32_e32 vcc, s44, v34
	v_add_u32_e32 v3, 64, v3
	s_or_b64 s[30:31], vcc, s[30:31]
	v_add_u32_e32 v2, 64, v2
	s_andn2_b64 exec, exec, s[30:31]
	s_cbranch_execz .LBB158_59
.LBB158_55:                             ;   Parent Loop BB158_52 Depth=1
                                        ; =>  This Inner Loop Header: Depth=2
	s_or_b32 s34, s44, 1
	v_cmp_le_u32_e64 s[34:35], s34, 7
	v_cmp_le_u32_e64 s[46:47], s44, 7
	s_and_saveexec_b64 s[36:37], s[46:47]
	s_cbranch_execz .LBB158_57
; %bb.56:                               ;   in Loop: Header=BB158_55 Depth=2
	v_lshlrev_b32_e32 v4, 2, v2
	ds_write_b32 v4, v35
.LBB158_57:                             ;   in Loop: Header=BB158_55 Depth=2
	s_or_b64 exec, exec, s[36:37]
	s_and_saveexec_b64 s[36:37], s[34:35]
	s_cbranch_execz .LBB158_54
; %bb.58:                               ;   in Loop: Header=BB158_55 Depth=2
	v_lshlrev_b32_e32 v4, 2, v3
	ds_write_b32 v4, v35
	s_branch .LBB158_54
.LBB158_59:                             ;   in Loop: Header=BB158_52 Depth=1
	s_or_b64 exec, exec, s[28:29]
	s_sub_i32 s28, 64, s43
	s_min_u32 s28, s41, s28
	s_lshl_b32 s28, -1, s28
	s_not_b32 s28, s28
	v_lshrrev_b64 v[2:3], s43, v[32:33]
	v_and_b32_e32 v2, s28, v2
	v_lshrrev_b32_e32 v3, 3, v2
	v_lshlrev_b32_e32 v2, 5, v2
	v_and_or_b32 v2, v2, s42, v0
	v_lshlrev_b32_e32 v2, 1, v2
	v_add_lshl_u32 v11, v2, v3, 1
	ds_read_u16 v10, v11
	v_lshrrev_b64 v[2:3], s43, v[30:31]
	v_and_b32_e32 v2, s28, v2
	s_waitcnt lgkmcnt(0)
	v_add_u16_e32 v3, 1, v10
	ds_write_b16 v11, v3
	v_lshrrev_b32_e32 v3, 3, v2
	v_lshlrev_b32_e32 v2, 5, v2
	v_and_or_b32 v2, v2, s42, v0
	v_lshlrev_b32_e32 v2, 1, v2
	v_add_lshl_u32 v13, v2, v3, 1
	ds_read_u16 v12, v13
	s_waitcnt lgkmcnt(0)
	v_add_u16_e32 v2, 1, v12
	ds_write_b16 v13, v2
	v_lshrrev_b64 v[2:3], s43, v[28:29]
	v_and_b32_e32 v2, s28, v2
	v_lshrrev_b32_e32 v3, 3, v2
	v_lshlrev_b32_e32 v2, 5, v2
	v_and_or_b32 v2, v2, s42, v0
	v_lshlrev_b32_e32 v2, 1, v2
	v_add_lshl_u32 v15, v2, v3, 1
	ds_read_u16 v14, v15
	s_waitcnt lgkmcnt(0)
	v_add_u16_e32 v2, 1, v14
	ds_write_b16 v15, v2
	v_lshrrev_b64 v[2:3], s43, v[26:27]
	v_and_b32_e32 v2, s28, v2
	v_lshrrev_b32_e32 v3, 3, v2
	v_lshlrev_b32_e32 v2, 5, v2
	v_and_or_b32 v2, v2, s42, v0
	v_lshlrev_b32_e32 v2, 1, v2
	v_add_lshl_u32 v17, v2, v3, 1
	ds_read_u16 v16, v17
	s_waitcnt lgkmcnt(0)
	v_add_u16_e32 v2, 1, v16
	ds_write_b16 v17, v2
	s_waitcnt lgkmcnt(0)
	; wave barrier
	s_waitcnt lgkmcnt(0)
	ds_read2_b32 v[8:9], v56 offset1:1
	ds_read2_b32 v[6:7], v56 offset0:2 offset1:3
	ds_read2_b32 v[2:3], v56 offset0:4 offset1:5
	;; [unrolled: 1-line block ×3, first 2 shown]
	s_waitcnt lgkmcnt(3)
	v_add_u32_e32 v36, v9, v8
	s_waitcnt lgkmcnt(2)
	v_add3_u32 v36, v36, v6, v7
	s_waitcnt lgkmcnt(1)
	v_add3_u32 v36, v36, v2, v3
	;; [unrolled: 2-line block ×3, first 2 shown]
	s_nop 1
	v_mov_b32_dpp v36, v5 row_shr:1 row_mask:0xf bank_mask:0xf
	v_cndmask_b32_e64 v36, v36, 0, s[10:11]
	v_add_u32_e32 v5, v36, v5
	s_nop 1
	v_mov_b32_dpp v36, v5 row_shr:2 row_mask:0xf bank_mask:0xf
	v_cndmask_b32_e64 v36, 0, v36, s[12:13]
	v_add_u32_e32 v5, v5, v36
	;; [unrolled: 4-line block ×4, first 2 shown]
	s_nop 1
	v_mov_b32_dpp v36, v5 row_bcast:15 row_mask:0xf bank_mask:0xf
	v_cndmask_b32_e64 v36, v36, 0, s[18:19]
	v_add_u32_e32 v5, v5, v36
	s_and_saveexec_b64 s[28:29], s[20:21]
	s_cbranch_execz .LBB158_61
; %bb.60:                               ;   in Loop: Header=BB158_52 Depth=1
	ds_write_b32 v35, v5 offset:1024
.LBB158_61:                             ;   in Loop: Header=BB158_52 Depth=1
	s_or_b64 exec, exec, s[28:29]
	ds_bpermute_b32 v5, v57, v5
	s_waitcnt lgkmcnt(0)
	; wave barrier
	s_waitcnt lgkmcnt(0)
	ds_read_b32 v36, v35 offset:1024
	s_cmp_gt_u32 s43, 59
	v_cndmask_b32_e64 v5, v5, 0, s[22:23]
	s_waitcnt lgkmcnt(0)
	v_lshl_add_u32 v5, v36, 16, v5
	v_add_u32_e32 v8, v5, v8
	v_add_u32_e32 v9, v8, v9
	ds_write2_b32 v56, v5, v8 offset1:1
	v_add_u32_e32 v5, v9, v6
	v_add_u32_e32 v6, v5, v7
	;; [unrolled: 1-line block ×5, first 2 shown]
	ds_write2_b32 v56, v9, v5 offset0:2 offset1:3
	ds_write2_b32 v56, v6, v2 offset0:4 offset1:5
	;; [unrolled: 1-line block ×3, first 2 shown]
	s_waitcnt lgkmcnt(0)
	; wave barrier
	s_waitcnt lgkmcnt(0)
	ds_read_u16 v2, v11
	ds_read_u16 v3, v13
	;; [unrolled: 1-line block ×4, first 2 shown]
	s_waitcnt lgkmcnt(3)
	v_add_u32_sdwa v39, v2, v10 dst_sel:DWORD dst_unused:UNUSED_PAD src0_sel:DWORD src1_sel:WORD_0
	s_waitcnt lgkmcnt(2)
	v_add_u32_sdwa v37, v3, v12 dst_sel:DWORD dst_unused:UNUSED_PAD src0_sel:DWORD src1_sel:WORD_0
	s_waitcnt lgkmcnt(1)
	v_add_u32_sdwa v36, v4, v14 dst_sel:DWORD dst_unused:UNUSED_PAD src0_sel:DWORD src1_sel:WORD_0
	s_waitcnt lgkmcnt(0)
	v_add_u32_sdwa v38, v5, v16 dst_sel:DWORD dst_unused:UNUSED_PAD src0_sel:DWORD src1_sel:WORD_0
	s_cbranch_scc0 .LBB158_51
; %bb.62:
                                        ; implicit-def: $vgpr12_vgpr13
                                        ; implicit-def: $vgpr16_vgpr17
                                        ; implicit-def: $vgpr8_vgpr9
                                        ; implicit-def: $vgpr4_vgpr5
                                        ; implicit-def: $sgpr43
.LBB158_63:
	v_lshlrev_b32_e32 v1, 3, v39
	v_lshlrev_b32_e32 v10, 3, v37
	;; [unrolled: 1-line block ×4, first 2 shown]
	s_waitcnt lgkmcnt(0)
	; wave barrier
	ds_write_b64 v1, v[32:33]
	ds_write_b64 v10, v[30:31]
	;; [unrolled: 1-line block ×4, first 2 shown]
	s_waitcnt lgkmcnt(0)
	; wave barrier
	s_waitcnt lgkmcnt(0)
	ds_read2_b64 v[2:5], v55 offset1:1
	ds_read2_b64 v[6:9], v55 offset0:2 offset1:3
	s_waitcnt lgkmcnt(0)
	; wave barrier
	s_waitcnt lgkmcnt(0)
	ds_write_b64 v1, v[24:25]
	ds_write_b64 v10, v[22:23]
	;; [unrolled: 1-line block ×4, first 2 shown]
	s_waitcnt lgkmcnt(0)
	; wave barrier
	s_waitcnt lgkmcnt(0)
	ds_read2_b64 v[18:21], v55 offset1:1
	ds_read2_b64 v[22:25], v55 offset0:2 offset1:3
	v_xor_b32_e32 v27, 0x7fffffff, v3
	v_xor_b32_e32 v26, -1, v2
	v_xor_b32_e32 v29, 0x7fffffff, v5
	v_xor_b32_e32 v28, -1, v4
	;; [unrolled: 2-line block ×4, first 2 shown]
.LBB158_64:
	v_mad_u64_u32 v[6:7], s[8:9], v0, s26, 0
	s_waitcnt lgkmcnt(0)
	; wave barrier
	s_waitcnt lgkmcnt(0)
	ds_write2_b64 v54, v[26:27], v[28:29] offset1:1
	ds_write2_b64 v54, v[30:31], v[32:33] offset0:2 offset1:3
	s_waitcnt lgkmcnt(0)
	; wave barrier
	s_waitcnt lgkmcnt(0)
	ds_read_b64 v[8:9], v51 offset:256
	ds_read_b64 v[4:5], v52 offset:512
	;; [unrolled: 1-line block ×3, first 2 shown]
	v_mov_b32_e32 v10, v7
	v_mad_u64_u32 v[10:11], s[8:9], v0, s27, v[10:11]
	v_mov_b32_e32 v7, v10
	v_lshlrev_b64 v[6:7], 3, v[6:7]
	v_mov_b32_e32 v1, s38
	v_add_co_u32_e32 v6, vcc, s33, v6
	v_addc_co_u32_e32 v7, vcc, v1, v7, vcc
	s_and_saveexec_b64 s[8:9], s[0:1]
	s_cbranch_execnz .LBB158_75
; %bb.65:
	s_or_b64 exec, exec, s[8:9]
	s_and_saveexec_b64 s[8:9], s[2:3]
	s_cbranch_execnz .LBB158_76
.LBB158_66:
	s_or_b64 exec, exec, s[8:9]
	s_and_saveexec_b64 s[8:9], s[24:25]
	s_cbranch_execnz .LBB158_77
.LBB158_67:
	s_or_b64 exec, exec, s[8:9]
	s_and_saveexec_b64 s[8:9], s[6:7]
	s_cbranch_execz .LBB158_69
.LBB158_68:
	v_mov_b32_e32 v1, 0x300
	s_waitcnt lgkmcnt(1)
	v_mad_u64_u32 v[4:5], s[10:11], s26, v1, v[6:7]
	s_mul_i32 s10, s27, 0x300
	v_add_u32_e32 v5, s10, v5
	s_waitcnt lgkmcnt(0)
	global_store_dwordx2 v[4:5], v[2:3], off
.LBB158_69:
	s_or_b64 exec, exec, s[8:9]
	s_waitcnt lgkmcnt(2)
	v_mad_u64_u32 v[8:9], s[8:9], v0, s4, 0
	s_waitcnt lgkmcnt(0)
	; wave barrier
	s_waitcnt lgkmcnt(0)
	ds_write2_b64 v54, v[18:19], v[20:21] offset1:1
	ds_write2_b64 v54, v[22:23], v[24:25] offset0:2 offset1:3
	s_waitcnt lgkmcnt(0)
	; wave barrier
	s_waitcnt lgkmcnt(0)
	ds_read_b64 v[6:7], v51 offset:256
	ds_read_b64 v[4:5], v52 offset:512
	;; [unrolled: 1-line block ×3, first 2 shown]
	v_mov_b32_e32 v10, v9
	v_mad_u64_u32 v[0:1], s[8:9], v0, s5, v[10:11]
	v_mov_b32_e32 v9, v0
	v_lshlrev_b64 v[0:1], 3, v[8:9]
	v_mov_b32_e32 v8, s40
	v_add_co_u32_e32 v0, vcc, s39, v0
	v_addc_co_u32_e32 v1, vcc, v8, v1, vcc
	s_and_saveexec_b64 s[8:9], s[0:1]
	s_cbranch_execnz .LBB158_78
; %bb.70:
	s_or_b64 exec, exec, s[8:9]
	s_and_saveexec_b64 s[0:1], s[2:3]
	s_cbranch_execnz .LBB158_79
.LBB158_71:
	s_or_b64 exec, exec, s[0:1]
	s_and_saveexec_b64 s[0:1], s[24:25]
	s_cbranch_execnz .LBB158_80
.LBB158_72:
	s_or_b64 exec, exec, s[0:1]
	s_and_saveexec_b64 s[0:1], s[6:7]
	s_cbranch_execz .LBB158_74
.LBB158_73:
	s_waitcnt lgkmcnt(1)
	v_mov_b32_e32 v4, 0x300
	v_mad_u64_u32 v[0:1], s[0:1], s4, v4, v[0:1]
	s_mul_i32 s0, s5, 0x300
	v_add_u32_e32 v1, s0, v1
	s_waitcnt lgkmcnt(0)
	global_store_dwordx2 v[0:1], v[2:3], off
.LBB158_74:
	s_endpgm
.LBB158_75:
	ds_read_b64 v[10:11], v50
	s_waitcnt lgkmcnt(0)
	global_store_dwordx2 v[6:7], v[10:11], off
	s_or_b64 exec, exec, s[8:9]
	s_and_saveexec_b64 s[8:9], s[2:3]
	s_cbranch_execz .LBB158_66
.LBB158_76:
	s_lshl_b64 s[10:11], s[26:27], 8
	v_mov_b32_e32 v1, s11
	v_add_co_u32_e32 v10, vcc, s10, v6
	v_addc_co_u32_e32 v11, vcc, v7, v1, vcc
	s_waitcnt lgkmcnt(2)
	global_store_dwordx2 v[10:11], v[8:9], off
	s_or_b64 exec, exec, s[8:9]
	s_and_saveexec_b64 s[8:9], s[24:25]
	s_cbranch_execz .LBB158_67
.LBB158_77:
	s_lshl_b64 s[10:11], s[26:27], 9
	v_mov_b32_e32 v1, s11
	s_waitcnt lgkmcnt(2)
	v_add_co_u32_e32 v8, vcc, s10, v6
	v_addc_co_u32_e32 v9, vcc, v7, v1, vcc
	s_waitcnt lgkmcnt(1)
	global_store_dwordx2 v[8:9], v[4:5], off
	s_or_b64 exec, exec, s[8:9]
	s_and_saveexec_b64 s[8:9], s[6:7]
	s_cbranch_execnz .LBB158_68
	s_branch .LBB158_69
.LBB158_78:
	ds_read_b64 v[8:9], v50
	s_waitcnt lgkmcnt(0)
	global_store_dwordx2 v[0:1], v[8:9], off
	s_or_b64 exec, exec, s[8:9]
	s_and_saveexec_b64 s[0:1], s[2:3]
	s_cbranch_execz .LBB158_71
.LBB158_79:
	s_lshl_b64 s[2:3], s[4:5], 8
	v_mov_b32_e32 v9, s3
	v_add_co_u32_e32 v8, vcc, s2, v0
	v_addc_co_u32_e32 v9, vcc, v1, v9, vcc
	s_waitcnt lgkmcnt(2)
	global_store_dwordx2 v[8:9], v[6:7], off
	s_or_b64 exec, exec, s[0:1]
	s_and_saveexec_b64 s[0:1], s[24:25]
	s_cbranch_execz .LBB158_72
.LBB158_80:
	s_lshl_b64 s[2:3], s[4:5], 9
	s_waitcnt lgkmcnt(2)
	v_mov_b32_e32 v7, s3
	v_add_co_u32_e32 v6, vcc, s2, v0
	v_addc_co_u32_e32 v7, vcc, v1, v7, vcc
	s_waitcnt lgkmcnt(1)
	global_store_dwordx2 v[6:7], v[4:5], off
	s_or_b64 exec, exec, s[0:1]
	s_and_saveexec_b64 s[0:1], s[6:7]
	s_cbranch_execnz .LBB158_73
	s_branch .LBB158_74
	.section	.rodata,"a",@progbits
	.p2align	6, 0x0
	.amdhsa_kernel _ZN2at6native18radixSortKVInPlaceILin1ELin1ELi32ELi4EllmEEvNS_4cuda6detail10TensorInfoIT3_T5_EES6_S6_S6_NS4_IT4_S6_EES6_b
		.amdhsa_group_segment_fixed_size 1056
		.amdhsa_private_segment_fixed_size 0
		.amdhsa_kernarg_size 1128
		.amdhsa_user_sgpr_count 6
		.amdhsa_user_sgpr_private_segment_buffer 1
		.amdhsa_user_sgpr_dispatch_ptr 0
		.amdhsa_user_sgpr_queue_ptr 0
		.amdhsa_user_sgpr_kernarg_segment_ptr 1
		.amdhsa_user_sgpr_dispatch_id 0
		.amdhsa_user_sgpr_flat_scratch_init 0
		.amdhsa_user_sgpr_kernarg_preload_length 0
		.amdhsa_user_sgpr_kernarg_preload_offset 0
		.amdhsa_user_sgpr_private_segment_size 0
		.amdhsa_uses_dynamic_stack 0
		.amdhsa_system_sgpr_private_segment_wavefront_offset 0
		.amdhsa_system_sgpr_workgroup_id_x 1
		.amdhsa_system_sgpr_workgroup_id_y 1
		.amdhsa_system_sgpr_workgroup_id_z 1
		.amdhsa_system_sgpr_workgroup_info 0
		.amdhsa_system_vgpr_workitem_id 0
		.amdhsa_next_free_vgpr 65
		.amdhsa_next_free_sgpr 48
		.amdhsa_accum_offset 68
		.amdhsa_reserve_vcc 1
		.amdhsa_reserve_flat_scratch 0
		.amdhsa_float_round_mode_32 0
		.amdhsa_float_round_mode_16_64 0
		.amdhsa_float_denorm_mode_32 3
		.amdhsa_float_denorm_mode_16_64 3
		.amdhsa_dx10_clamp 1
		.amdhsa_ieee_mode 1
		.amdhsa_fp16_overflow 0
		.amdhsa_tg_split 0
		.amdhsa_exception_fp_ieee_invalid_op 0
		.amdhsa_exception_fp_denorm_src 0
		.amdhsa_exception_fp_ieee_div_zero 0
		.amdhsa_exception_fp_ieee_overflow 0
		.amdhsa_exception_fp_ieee_underflow 0
		.amdhsa_exception_fp_ieee_inexact 0
		.amdhsa_exception_int_div_zero 0
	.end_amdhsa_kernel
	.section	.text._ZN2at6native18radixSortKVInPlaceILin1ELin1ELi32ELi4EllmEEvNS_4cuda6detail10TensorInfoIT3_T5_EES6_S6_S6_NS4_IT4_S6_EES6_b,"axG",@progbits,_ZN2at6native18radixSortKVInPlaceILin1ELin1ELi32ELi4EllmEEvNS_4cuda6detail10TensorInfoIT3_T5_EES6_S6_S6_NS4_IT4_S6_EES6_b,comdat
.Lfunc_end158:
	.size	_ZN2at6native18radixSortKVInPlaceILin1ELin1ELi32ELi4EllmEEvNS_4cuda6detail10TensorInfoIT3_T5_EES6_S6_S6_NS4_IT4_S6_EES6_b, .Lfunc_end158-_ZN2at6native18radixSortKVInPlaceILin1ELin1ELi32ELi4EllmEEvNS_4cuda6detail10TensorInfoIT3_T5_EES6_S6_S6_NS4_IT4_S6_EES6_b
                                        ; -- End function
	.section	.AMDGPU.csdata,"",@progbits
; Kernel info:
; codeLenInByte = 6232
; NumSgprs: 52
; NumVgprs: 65
; NumAgprs: 0
; TotalNumVgprs: 65
; ScratchSize: 0
; MemoryBound: 0
; FloatMode: 240
; IeeeMode: 1
; LDSByteSize: 1056 bytes/workgroup (compile time only)
; SGPRBlocks: 6
; VGPRBlocks: 8
; NumSGPRsForWavesPerEU: 52
; NumVGPRsForWavesPerEU: 65
; AccumOffset: 68
; Occupancy: 7
; WaveLimiterHint : 1
; COMPUTE_PGM_RSRC2:SCRATCH_EN: 0
; COMPUTE_PGM_RSRC2:USER_SGPR: 6
; COMPUTE_PGM_RSRC2:TRAP_HANDLER: 0
; COMPUTE_PGM_RSRC2:TGID_X_EN: 1
; COMPUTE_PGM_RSRC2:TGID_Y_EN: 1
; COMPUTE_PGM_RSRC2:TGID_Z_EN: 1
; COMPUTE_PGM_RSRC2:TIDIG_COMP_CNT: 0
; COMPUTE_PGM_RSRC3_GFX90A:ACCUM_OFFSET: 16
; COMPUTE_PGM_RSRC3_GFX90A:TG_SPLIT: 0
	.section	.text._ZN2at6native18radixSortKVInPlaceILin1ELin1ELi16ELi2EllmEEvNS_4cuda6detail10TensorInfoIT3_T5_EES6_S6_S6_NS4_IT4_S6_EES6_b,"axG",@progbits,_ZN2at6native18radixSortKVInPlaceILin1ELin1ELi16ELi2EllmEEvNS_4cuda6detail10TensorInfoIT3_T5_EES6_S6_S6_NS4_IT4_S6_EES6_b,comdat
	.protected	_ZN2at6native18radixSortKVInPlaceILin1ELin1ELi16ELi2EllmEEvNS_4cuda6detail10TensorInfoIT3_T5_EES6_S6_S6_NS4_IT4_S6_EES6_b ; -- Begin function _ZN2at6native18radixSortKVInPlaceILin1ELin1ELi16ELi2EllmEEvNS_4cuda6detail10TensorInfoIT3_T5_EES6_S6_S6_NS4_IT4_S6_EES6_b
	.globl	_ZN2at6native18radixSortKVInPlaceILin1ELin1ELi16ELi2EllmEEvNS_4cuda6detail10TensorInfoIT3_T5_EES6_S6_S6_NS4_IT4_S6_EES6_b
	.p2align	8
	.type	_ZN2at6native18radixSortKVInPlaceILin1ELin1ELi16ELi2EllmEEvNS_4cuda6detail10TensorInfoIT3_T5_EES6_S6_S6_NS4_IT4_S6_EES6_b,@function
_ZN2at6native18radixSortKVInPlaceILin1ELin1ELi16ELi2EllmEEvNS_4cuda6detail10TensorInfoIT3_T5_EES6_S6_S6_NS4_IT4_S6_EES6_b: ; @_ZN2at6native18radixSortKVInPlaceILin1ELin1ELi16ELi2EllmEEvNS_4cuda6detail10TensorInfoIT3_T5_EES6_S6_S6_NS4_IT4_S6_EES6_b
; %bb.0:
	s_load_dwordx4 s[0:3], s[4:5], 0x1a0
	s_load_dwordx2 s[10:11], s[4:5], 0x368
	s_mov_b32 s9, 0
	s_waitcnt lgkmcnt(0)
	v_mov_b32_e32 v2, s0
	s_mul_i32 s0, s11, s8
	s_add_i32 s0, s0, s7
	s_mul_i32 s0, s0, s10
	v_mov_b32_e32 v3, s1
	s_add_i32 s8, s0, s6
	v_cmp_ge_u64_e32 vcc, s[8:9], v[2:3]
	s_cbranch_vccnz .LBB159_64
; %bb.1:
	s_load_dword s0, s[4:5], 0x198
	s_load_dwordx2 s[18:19], s[4:5], 0x1b0
	s_mov_b64 s[6:7], 0
	s_mov_b64 s[10:11], s[8:9]
	s_waitcnt lgkmcnt(0)
	s_cmp_lt_i32 s0, 2
	s_cbranch_scc1 .LBB159_9
; %bb.2:
	s_mov_b32 s12, 0
	s_add_i32 s3, s0, 1
	s_add_i32 s0, s0, -1
	s_mov_b32 s1, s12
	s_lshl_b64 s[0:1], s[0:1], 3
	s_add_u32 s0, s0, s4
	s_addc_u32 s1, s1, s5
	s_add_u32 s14, s0, 8
	s_addc_u32 s15, s1, 0
	s_mov_b64 s[16:17], s[8:9]
.LBB159_3:                              ; =>This Inner Loop Header: Depth=1
	s_load_dwordx2 s[20:21], s[14:15], 0x0
	s_waitcnt lgkmcnt(0)
	s_or_b64 s[0:1], s[16:17], s[20:21]
	s_mov_b32 s13, s1
	s_cmp_lg_u64 s[12:13], 0
	s_cbranch_scc0 .LBB159_8
; %bb.4:                                ;   in Loop: Header=BB159_3 Depth=1
	v_cvt_f32_u32_e32 v1, s20
	v_cvt_f32_u32_e32 v2, s21
	s_sub_u32 s0, 0, s20
	s_subb_u32 s1, 0, s21
	v_mac_f32_e32 v1, 0x4f800000, v2
	v_rcp_f32_e32 v1, v1
	v_mul_f32_e32 v1, 0x5f7ffffc, v1
	v_mul_f32_e32 v2, 0x2f800000, v1
	v_trunc_f32_e32 v2, v2
	v_mac_f32_e32 v1, 0xcf800000, v2
	v_cvt_u32_f32_e32 v2, v2
	v_cvt_u32_f32_e32 v1, v1
	v_readfirstlane_b32 s10, v2
	v_readfirstlane_b32 s11, v1
	s_mul_i32 s13, s0, s10
	s_mul_hi_u32 s23, s0, s11
	s_mul_i32 s22, s1, s11
	s_add_i32 s13, s23, s13
	s_mul_i32 s24, s0, s11
	s_add_i32 s13, s13, s22
	s_mul_hi_u32 s22, s11, s13
	s_mul_i32 s23, s11, s13
	s_mul_hi_u32 s11, s11, s24
	s_add_u32 s11, s11, s23
	s_addc_u32 s22, 0, s22
	s_mul_hi_u32 s25, s10, s24
	s_mul_i32 s24, s10, s24
	s_add_u32 s11, s11, s24
	s_mul_hi_u32 s23, s10, s13
	s_addc_u32 s11, s22, s25
	s_addc_u32 s22, s23, 0
	s_mul_i32 s13, s10, s13
	s_add_u32 s11, s11, s13
	s_addc_u32 s13, 0, s22
	v_add_co_u32_e32 v1, vcc, s11, v1
	s_cmp_lg_u64 vcc, 0
	s_addc_u32 s10, s10, s13
	v_readfirstlane_b32 s13, v1
	s_mul_i32 s11, s0, s10
	s_mul_hi_u32 s22, s0, s13
	s_add_i32 s11, s22, s11
	s_mul_i32 s1, s1, s13
	s_add_i32 s11, s11, s1
	s_mul_i32 s0, s0, s13
	s_mul_hi_u32 s22, s10, s0
	s_mul_i32 s23, s10, s0
	s_mul_i32 s25, s13, s11
	s_mul_hi_u32 s0, s13, s0
	s_mul_hi_u32 s24, s13, s11
	s_add_u32 s0, s0, s25
	s_addc_u32 s13, 0, s24
	s_add_u32 s0, s0, s23
	s_mul_hi_u32 s1, s10, s11
	s_addc_u32 s0, s13, s22
	s_addc_u32 s1, s1, 0
	s_mul_i32 s11, s10, s11
	s_add_u32 s0, s0, s11
	s_addc_u32 s1, 0, s1
	v_add_co_u32_e32 v1, vcc, s0, v1
	s_cmp_lg_u64 vcc, 0
	s_addc_u32 s0, s10, s1
	v_readfirstlane_b32 s11, v1
	s_mul_i32 s10, s16, s0
	s_mul_hi_u32 s13, s16, s11
	s_mul_hi_u32 s1, s16, s0
	s_add_u32 s10, s13, s10
	s_addc_u32 s1, 0, s1
	s_mul_hi_u32 s22, s17, s11
	s_mul_i32 s11, s17, s11
	s_add_u32 s10, s10, s11
	s_mul_hi_u32 s13, s17, s0
	s_addc_u32 s1, s1, s22
	s_addc_u32 s10, s13, 0
	s_mul_i32 s0, s17, s0
	s_add_u32 s13, s1, s0
	s_addc_u32 s10, 0, s10
	s_mul_i32 s0, s20, s10
	s_mul_hi_u32 s1, s20, s13
	s_add_i32 s0, s1, s0
	s_mul_i32 s1, s21, s13
	s_add_i32 s11, s0, s1
	s_mul_i32 s1, s20, s13
	v_mov_b32_e32 v1, s1
	s_sub_i32 s0, s17, s11
	v_sub_co_u32_e32 v1, vcc, s16, v1
	s_cmp_lg_u64 vcc, 0
	s_subb_u32 s22, s0, s21
	v_subrev_co_u32_e64 v2, s[0:1], s20, v1
	s_cmp_lg_u64 s[0:1], 0
	s_subb_u32 s0, s22, 0
	s_cmp_ge_u32 s0, s21
	v_readfirstlane_b32 s22, v2
	s_cselect_b32 s1, -1, 0
	s_cmp_ge_u32 s22, s20
	s_cselect_b32 s22, -1, 0
	s_cmp_eq_u32 s0, s21
	s_cselect_b32 s0, s22, s1
	s_add_u32 s1, s13, 1
	s_addc_u32 s22, s10, 0
	s_add_u32 s23, s13, 2
	s_addc_u32 s24, s10, 0
	s_cmp_lg_u32 s0, 0
	s_cselect_b32 s0, s23, s1
	s_cselect_b32 s1, s24, s22
	s_cmp_lg_u64 vcc, 0
	s_subb_u32 s11, s17, s11
	s_cmp_ge_u32 s11, s21
	v_readfirstlane_b32 s23, v1
	s_cselect_b32 s22, -1, 0
	s_cmp_ge_u32 s23, s20
	s_cselect_b32 s23, -1, 0
	s_cmp_eq_u32 s11, s21
	s_cselect_b32 s11, s23, s22
	s_cmp_lg_u32 s11, 0
	s_cselect_b32 s11, s1, s10
	s_cselect_b32 s10, s0, s13
	s_cbranch_execnz .LBB159_6
.LBB159_5:                              ;   in Loop: Header=BB159_3 Depth=1
	v_cvt_f32_u32_e32 v1, s20
	s_sub_i32 s0, 0, s20
	v_rcp_iflag_f32_e32 v1, v1
	v_mul_f32_e32 v1, 0x4f7ffffe, v1
	v_cvt_u32_f32_e32 v1, v1
	v_readfirstlane_b32 s1, v1
	s_mul_i32 s0, s0, s1
	s_mul_hi_u32 s0, s1, s0
	s_add_i32 s1, s1, s0
	s_mul_hi_u32 s0, s16, s1
	s_mul_i32 s10, s0, s20
	s_sub_i32 s10, s16, s10
	s_add_i32 s1, s0, 1
	s_sub_i32 s11, s10, s20
	s_cmp_ge_u32 s10, s20
	s_cselect_b32 s0, s1, s0
	s_cselect_b32 s10, s11, s10
	s_add_i32 s1, s0, 1
	s_cmp_ge_u32 s10, s20
	s_cselect_b32 s10, s1, s0
	s_mov_b32 s11, s12
.LBB159_6:                              ;   in Loop: Header=BB159_3 Depth=1
	s_mul_i32 s0, s10, s21
	s_mul_hi_u32 s1, s10, s20
	s_add_i32 s13, s1, s0
	s_load_dwordx2 s[0:1], s[14:15], 0xc8
	s_mul_i32 s21, s11, s20
	s_add_i32 s13, s13, s21
	s_mul_i32 s20, s10, s20
	s_sub_u32 s16, s16, s20
	s_subb_u32 s13, s17, s13
	s_waitcnt lgkmcnt(0)
	s_mul_i32 s13, s0, s13
	s_mul_hi_u32 s17, s0, s16
	s_add_i32 s13, s17, s13
	s_mul_i32 s1, s1, s16
	s_add_i32 s13, s13, s1
	s_mul_i32 s0, s0, s16
	s_add_u32 s6, s0, s6
	s_addc_u32 s7, s13, s7
	s_add_i32 s3, s3, -1
	s_add_u32 s14, s14, -8
	s_addc_u32 s15, s15, -1
	s_cmp_gt_u32 s3, 2
	s_cbranch_scc0 .LBB159_9
; %bb.7:                                ;   in Loop: Header=BB159_3 Depth=1
	s_mov_b64 s[16:17], s[10:11]
	s_branch .LBB159_3
.LBB159_8:                              ;   in Loop: Header=BB159_3 Depth=1
                                        ; implicit-def: $sgpr10_sgpr11
	s_branch .LBB159_5
.LBB159_9:
	s_load_dword s0, s[4:5], 0x350
	s_load_dwordx2 s[14:15], s[4:5], 0xd0
	s_mov_b64 s[12:13], 0
	s_waitcnt lgkmcnt(0)
	s_cmp_lt_i32 s0, 2
	s_cbranch_scc1 .LBB159_17
; %bb.10:
	s_mov_b32 s16, 0
	s_add_i32 s3, s0, 1
	s_add_i32 s0, s0, -1
	s_mov_b32 s1, s16
	s_lshl_b64 s[0:1], s[0:1], 3
	s_add_u32 s0, s0, s4
	s_addc_u32 s1, s1, s5
	s_add_u32 s20, s0, 0x1c0
	s_addc_u32 s21, s1, 0
.LBB159_11:                             ; =>This Inner Loop Header: Depth=1
	s_load_dwordx2 s[22:23], s[20:21], 0x0
	s_waitcnt lgkmcnt(0)
	s_or_b64 s[0:1], s[8:9], s[22:23]
	s_mov_b32 s17, s1
	s_cmp_lg_u64 s[16:17], 0
	s_cbranch_scc0 .LBB159_16
; %bb.12:                               ;   in Loop: Header=BB159_11 Depth=1
	v_cvt_f32_u32_e32 v1, s22
	v_cvt_f32_u32_e32 v2, s23
	s_sub_u32 s0, 0, s22
	s_subb_u32 s1, 0, s23
	v_mac_f32_e32 v1, 0x4f800000, v2
	v_rcp_f32_e32 v1, v1
	v_mul_f32_e32 v1, 0x5f7ffffc, v1
	v_mul_f32_e32 v2, 0x2f800000, v1
	v_trunc_f32_e32 v2, v2
	v_mac_f32_e32 v1, 0xcf800000, v2
	v_cvt_u32_f32_e32 v2, v2
	v_cvt_u32_f32_e32 v1, v1
	v_readfirstlane_b32 s17, v2
	v_readfirstlane_b32 s24, v1
	s_mul_i32 s25, s0, s17
	s_mul_hi_u32 s27, s0, s24
	s_mul_i32 s26, s1, s24
	s_add_i32 s25, s27, s25
	s_mul_i32 s28, s0, s24
	s_add_i32 s25, s25, s26
	s_mul_hi_u32 s26, s24, s25
	s_mul_i32 s27, s24, s25
	s_mul_hi_u32 s24, s24, s28
	s_add_u32 s24, s24, s27
	s_addc_u32 s26, 0, s26
	s_mul_hi_u32 s29, s17, s28
	s_mul_i32 s28, s17, s28
	s_add_u32 s24, s24, s28
	s_mul_hi_u32 s27, s17, s25
	s_addc_u32 s24, s26, s29
	s_addc_u32 s26, s27, 0
	s_mul_i32 s25, s17, s25
	s_add_u32 s24, s24, s25
	s_addc_u32 s25, 0, s26
	v_add_co_u32_e32 v1, vcc, s24, v1
	s_cmp_lg_u64 vcc, 0
	s_addc_u32 s17, s17, s25
	v_readfirstlane_b32 s25, v1
	s_mul_i32 s24, s0, s17
	s_mul_hi_u32 s26, s0, s25
	s_add_i32 s24, s26, s24
	s_mul_i32 s1, s1, s25
	s_add_i32 s24, s24, s1
	s_mul_i32 s0, s0, s25
	s_mul_hi_u32 s26, s17, s0
	s_mul_i32 s27, s17, s0
	s_mul_i32 s29, s25, s24
	s_mul_hi_u32 s0, s25, s0
	s_mul_hi_u32 s28, s25, s24
	s_add_u32 s0, s0, s29
	s_addc_u32 s25, 0, s28
	s_add_u32 s0, s0, s27
	s_mul_hi_u32 s1, s17, s24
	s_addc_u32 s0, s25, s26
	s_addc_u32 s1, s1, 0
	s_mul_i32 s24, s17, s24
	s_add_u32 s0, s0, s24
	s_addc_u32 s1, 0, s1
	v_add_co_u32_e32 v1, vcc, s0, v1
	s_cmp_lg_u64 vcc, 0
	s_addc_u32 s0, s17, s1
	v_readfirstlane_b32 s24, v1
	s_mul_i32 s17, s8, s0
	s_mul_hi_u32 s25, s8, s24
	s_mul_hi_u32 s1, s8, s0
	s_add_u32 s17, s25, s17
	s_addc_u32 s1, 0, s1
	s_mul_hi_u32 s26, s9, s24
	s_mul_i32 s24, s9, s24
	s_add_u32 s17, s17, s24
	s_mul_hi_u32 s25, s9, s0
	s_addc_u32 s1, s1, s26
	s_addc_u32 s17, s25, 0
	s_mul_i32 s0, s9, s0
	s_add_u32 s24, s1, s0
	s_addc_u32 s17, 0, s17
	s_mul_i32 s0, s22, s17
	s_mul_hi_u32 s1, s22, s24
	s_add_i32 s0, s1, s0
	s_mul_i32 s1, s23, s24
	s_add_i32 s25, s0, s1
	s_mul_i32 s1, s22, s24
	v_mov_b32_e32 v1, s1
	s_sub_i32 s0, s9, s25
	v_sub_co_u32_e32 v1, vcc, s8, v1
	s_cmp_lg_u64 vcc, 0
	s_subb_u32 s26, s0, s23
	v_subrev_co_u32_e64 v2, s[0:1], s22, v1
	s_cmp_lg_u64 s[0:1], 0
	s_subb_u32 s0, s26, 0
	s_cmp_ge_u32 s0, s23
	v_readfirstlane_b32 s26, v2
	s_cselect_b32 s1, -1, 0
	s_cmp_ge_u32 s26, s22
	s_cselect_b32 s26, -1, 0
	s_cmp_eq_u32 s0, s23
	s_cselect_b32 s0, s26, s1
	s_add_u32 s1, s24, 1
	s_addc_u32 s26, s17, 0
	s_add_u32 s27, s24, 2
	s_addc_u32 s28, s17, 0
	s_cmp_lg_u32 s0, 0
	s_cselect_b32 s0, s27, s1
	s_cselect_b32 s1, s28, s26
	s_cmp_lg_u64 vcc, 0
	s_subb_u32 s25, s9, s25
	s_cmp_ge_u32 s25, s23
	v_readfirstlane_b32 s27, v1
	s_cselect_b32 s26, -1, 0
	s_cmp_ge_u32 s27, s22
	s_cselect_b32 s27, -1, 0
	s_cmp_eq_u32 s25, s23
	s_cselect_b32 s25, s27, s26
	s_cmp_lg_u32 s25, 0
	s_cselect_b32 s25, s1, s17
	s_cselect_b32 s24, s0, s24
	s_cbranch_execnz .LBB159_14
.LBB159_13:                             ;   in Loop: Header=BB159_11 Depth=1
	v_cvt_f32_u32_e32 v1, s22
	s_sub_i32 s0, 0, s22
	s_mov_b32 s25, s16
	v_rcp_iflag_f32_e32 v1, v1
	v_mul_f32_e32 v1, 0x4f7ffffe, v1
	v_cvt_u32_f32_e32 v1, v1
	v_readfirstlane_b32 s1, v1
	s_mul_i32 s0, s0, s1
	s_mul_hi_u32 s0, s1, s0
	s_add_i32 s1, s1, s0
	s_mul_hi_u32 s0, s8, s1
	s_mul_i32 s17, s0, s22
	s_sub_i32 s17, s8, s17
	s_add_i32 s1, s0, 1
	s_sub_i32 s24, s17, s22
	s_cmp_ge_u32 s17, s22
	s_cselect_b32 s0, s1, s0
	s_cselect_b32 s17, s24, s17
	s_add_i32 s1, s0, 1
	s_cmp_ge_u32 s17, s22
	s_cselect_b32 s24, s1, s0
.LBB159_14:                             ;   in Loop: Header=BB159_11 Depth=1
	s_mul_i32 s0, s24, s23
	s_mul_hi_u32 s1, s24, s22
	s_add_i32 s17, s1, s0
	s_load_dwordx2 s[0:1], s[20:21], 0xc8
	s_mul_i32 s23, s25, s22
	s_add_i32 s17, s17, s23
	s_mul_i32 s22, s24, s22
	s_sub_u32 s8, s8, s22
	s_subb_u32 s9, s9, s17
	s_waitcnt lgkmcnt(0)
	s_mul_i32 s9, s0, s9
	s_mul_hi_u32 s17, s0, s8
	s_add_i32 s9, s17, s9
	s_mul_i32 s1, s1, s8
	s_add_i32 s9, s9, s1
	s_mul_i32 s0, s0, s8
	s_add_u32 s12, s0, s12
	s_addc_u32 s13, s9, s13
	s_add_i32 s3, s3, -1
	s_add_u32 s20, s20, -8
	s_addc_u32 s21, s21, -1
	s_cmp_gt_u32 s3, 2
	s_cbranch_scc0 .LBB159_18
; %bb.15:                               ;   in Loop: Header=BB159_11 Depth=1
	s_mov_b64 s[8:9], s[24:25]
	s_branch .LBB159_11
.LBB159_16:                             ;   in Loop: Header=BB159_11 Depth=1
                                        ; implicit-def: $sgpr24_sgpr25
	s_branch .LBB159_13
.LBB159_17:
	s_mov_b64 s[24:25], s[8:9]
.LBB159_18:
	s_load_dword s3, s[4:5], 0x360
	s_load_dwordx2 s[16:17], s[4:5], 0x288
	s_load_dwordx2 s[20:21], s[4:5], 0x1b8
	s_mul_i32 s0, s14, s11
	s_mul_hi_u32 s1, s14, s10
	s_add_i32 s0, s1, s0
	s_mul_i32 s1, s15, s10
	s_add_i32 s1, s0, s1
	s_mul_i32 s0, s14, s10
	s_load_dwordx2 s[10:11], s[4:5], 0x0
	s_waitcnt lgkmcnt(0)
	s_bitcmp1_b32 s3, 0
	s_cselect_b64 s[14:15], -1, 0
	s_and_b64 s[8:9], s[14:15], exec
	s_brev_b32 s3, 1
	s_cselect_b32 s8, 0, -1
	s_cselect_b32 s9, s3, 0x7fffffff
	s_lshl_b64 s[0:1], s[0:1], 3
	s_add_u32 s3, s10, s0
	s_addc_u32 s10, s11, s1
	s_lshl_b64 s[0:1], s[6:7], 3
	s_add_u32 s30, s3, s0
	s_addc_u32 s31, s10, s1
	s_mov_b32 s10, s8
	s_mov_b32 s11, s9
	v_pk_mov_b32 v[2:3], s[8:9], s[8:9] op_sel:[0,1]
	v_cmp_gt_u32_e64 s[0:1], s2, v0
	v_pk_mov_b32 v[4:5], s[10:11], s[10:11] op_sel:[0,1]
	v_pk_mov_b32 v[6:7], s[8:9], s[8:9] op_sel:[0,1]
	s_and_saveexec_b64 s[6:7], s[0:1]
	s_cbranch_execz .LBB159_20
; %bb.19:
	v_mad_u64_u32 v[2:3], s[22:23], v0, s18, 0
	v_mov_b32_e32 v4, v3
	v_mad_u64_u32 v[4:5], s[22:23], v0, s19, v[4:5]
	v_mov_b32_e32 v3, v4
	v_lshlrev_b64 v[2:3], 3, v[2:3]
	v_mov_b32_e32 v1, s31
	v_add_co_u32_e32 v2, vcc, s30, v2
	v_addc_co_u32_e32 v3, vcc, v1, v3, vcc
	global_load_dwordx2 v[6:7], v[2:3], off
	v_pk_mov_b32 v[2:3], s[8:9], s[8:9] op_sel:[0,1]
	v_pk_mov_b32 v[4:5], s[10:11], s[10:11] op_sel:[0,1]
.LBB159_20:
	s_or_b64 exec, exec, s[6:7]
	v_or_b32_e32 v1, 16, v0
	v_cmp_gt_u32_e64 s[2:3], s2, v1
	s_and_saveexec_b64 s[6:7], s[2:3]
	s_cbranch_execz .LBB159_22
; %bb.21:
	v_mad_u64_u32 v[2:3], s[8:9], v1, s18, 0
	v_mov_b32_e32 v4, v3
	v_mad_u64_u32 v[4:5], s[8:9], v1, s19, v[4:5]
	v_mov_b32_e32 v3, v4
	v_lshlrev_b64 v[2:3], 3, v[2:3]
	v_mov_b32_e32 v4, s31
	v_add_co_u32_e32 v2, vcc, s30, v2
	v_addc_co_u32_e32 v3, vcc, v4, v3, vcc
	global_load_dwordx2 v[4:5], v[2:3], off
.LBB159_22:
	s_or_b64 exec, exec, s[6:7]
	s_mul_i32 s6, s16, s25
	s_mul_hi_u32 s7, s16, s24
	s_add_i32 s6, s7, s6
	s_mul_i32 s7, s17, s24
	s_add_i32 s7, s6, s7
	s_mul_i32 s6, s16, s24
	s_lshl_b64 s[6:7], s[6:7], 3
	s_add_u32 s8, s20, s6
	s_addc_u32 s9, s21, s7
	s_lshl_b64 s[6:7], s[12:13], 3
	v_lshlrev_b32_e32 v26, 3, v0
	v_lshlrev_b32_e32 v27, 4, v0
	s_add_u32 s33, s8, s6
	s_load_dwordx2 s[20:21], s[4:5], 0x358
	s_waitcnt vmcnt(0)
	ds_write2_b64 v26, v[6:7], v[4:5] offset1:16
	s_waitcnt lgkmcnt(0)
	; wave barrier
	s_waitcnt lgkmcnt(0)
	ds_read2_b64 v[2:5], v27 offset1:1
	s_mov_b32 s4, 0
	s_addc_u32 s34, s9, s7
	s_mov_b32 s6, s4
	s_mov_b32 s7, s4
	;; [unrolled: 1-line block ×3, first 2 shown]
	v_pk_mov_b32 v[8:9], s[6:7], s[6:7] op_sel:[0,1]
	v_pk_mov_b32 v[6:7], s[4:5], s[4:5] op_sel:[0,1]
	v_pk_mov_b32 v[6:7], 0, 0
	s_waitcnt lgkmcnt(0)
	; wave barrier
	s_waitcnt lgkmcnt(0)
	s_and_saveexec_b64 s[4:5], s[0:1]
	s_cbranch_execz .LBB159_24
; %bb.23:
	v_mad_u64_u32 v[6:7], s[6:7], v0, s20, 0
	v_mov_b32_e32 v8, v7
	v_mad_u64_u32 v[8:9], s[6:7], v0, s21, v[8:9]
	v_mov_b32_e32 v7, v8
	v_lshlrev_b64 v[6:7], 3, v[6:7]
	v_mov_b32_e32 v8, s34
	v_add_co_u32_e32 v6, vcc, s33, v6
	v_addc_co_u32_e32 v7, vcc, v8, v7, vcc
	global_load_dwordx2 v[6:7], v[6:7], off
	v_mov_b32_e32 v8, 0
	v_mov_b32_e32 v9, v8
.LBB159_24:
	s_or_b64 exec, exec, s[4:5]
	s_xor_b64 s[22:23], s[14:15], -1
	v_lshlrev_b32_e32 v10, 1, v0
	s_and_saveexec_b64 s[4:5], s[2:3]
	s_cbranch_execz .LBB159_26
; %bb.25:
	v_mad_u64_u32 v[8:9], s[6:7], v1, s20, 0
	v_mov_b32_e32 v12, v9
	v_mad_u64_u32 v[12:13], s[6:7], v1, s21, v[12:13]
	v_mov_b32_e32 v9, v12
	v_lshlrev_b64 v[8:9], 3, v[8:9]
	v_mov_b32_e32 v11, s34
	v_add_co_u32_e32 v8, vcc, s33, v8
	v_addc_co_u32_e32 v9, vcc, v11, v9, vcc
	global_load_dwordx2 v[8:9], v[8:9], off
.LBB159_26:
	s_or_b64 exec, exec, s[4:5]
	v_mbcnt_lo_u32_b32 v11, -1, 0
	s_getpc_b64 s[4:5]
	s_add_u32 s4, s4, _ZN7rocprim17ROCPRIM_400000_NS16block_radix_sortIlLj16ELj2ElLj1ELj1ELj0ELNS0_26block_radix_rank_algorithmE1ELNS0_18block_padding_hintE2ELNS0_4arch9wavefront6targetE1EE19radix_bits_per_passE@rel32@lo+4
	s_addc_u32 s5, s5, _ZN7rocprim17ROCPRIM_400000_NS16block_radix_sortIlLj16ELj2ElLj1ELj1ELj0ELNS0_26block_radix_rank_algorithmE1ELNS0_18block_padding_hintE2ELNS0_4arch9wavefront6targetE1EE19radix_bits_per_passE@rel32@hi+12
	v_mbcnt_hi_u32_b32 v11, -1, v11
	s_waitcnt vmcnt(0)
	ds_write2_b64 v26, v[6:7], v[8:9] offset1:16
	s_waitcnt lgkmcnt(0)
	; wave barrier
	s_waitcnt lgkmcnt(0)
	ds_read2_b64 v[6:9], v27 offset1:1
	s_load_dword s35, s[4:5], 0x0
	v_and_b32_e32 v12, 15, v11
	v_cmp_eq_u32_e64 s[6:7], 0, v12
	v_cmp_lt_u32_e64 s[8:9], 1, v12
	v_cmp_lt_u32_e64 s[10:11], 3, v12
	;; [unrolled: 1-line block ×3, first 2 shown]
	v_add_u32_e32 v12, -1, v11
	v_and_b32_e32 v13, 0x70, v11
	v_cmp_lt_i32_e32 vcc, v12, v13
	s_movk_i32 s4, 0x80
	v_cndmask_b32_e32 v12, v12, v11, vcc
	v_cmp_gt_u32_e64 s[4:5], s4, v0
	v_lshlrev_b32_e32 v29, 5, v0
	s_mov_b32 s36, 0
	v_cmp_eq_u32_e64 s[14:15], 15, v0
	s_movk_i32 s37, 0x70
	v_lshlrev_b32_e32 v30, 2, v12
	v_cmp_eq_u32_e64 s[16:17], 0, v11
	v_lshlrev_b32_e32 v28, 3, v10
	s_and_b64 vcc, exec, s[22:23]
	v_add_u32_e64 v31, 7, 2
	s_waitcnt lgkmcnt(0)
	; wave barrier
	s_waitcnt lgkmcnt(0)
	s_cbranch_vccz .LBB159_41
; %bb.27:
	v_xor_b32_e32 v11, 0x80000000, v3
	v_mov_b32_e32 v10, v2
	v_xor_b32_e32 v13, 0x80000000, v5
	v_mov_b32_e32 v12, v4
	v_and_b32_e32 v32, 14, v31
	v_mov_b32_e32 v33, 0
	v_pk_mov_b32 v[14:15], v[6:7], v[6:7] op_sel:[0,1]
	v_pk_mov_b32 v[16:17], v[8:9], v[8:9] op_sel:[0,1]
	s_branch .LBB159_29
.LBB159_28:                             ;   in Loop: Header=BB159_29 Depth=1
	v_lshlrev_b32_e32 v14, 3, v34
	v_lshlrev_b32_e32 v15, 3, v35
	s_waitcnt lgkmcnt(0)
	; wave barrier
	ds_write_b64 v14, v[24:25]
	ds_write_b64 v15, v[22:23]
	s_waitcnt lgkmcnt(0)
	; wave barrier
	s_waitcnt lgkmcnt(0)
	ds_read2_b64 v[10:13], v28 offset1:1
	s_waitcnt lgkmcnt(0)
	; wave barrier
	s_waitcnt lgkmcnt(0)
	ds_write_b64 v14, v[20:21]
	ds_write_b64 v15, v[18:19]
	s_waitcnt lgkmcnt(0)
	; wave barrier
	s_waitcnt lgkmcnt(0)
	ds_read2_b64 v[14:17], v28 offset1:1
	s_add_i32 s36, s36, 4
	s_waitcnt lgkmcnt(0)
	; wave barrier
	s_waitcnt lgkmcnt(0)
	s_cbranch_execz .LBB159_40
.LBB159_29:                             ; =>This Loop Header: Depth=1
                                        ;     Child Loop BB159_32 Depth 2
	v_pk_mov_b32 v[22:23], v[12:13], v[12:13] op_sel:[0,1]
	v_pk_mov_b32 v[24:25], v[10:11], v[10:11] op_sel:[0,1]
	;; [unrolled: 1-line block ×4, first 2 shown]
	s_and_saveexec_b64 s[22:23], s[4:5]
	s_cbranch_execz .LBB159_36
; %bb.30:                               ;   in Loop: Header=BB159_29 Depth=1
	s_mov_b32 s38, 0
	s_mov_b64 s[24:25], 0
	v_pk_mov_b32 v[10:11], v[0:1], v[0:1] op_sel:[0,1]
	s_branch .LBB159_32
.LBB159_31:                             ;   in Loop: Header=BB159_32 Depth=2
	s_or_b64 exec, exec, s[28:29]
	s_add_i32 s38, s38, 2
	v_cmp_eq_u32_e32 vcc, s38, v32
	v_add_u32_e32 v11, 32, v11
	s_or_b64 s[24:25], vcc, s[24:25]
	v_add_u32_e32 v10, 32, v10
	s_andn2_b64 exec, exec, s[24:25]
	s_cbranch_execz .LBB159_36
.LBB159_32:                             ;   Parent Loop BB159_29 Depth=1
                                        ; =>  This Inner Loop Header: Depth=2
	s_or_b32 s26, s38, 1
	v_cmp_le_u32_e64 s[26:27], s26, 7
	v_cmp_le_u32_e64 s[40:41], s38, 7
	s_and_saveexec_b64 s[28:29], s[40:41]
	s_cbranch_execz .LBB159_34
; %bb.33:                               ;   in Loop: Header=BB159_32 Depth=2
	v_lshlrev_b32_e32 v12, 2, v10
	ds_write_b32 v12, v33
.LBB159_34:                             ;   in Loop: Header=BB159_32 Depth=2
	s_or_b64 exec, exec, s[28:29]
	s_and_saveexec_b64 s[28:29], s[26:27]
	s_cbranch_execz .LBB159_31
; %bb.35:                               ;   in Loop: Header=BB159_32 Depth=2
	v_lshlrev_b32_e32 v12, 2, v11
	ds_write_b32 v12, v33
	s_branch .LBB159_31
.LBB159_36:                             ;   in Loop: Header=BB159_29 Depth=1
	s_or_b64 exec, exec, s[22:23]
	s_sub_i32 s22, 64, s36
	s_min_u32 s22, s35, s22
	s_lshl_b32 s22, -1, s22
	s_not_b32 s22, s22
	v_lshrrev_b64 v[10:11], s36, v[24:25]
	v_and_b32_e32 v10, s22, v10
	v_lshrrev_b32_e32 v11, 3, v10
	v_lshlrev_b32_e32 v10, 4, v10
	v_and_or_b32 v10, v10, s37, v0
	v_lshlrev_b32_e32 v10, 1, v10
	v_add_lshl_u32 v35, v10, v11, 1
	ds_read_u16 v34, v35
	v_lshrrev_b64 v[10:11], s36, v[22:23]
	v_and_b32_e32 v10, s22, v10
	s_waitcnt lgkmcnt(0)
	v_add_u16_e32 v11, 1, v34
	ds_write_b16 v35, v11
	v_lshrrev_b32_e32 v11, 3, v10
	v_lshlrev_b32_e32 v10, 4, v10
	v_and_or_b32 v10, v10, s37, v0
	v_lshlrev_b32_e32 v10, 1, v10
	v_add_lshl_u32 v37, v10, v11, 1
	ds_read_u16 v36, v37
	s_waitcnt lgkmcnt(0)
	v_add_u16_e32 v10, 1, v36
	ds_write_b16 v37, v10
	s_waitcnt lgkmcnt(0)
	; wave barrier
	s_waitcnt lgkmcnt(0)
	ds_read2_b32 v[16:17], v29 offset1:1
	ds_read2_b32 v[14:15], v29 offset0:2 offset1:3
	ds_read2_b32 v[10:11], v29 offset0:4 offset1:5
	;; [unrolled: 1-line block ×3, first 2 shown]
	s_waitcnt lgkmcnt(3)
	v_add_u32_e32 v38, v17, v16
	s_waitcnt lgkmcnt(2)
	v_add3_u32 v38, v38, v14, v15
	s_waitcnt lgkmcnt(1)
	v_add3_u32 v38, v38, v10, v11
	;; [unrolled: 2-line block ×3, first 2 shown]
	s_nop 1
	v_mov_b32_dpp v38, v13 row_shr:1 row_mask:0xf bank_mask:0xf
	v_cndmask_b32_e64 v38, v38, 0, s[6:7]
	v_add_u32_e32 v13, v38, v13
	s_nop 1
	v_mov_b32_dpp v38, v13 row_shr:2 row_mask:0xf bank_mask:0xf
	v_cndmask_b32_e64 v38, 0, v38, s[8:9]
	v_add_u32_e32 v13, v13, v38
	s_nop 1
	v_mov_b32_dpp v38, v13 row_shr:4 row_mask:0xf bank_mask:0xf
	v_cndmask_b32_e64 v38, 0, v38, s[10:11]
	v_add_u32_e32 v13, v13, v38
	s_nop 1
	v_mov_b32_dpp v38, v13 row_shr:8 row_mask:0xf bank_mask:0xf
	v_cndmask_b32_e64 v38, 0, v38, s[12:13]
	v_add_u32_e32 v13, v13, v38
	s_and_saveexec_b64 s[22:23], s[14:15]
	s_cbranch_execz .LBB159_38
; %bb.37:                               ;   in Loop: Header=BB159_29 Depth=1
	ds_write_b32 v33, v13 offset:512
.LBB159_38:                             ;   in Loop: Header=BB159_29 Depth=1
	s_or_b64 exec, exec, s[22:23]
	ds_bpermute_b32 v13, v30, v13
	s_waitcnt lgkmcnt(0)
	; wave barrier
	s_waitcnt lgkmcnt(0)
	ds_read_b32 v38, v33 offset:512
	s_cmp_gt_u32 s36, 59
	v_cndmask_b32_e64 v13, v13, 0, s[16:17]
	s_waitcnt lgkmcnt(0)
	v_lshl_add_u32 v13, v38, 16, v13
	v_add_u32_e32 v16, v13, v16
	v_add_u32_e32 v17, v16, v17
	ds_write2_b32 v29, v13, v16 offset1:1
	v_add_u32_e32 v13, v17, v14
	v_add_u32_e32 v14, v13, v15
	;; [unrolled: 1-line block ×5, first 2 shown]
	ds_write2_b32 v29, v17, v13 offset0:2 offset1:3
	ds_write2_b32 v29, v14, v10 offset0:4 offset1:5
	;; [unrolled: 1-line block ×3, first 2 shown]
	s_waitcnt lgkmcnt(0)
	; wave barrier
	s_waitcnt lgkmcnt(0)
	ds_read_u16 v10, v35
	ds_read_u16 v11, v37
	s_waitcnt lgkmcnt(1)
	v_add_u32_sdwa v34, v10, v34 dst_sel:DWORD dst_unused:UNUSED_PAD src0_sel:DWORD src1_sel:WORD_0
	s_waitcnt lgkmcnt(0)
	v_add_u32_sdwa v35, v11, v36 dst_sel:DWORD dst_unused:UNUSED_PAD src0_sel:DWORD src1_sel:WORD_0
	s_cbranch_scc0 .LBB159_28
; %bb.39:
                                        ; implicit-def: $vgpr12_vgpr13
                                        ; implicit-def: $vgpr16_vgpr17
                                        ; implicit-def: $sgpr36
.LBB159_40:
	v_lshlrev_b32_e32 v10, 3, v34
	v_lshlrev_b32_e32 v11, 3, v35
	s_waitcnt lgkmcnt(0)
	; wave barrier
	ds_write_b64 v10, v[24:25]
	ds_write_b64 v11, v[22:23]
	s_waitcnt lgkmcnt(0)
	; wave barrier
	s_waitcnt lgkmcnt(0)
	ds_read2_b64 v[14:17], v28 offset1:1
	s_waitcnt lgkmcnt(0)
	; wave barrier
	s_waitcnt lgkmcnt(0)
	ds_write_b64 v10, v[20:21]
	ds_write_b64 v11, v[18:19]
	s_waitcnt lgkmcnt(0)
	; wave barrier
	s_waitcnt lgkmcnt(0)
	ds_read2_b64 v[10:13], v28 offset1:1
	v_xor_b32_e32 v15, 0x80000000, v15
	v_xor_b32_e32 v17, 0x80000000, v17
	s_branch .LBB159_56
.LBB159_41:
                                        ; implicit-def: $vgpr16_vgpr17
                                        ; implicit-def: $vgpr12_vgpr13
	s_cbranch_execz .LBB159_56
; %bb.42:
	v_xor_b32_e32 v3, 0x7fffffff, v3
	v_xor_b32_e32 v2, -1, v2
	v_xor_b32_e32 v5, 0x7fffffff, v5
	v_xor_b32_e32 v4, -1, v4
	v_and_b32_e32 v18, 14, v31
	s_mov_b32 s37, 0
	v_mov_b32_e32 v19, 0
	s_movk_i32 s36, 0x70
	s_branch .LBB159_44
.LBB159_43:                             ;   in Loop: Header=BB159_44 Depth=1
	v_lshlrev_b32_e32 v6, 3, v20
	v_lshlrev_b32_e32 v7, 3, v21
	s_waitcnt lgkmcnt(0)
	; wave barrier
	ds_write_b64 v6, v[16:17]
	ds_write_b64 v7, v[14:15]
	s_waitcnt lgkmcnt(0)
	; wave barrier
	s_waitcnt lgkmcnt(0)
	ds_read2_b64 v[2:5], v28 offset1:1
	s_waitcnt lgkmcnt(0)
	; wave barrier
	s_waitcnt lgkmcnt(0)
	ds_write_b64 v6, v[12:13]
	ds_write_b64 v7, v[10:11]
	s_waitcnt lgkmcnt(0)
	; wave barrier
	s_waitcnt lgkmcnt(0)
	ds_read2_b64 v[6:9], v28 offset1:1
	s_add_i32 s37, s37, 4
	s_waitcnt lgkmcnt(0)
	; wave barrier
	s_waitcnt lgkmcnt(0)
	s_cbranch_execz .LBB159_55
.LBB159_44:                             ; =>This Loop Header: Depth=1
                                        ;     Child Loop BB159_47 Depth 2
	v_pk_mov_b32 v[14:15], v[4:5], v[4:5] op_sel:[0,1]
	v_pk_mov_b32 v[16:17], v[2:3], v[2:3] op_sel:[0,1]
	s_waitcnt lgkmcnt(0)
	v_pk_mov_b32 v[10:11], v[8:9], v[8:9] op_sel:[0,1]
	v_pk_mov_b32 v[12:13], v[6:7], v[6:7] op_sel:[0,1]
	s_and_saveexec_b64 s[22:23], s[4:5]
	s_cbranch_execz .LBB159_51
; %bb.45:                               ;   in Loop: Header=BB159_44 Depth=1
	s_mov_b32 s38, 0
	s_mov_b64 s[24:25], 0
	v_pk_mov_b32 v[2:3], v[0:1], v[0:1] op_sel:[0,1]
	s_branch .LBB159_47
.LBB159_46:                             ;   in Loop: Header=BB159_47 Depth=2
	s_or_b64 exec, exec, s[28:29]
	s_add_i32 s38, s38, 2
	v_cmp_eq_u32_e32 vcc, s38, v18
	v_add_u32_e32 v3, 32, v3
	s_or_b64 s[24:25], vcc, s[24:25]
	v_add_u32_e32 v2, 32, v2
	s_andn2_b64 exec, exec, s[24:25]
	s_cbranch_execz .LBB159_51
.LBB159_47:                             ;   Parent Loop BB159_44 Depth=1
                                        ; =>  This Inner Loop Header: Depth=2
	s_or_b32 s26, s38, 1
	v_cmp_le_u32_e64 s[26:27], s26, 7
	v_cmp_le_u32_e64 s[40:41], s38, 7
	s_and_saveexec_b64 s[28:29], s[40:41]
	s_cbranch_execz .LBB159_49
; %bb.48:                               ;   in Loop: Header=BB159_47 Depth=2
	v_lshlrev_b32_e32 v4, 2, v2
	ds_write_b32 v4, v19
.LBB159_49:                             ;   in Loop: Header=BB159_47 Depth=2
	s_or_b64 exec, exec, s[28:29]
	s_and_saveexec_b64 s[28:29], s[26:27]
	s_cbranch_execz .LBB159_46
; %bb.50:                               ;   in Loop: Header=BB159_47 Depth=2
	v_lshlrev_b32_e32 v4, 2, v3
	ds_write_b32 v4, v19
	s_branch .LBB159_46
.LBB159_51:                             ;   in Loop: Header=BB159_44 Depth=1
	s_or_b64 exec, exec, s[22:23]
	s_sub_i32 s22, 64, s37
	s_min_u32 s22, s35, s22
	s_lshl_b32 s22, -1, s22
	s_not_b32 s22, s22
	v_lshrrev_b64 v[2:3], s37, v[16:17]
	v_and_b32_e32 v2, s22, v2
	v_lshrrev_b32_e32 v3, 3, v2
	v_lshlrev_b32_e32 v2, 4, v2
	v_and_or_b32 v2, v2, s36, v0
	v_lshlrev_b32_e32 v2, 1, v2
	v_add_lshl_u32 v21, v2, v3, 1
	ds_read_u16 v20, v21
	v_lshrrev_b64 v[2:3], s37, v[14:15]
	v_and_b32_e32 v2, s22, v2
	s_waitcnt lgkmcnt(0)
	v_add_u16_e32 v3, 1, v20
	ds_write_b16 v21, v3
	v_lshrrev_b32_e32 v3, 3, v2
	v_lshlrev_b32_e32 v2, 4, v2
	v_and_or_b32 v2, v2, s36, v0
	v_lshlrev_b32_e32 v2, 1, v2
	v_add_lshl_u32 v23, v2, v3, 1
	ds_read_u16 v22, v23
	s_waitcnt lgkmcnt(0)
	v_add_u16_e32 v2, 1, v22
	ds_write_b16 v23, v2
	s_waitcnt lgkmcnt(0)
	; wave barrier
	s_waitcnt lgkmcnt(0)
	ds_read2_b32 v[8:9], v29 offset1:1
	ds_read2_b32 v[6:7], v29 offset0:2 offset1:3
	ds_read2_b32 v[2:3], v29 offset0:4 offset1:5
	;; [unrolled: 1-line block ×3, first 2 shown]
	s_waitcnt lgkmcnt(3)
	v_add_u32_e32 v24, v9, v8
	s_waitcnt lgkmcnt(2)
	v_add3_u32 v24, v24, v6, v7
	s_waitcnt lgkmcnt(1)
	v_add3_u32 v24, v24, v2, v3
	;; [unrolled: 2-line block ×3, first 2 shown]
	s_nop 1
	v_mov_b32_dpp v24, v5 row_shr:1 row_mask:0xf bank_mask:0xf
	v_cndmask_b32_e64 v24, v24, 0, s[6:7]
	v_add_u32_e32 v5, v24, v5
	s_nop 1
	v_mov_b32_dpp v24, v5 row_shr:2 row_mask:0xf bank_mask:0xf
	v_cndmask_b32_e64 v24, 0, v24, s[8:9]
	v_add_u32_e32 v5, v5, v24
	;; [unrolled: 4-line block ×4, first 2 shown]
	s_and_saveexec_b64 s[22:23], s[14:15]
	s_cbranch_execz .LBB159_53
; %bb.52:                               ;   in Loop: Header=BB159_44 Depth=1
	ds_write_b32 v19, v5 offset:512
.LBB159_53:                             ;   in Loop: Header=BB159_44 Depth=1
	s_or_b64 exec, exec, s[22:23]
	ds_bpermute_b32 v5, v30, v5
	s_waitcnt lgkmcnt(0)
	; wave barrier
	s_waitcnt lgkmcnt(0)
	ds_read_b32 v24, v19 offset:512
	s_cmp_gt_u32 s37, 59
	v_cndmask_b32_e64 v5, v5, 0, s[16:17]
	s_waitcnt lgkmcnt(0)
	v_lshl_add_u32 v5, v24, 16, v5
	v_add_u32_e32 v8, v5, v8
	v_add_u32_e32 v9, v8, v9
	ds_write2_b32 v29, v5, v8 offset1:1
	v_add_u32_e32 v5, v9, v6
	v_add_u32_e32 v6, v5, v7
	;; [unrolled: 1-line block ×5, first 2 shown]
	ds_write2_b32 v29, v9, v5 offset0:2 offset1:3
	ds_write2_b32 v29, v6, v2 offset0:4 offset1:5
	;; [unrolled: 1-line block ×3, first 2 shown]
	s_waitcnt lgkmcnt(0)
	; wave barrier
	s_waitcnt lgkmcnt(0)
	ds_read_u16 v2, v21
	ds_read_u16 v3, v23
	s_waitcnt lgkmcnt(1)
	v_add_u32_sdwa v20, v2, v20 dst_sel:DWORD dst_unused:UNUSED_PAD src0_sel:DWORD src1_sel:WORD_0
	s_waitcnt lgkmcnt(0)
	v_add_u32_sdwa v21, v3, v22 dst_sel:DWORD dst_unused:UNUSED_PAD src0_sel:DWORD src1_sel:WORD_0
	s_cbranch_scc0 .LBB159_43
; %bb.54:
                                        ; implicit-def: $vgpr4_vgpr5
                                        ; implicit-def: $vgpr8_vgpr9
                                        ; implicit-def: $sgpr37
.LBB159_55:
	v_lshlrev_b32_e32 v1, 3, v20
	v_lshlrev_b32_e32 v6, 3, v21
	s_waitcnt lgkmcnt(0)
	; wave barrier
	ds_write_b64 v1, v[16:17]
	ds_write_b64 v6, v[14:15]
	s_waitcnt lgkmcnt(0)
	; wave barrier
	s_waitcnt lgkmcnt(0)
	ds_read2_b64 v[2:5], v28 offset1:1
	s_waitcnt lgkmcnt(0)
	; wave barrier
	s_waitcnt lgkmcnt(0)
	ds_write_b64 v1, v[12:13]
	ds_write_b64 v6, v[10:11]
	s_waitcnt lgkmcnt(0)
	; wave barrier
	s_waitcnt lgkmcnt(0)
	ds_read2_b64 v[10:13], v28 offset1:1
	v_xor_b32_e32 v15, 0x7fffffff, v3
	v_xor_b32_e32 v14, -1, v2
	v_xor_b32_e32 v17, 0x7fffffff, v5
	v_xor_b32_e32 v16, -1, v4
.LBB159_56:
	v_mad_u64_u32 v[4:5], s[4:5], v0, s18, 0
	v_mov_b32_e32 v6, v5
	s_waitcnt lgkmcnt(0)
	; wave barrier
	s_waitcnt lgkmcnt(0)
	ds_write2_b64 v27, v[14:15], v[16:17] offset1:1
	s_waitcnt lgkmcnt(0)
	; wave barrier
	s_waitcnt lgkmcnt(0)
	ds_read_b64 v[2:3], v26 offset:128
	v_mad_u64_u32 v[6:7], s[4:5], v0, s19, v[6:7]
	v_mov_b32_e32 v5, v6
	v_lshlrev_b64 v[4:5], 3, v[4:5]
	v_mov_b32_e32 v1, s31
	v_add_co_u32_e32 v4, vcc, s30, v4
	v_addc_co_u32_e32 v5, vcc, v1, v5, vcc
	s_and_saveexec_b64 s[4:5], s[0:1]
	s_cbranch_execz .LBB159_58
; %bb.57:
	ds_read_b64 v[6:7], v26
	s_waitcnt lgkmcnt(0)
	global_store_dwordx2 v[4:5], v[6:7], off
.LBB159_58:
	s_or_b64 exec, exec, s[4:5]
	s_and_saveexec_b64 s[4:5], s[2:3]
	s_cbranch_execz .LBB159_60
; %bb.59:
	s_lshl_b64 s[6:7], s[18:19], 7
	v_mov_b32_e32 v1, s7
	v_add_co_u32_e32 v4, vcc, s6, v4
	v_addc_co_u32_e32 v5, vcc, v5, v1, vcc
	s_waitcnt lgkmcnt(0)
	global_store_dwordx2 v[4:5], v[2:3], off
.LBB159_60:
	s_or_b64 exec, exec, s[4:5]
	v_mad_u64_u32 v[4:5], s[4:5], v0, s20, 0
	v_mov_b32_e32 v6, v5
	s_waitcnt lgkmcnt(0)
	; wave barrier
	s_waitcnt lgkmcnt(0)
	ds_write2_b64 v27, v[10:11], v[12:13] offset1:1
	s_waitcnt lgkmcnt(0)
	; wave barrier
	s_waitcnt lgkmcnt(0)
	ds_read_b64 v[2:3], v26 offset:128
	v_mad_u64_u32 v[0:1], s[4:5], v0, s21, v[6:7]
	v_mov_b32_e32 v5, v0
	v_lshlrev_b64 v[0:1], 3, v[4:5]
	v_mov_b32_e32 v4, s34
	v_add_co_u32_e32 v0, vcc, s33, v0
	v_addc_co_u32_e32 v1, vcc, v4, v1, vcc
	s_and_saveexec_b64 s[4:5], s[0:1]
	s_cbranch_execz .LBB159_62
; %bb.61:
	ds_read_b64 v[4:5], v26
	s_waitcnt lgkmcnt(0)
	global_store_dwordx2 v[0:1], v[4:5], off
.LBB159_62:
	s_or_b64 exec, exec, s[4:5]
	s_and_saveexec_b64 s[0:1], s[2:3]
	s_cbranch_execz .LBB159_64
; %bb.63:
	s_lshl_b64 s[0:1], s[20:21], 7
	v_mov_b32_e32 v4, s1
	v_add_co_u32_e32 v0, vcc, s0, v0
	v_addc_co_u32_e32 v1, vcc, v1, v4, vcc
	s_waitcnt lgkmcnt(0)
	global_store_dwordx2 v[0:1], v[2:3], off
.LBB159_64:
	s_endpgm
	.section	.rodata,"a",@progbits
	.p2align	6, 0x0
	.amdhsa_kernel _ZN2at6native18radixSortKVInPlaceILin1ELin1ELi16ELi2EllmEEvNS_4cuda6detail10TensorInfoIT3_T5_EES6_S6_S6_NS4_IT4_S6_EES6_b
		.amdhsa_group_segment_fixed_size 528
		.amdhsa_private_segment_fixed_size 0
		.amdhsa_kernarg_size 1128
		.amdhsa_user_sgpr_count 6
		.amdhsa_user_sgpr_private_segment_buffer 1
		.amdhsa_user_sgpr_dispatch_ptr 0
		.amdhsa_user_sgpr_queue_ptr 0
		.amdhsa_user_sgpr_kernarg_segment_ptr 1
		.amdhsa_user_sgpr_dispatch_id 0
		.amdhsa_user_sgpr_flat_scratch_init 0
		.amdhsa_user_sgpr_kernarg_preload_length 0
		.amdhsa_user_sgpr_kernarg_preload_offset 0
		.amdhsa_user_sgpr_private_segment_size 0
		.amdhsa_uses_dynamic_stack 0
		.amdhsa_system_sgpr_private_segment_wavefront_offset 0
		.amdhsa_system_sgpr_workgroup_id_x 1
		.amdhsa_system_sgpr_workgroup_id_y 1
		.amdhsa_system_sgpr_workgroup_id_z 1
		.amdhsa_system_sgpr_workgroup_info 0
		.amdhsa_system_vgpr_workitem_id 0
		.amdhsa_next_free_vgpr 39
		.amdhsa_next_free_sgpr 42
		.amdhsa_accum_offset 40
		.amdhsa_reserve_vcc 1
		.amdhsa_reserve_flat_scratch 0
		.amdhsa_float_round_mode_32 0
		.amdhsa_float_round_mode_16_64 0
		.amdhsa_float_denorm_mode_32 3
		.amdhsa_float_denorm_mode_16_64 3
		.amdhsa_dx10_clamp 1
		.amdhsa_ieee_mode 1
		.amdhsa_fp16_overflow 0
		.amdhsa_tg_split 0
		.amdhsa_exception_fp_ieee_invalid_op 0
		.amdhsa_exception_fp_denorm_src 0
		.amdhsa_exception_fp_ieee_div_zero 0
		.amdhsa_exception_fp_ieee_overflow 0
		.amdhsa_exception_fp_ieee_underflow 0
		.amdhsa_exception_fp_ieee_inexact 0
		.amdhsa_exception_int_div_zero 0
	.end_amdhsa_kernel
	.section	.text._ZN2at6native18radixSortKVInPlaceILin1ELin1ELi16ELi2EllmEEvNS_4cuda6detail10TensorInfoIT3_T5_EES6_S6_S6_NS4_IT4_S6_EES6_b,"axG",@progbits,_ZN2at6native18radixSortKVInPlaceILin1ELin1ELi16ELi2EllmEEvNS_4cuda6detail10TensorInfoIT3_T5_EES6_S6_S6_NS4_IT4_S6_EES6_b,comdat
.Lfunc_end159:
	.size	_ZN2at6native18radixSortKVInPlaceILin1ELin1ELi16ELi2EllmEEvNS_4cuda6detail10TensorInfoIT3_T5_EES6_S6_S6_NS4_IT4_S6_EES6_b, .Lfunc_end159-_ZN2at6native18radixSortKVInPlaceILin1ELin1ELi16ELi2EllmEEvNS_4cuda6detail10TensorInfoIT3_T5_EES6_S6_S6_NS4_IT4_S6_EES6_b
                                        ; -- End function
	.section	.AMDGPU.csdata,"",@progbits
; Kernel info:
; codeLenInByte = 4572
; NumSgprs: 46
; NumVgprs: 39
; NumAgprs: 0
; TotalNumVgprs: 39
; ScratchSize: 0
; MemoryBound: 0
; FloatMode: 240
; IeeeMode: 1
; LDSByteSize: 528 bytes/workgroup (compile time only)
; SGPRBlocks: 5
; VGPRBlocks: 4
; NumSGPRsForWavesPerEU: 46
; NumVGPRsForWavesPerEU: 39
; AccumOffset: 40
; Occupancy: 8
; WaveLimiterHint : 1
; COMPUTE_PGM_RSRC2:SCRATCH_EN: 0
; COMPUTE_PGM_RSRC2:USER_SGPR: 6
; COMPUTE_PGM_RSRC2:TRAP_HANDLER: 0
; COMPUTE_PGM_RSRC2:TGID_X_EN: 1
; COMPUTE_PGM_RSRC2:TGID_Y_EN: 1
; COMPUTE_PGM_RSRC2:TGID_Z_EN: 1
; COMPUTE_PGM_RSRC2:TIDIG_COMP_CNT: 0
; COMPUTE_PGM_RSRC3_GFX90A:ACCUM_OFFSET: 9
; COMPUTE_PGM_RSRC3_GFX90A:TG_SPLIT: 0
	.section	.text._ZN2at6native18radixSortKVInPlaceILin2ELin1ELi512ELi8EsljEEvNS_4cuda6detail10TensorInfoIT3_T5_EES6_S6_S6_NS4_IT4_S6_EES6_b,"axG",@progbits,_ZN2at6native18radixSortKVInPlaceILin2ELin1ELi512ELi8EsljEEvNS_4cuda6detail10TensorInfoIT3_T5_EES6_S6_S6_NS4_IT4_S6_EES6_b,comdat
	.protected	_ZN2at6native18radixSortKVInPlaceILin2ELin1ELi512ELi8EsljEEvNS_4cuda6detail10TensorInfoIT3_T5_EES6_S6_S6_NS4_IT4_S6_EES6_b ; -- Begin function _ZN2at6native18radixSortKVInPlaceILin2ELin1ELi512ELi8EsljEEvNS_4cuda6detail10TensorInfoIT3_T5_EES6_S6_S6_NS4_IT4_S6_EES6_b
	.globl	_ZN2at6native18radixSortKVInPlaceILin2ELin1ELi512ELi8EsljEEvNS_4cuda6detail10TensorInfoIT3_T5_EES6_S6_S6_NS4_IT4_S6_EES6_b
	.p2align	8
	.type	_ZN2at6native18radixSortKVInPlaceILin2ELin1ELi512ELi8EsljEEvNS_4cuda6detail10TensorInfoIT3_T5_EES6_S6_S6_NS4_IT4_S6_EES6_b,@function
_ZN2at6native18radixSortKVInPlaceILin2ELin1ELi512ELi8EsljEEvNS_4cuda6detail10TensorInfoIT3_T5_EES6_S6_S6_NS4_IT4_S6_EES6_b: ; @_ZN2at6native18radixSortKVInPlaceILin2ELin1ELi512ELi8EsljEEvNS_4cuda6detail10TensorInfoIT3_T5_EES6_S6_S6_NS4_IT4_S6_EES6_b
; %bb.0:
	s_load_dwordx2 s[0:1], s[4:5], 0x1c8
	s_load_dwordx4 s[48:51], s[4:5], 0xd8
	s_add_u32 s54, s4, 0x1c8
	s_addc_u32 s55, s5, 0
	s_waitcnt lgkmcnt(0)
	s_mul_i32 s1, s1, s8
	s_add_i32 s1, s1, s7
	s_mul_i32 s0, s1, s0
	s_add_i32 s6, s0, s6
	s_cmp_ge_u32 s6, s48
	s_cbranch_scc1 .LBB160_146
; %bb.1:
	s_load_dword s2, s[4:5], 0x1b8
	s_load_dwordx2 s[0:1], s[4:5], 0x0
	s_add_u32 s14, s4, 0xe8
	s_addc_u32 s15, s5, 0
	s_mov_b32 s17, 0
	s_waitcnt lgkmcnt(0)
	s_cmp_lt_i32 s2, 2
	s_mov_b32 s16, s6
	s_cbranch_scc1 .LBB160_4
; %bb.2:
	s_add_i32 s16, s2, -1
	s_add_i32 s7, s2, 1
	s_lshl_b64 s[2:3], s[16:17], 2
	s_add_u32 s2, s2, s14
	s_addc_u32 s3, s3, s15
	s_add_u32 s2, s2, 8
	s_addc_u32 s3, s3, 0
	s_mov_b32 s16, s6
.LBB160_3:                              ; =>This Inner Loop Header: Depth=1
	s_load_dword s8, s[2:3], 0x0
	s_load_dword s10, s[2:3], 0x64
	s_mov_b32 s9, s16
	s_waitcnt lgkmcnt(0)
	v_cvt_f32_u32_e32 v1, s8
	s_sub_i32 s11, 0, s8
	v_rcp_iflag_f32_e32 v1, v1
	v_mul_f32_e32 v1, 0x4f7ffffe, v1
	v_cvt_u32_f32_e32 v1, v1
	v_readfirstlane_b32 s12, v1
	s_mul_i32 s11, s11, s12
	s_mul_hi_u32 s11, s12, s11
	s_add_i32 s12, s12, s11
	s_mul_hi_u32 s11, s16, s12
	s_mul_i32 s12, s11, s8
	s_sub_i32 s12, s16, s12
	s_add_i32 s13, s11, 1
	s_sub_i32 s16, s12, s8
	s_cmp_ge_u32 s12, s8
	s_cselect_b32 s11, s13, s11
	s_cselect_b32 s12, s16, s12
	s_add_i32 s13, s11, 1
	s_cmp_ge_u32 s12, s8
	s_cselect_b32 s16, s13, s11
	s_mul_i32 s8, s16, s8
	s_sub_i32 s8, s9, s8
	s_mul_i32 s8, s10, s8
	s_add_i32 s7, s7, -1
	s_add_i32 s17, s8, s17
	s_add_u32 s2, s2, -4
	s_addc_u32 s3, s3, -1
	s_cmp_gt_u32 s7, 2
	s_cbranch_scc1 .LBB160_3
.LBB160_4:
	s_load_dword s2, s[4:5], 0x6c
	s_load_dwordx2 s[52:53], s[4:5], 0x1c0
	s_mov_b32 s3, 0
	v_and_b32_e32 v46, 0x3ff, v0
	v_mul_lo_u32 v42, v46, s50
	s_waitcnt lgkmcnt(0)
	s_mul_i32 s2, s2, s6
	s_bitcmp1_b32 s53, 0
	s_cselect_b64 s[34:35], -1, 0
	s_mov_b32 s6, 0x8000
	s_and_b64 s[4:5], s[34:35], exec
	s_cselect_b32 s8, s6, 0x7fff
	s_pack_ll_b32_b16 s4, s8, s8
	s_lshl_b64 s[2:3], s[2:3], 1
	s_mov_b32 s5, s4
	s_add_u32 s33, s0, s2
	s_mov_b32 s6, s4
	s_mov_b32 s7, s4
	v_pk_mov_b32 v[2:3], s[4:5], s[4:5] op_sel:[0,1]
	s_addc_u32 s48, s1, s3
	v_cmp_gt_u32_e64 s[0:1], s49, v46
	v_pk_mov_b32 v[4:5], s[6:7], s[6:7] op_sel:[0,1]
	v_mov_b32_e32 v6, s8
	s_and_saveexec_b64 s[2:3], s[0:1]
	s_cbranch_execz .LBB160_6
; %bb.5:
	v_mov_b32_e32 v43, 0
	v_lshlrev_b64 v[2:3], 1, v[42:43]
	v_mov_b32_e32 v1, s48
	v_add_co_u32_e32 v2, vcc, s33, v2
	v_addc_co_u32_e32 v3, vcc, v1, v3, vcc
	global_load_ushort v6, v[2:3], off
	s_mov_b32 s5, 0xffff
	v_mov_b32_e32 v1, s4
	v_mov_b32_e32 v3, s4
	;; [unrolled: 1-line block ×4, first 2 shown]
	s_waitcnt vmcnt(0)
	v_bfi_b32 v2, s5, v6, v1
.LBB160_6:
	s_or_b64 exec, exec, s[2:3]
	v_add_u32_e32 v1, 0x200, v46
	v_cmp_gt_u32_e64 s[2:3], s49, v1
	s_and_saveexec_b64 s[4:5], s[2:3]
	s_cbranch_execz .LBB160_8
; %bb.7:
	v_mul_lo_u32 v8, v1, s50
	v_mov_b32_e32 v9, 0
	v_lshlrev_b64 v[8:9], 1, v[8:9]
	v_mov_b32_e32 v7, s48
	v_add_co_u32_e32 v8, vcc, s33, v8
	v_addc_co_u32_e32 v9, vcc, v7, v9, vcc
	global_load_ushort v7, v[8:9], off
	s_mov_b32 s6, 0x5040100
	s_waitcnt vmcnt(0)
	v_perm_b32 v2, v7, v2, s6
.LBB160_8:
	s_or_b64 exec, exec, s[4:5]
	v_or_b32_e32 v22, 0x400, v46
	v_cmp_gt_u32_e64 s[4:5], s49, v22
	s_and_saveexec_b64 s[6:7], s[4:5]
	s_cbranch_execz .LBB160_10
; %bb.9:
	v_mul_lo_u32 v8, v22, s50
	v_mov_b32_e32 v9, 0
	v_lshlrev_b64 v[8:9], 1, v[8:9]
	v_mov_b32_e32 v7, s48
	v_add_co_u32_e32 v8, vcc, s33, v8
	v_addc_co_u32_e32 v9, vcc, v7, v9, vcc
	global_load_ushort v7, v[8:9], off
	s_mov_b32 s8, 0xffff
	s_waitcnt vmcnt(0)
	v_bfi_b32 v3, s8, v7, v3
.LBB160_10:
	s_or_b64 exec, exec, s[6:7]
	v_add_u32_e32 v23, 0x600, v46
	v_cmp_gt_u32_e64 s[6:7], s49, v23
	s_and_saveexec_b64 s[8:9], s[6:7]
	s_cbranch_execz .LBB160_12
; %bb.11:
	v_mul_lo_u32 v8, v23, s50
	v_mov_b32_e32 v9, 0
	v_lshlrev_b64 v[8:9], 1, v[8:9]
	v_mov_b32_e32 v7, s48
	v_add_co_u32_e32 v8, vcc, s33, v8
	v_addc_co_u32_e32 v9, vcc, v7, v9, vcc
	global_load_ushort v7, v[8:9], off
	s_mov_b32 s10, 0x5040100
	s_waitcnt vmcnt(0)
	v_perm_b32 v3, v7, v3, s10
.LBB160_12:
	s_or_b64 exec, exec, s[8:9]
	v_or_b32_e32 v24, 0x800, v46
	v_cmp_gt_u32_e64 s[8:9], s49, v24
	s_and_saveexec_b64 s[10:11], s[8:9]
	s_cbranch_execz .LBB160_14
; %bb.13:
	v_mul_lo_u32 v8, v24, s50
	v_mov_b32_e32 v9, 0
	v_lshlrev_b64 v[8:9], 1, v[8:9]
	v_mov_b32_e32 v7, s48
	v_add_co_u32_e32 v8, vcc, s33, v8
	v_addc_co_u32_e32 v9, vcc, v7, v9, vcc
	global_load_ushort v7, v[8:9], off
	s_mov_b32 s12, 0xffff
	s_waitcnt vmcnt(0)
	v_bfi_b32 v4, s12, v7, v4
.LBB160_14:
	s_or_b64 exec, exec, s[10:11]
	v_add_u32_e32 v25, 0xa00, v46
	v_cmp_gt_u32_e64 s[10:11], s49, v25
	s_and_saveexec_b64 s[12:13], s[10:11]
	s_cbranch_execz .LBB160_16
; %bb.15:
	v_mul_lo_u32 v8, v25, s50
	v_mov_b32_e32 v9, 0
	v_lshlrev_b64 v[8:9], 1, v[8:9]
	v_mov_b32_e32 v7, s48
	v_add_co_u32_e32 v8, vcc, s33, v8
	v_addc_co_u32_e32 v9, vcc, v7, v9, vcc
	global_load_ushort v7, v[8:9], off
	s_mov_b32 s18, 0x5040100
	s_waitcnt vmcnt(0)
	v_perm_b32 v4, v7, v4, s18
.LBB160_16:
	s_or_b64 exec, exec, s[12:13]
	s_load_dwordx2 s[18:19], s[14:15], 0x0
	v_or_b32_e32 v26, 0xc00, v46
	v_cmp_gt_u32_e64 s[12:13], s49, v26
	s_and_saveexec_b64 s[20:21], s[12:13]
	s_cbranch_execz .LBB160_18
; %bb.17:
	v_mul_lo_u32 v8, v26, s50
	v_mov_b32_e32 v9, 0
	v_lshlrev_b64 v[8:9], 1, v[8:9]
	v_mov_b32_e32 v7, s48
	v_add_co_u32_e32 v8, vcc, s33, v8
	v_addc_co_u32_e32 v9, vcc, v7, v9, vcc
	global_load_ushort v7, v[8:9], off
	s_mov_b32 s22, 0xffff
	s_waitcnt vmcnt(0)
	v_bfi_b32 v5, s22, v7, v5
.LBB160_18:
	s_or_b64 exec, exec, s[20:21]
	s_load_dword s22, s[14:15], 0x6c
	v_add_u32_e32 v27, 0xe00, v46
	v_cmp_gt_u32_e64 s[14:15], s49, v27
	s_and_saveexec_b64 s[20:21], s[14:15]
	s_cbranch_execz .LBB160_20
; %bb.19:
	v_mul_lo_u32 v8, v27, s50
	v_mov_b32_e32 v9, 0
	v_lshlrev_b64 v[8:9], 1, v[8:9]
	v_mov_b32_e32 v7, s48
	v_add_co_u32_e32 v8, vcc, s33, v8
	v_addc_co_u32_e32 v9, vcc, v7, v9, vcc
	global_load_ushort v7, v[8:9], off
	s_mov_b32 s23, 0x5040100
	s_waitcnt vmcnt(0)
	v_perm_b32 v5, v7, v5, s23
.LBB160_20:
	s_or_b64 exec, exec, s[20:21]
	v_lshrrev_b32_e32 v36, 5, v46
	v_and_b32_e32 v7, 30, v36
	v_add_lshl_u32 v47, v7, v46, 1
	v_lshrrev_b32_e32 v35, 5, v1
	ds_write_b16 v47, v6
	v_and_b32_e32 v6, 62, v35
	v_add_lshl_u32 v43, v6, v46, 1
	v_lshrrev_b32_e32 v34, 5, v22
	ds_write_b16_d16_hi v43, v2 offset:1024
	v_and_b32_e32 v2, 62, v34
	v_lshrrev_b32_e32 v33, 5, v23
	v_add_lshl_u32 v48, v2, v46, 1
	v_and_b32_e32 v2, 0x7e, v33
	v_lshrrev_b32_e32 v32, 5, v24
	v_add_lshl_u32 v49, v2, v46, 1
	;; [unrolled: 3-line block ×6, first 2 shown]
	v_lshlrev_b32_e32 v62, 3, v46
	v_and_b32_e32 v2, 0xfe, v30
	s_waitcnt lgkmcnt(0)
	s_mul_i32 s16, s22, s16
	v_add_lshl_u32 v54, v2, v62, 1
	s_add_i32 s16, s16, s17
	s_mov_b32 s17, 0
	ds_write_b16 v48, v3 offset:2048
	ds_write_b16_d16_hi v49, v3 offset:3072
	ds_write_b16 v50, v4 offset:4096
	ds_write_b16_d16_hi v51, v4 offset:5120
	;; [unrolled: 2-line block ×3, first 2 shown]
	s_waitcnt lgkmcnt(0)
	s_barrier
	ds_read_b128 v[18:21], v54
	s_lshl_b64 s[20:21], s[16:17], 3
	s_add_u32 s49, s18, s20
	s_mov_b32 s16, s17
	s_addc_u32 s51, s19, s21
	s_mov_b32 s18, s17
	s_mov_b32 s19, s17
	s_mov_b32 s20, s17
	s_mov_b32 s21, s17
	s_mov_b32 s22, s17
	s_mov_b32 s23, s17
	s_mov_b32 s24, s17
	s_mov_b32 s25, s17
	s_mov_b32 s26, s17
	s_mov_b32 s27, s17
	s_mov_b32 s28, s17
	s_mov_b32 s29, s17
	s_mov_b32 s30, s17
	s_mov_b32 s31, s17
	v_pk_mov_b32 v[2:3], s[16:17], s[16:17] op_sel:[0,1]
	v_pk_mov_b32 v[4:5], s[18:19], s[18:19] op_sel:[0,1]
	;; [unrolled: 1-line block ×8, first 2 shown]
	v_pk_mov_b32 v[2:3], 0, 0
	v_mul_lo_u32 v44, v46, s52
	s_waitcnt lgkmcnt(0)
	s_barrier
	s_and_saveexec_b64 s[16:17], s[0:1]
	s_cbranch_execnz .LBB160_75
; %bb.21:
	s_or_b64 exec, exec, s[16:17]
	s_and_saveexec_b64 s[16:17], s[2:3]
	s_cbranch_execnz .LBB160_76
.LBB160_22:
	s_or_b64 exec, exec, s[16:17]
	s_and_saveexec_b64 s[16:17], s[4:5]
	s_cbranch_execnz .LBB160_77
.LBB160_23:
	s_or_b64 exec, exec, s[16:17]
	s_and_saveexec_b64 s[16:17], s[6:7]
	s_cbranch_execnz .LBB160_78
.LBB160_24:
	s_or_b64 exec, exec, s[16:17]
	s_and_saveexec_b64 s[16:17], s[8:9]
	s_cbranch_execnz .LBB160_79
.LBB160_25:
	s_or_b64 exec, exec, s[16:17]
	s_and_saveexec_b64 s[16:17], s[10:11]
	s_cbranch_execnz .LBB160_80
.LBB160_26:
	s_or_b64 exec, exec, s[16:17]
	s_and_saveexec_b64 s[16:17], s[12:13]
	s_cbranch_execnz .LBB160_81
.LBB160_27:
	s_or_b64 exec, exec, s[16:17]
	s_xor_b64 s[16:17], s[34:35], -1
	s_and_saveexec_b64 s[18:19], s[14:15]
	s_cbranch_execz .LBB160_29
.LBB160_28:
	v_mul_lo_u32 v16, v27, s52
	v_mov_b32_e32 v17, 0
	v_lshlrev_b64 v[16:17], 3, v[16:17]
	v_mov_b32_e32 v1, s51
	v_add_co_u32_e32 v16, vcc, s49, v16
	v_addc_co_u32_e32 v17, vcc, v1, v17, vcc
	global_load_dwordx2 v[16:17], v[16:17], off
.LBB160_29:
	s_or_b64 exec, exec, s[18:19]
	v_add_lshl_u32 v55, v36, v46, 3
	v_add_lshl_u32 v45, v35, v46, 3
	v_add_lshl_u32 v56, v34, v46, 3
	v_add_lshl_u32 v57, v33, v46, 3
	v_add_lshl_u32 v58, v32, v46, 3
	v_add_lshl_u32 v59, v31, v46, 3
	v_add_lshl_u32 v60, v29, v46, 3
	v_add_lshl_u32 v61, v28, v46, 3
	v_add_lshl_u32 v63, v30, v62, 3
	s_waitcnt vmcnt(0)
	ds_write_b64 v55, v[2:3]
	ds_write_b64 v45, v[4:5] offset:4096
	ds_write_b64 v56, v[6:7] offset:8192
	;; [unrolled: 1-line block ×7, first 2 shown]
	s_waitcnt lgkmcnt(0)
	s_barrier
	ds_read2_b64 v[14:17], v63 offset1:1
	ds_read2_b64 v[10:13], v63 offset0:2 offset1:3
	ds_read2_b64 v[6:9], v63 offset0:4 offset1:5
	;; [unrolled: 1-line block ×3, first 2 shown]
	v_mbcnt_lo_u32_b32 v1, -1, 0
	v_mbcnt_hi_u32_b32 v65, -1, v1
	v_and_b32_e32 v67, 0x3c0, v46
	v_add_u32_e32 v1, v65, v67
	v_and_b32_e32 v66, 0x1e00, v62
	v_lshlrev_b32_e32 v22, 3, v1
	v_lshlrev_b32_e32 v73, 4, v1
	v_or_b32_e32 v1, v65, v66
	v_lshlrev_b32_e32 v72, 1, v1
	s_and_b64 vcc, exec, s[16:17]
	v_bfe_u32 v68, v0, 10, 10
	v_bfe_u32 v69, v0, 20, 10
	v_lshlrev_b32_e32 v71, 3, v22
	v_lshlrev_b32_e32 v70, 3, v1
	;; [unrolled: 1-line block ×3, first 2 shown]
	s_waitcnt lgkmcnt(0)
	s_barrier
	s_cbranch_vccz .LBB160_82
; %bb.30:
	s_movk_i32 s16, 0x8000
	v_xor_b32_e32 v0, 0xffff8000, v18
	v_xor_b32_sdwa v1, v18, s16 dst_sel:DWORD dst_unused:UNUSED_PAD src0_sel:WORD_1 src1_sel:DWORD
	v_xor_b32_e32 v22, 0xffff8000, v19
	v_xor_b32_sdwa v23, v19, s16 dst_sel:DWORD dst_unused:UNUSED_PAD src0_sel:WORD_1 src1_sel:DWORD
	v_xor_b32_e32 v24, 0xffff8000, v20
	v_xor_b32_sdwa v26, v20, s16 dst_sel:DWORD dst_unused:UNUSED_PAD src0_sel:WORD_1 src1_sel:DWORD
	v_xor_b32_e32 v25, 0xffff8000, v21
	v_xor_b32_sdwa v27, v21, s16 dst_sel:DWORD dst_unused:UNUSED_PAD src0_sel:WORD_1 src1_sel:DWORD
	s_mov_b32 s16, 0x5040100
	v_perm_b32 v25, v27, v25, s16
	v_perm_b32 v24, v26, v24, s16
	;; [unrolled: 1-line block ×4, first 2 shown]
	ds_write_b128 v73, v[22:25]
	; wave barrier
	ds_read_u16 v84, v72
	ds_read_u16 v83, v72 offset:128
	ds_read_u16 v82, v72 offset:256
	;; [unrolled: 1-line block ×7, first 2 shown]
	s_waitcnt lgkmcnt(0)
	s_barrier
	ds_write2_b64 v71, v[14:15], v[16:17] offset1:1
	ds_write2_b64 v71, v[10:11], v[12:13] offset0:2 offset1:3
	ds_write2_b64 v71, v[6:7], v[8:9] offset0:4 offset1:5
	;; [unrolled: 1-line block ×3, first 2 shown]
	; wave barrier
	ds_read2st64_b64 v[34:37], v70 offset1:1
	ds_read2st64_b64 v[30:33], v70 offset0:2 offset1:3
	ds_read2st64_b64 v[26:29], v70 offset0:4 offset1:5
	;; [unrolled: 1-line block ×3, first 2 shown]
	s_waitcnt lgkmcnt(0)
	s_barrier
	s_load_dword s18, s[54:55], 0xc
	s_getpc_b64 s[16:17]
	s_add_u32 s16, s16, _ZN7rocprim17ROCPRIM_400000_NS16block_radix_sortIsLj512ELj8ElLj1ELj1ELj0ELNS0_26block_radix_rank_algorithmE1ELNS0_18block_padding_hintE2ELNS0_4arch9wavefront6targetE1EE19radix_bits_per_passE@rel32@lo+4
	s_addc_u32 s17, s17, _ZN7rocprim17ROCPRIM_400000_NS16block_radix_sortIsLj512ELj8ElLj1ELj1ELj0ELNS0_26block_radix_rank_algorithmE1ELNS0_18block_padding_hintE2ELNS0_4arch9wavefront6targetE1EE19radix_bits_per_passE@rel32@hi+12
	s_load_dword s44, s[16:17], 0x0
	s_waitcnt lgkmcnt(0)
	s_lshr_b32 s16, s18, 16
	s_and_b32 s17, s18, 0xffff
	v_mad_u32_u24 v0, v69, s16, v68
	v_mad_u64_u32 v[0:1], s[16:17], v0, s17, v[46:47]
	s_min_u32 s16, s44, 16
	s_lshl_b32 s16, -1, s16
	s_not_b32 s18, s16
	v_and_b32_sdwa v38, s18, v84 dst_sel:DWORD dst_unused:UNUSED_PAD src0_sel:DWORD src1_sel:WORD_0
	v_lshrrev_b32_e32 v74, 6, v0
	v_lshlrev_b32_e32 v1, 3, v38
	v_add_lshl_u32 v87, v74, v1, 2
	v_and_b32_e32 v1, 1, v38
	v_add_co_u32_e32 v39, vcc, -1, v1
	v_addc_co_u32_e64 v40, s[16:17], 0, -1, vcc
	v_cmp_ne_u32_e32 vcc, 0, v1
	v_xor_b32_e32 v1, vcc_hi, v40
	v_mov_b32_e32 v0, 0
	v_and_b32_e32 v40, exec_hi, v1
	v_lshlrev_b32_e32 v1, 30, v38
	v_xor_b32_e32 v39, vcc_lo, v39
	v_cmp_gt_i64_e32 vcc, 0, v[0:1]
	v_not_b32_e32 v1, v1
	v_ashrrev_i32_e32 v1, 31, v1
	v_and_b32_e32 v39, exec_lo, v39
	v_xor_b32_e32 v41, vcc_hi, v1
	v_xor_b32_e32 v1, vcc_lo, v1
	v_and_b32_e32 v39, v39, v1
	v_lshlrev_b32_e32 v1, 29, v38
	v_cmp_gt_i64_e32 vcc, 0, v[0:1]
	v_not_b32_e32 v1, v1
	v_ashrrev_i32_e32 v1, 31, v1
	v_and_b32_e32 v40, v40, v41
	v_xor_b32_e32 v41, vcc_hi, v1
	v_xor_b32_e32 v1, vcc_lo, v1
	v_and_b32_e32 v39, v39, v1
	v_lshlrev_b32_e32 v1, 28, v38
	v_cmp_gt_i64_e32 vcc, 0, v[0:1]
	v_not_b32_e32 v1, v1
	v_ashrrev_i32_e32 v1, 31, v1
	v_and_b32_e32 v40, v40, v41
	;; [unrolled: 8-line block ×5, first 2 shown]
	v_xor_b32_e32 v41, vcc_hi, v1
	v_xor_b32_e32 v1, vcc_lo, v1
	v_and_b32_e32 v40, v40, v41
	v_and_b32_e32 v41, v39, v1
	v_lshlrev_b32_e32 v1, 24, v38
	v_cmp_gt_i64_e32 vcc, 0, v[0:1]
	v_not_b32_e32 v1, v1
	v_ashrrev_i32_e32 v1, 31, v1
	v_xor_b32_e32 v38, vcc_hi, v1
	v_xor_b32_e32 v1, vcc_lo, v1
	v_and_b32_e32 v39, v40, v38
	v_and_b32_e32 v38, v41, v1
	v_mbcnt_lo_u32_b32 v1, v38, 0
	v_mbcnt_hi_u32_b32 v88, v39, v1
	v_cmp_eq_u32_e32 vcc, 0, v88
	v_cmp_ne_u64_e64 s[16:17], 0, v[38:39]
	s_and_b64 s[20:21], s[16:17], vcc
	ds_write2_b32 v64, v0, v0 offset0:8 offset1:9
	ds_write2_b32 v64, v0, v0 offset0:10 offset1:11
	s_waitcnt lgkmcnt(0)
	s_barrier
	s_waitcnt lgkmcnt(0)
	; wave barrier
	s_and_saveexec_b64 s[16:17], s[20:21]
	s_cbranch_execz .LBB160_32
; %bb.31:
	v_bcnt_u32_b32 v1, v38, 0
	v_bcnt_u32_b32 v1, v39, v1
	ds_write_b32 v87, v1 offset:32
.LBB160_32:
	s_or_b64 exec, exec, s[16:17]
	v_and_b32_sdwa v38, s18, v83 dst_sel:DWORD dst_unused:UNUSED_PAD src0_sel:DWORD src1_sel:WORD_0
	v_lshlrev_b32_e32 v1, 3, v38
	v_add_lshl_u32 v90, v74, v1, 2
	v_and_b32_e32 v1, 1, v38
	v_add_co_u32_e32 v39, vcc, -1, v1
	v_addc_co_u32_e64 v40, s[16:17], 0, -1, vcc
	v_cmp_ne_u32_e32 vcc, 0, v1
	v_xor_b32_e32 v1, vcc_hi, v40
	v_and_b32_e32 v40, exec_hi, v1
	v_lshlrev_b32_e32 v1, 30, v38
	v_xor_b32_e32 v39, vcc_lo, v39
	v_cmp_gt_i64_e32 vcc, 0, v[0:1]
	v_not_b32_e32 v1, v1
	v_ashrrev_i32_e32 v1, 31, v1
	v_and_b32_e32 v39, exec_lo, v39
	v_xor_b32_e32 v41, vcc_hi, v1
	v_xor_b32_e32 v1, vcc_lo, v1
	v_and_b32_e32 v39, v39, v1
	v_lshlrev_b32_e32 v1, 29, v38
	v_cmp_gt_i64_e32 vcc, 0, v[0:1]
	v_not_b32_e32 v1, v1
	v_ashrrev_i32_e32 v1, 31, v1
	v_and_b32_e32 v40, v40, v41
	v_xor_b32_e32 v41, vcc_hi, v1
	v_xor_b32_e32 v1, vcc_lo, v1
	v_and_b32_e32 v39, v39, v1
	v_lshlrev_b32_e32 v1, 28, v38
	v_cmp_gt_i64_e32 vcc, 0, v[0:1]
	v_not_b32_e32 v1, v1
	v_ashrrev_i32_e32 v1, 31, v1
	v_and_b32_e32 v40, v40, v41
	;; [unrolled: 8-line block ×5, first 2 shown]
	v_xor_b32_e32 v41, vcc_hi, v1
	v_xor_b32_e32 v1, vcc_lo, v1
	v_and_b32_e32 v39, v39, v1
	v_lshlrev_b32_e32 v1, 24, v38
	v_cmp_gt_i64_e32 vcc, 0, v[0:1]
	v_not_b32_e32 v0, v1
	v_ashrrev_i32_e32 v0, 31, v0
	v_xor_b32_e32 v1, vcc_hi, v0
	v_xor_b32_e32 v0, vcc_lo, v0
	; wave barrier
	ds_read_b32 v89, v90 offset:32
	v_and_b32_e32 v40, v40, v41
	v_and_b32_e32 v0, v39, v0
	;; [unrolled: 1-line block ×3, first 2 shown]
	v_mbcnt_lo_u32_b32 v38, v0, 0
	v_mbcnt_hi_u32_b32 v91, v1, v38
	v_cmp_eq_u32_e32 vcc, 0, v91
	v_cmp_ne_u64_e64 s[16:17], 0, v[0:1]
	s_and_b64 s[20:21], s[16:17], vcc
	; wave barrier
	s_and_saveexec_b64 s[16:17], s[20:21]
	s_cbranch_execz .LBB160_34
; %bb.33:
	v_bcnt_u32_b32 v0, v0, 0
	v_bcnt_u32_b32 v0, v1, v0
	s_waitcnt lgkmcnt(0)
	v_add_u32_e32 v0, v89, v0
	ds_write_b32 v90, v0 offset:32
.LBB160_34:
	s_or_b64 exec, exec, s[16:17]
	v_and_b32_sdwa v38, s18, v82 dst_sel:DWORD dst_unused:UNUSED_PAD src0_sel:DWORD src1_sel:WORD_0
	v_and_b32_e32 v1, 1, v38
	v_add_co_u32_e32 v39, vcc, -1, v1
	v_addc_co_u32_e64 v40, s[16:17], 0, -1, vcc
	v_cmp_ne_u32_e32 vcc, 0, v1
	v_lshlrev_b32_e32 v0, 3, v38
	v_xor_b32_e32 v1, vcc_hi, v40
	v_add_lshl_u32 v93, v74, v0, 2
	v_mov_b32_e32 v0, 0
	v_and_b32_e32 v40, exec_hi, v1
	v_lshlrev_b32_e32 v1, 30, v38
	v_xor_b32_e32 v39, vcc_lo, v39
	v_cmp_gt_i64_e32 vcc, 0, v[0:1]
	v_not_b32_e32 v1, v1
	v_ashrrev_i32_e32 v1, 31, v1
	v_and_b32_e32 v39, exec_lo, v39
	v_xor_b32_e32 v41, vcc_hi, v1
	v_xor_b32_e32 v1, vcc_lo, v1
	v_and_b32_e32 v39, v39, v1
	v_lshlrev_b32_e32 v1, 29, v38
	v_cmp_gt_i64_e32 vcc, 0, v[0:1]
	v_not_b32_e32 v1, v1
	v_ashrrev_i32_e32 v1, 31, v1
	v_and_b32_e32 v40, v40, v41
	v_xor_b32_e32 v41, vcc_hi, v1
	v_xor_b32_e32 v1, vcc_lo, v1
	v_and_b32_e32 v39, v39, v1
	v_lshlrev_b32_e32 v1, 28, v38
	v_cmp_gt_i64_e32 vcc, 0, v[0:1]
	v_not_b32_e32 v1, v1
	v_ashrrev_i32_e32 v1, 31, v1
	v_and_b32_e32 v40, v40, v41
	;; [unrolled: 8-line block ×5, first 2 shown]
	v_xor_b32_e32 v41, vcc_hi, v1
	v_xor_b32_e32 v1, vcc_lo, v1
	v_and_b32_e32 v40, v40, v41
	v_and_b32_e32 v41, v39, v1
	v_lshlrev_b32_e32 v1, 24, v38
	v_cmp_gt_i64_e32 vcc, 0, v[0:1]
	v_not_b32_e32 v1, v1
	v_ashrrev_i32_e32 v1, 31, v1
	v_xor_b32_e32 v38, vcc_hi, v1
	v_xor_b32_e32 v1, vcc_lo, v1
	; wave barrier
	ds_read_b32 v92, v93 offset:32
	v_and_b32_e32 v39, v40, v38
	v_and_b32_e32 v38, v41, v1
	v_mbcnt_lo_u32_b32 v1, v38, 0
	v_mbcnt_hi_u32_b32 v94, v39, v1
	v_cmp_eq_u32_e32 vcc, 0, v94
	v_cmp_ne_u64_e64 s[16:17], 0, v[38:39]
	s_and_b64 s[20:21], s[16:17], vcc
	; wave barrier
	s_and_saveexec_b64 s[16:17], s[20:21]
	s_cbranch_execz .LBB160_36
; %bb.35:
	v_bcnt_u32_b32 v1, v38, 0
	v_bcnt_u32_b32 v1, v39, v1
	s_waitcnt lgkmcnt(0)
	v_add_u32_e32 v1, v92, v1
	ds_write_b32 v93, v1 offset:32
.LBB160_36:
	s_or_b64 exec, exec, s[16:17]
	v_and_b32_sdwa v38, s18, v81 dst_sel:DWORD dst_unused:UNUSED_PAD src0_sel:DWORD src1_sel:WORD_0
	v_lshlrev_b32_e32 v1, 3, v38
	v_add_lshl_u32 v96, v74, v1, 2
	v_and_b32_e32 v1, 1, v38
	v_add_co_u32_e32 v39, vcc, -1, v1
	v_addc_co_u32_e64 v40, s[16:17], 0, -1, vcc
	v_cmp_ne_u32_e32 vcc, 0, v1
	v_xor_b32_e32 v1, vcc_hi, v40
	v_and_b32_e32 v40, exec_hi, v1
	v_lshlrev_b32_e32 v1, 30, v38
	v_xor_b32_e32 v39, vcc_lo, v39
	v_cmp_gt_i64_e32 vcc, 0, v[0:1]
	v_not_b32_e32 v1, v1
	v_ashrrev_i32_e32 v1, 31, v1
	v_and_b32_e32 v39, exec_lo, v39
	v_xor_b32_e32 v41, vcc_hi, v1
	v_xor_b32_e32 v1, vcc_lo, v1
	v_and_b32_e32 v39, v39, v1
	v_lshlrev_b32_e32 v1, 29, v38
	v_cmp_gt_i64_e32 vcc, 0, v[0:1]
	v_not_b32_e32 v1, v1
	v_ashrrev_i32_e32 v1, 31, v1
	v_and_b32_e32 v40, v40, v41
	v_xor_b32_e32 v41, vcc_hi, v1
	v_xor_b32_e32 v1, vcc_lo, v1
	v_and_b32_e32 v39, v39, v1
	v_lshlrev_b32_e32 v1, 28, v38
	v_cmp_gt_i64_e32 vcc, 0, v[0:1]
	v_not_b32_e32 v1, v1
	v_ashrrev_i32_e32 v1, 31, v1
	v_and_b32_e32 v40, v40, v41
	;; [unrolled: 8-line block ×5, first 2 shown]
	v_xor_b32_e32 v41, vcc_hi, v1
	v_xor_b32_e32 v1, vcc_lo, v1
	v_and_b32_e32 v39, v39, v1
	v_lshlrev_b32_e32 v1, 24, v38
	v_cmp_gt_i64_e32 vcc, 0, v[0:1]
	v_not_b32_e32 v0, v1
	v_ashrrev_i32_e32 v0, 31, v0
	v_xor_b32_e32 v1, vcc_hi, v0
	v_xor_b32_e32 v0, vcc_lo, v0
	; wave barrier
	ds_read_b32 v95, v96 offset:32
	v_and_b32_e32 v40, v40, v41
	v_and_b32_e32 v0, v39, v0
	;; [unrolled: 1-line block ×3, first 2 shown]
	v_mbcnt_lo_u32_b32 v38, v0, 0
	v_mbcnt_hi_u32_b32 v97, v1, v38
	v_cmp_eq_u32_e32 vcc, 0, v97
	v_cmp_ne_u64_e64 s[16:17], 0, v[0:1]
	s_and_b64 s[20:21], s[16:17], vcc
	; wave barrier
	s_and_saveexec_b64 s[16:17], s[20:21]
	s_cbranch_execz .LBB160_38
; %bb.37:
	v_bcnt_u32_b32 v0, v0, 0
	v_bcnt_u32_b32 v0, v1, v0
	s_waitcnt lgkmcnt(0)
	v_add_u32_e32 v0, v95, v0
	ds_write_b32 v96, v0 offset:32
.LBB160_38:
	s_or_b64 exec, exec, s[16:17]
	v_and_b32_sdwa v38, s18, v80 dst_sel:DWORD dst_unused:UNUSED_PAD src0_sel:DWORD src1_sel:WORD_0
	v_and_b32_e32 v1, 1, v38
	v_add_co_u32_e32 v39, vcc, -1, v1
	v_addc_co_u32_e64 v40, s[16:17], 0, -1, vcc
	v_cmp_ne_u32_e32 vcc, 0, v1
	v_lshlrev_b32_e32 v0, 3, v38
	v_xor_b32_e32 v1, vcc_hi, v40
	v_add_lshl_u32 v99, v74, v0, 2
	v_mov_b32_e32 v0, 0
	v_and_b32_e32 v40, exec_hi, v1
	v_lshlrev_b32_e32 v1, 30, v38
	v_xor_b32_e32 v39, vcc_lo, v39
	v_cmp_gt_i64_e32 vcc, 0, v[0:1]
	v_not_b32_e32 v1, v1
	v_ashrrev_i32_e32 v1, 31, v1
	v_and_b32_e32 v39, exec_lo, v39
	v_xor_b32_e32 v41, vcc_hi, v1
	v_xor_b32_e32 v1, vcc_lo, v1
	v_and_b32_e32 v39, v39, v1
	v_lshlrev_b32_e32 v1, 29, v38
	v_cmp_gt_i64_e32 vcc, 0, v[0:1]
	v_not_b32_e32 v1, v1
	v_ashrrev_i32_e32 v1, 31, v1
	v_and_b32_e32 v40, v40, v41
	v_xor_b32_e32 v41, vcc_hi, v1
	v_xor_b32_e32 v1, vcc_lo, v1
	v_and_b32_e32 v39, v39, v1
	v_lshlrev_b32_e32 v1, 28, v38
	v_cmp_gt_i64_e32 vcc, 0, v[0:1]
	v_not_b32_e32 v1, v1
	v_ashrrev_i32_e32 v1, 31, v1
	v_and_b32_e32 v40, v40, v41
	;; [unrolled: 8-line block ×5, first 2 shown]
	v_xor_b32_e32 v41, vcc_hi, v1
	v_xor_b32_e32 v1, vcc_lo, v1
	v_and_b32_e32 v40, v40, v41
	v_and_b32_e32 v41, v39, v1
	v_lshlrev_b32_e32 v1, 24, v38
	v_cmp_gt_i64_e32 vcc, 0, v[0:1]
	v_not_b32_e32 v1, v1
	v_ashrrev_i32_e32 v1, 31, v1
	v_xor_b32_e32 v38, vcc_hi, v1
	v_xor_b32_e32 v1, vcc_lo, v1
	; wave barrier
	ds_read_b32 v98, v99 offset:32
	v_and_b32_e32 v39, v40, v38
	v_and_b32_e32 v38, v41, v1
	v_mbcnt_lo_u32_b32 v1, v38, 0
	v_mbcnt_hi_u32_b32 v100, v39, v1
	v_cmp_eq_u32_e32 vcc, 0, v100
	v_cmp_ne_u64_e64 s[16:17], 0, v[38:39]
	s_and_b64 s[20:21], s[16:17], vcc
	; wave barrier
	s_and_saveexec_b64 s[16:17], s[20:21]
	s_cbranch_execz .LBB160_40
; %bb.39:
	v_bcnt_u32_b32 v1, v38, 0
	v_bcnt_u32_b32 v1, v39, v1
	s_waitcnt lgkmcnt(0)
	v_add_u32_e32 v1, v98, v1
	ds_write_b32 v99, v1 offset:32
.LBB160_40:
	s_or_b64 exec, exec, s[16:17]
	v_and_b32_sdwa v38, s18, v79 dst_sel:DWORD dst_unused:UNUSED_PAD src0_sel:DWORD src1_sel:WORD_0
	v_lshlrev_b32_e32 v1, 3, v38
	v_add_lshl_u32 v102, v74, v1, 2
	v_and_b32_e32 v1, 1, v38
	v_add_co_u32_e32 v39, vcc, -1, v1
	v_addc_co_u32_e64 v40, s[16:17], 0, -1, vcc
	v_cmp_ne_u32_e32 vcc, 0, v1
	v_xor_b32_e32 v1, vcc_hi, v40
	v_and_b32_e32 v40, exec_hi, v1
	v_lshlrev_b32_e32 v1, 30, v38
	v_xor_b32_e32 v39, vcc_lo, v39
	v_cmp_gt_i64_e32 vcc, 0, v[0:1]
	v_not_b32_e32 v1, v1
	v_ashrrev_i32_e32 v1, 31, v1
	v_and_b32_e32 v39, exec_lo, v39
	v_xor_b32_e32 v41, vcc_hi, v1
	v_xor_b32_e32 v1, vcc_lo, v1
	v_and_b32_e32 v39, v39, v1
	v_lshlrev_b32_e32 v1, 29, v38
	v_cmp_gt_i64_e32 vcc, 0, v[0:1]
	v_not_b32_e32 v1, v1
	v_ashrrev_i32_e32 v1, 31, v1
	v_and_b32_e32 v40, v40, v41
	v_xor_b32_e32 v41, vcc_hi, v1
	v_xor_b32_e32 v1, vcc_lo, v1
	v_and_b32_e32 v39, v39, v1
	v_lshlrev_b32_e32 v1, 28, v38
	v_cmp_gt_i64_e32 vcc, 0, v[0:1]
	v_not_b32_e32 v1, v1
	v_ashrrev_i32_e32 v1, 31, v1
	v_and_b32_e32 v40, v40, v41
	;; [unrolled: 8-line block ×5, first 2 shown]
	v_xor_b32_e32 v41, vcc_hi, v1
	v_xor_b32_e32 v1, vcc_lo, v1
	v_and_b32_e32 v39, v39, v1
	v_lshlrev_b32_e32 v1, 24, v38
	v_cmp_gt_i64_e32 vcc, 0, v[0:1]
	v_not_b32_e32 v0, v1
	v_ashrrev_i32_e32 v0, 31, v0
	v_xor_b32_e32 v1, vcc_hi, v0
	v_xor_b32_e32 v0, vcc_lo, v0
	; wave barrier
	ds_read_b32 v101, v102 offset:32
	v_and_b32_e32 v40, v40, v41
	v_and_b32_e32 v0, v39, v0
	;; [unrolled: 1-line block ×3, first 2 shown]
	v_mbcnt_lo_u32_b32 v38, v0, 0
	v_mbcnt_hi_u32_b32 v103, v1, v38
	v_cmp_eq_u32_e32 vcc, 0, v103
	v_cmp_ne_u64_e64 s[16:17], 0, v[0:1]
	s_and_b64 s[20:21], s[16:17], vcc
	; wave barrier
	s_and_saveexec_b64 s[16:17], s[20:21]
	s_cbranch_execz .LBB160_42
; %bb.41:
	v_bcnt_u32_b32 v0, v0, 0
	v_bcnt_u32_b32 v0, v1, v0
	s_waitcnt lgkmcnt(0)
	v_add_u32_e32 v0, v101, v0
	ds_write_b32 v102, v0 offset:32
.LBB160_42:
	s_or_b64 exec, exec, s[16:17]
	v_and_b32_sdwa v38, s18, v78 dst_sel:DWORD dst_unused:UNUSED_PAD src0_sel:DWORD src1_sel:WORD_0
	v_and_b32_e32 v1, 1, v38
	v_add_co_u32_e32 v39, vcc, -1, v1
	v_addc_co_u32_e64 v40, s[16:17], 0, -1, vcc
	v_cmp_ne_u32_e32 vcc, 0, v1
	v_lshlrev_b32_e32 v0, 3, v38
	v_xor_b32_e32 v1, vcc_hi, v40
	v_add_lshl_u32 v105, v74, v0, 2
	v_mov_b32_e32 v0, 0
	v_and_b32_e32 v40, exec_hi, v1
	v_lshlrev_b32_e32 v1, 30, v38
	v_xor_b32_e32 v39, vcc_lo, v39
	v_cmp_gt_i64_e32 vcc, 0, v[0:1]
	v_not_b32_e32 v1, v1
	v_ashrrev_i32_e32 v1, 31, v1
	v_and_b32_e32 v39, exec_lo, v39
	v_xor_b32_e32 v41, vcc_hi, v1
	v_xor_b32_e32 v1, vcc_lo, v1
	v_and_b32_e32 v39, v39, v1
	v_lshlrev_b32_e32 v1, 29, v38
	v_cmp_gt_i64_e32 vcc, 0, v[0:1]
	v_not_b32_e32 v1, v1
	v_ashrrev_i32_e32 v1, 31, v1
	v_and_b32_e32 v40, v40, v41
	v_xor_b32_e32 v41, vcc_hi, v1
	v_xor_b32_e32 v1, vcc_lo, v1
	v_and_b32_e32 v39, v39, v1
	v_lshlrev_b32_e32 v1, 28, v38
	v_cmp_gt_i64_e32 vcc, 0, v[0:1]
	v_not_b32_e32 v1, v1
	v_ashrrev_i32_e32 v1, 31, v1
	v_and_b32_e32 v40, v40, v41
	v_xor_b32_e32 v41, vcc_hi, v1
	v_xor_b32_e32 v1, vcc_lo, v1
	v_and_b32_e32 v39, v39, v1
	v_lshlrev_b32_e32 v1, 27, v38
	v_cmp_gt_i64_e32 vcc, 0, v[0:1]
	v_not_b32_e32 v1, v1
	v_ashrrev_i32_e32 v1, 31, v1
	v_and_b32_e32 v40, v40, v41
	v_xor_b32_e32 v41, vcc_hi, v1
	v_xor_b32_e32 v1, vcc_lo, v1
	v_and_b32_e32 v39, v39, v1
	v_lshlrev_b32_e32 v1, 26, v38
	v_cmp_gt_i64_e32 vcc, 0, v[0:1]
	v_not_b32_e32 v1, v1
	v_ashrrev_i32_e32 v1, 31, v1
	v_and_b32_e32 v40, v40, v41
	v_xor_b32_e32 v41, vcc_hi, v1
	v_xor_b32_e32 v1, vcc_lo, v1
	v_and_b32_e32 v39, v39, v1
	v_lshlrev_b32_e32 v1, 25, v38
	v_cmp_gt_i64_e32 vcc, 0, v[0:1]
	v_not_b32_e32 v1, v1
	v_ashrrev_i32_e32 v1, 31, v1
	v_and_b32_e32 v40, v40, v41
	v_xor_b32_e32 v41, vcc_hi, v1
	v_xor_b32_e32 v1, vcc_lo, v1
	v_and_b32_e32 v40, v40, v41
	v_and_b32_e32 v41, v39, v1
	v_lshlrev_b32_e32 v1, 24, v38
	v_cmp_gt_i64_e32 vcc, 0, v[0:1]
	v_not_b32_e32 v1, v1
	v_ashrrev_i32_e32 v1, 31, v1
	v_xor_b32_e32 v38, vcc_hi, v1
	v_xor_b32_e32 v1, vcc_lo, v1
	; wave barrier
	ds_read_b32 v104, v105 offset:32
	v_and_b32_e32 v39, v40, v38
	v_and_b32_e32 v38, v41, v1
	v_mbcnt_lo_u32_b32 v1, v38, 0
	v_mbcnt_hi_u32_b32 v106, v39, v1
	v_cmp_eq_u32_e32 vcc, 0, v106
	v_cmp_ne_u64_e64 s[16:17], 0, v[38:39]
	s_and_b64 s[20:21], s[16:17], vcc
	; wave barrier
	s_and_saveexec_b64 s[16:17], s[20:21]
	s_cbranch_execz .LBB160_44
; %bb.43:
	v_bcnt_u32_b32 v1, v38, 0
	v_bcnt_u32_b32 v1, v39, v1
	s_waitcnt lgkmcnt(0)
	v_add_u32_e32 v1, v104, v1
	ds_write_b32 v105, v1 offset:32
.LBB160_44:
	s_or_b64 exec, exec, s[16:17]
	v_and_b32_sdwa v38, s18, v77 dst_sel:DWORD dst_unused:UNUSED_PAD src0_sel:DWORD src1_sel:WORD_0
	v_lshlrev_b32_e32 v1, 3, v38
	v_add_lshl_u32 v108, v74, v1, 2
	v_and_b32_e32 v1, 1, v38
	v_add_co_u32_e32 v39, vcc, -1, v1
	v_addc_co_u32_e64 v40, s[16:17], 0, -1, vcc
	v_cmp_ne_u32_e32 vcc, 0, v1
	v_xor_b32_e32 v1, vcc_hi, v40
	v_and_b32_e32 v40, exec_hi, v1
	v_lshlrev_b32_e32 v1, 30, v38
	v_xor_b32_e32 v39, vcc_lo, v39
	v_cmp_gt_i64_e32 vcc, 0, v[0:1]
	v_not_b32_e32 v1, v1
	v_ashrrev_i32_e32 v1, 31, v1
	v_and_b32_e32 v39, exec_lo, v39
	v_xor_b32_e32 v41, vcc_hi, v1
	v_xor_b32_e32 v1, vcc_lo, v1
	v_and_b32_e32 v39, v39, v1
	v_lshlrev_b32_e32 v1, 29, v38
	v_cmp_gt_i64_e32 vcc, 0, v[0:1]
	v_not_b32_e32 v1, v1
	v_ashrrev_i32_e32 v1, 31, v1
	v_and_b32_e32 v40, v40, v41
	v_xor_b32_e32 v41, vcc_hi, v1
	v_xor_b32_e32 v1, vcc_lo, v1
	v_and_b32_e32 v39, v39, v1
	v_lshlrev_b32_e32 v1, 28, v38
	v_cmp_gt_i64_e32 vcc, 0, v[0:1]
	v_not_b32_e32 v1, v1
	v_ashrrev_i32_e32 v1, 31, v1
	v_and_b32_e32 v40, v40, v41
	;; [unrolled: 8-line block ×5, first 2 shown]
	v_xor_b32_e32 v41, vcc_hi, v1
	v_xor_b32_e32 v1, vcc_lo, v1
	v_and_b32_e32 v39, v39, v1
	v_lshlrev_b32_e32 v1, 24, v38
	v_cmp_gt_i64_e32 vcc, 0, v[0:1]
	v_not_b32_e32 v0, v1
	v_ashrrev_i32_e32 v0, 31, v0
	v_xor_b32_e32 v1, vcc_hi, v0
	v_xor_b32_e32 v0, vcc_lo, v0
	; wave barrier
	ds_read_b32 v107, v108 offset:32
	v_and_b32_e32 v40, v40, v41
	v_and_b32_e32 v0, v39, v0
	;; [unrolled: 1-line block ×3, first 2 shown]
	v_mbcnt_lo_u32_b32 v38, v0, 0
	v_mbcnt_hi_u32_b32 v109, v1, v38
	v_cmp_eq_u32_e32 vcc, 0, v109
	v_cmp_ne_u64_e64 s[16:17], 0, v[0:1]
	v_add_u32_e32 v75, 32, v64
	v_lshrrev_b32_e32 v76, 6, v46
	v_min_u32_e32 v85, 0x1c0, v67
	s_and_b64 s[18:19], s[16:17], vcc
	; wave barrier
	s_and_saveexec_b64 s[16:17], s[18:19]
	s_cbranch_execz .LBB160_46
; %bb.45:
	v_bcnt_u32_b32 v0, v0, 0
	v_bcnt_u32_b32 v0, v1, v0
	s_waitcnt lgkmcnt(0)
	v_add_u32_e32 v0, v107, v0
	ds_write_b32 v108, v0 offset:32
.LBB160_46:
	s_or_b64 exec, exec, s[16:17]
	; wave barrier
	s_waitcnt lgkmcnt(0)
	s_barrier
	ds_read2_b32 v[38:39], v64 offset0:8 offset1:9
	ds_read2_b32 v[40:41], v75 offset0:2 offset1:3
	v_and_b32_e32 v1, 16, v65
	v_cmp_eq_u32_e32 vcc, 0, v1
	v_or_b32_e32 v1, 63, v85
	v_cmp_eq_u32_e64 s[16:17], v1, v46
	s_waitcnt lgkmcnt(1)
	v_add_u32_e32 v1, v39, v38
	v_and_b32_e32 v0, 15, v65
	s_waitcnt lgkmcnt(0)
	v_add3_u32 v1, v1, v40, v41
	v_cmp_eq_u32_e64 s[24:25], 0, v0
	v_cmp_lt_u32_e64 s[26:27], 1, v0
	v_mov_b32_dpp v41, v1 row_shr:1 row_mask:0xf bank_mask:0xf
	v_cndmask_b32_e64 v41, v41, 0, s[24:25]
	v_add_u32_e32 v1, v41, v1
	v_cmp_lt_u32_e64 s[30:31], 3, v0
	v_cmp_lt_u32_e64 s[34:35], 7, v0
	v_mov_b32_dpp v41, v1 row_shr:2 row_mask:0xf bank_mask:0xf
	v_cndmask_b32_e64 v41, 0, v41, s[26:27]
	v_add_u32_e32 v1, v1, v41
	v_bfe_i32 v86, v65, 4, 1
	v_cmp_lt_u32_e64 s[36:37], 31, v65
	v_mov_b32_dpp v41, v1 row_shr:4 row_mask:0xf bank_mask:0xf
	v_cndmask_b32_e64 v41, 0, v41, s[30:31]
	v_add_u32_e32 v1, v1, v41
	v_lshlrev_b32_e32 v76, 2, v76
	s_nop 0
	v_mov_b32_dpp v41, v1 row_shr:8 row_mask:0xf bank_mask:0xf
	v_cndmask_b32_e64 v0, 0, v41, s[34:35]
	v_add_u32_e32 v0, v1, v0
	s_nop 1
	v_mov_b32_dpp v1, v0 row_bcast:15 row_mask:0xf bank_mask:0xf
	v_and_b32_e32 v1, v86, v1
	v_add_u32_e32 v0, v0, v1
	s_nop 1
	v_mov_b32_dpp v1, v0 row_bcast:31 row_mask:0xf bank_mask:0xf
	v_cndmask_b32_e64 v1, 0, v1, s[36:37]
	v_add_u32_e32 v1, v0, v1
	s_and_saveexec_b64 s[18:19], s[16:17]
	s_cbranch_execz .LBB160_48
; %bb.47:
	ds_write_b32 v76, v1
.LBB160_48:
	s_or_b64 exec, exec, s[18:19]
	v_and_b32_e32 v0, 7, v65
	v_cmp_gt_u32_e64 s[28:29], 8, v46
	v_lshlrev_b32_e32 v41, 2, v46
	v_cmp_eq_u32_e64 s[22:23], 0, v0
	v_cmp_lt_u32_e64 s[20:21], 1, v0
	v_cmp_lt_u32_e64 s[18:19], 3, v0
	s_waitcnt lgkmcnt(0)
	s_barrier
	s_and_saveexec_b64 s[38:39], s[28:29]
	s_cbranch_execz .LBB160_50
; %bb.49:
	ds_read_b32 v0, v41
	s_waitcnt lgkmcnt(0)
	s_nop 0
	v_mov_b32_dpp v85, v0 row_shr:1 row_mask:0xf bank_mask:0xf
	v_cndmask_b32_e64 v85, v85, 0, s[22:23]
	v_add_u32_e32 v0, v85, v0
	s_nop 1
	v_mov_b32_dpp v85, v0 row_shr:2 row_mask:0xf bank_mask:0xf
	v_cndmask_b32_e64 v85, 0, v85, s[20:21]
	v_add_u32_e32 v0, v0, v85
	;; [unrolled: 4-line block ×3, first 2 shown]
	ds_write_b32 v41, v0
.LBB160_50:
	s_or_b64 exec, exec, s[38:39]
	v_cmp_lt_u32_e64 s[38:39], 63, v46
	v_add_u32_e32 v85, -4, v76
	v_mov_b32_e32 v0, 0
	v_mov_b32_e32 v110, 0
	s_waitcnt lgkmcnt(0)
	s_barrier
	s_and_saveexec_b64 s[40:41], s[38:39]
	s_cbranch_execz .LBB160_52
; %bb.51:
	ds_read_b32 v110, v85
.LBB160_52:
	s_or_b64 exec, exec, s[40:41]
	v_add_u32_e32 v86, -1, v65
	v_and_b32_e32 v111, 64, v65
	v_cmp_lt_i32_e64 s[40:41], v86, v111
	v_cndmask_b32_e64 v86, v86, v65, s[40:41]
	v_lshlrev_b32_e32 v86, 2, v86
	s_waitcnt lgkmcnt(0)
	v_add_u32_e32 v1, v110, v1
	ds_bpermute_b32 v1, v86, v1
	v_cmp_eq_u32_e64 s[40:41], 0, v65
	v_cmp_eq_u32_e64 s[42:43], 0, v46
	v_and_or_b32 v111, v65, 63, v66
	v_lshlrev_b32_e32 v112, 1, v111
	s_waitcnt lgkmcnt(0)
	v_cndmask_b32_e64 v1, v1, v110, s[40:41]
	v_cndmask_b32_e64 v1, v1, 0, s[42:43]
	v_add_u32_e32 v38, v1, v38
	v_add_u32_e32 v39, v38, v39
	;; [unrolled: 1-line block ×3, first 2 shown]
	ds_write2_b32 v64, v1, v38 offset0:8 offset1:9
	ds_write2_b32 v75, v39, v40 offset0:2 offset1:3
	s_waitcnt lgkmcnt(0)
	s_barrier
	ds_read_b32 v1, v87 offset:32
	ds_read_b32 v38, v90 offset:32
	;; [unrolled: 1-line block ×8, first 2 shown]
	s_waitcnt lgkmcnt(7)
	v_add_u32_e32 v1, v1, v88
	s_waitcnt lgkmcnt(6)
	v_add3_u32 v38, v91, v89, v38
	s_waitcnt lgkmcnt(4)
	v_add3_u32 v88, v97, v95, v40
	v_lshlrev_b32_e32 v40, 1, v1
	v_add3_u32 v39, v94, v92, v39
	s_waitcnt lgkmcnt(0)
	s_barrier
	ds_write_b16 v40, v84
	v_lshlrev_b32_e32 v40, 1, v38
	ds_write_b16 v40, v83
	v_lshlrev_b32_e32 v40, 1, v39
	v_add3_u32 v87, v100, v98, v87
	ds_write_b16 v40, v82
	v_lshlrev_b32_e32 v40, 1, v88
	v_add3_u32 v89, v103, v101, v90
	;; [unrolled: 3-line block ×4, first 2 shown]
	ds_write_b16 v40, v79
	v_lshlrev_b32_e32 v40, 1, v90
	ds_write_b16 v40, v78
	v_lshlrev_b32_e32 v40, 1, v91
	v_lshlrev_b32_e32 v1, 3, v1
	ds_write_b16 v40, v77
	s_waitcnt lgkmcnt(0)
	s_barrier
	ds_read_u16 v83, v112
	ds_read_u16 v82, v112 offset:128
	ds_read_u16 v81, v112 offset:256
	;; [unrolled: 1-line block ×7, first 2 shown]
	s_waitcnt lgkmcnt(0)
	s_barrier
	ds_write_b64 v1, v[34:35]
	v_lshlrev_b32_e32 v1, 3, v38
	ds_write_b64 v1, v[36:37]
	v_lshlrev_b32_e32 v1, 3, v39
	;; [unrolled: 2-line block ×4, first 2 shown]
	s_min_u32 s44, s44, 8
	ds_write_b64 v1, v[26:27]
	v_lshlrev_b32_e32 v1, 3, v89
	s_lshl_b32 s44, -1, s44
	ds_write_b64 v1, v[28:29]
	v_lshlrev_b32_e32 v1, 3, v90
	s_not_b32 s53, s44
	ds_write_b64 v1, v[22:23]
	v_lshlrev_b32_e32 v1, 3, v91
	v_and_b32_sdwa v38, v83, s53 dst_sel:DWORD dst_unused:UNUSED_PAD src0_sel:BYTE_1 src1_sel:DWORD
	ds_write_b64 v1, v[24:25]
	v_lshlrev_b32_e32 v1, 3, v38
	v_add_lshl_u32 v84, v1, v74, 2
	v_and_b32_e32 v1, 1, v38
	v_add_co_u32_e64 v39, s[44:45], -1, v1
	v_addc_co_u32_e64 v87, s[44:45], 0, -1, s[44:45]
	v_cmp_ne_u32_e64 s[44:45], 0, v1
	v_xor_b32_e32 v1, s45, v87
	v_and_b32_e32 v87, exec_hi, v1
	v_lshlrev_b32_e32 v1, 30, v38
	v_xor_b32_e32 v39, s44, v39
	v_cmp_gt_i64_e64 s[44:45], 0, v[0:1]
	v_not_b32_e32 v1, v1
	v_ashrrev_i32_e32 v1, 31, v1
	v_and_b32_e32 v39, exec_lo, v39
	v_xor_b32_e32 v88, s45, v1
	v_xor_b32_e32 v1, s44, v1
	v_and_b32_e32 v39, v39, v1
	v_lshlrev_b32_e32 v1, 29, v38
	v_cmp_gt_i64_e64 s[44:45], 0, v[0:1]
	v_not_b32_e32 v1, v1
	v_ashrrev_i32_e32 v1, 31, v1
	v_and_b32_e32 v87, v87, v88
	v_xor_b32_e32 v88, s45, v1
	v_xor_b32_e32 v1, s44, v1
	v_and_b32_e32 v39, v39, v1
	v_lshlrev_b32_e32 v1, 28, v38
	v_cmp_gt_i64_e64 s[44:45], 0, v[0:1]
	v_not_b32_e32 v1, v1
	v_ashrrev_i32_e32 v1, 31, v1
	v_and_b32_e32 v87, v87, v88
	;; [unrolled: 8-line block ×5, first 2 shown]
	v_xor_b32_e32 v88, s45, v1
	v_xor_b32_e32 v1, s44, v1
	v_lshlrev_b32_e32 v111, 3, v111
	v_and_b32_e32 v39, v39, v1
	v_lshlrev_b32_e32 v1, 24, v38
	s_waitcnt lgkmcnt(0)
	s_barrier
	ds_read2st64_b64 v[34:37], v111 offset1:1
	ds_read2st64_b64 v[30:33], v111 offset0:2 offset1:3
	ds_read2st64_b64 v[26:29], v111 offset0:4 offset1:5
	;; [unrolled: 1-line block ×3, first 2 shown]
	s_waitcnt lgkmcnt(0)
	s_barrier
	ds_write2_b32 v64, v0, v0 offset0:8 offset1:9
	ds_write2_b32 v75, v0, v0 offset0:2 offset1:3
	v_cmp_gt_i64_e64 s[44:45], 0, v[0:1]
	v_not_b32_e32 v0, v1
	v_ashrrev_i32_e32 v0, 31, v0
	v_xor_b32_e32 v1, s45, v0
	v_xor_b32_e32 v0, s44, v0
	v_and_b32_e32 v87, v87, v88
	v_and_b32_e32 v0, v39, v0
	;; [unrolled: 1-line block ×3, first 2 shown]
	v_mbcnt_lo_u32_b32 v38, v0, 0
	v_mbcnt_hi_u32_b32 v87, v1, v38
	v_cmp_eq_u32_e64 s[44:45], 0, v87
	v_cmp_ne_u64_e64 s[46:47], 0, v[0:1]
	s_and_b64 s[46:47], s[46:47], s[44:45]
	s_waitcnt lgkmcnt(0)
	s_barrier
	s_waitcnt lgkmcnt(0)
	; wave barrier
	s_and_saveexec_b64 s[44:45], s[46:47]
	s_cbranch_execz .LBB160_54
; %bb.53:
	v_bcnt_u32_b32 v0, v0, 0
	v_bcnt_u32_b32 v0, v1, v0
	ds_write_b32 v84, v0 offset:32
.LBB160_54:
	s_or_b64 exec, exec, s[44:45]
	v_and_b32_sdwa v38, v82, s53 dst_sel:DWORD dst_unused:UNUSED_PAD src0_sel:BYTE_1 src1_sel:DWORD
	v_and_b32_e32 v1, 1, v38
	v_add_co_u32_e64 v39, s[44:45], -1, v1
	v_addc_co_u32_e64 v90, s[44:45], 0, -1, s[44:45]
	v_cmp_ne_u32_e64 s[44:45], 0, v1
	v_lshlrev_b32_e32 v0, 3, v38
	v_xor_b32_e32 v1, s45, v90
	v_add_lshl_u32 v89, v0, v74, 2
	v_mov_b32_e32 v0, 0
	v_and_b32_e32 v90, exec_hi, v1
	v_lshlrev_b32_e32 v1, 30, v38
	v_xor_b32_e32 v39, s44, v39
	v_cmp_gt_i64_e64 s[44:45], 0, v[0:1]
	v_not_b32_e32 v1, v1
	v_ashrrev_i32_e32 v1, 31, v1
	v_and_b32_e32 v39, exec_lo, v39
	v_xor_b32_e32 v91, s45, v1
	v_xor_b32_e32 v1, s44, v1
	v_and_b32_e32 v39, v39, v1
	v_lshlrev_b32_e32 v1, 29, v38
	v_cmp_gt_i64_e64 s[44:45], 0, v[0:1]
	v_not_b32_e32 v1, v1
	v_ashrrev_i32_e32 v1, 31, v1
	v_and_b32_e32 v90, v90, v91
	v_xor_b32_e32 v91, s45, v1
	v_xor_b32_e32 v1, s44, v1
	v_and_b32_e32 v39, v39, v1
	v_lshlrev_b32_e32 v1, 28, v38
	v_cmp_gt_i64_e64 s[44:45], 0, v[0:1]
	v_not_b32_e32 v1, v1
	v_ashrrev_i32_e32 v1, 31, v1
	v_and_b32_e32 v90, v90, v91
	;; [unrolled: 8-line block ×5, first 2 shown]
	v_xor_b32_e32 v91, s45, v1
	v_xor_b32_e32 v1, s44, v1
	v_and_b32_e32 v90, v90, v91
	v_and_b32_e32 v91, v39, v1
	v_lshlrev_b32_e32 v1, 24, v38
	v_cmp_gt_i64_e64 s[44:45], 0, v[0:1]
	v_not_b32_e32 v1, v1
	v_ashrrev_i32_e32 v1, 31, v1
	v_xor_b32_e32 v38, s45, v1
	v_xor_b32_e32 v1, s44, v1
	; wave barrier
	ds_read_b32 v88, v89 offset:32
	v_and_b32_e32 v39, v90, v38
	v_and_b32_e32 v38, v91, v1
	v_mbcnt_lo_u32_b32 v1, v38, 0
	v_mbcnt_hi_u32_b32 v90, v39, v1
	v_cmp_eq_u32_e64 s[44:45], 0, v90
	v_cmp_ne_u64_e64 s[46:47], 0, v[38:39]
	s_and_b64 s[46:47], s[46:47], s[44:45]
	; wave barrier
	s_and_saveexec_b64 s[44:45], s[46:47]
	s_cbranch_execz .LBB160_56
; %bb.55:
	v_bcnt_u32_b32 v1, v38, 0
	v_bcnt_u32_b32 v1, v39, v1
	s_waitcnt lgkmcnt(0)
	v_add_u32_e32 v1, v88, v1
	ds_write_b32 v89, v1 offset:32
.LBB160_56:
	s_or_b64 exec, exec, s[44:45]
	v_and_b32_sdwa v38, v81, s53 dst_sel:DWORD dst_unused:UNUSED_PAD src0_sel:BYTE_1 src1_sel:DWORD
	v_lshlrev_b32_e32 v1, 3, v38
	v_add_lshl_u32 v92, v1, v74, 2
	v_and_b32_e32 v1, 1, v38
	v_add_co_u32_e64 v39, s[44:45], -1, v1
	v_addc_co_u32_e64 v93, s[44:45], 0, -1, s[44:45]
	v_cmp_ne_u32_e64 s[44:45], 0, v1
	v_xor_b32_e32 v1, s45, v93
	v_and_b32_e32 v93, exec_hi, v1
	v_lshlrev_b32_e32 v1, 30, v38
	v_xor_b32_e32 v39, s44, v39
	v_cmp_gt_i64_e64 s[44:45], 0, v[0:1]
	v_not_b32_e32 v1, v1
	v_ashrrev_i32_e32 v1, 31, v1
	v_and_b32_e32 v39, exec_lo, v39
	v_xor_b32_e32 v94, s45, v1
	v_xor_b32_e32 v1, s44, v1
	v_and_b32_e32 v39, v39, v1
	v_lshlrev_b32_e32 v1, 29, v38
	v_cmp_gt_i64_e64 s[44:45], 0, v[0:1]
	v_not_b32_e32 v1, v1
	v_ashrrev_i32_e32 v1, 31, v1
	v_and_b32_e32 v93, v93, v94
	v_xor_b32_e32 v94, s45, v1
	v_xor_b32_e32 v1, s44, v1
	v_and_b32_e32 v39, v39, v1
	v_lshlrev_b32_e32 v1, 28, v38
	v_cmp_gt_i64_e64 s[44:45], 0, v[0:1]
	v_not_b32_e32 v1, v1
	v_ashrrev_i32_e32 v1, 31, v1
	v_and_b32_e32 v93, v93, v94
	;; [unrolled: 8-line block ×5, first 2 shown]
	v_xor_b32_e32 v94, s45, v1
	v_xor_b32_e32 v1, s44, v1
	v_and_b32_e32 v39, v39, v1
	v_lshlrev_b32_e32 v1, 24, v38
	v_cmp_gt_i64_e64 s[44:45], 0, v[0:1]
	v_not_b32_e32 v0, v1
	v_ashrrev_i32_e32 v0, 31, v0
	v_xor_b32_e32 v1, s45, v0
	v_xor_b32_e32 v0, s44, v0
	; wave barrier
	ds_read_b32 v91, v92 offset:32
	v_and_b32_e32 v93, v93, v94
	v_and_b32_e32 v0, v39, v0
	;; [unrolled: 1-line block ×3, first 2 shown]
	v_mbcnt_lo_u32_b32 v38, v0, 0
	v_mbcnt_hi_u32_b32 v93, v1, v38
	v_cmp_eq_u32_e64 s[44:45], 0, v93
	v_cmp_ne_u64_e64 s[46:47], 0, v[0:1]
	s_and_b64 s[46:47], s[46:47], s[44:45]
	; wave barrier
	s_and_saveexec_b64 s[44:45], s[46:47]
	s_cbranch_execz .LBB160_58
; %bb.57:
	v_bcnt_u32_b32 v0, v0, 0
	v_bcnt_u32_b32 v0, v1, v0
	s_waitcnt lgkmcnt(0)
	v_add_u32_e32 v0, v91, v0
	ds_write_b32 v92, v0 offset:32
.LBB160_58:
	s_or_b64 exec, exec, s[44:45]
	v_and_b32_sdwa v38, v80, s53 dst_sel:DWORD dst_unused:UNUSED_PAD src0_sel:BYTE_1 src1_sel:DWORD
	v_and_b32_e32 v1, 1, v38
	v_add_co_u32_e64 v39, s[44:45], -1, v1
	v_addc_co_u32_e64 v96, s[44:45], 0, -1, s[44:45]
	v_cmp_ne_u32_e64 s[44:45], 0, v1
	v_lshlrev_b32_e32 v0, 3, v38
	v_xor_b32_e32 v1, s45, v96
	v_add_lshl_u32 v95, v0, v74, 2
	v_mov_b32_e32 v0, 0
	v_and_b32_e32 v96, exec_hi, v1
	v_lshlrev_b32_e32 v1, 30, v38
	v_xor_b32_e32 v39, s44, v39
	v_cmp_gt_i64_e64 s[44:45], 0, v[0:1]
	v_not_b32_e32 v1, v1
	v_ashrrev_i32_e32 v1, 31, v1
	v_and_b32_e32 v39, exec_lo, v39
	v_xor_b32_e32 v97, s45, v1
	v_xor_b32_e32 v1, s44, v1
	v_and_b32_e32 v39, v39, v1
	v_lshlrev_b32_e32 v1, 29, v38
	v_cmp_gt_i64_e64 s[44:45], 0, v[0:1]
	v_not_b32_e32 v1, v1
	v_ashrrev_i32_e32 v1, 31, v1
	v_and_b32_e32 v96, v96, v97
	v_xor_b32_e32 v97, s45, v1
	v_xor_b32_e32 v1, s44, v1
	v_and_b32_e32 v39, v39, v1
	v_lshlrev_b32_e32 v1, 28, v38
	v_cmp_gt_i64_e64 s[44:45], 0, v[0:1]
	v_not_b32_e32 v1, v1
	v_ashrrev_i32_e32 v1, 31, v1
	v_and_b32_e32 v96, v96, v97
	;; [unrolled: 8-line block ×5, first 2 shown]
	v_xor_b32_e32 v97, s45, v1
	v_xor_b32_e32 v1, s44, v1
	v_and_b32_e32 v96, v96, v97
	v_and_b32_e32 v97, v39, v1
	v_lshlrev_b32_e32 v1, 24, v38
	v_cmp_gt_i64_e64 s[44:45], 0, v[0:1]
	v_not_b32_e32 v1, v1
	v_ashrrev_i32_e32 v1, 31, v1
	v_xor_b32_e32 v38, s45, v1
	v_xor_b32_e32 v1, s44, v1
	; wave barrier
	ds_read_b32 v94, v95 offset:32
	v_and_b32_e32 v39, v96, v38
	v_and_b32_e32 v38, v97, v1
	v_mbcnt_lo_u32_b32 v1, v38, 0
	v_mbcnt_hi_u32_b32 v96, v39, v1
	v_cmp_eq_u32_e64 s[44:45], 0, v96
	v_cmp_ne_u64_e64 s[46:47], 0, v[38:39]
	s_and_b64 s[46:47], s[46:47], s[44:45]
	; wave barrier
	s_and_saveexec_b64 s[44:45], s[46:47]
	s_cbranch_execz .LBB160_60
; %bb.59:
	v_bcnt_u32_b32 v1, v38, 0
	v_bcnt_u32_b32 v1, v39, v1
	s_waitcnt lgkmcnt(0)
	v_add_u32_e32 v1, v94, v1
	ds_write_b32 v95, v1 offset:32
.LBB160_60:
	s_or_b64 exec, exec, s[44:45]
	v_and_b32_sdwa v38, v79, s53 dst_sel:DWORD dst_unused:UNUSED_PAD src0_sel:BYTE_1 src1_sel:DWORD
	v_lshlrev_b32_e32 v1, 3, v38
	v_add_lshl_u32 v98, v1, v74, 2
	v_and_b32_e32 v1, 1, v38
	v_add_co_u32_e64 v39, s[44:45], -1, v1
	v_addc_co_u32_e64 v99, s[44:45], 0, -1, s[44:45]
	v_cmp_ne_u32_e64 s[44:45], 0, v1
	v_xor_b32_e32 v1, s45, v99
	v_and_b32_e32 v99, exec_hi, v1
	v_lshlrev_b32_e32 v1, 30, v38
	v_xor_b32_e32 v39, s44, v39
	v_cmp_gt_i64_e64 s[44:45], 0, v[0:1]
	v_not_b32_e32 v1, v1
	v_ashrrev_i32_e32 v1, 31, v1
	v_and_b32_e32 v39, exec_lo, v39
	v_xor_b32_e32 v100, s45, v1
	v_xor_b32_e32 v1, s44, v1
	v_and_b32_e32 v39, v39, v1
	v_lshlrev_b32_e32 v1, 29, v38
	v_cmp_gt_i64_e64 s[44:45], 0, v[0:1]
	v_not_b32_e32 v1, v1
	v_ashrrev_i32_e32 v1, 31, v1
	v_and_b32_e32 v99, v99, v100
	v_xor_b32_e32 v100, s45, v1
	v_xor_b32_e32 v1, s44, v1
	v_and_b32_e32 v39, v39, v1
	v_lshlrev_b32_e32 v1, 28, v38
	v_cmp_gt_i64_e64 s[44:45], 0, v[0:1]
	v_not_b32_e32 v1, v1
	v_ashrrev_i32_e32 v1, 31, v1
	v_and_b32_e32 v99, v99, v100
	;; [unrolled: 8-line block ×5, first 2 shown]
	v_xor_b32_e32 v100, s45, v1
	v_xor_b32_e32 v1, s44, v1
	v_and_b32_e32 v39, v39, v1
	v_lshlrev_b32_e32 v1, 24, v38
	v_cmp_gt_i64_e64 s[44:45], 0, v[0:1]
	v_not_b32_e32 v0, v1
	v_ashrrev_i32_e32 v0, 31, v0
	v_xor_b32_e32 v1, s45, v0
	v_xor_b32_e32 v0, s44, v0
	; wave barrier
	ds_read_b32 v97, v98 offset:32
	v_and_b32_e32 v99, v99, v100
	v_and_b32_e32 v0, v39, v0
	;; [unrolled: 1-line block ×3, first 2 shown]
	v_mbcnt_lo_u32_b32 v38, v0, 0
	v_mbcnt_hi_u32_b32 v99, v1, v38
	v_cmp_eq_u32_e64 s[44:45], 0, v99
	v_cmp_ne_u64_e64 s[46:47], 0, v[0:1]
	s_and_b64 s[46:47], s[46:47], s[44:45]
	; wave barrier
	s_and_saveexec_b64 s[44:45], s[46:47]
	s_cbranch_execz .LBB160_62
; %bb.61:
	v_bcnt_u32_b32 v0, v0, 0
	v_bcnt_u32_b32 v0, v1, v0
	s_waitcnt lgkmcnt(0)
	v_add_u32_e32 v0, v97, v0
	ds_write_b32 v98, v0 offset:32
.LBB160_62:
	s_or_b64 exec, exec, s[44:45]
	v_and_b32_sdwa v38, v78, s53 dst_sel:DWORD dst_unused:UNUSED_PAD src0_sel:BYTE_1 src1_sel:DWORD
	v_and_b32_e32 v1, 1, v38
	v_add_co_u32_e64 v39, s[44:45], -1, v1
	v_addc_co_u32_e64 v102, s[44:45], 0, -1, s[44:45]
	v_cmp_ne_u32_e64 s[44:45], 0, v1
	v_lshlrev_b32_e32 v0, 3, v38
	v_xor_b32_e32 v1, s45, v102
	v_add_lshl_u32 v101, v0, v74, 2
	v_mov_b32_e32 v0, 0
	v_and_b32_e32 v102, exec_hi, v1
	v_lshlrev_b32_e32 v1, 30, v38
	v_xor_b32_e32 v39, s44, v39
	v_cmp_gt_i64_e64 s[44:45], 0, v[0:1]
	v_not_b32_e32 v1, v1
	v_ashrrev_i32_e32 v1, 31, v1
	v_and_b32_e32 v39, exec_lo, v39
	v_xor_b32_e32 v103, s45, v1
	v_xor_b32_e32 v1, s44, v1
	v_and_b32_e32 v39, v39, v1
	v_lshlrev_b32_e32 v1, 29, v38
	v_cmp_gt_i64_e64 s[44:45], 0, v[0:1]
	v_not_b32_e32 v1, v1
	v_ashrrev_i32_e32 v1, 31, v1
	v_and_b32_e32 v102, v102, v103
	v_xor_b32_e32 v103, s45, v1
	v_xor_b32_e32 v1, s44, v1
	v_and_b32_e32 v39, v39, v1
	v_lshlrev_b32_e32 v1, 28, v38
	v_cmp_gt_i64_e64 s[44:45], 0, v[0:1]
	v_not_b32_e32 v1, v1
	v_ashrrev_i32_e32 v1, 31, v1
	v_and_b32_e32 v102, v102, v103
	;; [unrolled: 8-line block ×5, first 2 shown]
	v_xor_b32_e32 v103, s45, v1
	v_xor_b32_e32 v1, s44, v1
	v_and_b32_e32 v102, v102, v103
	v_and_b32_e32 v103, v39, v1
	v_lshlrev_b32_e32 v1, 24, v38
	v_cmp_gt_i64_e64 s[44:45], 0, v[0:1]
	v_not_b32_e32 v1, v1
	v_ashrrev_i32_e32 v1, 31, v1
	v_xor_b32_e32 v38, s45, v1
	v_xor_b32_e32 v1, s44, v1
	; wave barrier
	ds_read_b32 v100, v101 offset:32
	v_and_b32_e32 v39, v102, v38
	v_and_b32_e32 v38, v103, v1
	v_mbcnt_lo_u32_b32 v1, v38, 0
	v_mbcnt_hi_u32_b32 v102, v39, v1
	v_cmp_eq_u32_e64 s[44:45], 0, v102
	v_cmp_ne_u64_e64 s[46:47], 0, v[38:39]
	s_and_b64 s[46:47], s[46:47], s[44:45]
	; wave barrier
	s_and_saveexec_b64 s[44:45], s[46:47]
	s_cbranch_execz .LBB160_64
; %bb.63:
	v_bcnt_u32_b32 v1, v38, 0
	v_bcnt_u32_b32 v1, v39, v1
	s_waitcnt lgkmcnt(0)
	v_add_u32_e32 v1, v100, v1
	ds_write_b32 v101, v1 offset:32
.LBB160_64:
	s_or_b64 exec, exec, s[44:45]
	v_and_b32_sdwa v38, v77, s53 dst_sel:DWORD dst_unused:UNUSED_PAD src0_sel:BYTE_1 src1_sel:DWORD
	v_lshlrev_b32_e32 v1, 3, v38
	v_add_lshl_u32 v104, v1, v74, 2
	v_and_b32_e32 v1, 1, v38
	v_add_co_u32_e64 v39, s[44:45], -1, v1
	v_addc_co_u32_e64 v105, s[44:45], 0, -1, s[44:45]
	v_cmp_ne_u32_e64 s[44:45], 0, v1
	v_xor_b32_e32 v1, s45, v105
	v_and_b32_e32 v105, exec_hi, v1
	v_lshlrev_b32_e32 v1, 30, v38
	v_xor_b32_e32 v39, s44, v39
	v_cmp_gt_i64_e64 s[44:45], 0, v[0:1]
	v_not_b32_e32 v1, v1
	v_ashrrev_i32_e32 v1, 31, v1
	v_and_b32_e32 v39, exec_lo, v39
	v_xor_b32_e32 v106, s45, v1
	v_xor_b32_e32 v1, s44, v1
	v_and_b32_e32 v39, v39, v1
	v_lshlrev_b32_e32 v1, 29, v38
	v_cmp_gt_i64_e64 s[44:45], 0, v[0:1]
	v_not_b32_e32 v1, v1
	v_ashrrev_i32_e32 v1, 31, v1
	v_and_b32_e32 v105, v105, v106
	v_xor_b32_e32 v106, s45, v1
	v_xor_b32_e32 v1, s44, v1
	v_and_b32_e32 v39, v39, v1
	v_lshlrev_b32_e32 v1, 28, v38
	v_cmp_gt_i64_e64 s[44:45], 0, v[0:1]
	v_not_b32_e32 v1, v1
	v_ashrrev_i32_e32 v1, 31, v1
	v_and_b32_e32 v105, v105, v106
	;; [unrolled: 8-line block ×5, first 2 shown]
	v_xor_b32_e32 v106, s45, v1
	v_xor_b32_e32 v1, s44, v1
	v_and_b32_e32 v39, v39, v1
	v_lshlrev_b32_e32 v1, 24, v38
	v_cmp_gt_i64_e64 s[44:45], 0, v[0:1]
	v_not_b32_e32 v0, v1
	v_ashrrev_i32_e32 v0, 31, v0
	v_xor_b32_e32 v1, s45, v0
	v_xor_b32_e32 v0, s44, v0
	; wave barrier
	ds_read_b32 v103, v104 offset:32
	v_and_b32_e32 v105, v105, v106
	v_and_b32_e32 v0, v39, v0
	;; [unrolled: 1-line block ×3, first 2 shown]
	v_mbcnt_lo_u32_b32 v38, v0, 0
	v_mbcnt_hi_u32_b32 v105, v1, v38
	v_cmp_eq_u32_e64 s[44:45], 0, v105
	v_cmp_ne_u64_e64 s[46:47], 0, v[0:1]
	s_and_b64 s[46:47], s[46:47], s[44:45]
	; wave barrier
	s_and_saveexec_b64 s[44:45], s[46:47]
	s_cbranch_execz .LBB160_66
; %bb.65:
	v_bcnt_u32_b32 v0, v0, 0
	v_bcnt_u32_b32 v0, v1, v0
	s_waitcnt lgkmcnt(0)
	v_add_u32_e32 v0, v103, v0
	ds_write_b32 v104, v0 offset:32
.LBB160_66:
	s_or_b64 exec, exec, s[44:45]
	v_and_b32_sdwa v38, v40, s53 dst_sel:DWORD dst_unused:UNUSED_PAD src0_sel:BYTE_1 src1_sel:DWORD
	v_and_b32_e32 v1, 1, v38
	v_add_co_u32_e64 v39, s[44:45], -1, v1
	v_addc_co_u32_e64 v107, s[44:45], 0, -1, s[44:45]
	v_cmp_ne_u32_e64 s[44:45], 0, v1
	v_lshlrev_b32_e32 v0, 3, v38
	v_xor_b32_e32 v1, s45, v107
	v_add_lshl_u32 v106, v0, v74, 2
	v_mov_b32_e32 v0, 0
	v_and_b32_e32 v107, exec_hi, v1
	v_lshlrev_b32_e32 v1, 30, v38
	v_xor_b32_e32 v39, s44, v39
	v_cmp_gt_i64_e64 s[44:45], 0, v[0:1]
	v_not_b32_e32 v1, v1
	v_ashrrev_i32_e32 v1, 31, v1
	v_and_b32_e32 v39, exec_lo, v39
	v_xor_b32_e32 v108, s45, v1
	v_xor_b32_e32 v1, s44, v1
	v_and_b32_e32 v39, v39, v1
	v_lshlrev_b32_e32 v1, 29, v38
	v_cmp_gt_i64_e64 s[44:45], 0, v[0:1]
	v_not_b32_e32 v1, v1
	v_ashrrev_i32_e32 v1, 31, v1
	v_and_b32_e32 v107, v107, v108
	v_xor_b32_e32 v108, s45, v1
	v_xor_b32_e32 v1, s44, v1
	v_and_b32_e32 v39, v39, v1
	v_lshlrev_b32_e32 v1, 28, v38
	v_cmp_gt_i64_e64 s[44:45], 0, v[0:1]
	v_not_b32_e32 v1, v1
	v_ashrrev_i32_e32 v1, 31, v1
	v_and_b32_e32 v107, v107, v108
	;; [unrolled: 8-line block ×5, first 2 shown]
	v_xor_b32_e32 v108, s45, v1
	v_xor_b32_e32 v1, s44, v1
	v_and_b32_e32 v39, v39, v1
	v_lshlrev_b32_e32 v1, 24, v38
	v_cmp_gt_i64_e64 s[44:45], 0, v[0:1]
	v_not_b32_e32 v0, v1
	v_ashrrev_i32_e32 v0, 31, v0
	v_xor_b32_e32 v1, s45, v0
	v_xor_b32_e32 v0, s44, v0
	; wave barrier
	ds_read_b32 v74, v106 offset:32
	v_and_b32_e32 v107, v107, v108
	v_and_b32_e32 v0, v39, v0
	;; [unrolled: 1-line block ×3, first 2 shown]
	v_mbcnt_lo_u32_b32 v38, v0, 0
	v_mbcnt_hi_u32_b32 v107, v1, v38
	v_cmp_eq_u32_e64 s[44:45], 0, v107
	v_cmp_ne_u64_e64 s[46:47], 0, v[0:1]
	s_and_b64 s[46:47], s[46:47], s[44:45]
	; wave barrier
	s_and_saveexec_b64 s[44:45], s[46:47]
	s_cbranch_execz .LBB160_68
; %bb.67:
	v_bcnt_u32_b32 v0, v0, 0
	v_bcnt_u32_b32 v0, v1, v0
	s_waitcnt lgkmcnt(0)
	v_add_u32_e32 v0, v74, v0
	ds_write_b32 v106, v0 offset:32
.LBB160_68:
	s_or_b64 exec, exec, s[44:45]
	; wave barrier
	s_waitcnt lgkmcnt(0)
	s_barrier
	ds_read2_b32 v[38:39], v64 offset0:8 offset1:9
	ds_read2_b32 v[0:1], v75 offset0:2 offset1:3
	s_waitcnt lgkmcnt(1)
	v_add_u32_e32 v108, v39, v38
	s_waitcnt lgkmcnt(0)
	v_add3_u32 v1, v108, v0, v1
	s_nop 1
	v_mov_b32_dpp v108, v1 row_shr:1 row_mask:0xf bank_mask:0xf
	v_cndmask_b32_e64 v108, v108, 0, s[24:25]
	v_add_u32_e32 v1, v108, v1
	s_nop 1
	v_mov_b32_dpp v108, v1 row_shr:2 row_mask:0xf bank_mask:0xf
	v_cndmask_b32_e64 v108, 0, v108, s[26:27]
	v_add_u32_e32 v1, v1, v108
	;; [unrolled: 4-line block ×4, first 2 shown]
	s_nop 1
	v_mov_b32_dpp v108, v1 row_bcast:15 row_mask:0xf bank_mask:0xf
	v_cndmask_b32_e64 v108, v108, 0, vcc
	v_add_u32_e32 v1, v1, v108
	s_nop 1
	v_mov_b32_dpp v108, v1 row_bcast:31 row_mask:0xf bank_mask:0xf
	v_cndmask_b32_e64 v108, 0, v108, s[36:37]
	v_add_u32_e32 v1, v1, v108
	s_and_saveexec_b64 s[24:25], s[16:17]
	s_cbranch_execz .LBB160_70
; %bb.69:
	ds_write_b32 v76, v1
.LBB160_70:
	s_or_b64 exec, exec, s[24:25]
	s_waitcnt lgkmcnt(0)
	s_barrier
	s_and_saveexec_b64 s[16:17], s[28:29]
	s_cbranch_execz .LBB160_72
; %bb.71:
	ds_read_b32 v76, v41
	s_waitcnt lgkmcnt(0)
	s_nop 0
	v_mov_b32_dpp v108, v76 row_shr:1 row_mask:0xf bank_mask:0xf
	v_cndmask_b32_e64 v108, v108, 0, s[22:23]
	v_add_u32_e32 v76, v108, v76
	s_nop 1
	v_mov_b32_dpp v108, v76 row_shr:2 row_mask:0xf bank_mask:0xf
	v_cndmask_b32_e64 v108, 0, v108, s[20:21]
	v_add_u32_e32 v76, v76, v108
	s_nop 1
	v_mov_b32_dpp v108, v76 row_shr:4 row_mask:0xf bank_mask:0xf
	v_cndmask_b32_e64 v108, 0, v108, s[18:19]
	v_add_u32_e32 v76, v76, v108
	ds_write_b32 v41, v76
.LBB160_72:
	s_or_b64 exec, exec, s[16:17]
	v_mov_b32_e32 v41, 0
	s_waitcnt lgkmcnt(0)
	s_barrier
	s_and_saveexec_b64 s[16:17], s[38:39]
	s_cbranch_execz .LBB160_74
; %bb.73:
	ds_read_b32 v41, v85
.LBB160_74:
	s_or_b64 exec, exec, s[16:17]
	s_waitcnt lgkmcnt(0)
	v_add_u32_e32 v1, v41, v1
	ds_bpermute_b32 v1, v86, v1
	s_waitcnt lgkmcnt(0)
	v_cndmask_b32_e64 v1, v1, v41, s[40:41]
	v_cndmask_b32_e64 v1, v1, 0, s[42:43]
	v_add_u32_e32 v38, v1, v38
	v_add_u32_e32 v39, v38, v39
	;; [unrolled: 1-line block ×3, first 2 shown]
	ds_write2_b32 v64, v1, v38 offset0:8 offset1:9
	ds_write2_b32 v75, v39, v0 offset0:2 offset1:3
	s_waitcnt lgkmcnt(0)
	s_barrier
	ds_read_b32 v0, v106 offset:32
	ds_read_b32 v1, v104 offset:32
	;; [unrolled: 1-line block ×4, first 2 shown]
	s_waitcnt lgkmcnt(3)
	v_add3_u32 v0, v107, v74, v0
	s_waitcnt lgkmcnt(2)
	v_add3_u32 v1, v105, v103, v1
	s_waitcnt lgkmcnt(1)
	v_add3_u32 v74, v102, v100, v38
	ds_read_b32 v38, v95 offset:32
	ds_read_b32 v41, v92 offset:32
	;; [unrolled: 1-line block ×4, first 2 shown]
	s_waitcnt lgkmcnt(0)
	s_barrier
	v_add3_u32 v41, v93, v91, v41
	v_add3_u32 v75, v90, v88, v75
	v_add_u32_e32 v76, v76, v87
	v_lshlrev_b32_e32 v84, 1, v76
	ds_write_b16 v84, v83
	v_lshlrev_b32_e32 v83, 1, v75
	v_add3_u32 v38, v96, v94, v38
	ds_write_b16 v83, v82
	v_lshlrev_b32_e32 v82, 1, v41
	v_add3_u32 v39, v99, v97, v39
	ds_write_b16 v82, v81
	v_lshlrev_b32_e32 v81, 1, v38
	ds_write_b16 v81, v80
	v_lshlrev_b32_e32 v80, 1, v39
	;; [unrolled: 2-line block ×6, first 2 shown]
	v_lshlrev_b32_e32 v76, 3, v76
	v_lshlrev_b32_e32 v80, 3, v62
	s_waitcnt lgkmcnt(0)
	s_barrier
	v_lshlrev_b32_e32 v75, 3, v75
	v_lshlrev_b32_e32 v77, 3, v41
	v_lshlrev_b32_e32 v78, 3, v38
	v_lshlrev_b32_e32 v79, 3, v39
	ds_read_b128 v[38:41], v40
	v_lshlrev_b32_e32 v74, 3, v74
	v_lshlrev_b32_e32 v1, 3, v1
	;; [unrolled: 1-line block ×3, first 2 shown]
	s_waitcnt lgkmcnt(0)
	s_barrier
	ds_write_b64 v76, v[34:35]
	ds_write_b64 v75, v[36:37]
	;; [unrolled: 1-line block ×8, first 2 shown]
	s_waitcnt lgkmcnt(0)
	s_barrier
	ds_read2_b64 v[22:25], v80 offset1:1
	ds_read2_b64 v[26:29], v80 offset0:2 offset1:3
	ds_read2_b64 v[30:33], v80 offset0:4 offset1:5
	;; [unrolled: 1-line block ×3, first 2 shown]
	v_xor_b32_e32 v38, 0x80008000, v38
	v_xor_b32_e32 v39, 0x80008000, v39
	;; [unrolled: 1-line block ×4, first 2 shown]
	s_branch .LBB160_128
.LBB160_75:
	v_mov_b32_e32 v45, 0
	v_lshlrev_b64 v[2:3], 3, v[44:45]
	v_mov_b32_e32 v4, s51
	v_add_co_u32_e32 v2, vcc, s49, v2
	v_addc_co_u32_e32 v3, vcc, v4, v3, vcc
	global_load_dwordx2 v[2:3], v[2:3], off
	v_mov_b32_e32 v4, v45
	v_mov_b32_e32 v5, v45
	;; [unrolled: 1-line block ×14, first 2 shown]
	s_or_b64 exec, exec, s[16:17]
	s_and_saveexec_b64 s[16:17], s[2:3]
	s_cbranch_execz .LBB160_22
.LBB160_76:
	v_mul_lo_u32 v4, v1, s52
	v_mov_b32_e32 v5, 0
	v_lshlrev_b64 v[4:5], 3, v[4:5]
	v_mov_b32_e32 v1, s51
	v_add_co_u32_e32 v4, vcc, s49, v4
	v_addc_co_u32_e32 v5, vcc, v1, v5, vcc
	global_load_dwordx2 v[4:5], v[4:5], off
	s_or_b64 exec, exec, s[16:17]
	s_and_saveexec_b64 s[16:17], s[4:5]
	s_cbranch_execz .LBB160_23
.LBB160_77:
	v_mul_lo_u32 v6, v22, s52
	v_mov_b32_e32 v7, 0
	v_lshlrev_b64 v[6:7], 3, v[6:7]
	v_mov_b32_e32 v1, s51
	v_add_co_u32_e32 v6, vcc, s49, v6
	v_addc_co_u32_e32 v7, vcc, v1, v7, vcc
	global_load_dwordx2 v[6:7], v[6:7], off
	s_or_b64 exec, exec, s[16:17]
	s_and_saveexec_b64 s[16:17], s[6:7]
	s_cbranch_execz .LBB160_24
.LBB160_78:
	v_mul_lo_u32 v8, v23, s52
	v_mov_b32_e32 v9, 0
	v_lshlrev_b64 v[8:9], 3, v[8:9]
	v_mov_b32_e32 v1, s51
	v_add_co_u32_e32 v8, vcc, s49, v8
	v_addc_co_u32_e32 v9, vcc, v1, v9, vcc
	global_load_dwordx2 v[8:9], v[8:9], off
	s_or_b64 exec, exec, s[16:17]
	s_and_saveexec_b64 s[16:17], s[8:9]
	s_cbranch_execz .LBB160_25
.LBB160_79:
	v_mul_lo_u32 v10, v24, s52
	v_mov_b32_e32 v11, 0
	v_lshlrev_b64 v[10:11], 3, v[10:11]
	v_mov_b32_e32 v1, s51
	v_add_co_u32_e32 v10, vcc, s49, v10
	v_addc_co_u32_e32 v11, vcc, v1, v11, vcc
	global_load_dwordx2 v[10:11], v[10:11], off
	s_or_b64 exec, exec, s[16:17]
	s_and_saveexec_b64 s[16:17], s[10:11]
	s_cbranch_execz .LBB160_26
.LBB160_80:
	v_mul_lo_u32 v12, v25, s52
	v_mov_b32_e32 v13, 0
	v_lshlrev_b64 v[12:13], 3, v[12:13]
	v_mov_b32_e32 v1, s51
	v_add_co_u32_e32 v12, vcc, s49, v12
	v_addc_co_u32_e32 v13, vcc, v1, v13, vcc
	global_load_dwordx2 v[12:13], v[12:13], off
	s_or_b64 exec, exec, s[16:17]
	s_and_saveexec_b64 s[16:17], s[12:13]
	s_cbranch_execz .LBB160_27
.LBB160_81:
	v_mul_lo_u32 v14, v26, s52
	v_mov_b32_e32 v15, 0
	v_lshlrev_b64 v[14:15], 3, v[14:15]
	v_mov_b32_e32 v1, s51
	v_add_co_u32_e32 v14, vcc, s49, v14
	v_addc_co_u32_e32 v15, vcc, v1, v15, vcc
	global_load_dwordx2 v[14:15], v[14:15], off
	s_or_b64 exec, exec, s[16:17]
	s_xor_b64 s[16:17], s[34:35], -1
	s_and_saveexec_b64 s[18:19], s[14:15]
	s_cbranch_execnz .LBB160_28
	s_branch .LBB160_29
.LBB160_82:
                                        ; implicit-def: $vgpr41
                                        ; implicit-def: $vgpr36_vgpr37
                                        ; implicit-def: $vgpr32_vgpr33
                                        ; implicit-def: $vgpr28_vgpr29
                                        ; implicit-def: $vgpr24_vgpr25
	s_cbranch_execz .LBB160_128
; %bb.83:
	s_movk_i32 s16, 0x7fff
	v_xor_b32_e32 v0, 0x7fff, v18
	v_xor_b32_sdwa v1, v18, s16 dst_sel:DWORD dst_unused:UNUSED_PAD src0_sel:WORD_1 src1_sel:DWORD
	v_xor_b32_e32 v18, 0x7fff, v19
	v_xor_b32_sdwa v19, v19, s16 dst_sel:DWORD dst_unused:UNUSED_PAD src0_sel:WORD_1 src1_sel:DWORD
	s_waitcnt lgkmcnt(3)
	v_xor_b32_e32 v22, 0x7fff, v20
	v_xor_b32_sdwa v20, v20, s16 dst_sel:DWORD dst_unused:UNUSED_PAD src0_sel:WORD_1 src1_sel:DWORD
	v_xor_b32_e32 v23, 0x7fff, v21
	v_xor_b32_sdwa v21, v21, s16 dst_sel:DWORD dst_unused:UNUSED_PAD src0_sel:WORD_1 src1_sel:DWORD
	s_mov_b32 s16, 0x5040100
	v_perm_b32 v21, v21, v23, s16
	v_perm_b32 v20, v20, v22, s16
	;; [unrolled: 1-line block ×4, first 2 shown]
	ds_write_b128 v73, v[18:21]
	; wave barrier
	s_waitcnt lgkmcnt(2)
	ds_read_u16 v32, v72
	ds_read_u16 v31, v72 offset:128
	ds_read_u16 v30, v72 offset:256
	;; [unrolled: 1-line block ×7, first 2 shown]
	s_waitcnt lgkmcnt(0)
	s_barrier
	ds_write2_b64 v71, v[14:15], v[16:17] offset1:1
	ds_write2_b64 v71, v[10:11], v[12:13] offset0:2 offset1:3
	ds_write2_b64 v71, v[6:7], v[8:9] offset0:4 offset1:5
	;; [unrolled: 1-line block ×3, first 2 shown]
	; wave barrier
	ds_read2st64_b64 v[12:15], v70 offset1:1
	ds_read2st64_b64 v[8:11], v70 offset0:2 offset1:3
	ds_read2st64_b64 v[4:7], v70 offset0:4 offset1:5
	;; [unrolled: 1-line block ×3, first 2 shown]
	s_waitcnt lgkmcnt(0)
	s_barrier
	s_load_dword s18, s[54:55], 0xc
	s_getpc_b64 s[16:17]
	s_add_u32 s16, s16, _ZN7rocprim17ROCPRIM_400000_NS16block_radix_sortIsLj512ELj8ElLj1ELj1ELj0ELNS0_26block_radix_rank_algorithmE1ELNS0_18block_padding_hintE2ELNS0_4arch9wavefront6targetE1EE19radix_bits_per_passE@rel32@lo+4
	s_addc_u32 s17, s17, _ZN7rocprim17ROCPRIM_400000_NS16block_radix_sortIsLj512ELj8ElLj1ELj1ELj0ELNS0_26block_radix_rank_algorithmE1ELNS0_18block_padding_hintE2ELNS0_4arch9wavefront6targetE1EE19radix_bits_per_passE@rel32@hi+12
	s_load_dword s44, s[16:17], 0x0
	s_waitcnt lgkmcnt(0)
	s_lshr_b32 s16, s18, 16
	s_and_b32 s17, s18, 0xffff
	v_mad_u32_u24 v16, v69, s16, v68
	v_mad_u64_u32 v[16:17], s[16:17], v16, s17, v[46:47]
	s_min_u32 s16, s44, 16
	s_lshl_b32 s16, -1, s16
	s_not_b32 s18, s16
	v_and_b32_sdwa v18, s18, v32 dst_sel:DWORD dst_unused:UNUSED_PAD src0_sel:DWORD src1_sel:WORD_0
	v_lshrrev_b32_e32 v22, 6, v16
	v_lshlrev_b32_e32 v17, 3, v18
	v_add_lshl_u32 v35, v22, v17, 2
	v_and_b32_e32 v17, 1, v18
	v_add_co_u32_e32 v19, vcc, -1, v17
	v_addc_co_u32_e64 v20, s[16:17], 0, -1, vcc
	v_cmp_ne_u32_e32 vcc, 0, v17
	v_xor_b32_e32 v17, vcc_hi, v20
	v_mov_b32_e32 v16, 0
	v_and_b32_e32 v20, exec_hi, v17
	v_lshlrev_b32_e32 v17, 30, v18
	v_xor_b32_e32 v19, vcc_lo, v19
	v_cmp_gt_i64_e32 vcc, 0, v[16:17]
	v_not_b32_e32 v17, v17
	v_ashrrev_i32_e32 v17, 31, v17
	v_and_b32_e32 v19, exec_lo, v19
	v_xor_b32_e32 v21, vcc_hi, v17
	v_xor_b32_e32 v17, vcc_lo, v17
	v_and_b32_e32 v19, v19, v17
	v_lshlrev_b32_e32 v17, 29, v18
	v_cmp_gt_i64_e32 vcc, 0, v[16:17]
	v_not_b32_e32 v17, v17
	v_ashrrev_i32_e32 v17, 31, v17
	v_and_b32_e32 v20, v20, v21
	v_xor_b32_e32 v21, vcc_hi, v17
	v_xor_b32_e32 v17, vcc_lo, v17
	v_and_b32_e32 v19, v19, v17
	v_lshlrev_b32_e32 v17, 28, v18
	v_cmp_gt_i64_e32 vcc, 0, v[16:17]
	v_not_b32_e32 v17, v17
	v_ashrrev_i32_e32 v17, 31, v17
	v_and_b32_e32 v20, v20, v21
	v_xor_b32_e32 v21, vcc_hi, v17
	v_xor_b32_e32 v17, vcc_lo, v17
	v_and_b32_e32 v19, v19, v17
	v_lshlrev_b32_e32 v17, 27, v18
	v_cmp_gt_i64_e32 vcc, 0, v[16:17]
	v_not_b32_e32 v17, v17
	v_ashrrev_i32_e32 v17, 31, v17
	v_and_b32_e32 v20, v20, v21
	v_xor_b32_e32 v21, vcc_hi, v17
	v_xor_b32_e32 v17, vcc_lo, v17
	v_and_b32_e32 v19, v19, v17
	v_lshlrev_b32_e32 v17, 26, v18
	v_cmp_gt_i64_e32 vcc, 0, v[16:17]
	v_not_b32_e32 v17, v17
	v_ashrrev_i32_e32 v17, 31, v17
	v_and_b32_e32 v20, v20, v21
	v_xor_b32_e32 v21, vcc_hi, v17
	v_xor_b32_e32 v17, vcc_lo, v17
	v_and_b32_e32 v19, v19, v17
	v_lshlrev_b32_e32 v17, 25, v18
	v_cmp_gt_i64_e32 vcc, 0, v[16:17]
	v_not_b32_e32 v17, v17
	v_ashrrev_i32_e32 v17, 31, v17
	v_and_b32_e32 v20, v20, v21
	v_xor_b32_e32 v21, vcc_hi, v17
	v_xor_b32_e32 v17, vcc_lo, v17
	v_and_b32_e32 v20, v20, v21
	v_and_b32_e32 v21, v19, v17
	v_lshlrev_b32_e32 v17, 24, v18
	v_cmp_gt_i64_e32 vcc, 0, v[16:17]
	v_not_b32_e32 v17, v17
	v_ashrrev_i32_e32 v17, 31, v17
	v_xor_b32_e32 v18, vcc_hi, v17
	v_xor_b32_e32 v17, vcc_lo, v17
	v_and_b32_e32 v19, v20, v18
	v_and_b32_e32 v18, v21, v17
	v_mbcnt_lo_u32_b32 v17, v18, 0
	v_mbcnt_hi_u32_b32 v36, v19, v17
	v_cmp_eq_u32_e32 vcc, 0, v36
	v_cmp_ne_u64_e64 s[16:17], 0, v[18:19]
	s_and_b64 s[20:21], s[16:17], vcc
	ds_write2_b32 v64, v16, v16 offset0:8 offset1:9
	ds_write2_b32 v64, v16, v16 offset0:10 offset1:11
	s_waitcnt lgkmcnt(0)
	s_barrier
	s_waitcnt lgkmcnt(0)
	; wave barrier
	s_and_saveexec_b64 s[16:17], s[20:21]
	s_cbranch_execz .LBB160_85
; %bb.84:
	v_bcnt_u32_b32 v17, v18, 0
	v_bcnt_u32_b32 v17, v19, v17
	ds_write_b32 v35, v17 offset:32
.LBB160_85:
	s_or_b64 exec, exec, s[16:17]
	v_and_b32_sdwa v18, s18, v31 dst_sel:DWORD dst_unused:UNUSED_PAD src0_sel:DWORD src1_sel:WORD_0
	v_lshlrev_b32_e32 v17, 3, v18
	v_add_lshl_u32 v38, v22, v17, 2
	v_and_b32_e32 v17, 1, v18
	v_add_co_u32_e32 v19, vcc, -1, v17
	v_addc_co_u32_e64 v20, s[16:17], 0, -1, vcc
	v_cmp_ne_u32_e32 vcc, 0, v17
	v_xor_b32_e32 v17, vcc_hi, v20
	v_and_b32_e32 v20, exec_hi, v17
	v_lshlrev_b32_e32 v17, 30, v18
	v_xor_b32_e32 v19, vcc_lo, v19
	v_cmp_gt_i64_e32 vcc, 0, v[16:17]
	v_not_b32_e32 v17, v17
	v_ashrrev_i32_e32 v17, 31, v17
	v_and_b32_e32 v19, exec_lo, v19
	v_xor_b32_e32 v21, vcc_hi, v17
	v_xor_b32_e32 v17, vcc_lo, v17
	v_and_b32_e32 v19, v19, v17
	v_lshlrev_b32_e32 v17, 29, v18
	v_cmp_gt_i64_e32 vcc, 0, v[16:17]
	v_not_b32_e32 v17, v17
	v_ashrrev_i32_e32 v17, 31, v17
	v_and_b32_e32 v20, v20, v21
	v_xor_b32_e32 v21, vcc_hi, v17
	v_xor_b32_e32 v17, vcc_lo, v17
	v_and_b32_e32 v19, v19, v17
	v_lshlrev_b32_e32 v17, 28, v18
	v_cmp_gt_i64_e32 vcc, 0, v[16:17]
	v_not_b32_e32 v17, v17
	v_ashrrev_i32_e32 v17, 31, v17
	v_and_b32_e32 v20, v20, v21
	;; [unrolled: 8-line block ×5, first 2 shown]
	v_xor_b32_e32 v21, vcc_hi, v17
	v_xor_b32_e32 v17, vcc_lo, v17
	v_and_b32_e32 v19, v19, v17
	v_lshlrev_b32_e32 v17, 24, v18
	v_cmp_gt_i64_e32 vcc, 0, v[16:17]
	v_not_b32_e32 v16, v17
	v_ashrrev_i32_e32 v16, 31, v16
	v_xor_b32_e32 v17, vcc_hi, v16
	v_xor_b32_e32 v16, vcc_lo, v16
	; wave barrier
	ds_read_b32 v37, v38 offset:32
	v_and_b32_e32 v20, v20, v21
	v_and_b32_e32 v16, v19, v16
	;; [unrolled: 1-line block ×3, first 2 shown]
	v_mbcnt_lo_u32_b32 v18, v16, 0
	v_mbcnt_hi_u32_b32 v39, v17, v18
	v_cmp_eq_u32_e32 vcc, 0, v39
	v_cmp_ne_u64_e64 s[16:17], 0, v[16:17]
	s_and_b64 s[20:21], s[16:17], vcc
	; wave barrier
	s_and_saveexec_b64 s[16:17], s[20:21]
	s_cbranch_execz .LBB160_87
; %bb.86:
	v_bcnt_u32_b32 v16, v16, 0
	v_bcnt_u32_b32 v16, v17, v16
	s_waitcnt lgkmcnt(0)
	v_add_u32_e32 v16, v37, v16
	ds_write_b32 v38, v16 offset:32
.LBB160_87:
	s_or_b64 exec, exec, s[16:17]
	v_and_b32_sdwa v18, s18, v30 dst_sel:DWORD dst_unused:UNUSED_PAD src0_sel:DWORD src1_sel:WORD_0
	v_and_b32_e32 v17, 1, v18
	v_add_co_u32_e32 v19, vcc, -1, v17
	v_addc_co_u32_e64 v20, s[16:17], 0, -1, vcc
	v_cmp_ne_u32_e32 vcc, 0, v17
	v_lshlrev_b32_e32 v16, 3, v18
	v_xor_b32_e32 v17, vcc_hi, v20
	v_add_lshl_u32 v41, v22, v16, 2
	v_mov_b32_e32 v16, 0
	v_and_b32_e32 v20, exec_hi, v17
	v_lshlrev_b32_e32 v17, 30, v18
	v_xor_b32_e32 v19, vcc_lo, v19
	v_cmp_gt_i64_e32 vcc, 0, v[16:17]
	v_not_b32_e32 v17, v17
	v_ashrrev_i32_e32 v17, 31, v17
	v_and_b32_e32 v19, exec_lo, v19
	v_xor_b32_e32 v21, vcc_hi, v17
	v_xor_b32_e32 v17, vcc_lo, v17
	v_and_b32_e32 v19, v19, v17
	v_lshlrev_b32_e32 v17, 29, v18
	v_cmp_gt_i64_e32 vcc, 0, v[16:17]
	v_not_b32_e32 v17, v17
	v_ashrrev_i32_e32 v17, 31, v17
	v_and_b32_e32 v20, v20, v21
	v_xor_b32_e32 v21, vcc_hi, v17
	v_xor_b32_e32 v17, vcc_lo, v17
	v_and_b32_e32 v19, v19, v17
	v_lshlrev_b32_e32 v17, 28, v18
	v_cmp_gt_i64_e32 vcc, 0, v[16:17]
	v_not_b32_e32 v17, v17
	v_ashrrev_i32_e32 v17, 31, v17
	v_and_b32_e32 v20, v20, v21
	;; [unrolled: 8-line block ×5, first 2 shown]
	v_xor_b32_e32 v21, vcc_hi, v17
	v_xor_b32_e32 v17, vcc_lo, v17
	v_and_b32_e32 v20, v20, v21
	v_and_b32_e32 v21, v19, v17
	v_lshlrev_b32_e32 v17, 24, v18
	v_cmp_gt_i64_e32 vcc, 0, v[16:17]
	v_not_b32_e32 v17, v17
	v_ashrrev_i32_e32 v17, 31, v17
	v_xor_b32_e32 v18, vcc_hi, v17
	v_xor_b32_e32 v17, vcc_lo, v17
	; wave barrier
	ds_read_b32 v40, v41 offset:32
	v_and_b32_e32 v19, v20, v18
	v_and_b32_e32 v18, v21, v17
	v_mbcnt_lo_u32_b32 v17, v18, 0
	v_mbcnt_hi_u32_b32 v68, v19, v17
	v_cmp_eq_u32_e32 vcc, 0, v68
	v_cmp_ne_u64_e64 s[16:17], 0, v[18:19]
	s_and_b64 s[20:21], s[16:17], vcc
	; wave barrier
	s_and_saveexec_b64 s[16:17], s[20:21]
	s_cbranch_execz .LBB160_89
; %bb.88:
	v_bcnt_u32_b32 v17, v18, 0
	v_bcnt_u32_b32 v17, v19, v17
	s_waitcnt lgkmcnt(0)
	v_add_u32_e32 v17, v40, v17
	ds_write_b32 v41, v17 offset:32
.LBB160_89:
	s_or_b64 exec, exec, s[16:17]
	v_and_b32_sdwa v18, s18, v29 dst_sel:DWORD dst_unused:UNUSED_PAD src0_sel:DWORD src1_sel:WORD_0
	v_lshlrev_b32_e32 v17, 3, v18
	v_add_lshl_u32 v70, v22, v17, 2
	v_and_b32_e32 v17, 1, v18
	v_add_co_u32_e32 v19, vcc, -1, v17
	v_addc_co_u32_e64 v20, s[16:17], 0, -1, vcc
	v_cmp_ne_u32_e32 vcc, 0, v17
	v_xor_b32_e32 v17, vcc_hi, v20
	v_and_b32_e32 v20, exec_hi, v17
	v_lshlrev_b32_e32 v17, 30, v18
	v_xor_b32_e32 v19, vcc_lo, v19
	v_cmp_gt_i64_e32 vcc, 0, v[16:17]
	v_not_b32_e32 v17, v17
	v_ashrrev_i32_e32 v17, 31, v17
	v_and_b32_e32 v19, exec_lo, v19
	v_xor_b32_e32 v21, vcc_hi, v17
	v_xor_b32_e32 v17, vcc_lo, v17
	v_and_b32_e32 v19, v19, v17
	v_lshlrev_b32_e32 v17, 29, v18
	v_cmp_gt_i64_e32 vcc, 0, v[16:17]
	v_not_b32_e32 v17, v17
	v_ashrrev_i32_e32 v17, 31, v17
	v_and_b32_e32 v20, v20, v21
	v_xor_b32_e32 v21, vcc_hi, v17
	v_xor_b32_e32 v17, vcc_lo, v17
	v_and_b32_e32 v19, v19, v17
	v_lshlrev_b32_e32 v17, 28, v18
	v_cmp_gt_i64_e32 vcc, 0, v[16:17]
	v_not_b32_e32 v17, v17
	v_ashrrev_i32_e32 v17, 31, v17
	v_and_b32_e32 v20, v20, v21
	;; [unrolled: 8-line block ×5, first 2 shown]
	v_xor_b32_e32 v21, vcc_hi, v17
	v_xor_b32_e32 v17, vcc_lo, v17
	v_and_b32_e32 v19, v19, v17
	v_lshlrev_b32_e32 v17, 24, v18
	v_cmp_gt_i64_e32 vcc, 0, v[16:17]
	v_not_b32_e32 v16, v17
	v_ashrrev_i32_e32 v16, 31, v16
	v_xor_b32_e32 v17, vcc_hi, v16
	v_xor_b32_e32 v16, vcc_lo, v16
	; wave barrier
	ds_read_b32 v69, v70 offset:32
	v_and_b32_e32 v20, v20, v21
	v_and_b32_e32 v16, v19, v16
	;; [unrolled: 1-line block ×3, first 2 shown]
	v_mbcnt_lo_u32_b32 v18, v16, 0
	v_mbcnt_hi_u32_b32 v71, v17, v18
	v_cmp_eq_u32_e32 vcc, 0, v71
	v_cmp_ne_u64_e64 s[16:17], 0, v[16:17]
	s_and_b64 s[20:21], s[16:17], vcc
	; wave barrier
	s_and_saveexec_b64 s[16:17], s[20:21]
	s_cbranch_execz .LBB160_91
; %bb.90:
	v_bcnt_u32_b32 v16, v16, 0
	v_bcnt_u32_b32 v16, v17, v16
	s_waitcnt lgkmcnt(0)
	v_add_u32_e32 v16, v69, v16
	ds_write_b32 v70, v16 offset:32
.LBB160_91:
	s_or_b64 exec, exec, s[16:17]
	v_and_b32_sdwa v18, s18, v28 dst_sel:DWORD dst_unused:UNUSED_PAD src0_sel:DWORD src1_sel:WORD_0
	v_and_b32_e32 v17, 1, v18
	v_add_co_u32_e32 v19, vcc, -1, v17
	v_addc_co_u32_e64 v20, s[16:17], 0, -1, vcc
	v_cmp_ne_u32_e32 vcc, 0, v17
	v_lshlrev_b32_e32 v16, 3, v18
	v_xor_b32_e32 v17, vcc_hi, v20
	v_add_lshl_u32 v73, v22, v16, 2
	v_mov_b32_e32 v16, 0
	v_and_b32_e32 v20, exec_hi, v17
	v_lshlrev_b32_e32 v17, 30, v18
	v_xor_b32_e32 v19, vcc_lo, v19
	v_cmp_gt_i64_e32 vcc, 0, v[16:17]
	v_not_b32_e32 v17, v17
	v_ashrrev_i32_e32 v17, 31, v17
	v_and_b32_e32 v19, exec_lo, v19
	v_xor_b32_e32 v21, vcc_hi, v17
	v_xor_b32_e32 v17, vcc_lo, v17
	v_and_b32_e32 v19, v19, v17
	v_lshlrev_b32_e32 v17, 29, v18
	v_cmp_gt_i64_e32 vcc, 0, v[16:17]
	v_not_b32_e32 v17, v17
	v_ashrrev_i32_e32 v17, 31, v17
	v_and_b32_e32 v20, v20, v21
	v_xor_b32_e32 v21, vcc_hi, v17
	v_xor_b32_e32 v17, vcc_lo, v17
	v_and_b32_e32 v19, v19, v17
	v_lshlrev_b32_e32 v17, 28, v18
	v_cmp_gt_i64_e32 vcc, 0, v[16:17]
	v_not_b32_e32 v17, v17
	v_ashrrev_i32_e32 v17, 31, v17
	v_and_b32_e32 v20, v20, v21
	v_xor_b32_e32 v21, vcc_hi, v17
	v_xor_b32_e32 v17, vcc_lo, v17
	v_and_b32_e32 v19, v19, v17
	v_lshlrev_b32_e32 v17, 27, v18
	v_cmp_gt_i64_e32 vcc, 0, v[16:17]
	v_not_b32_e32 v17, v17
	v_ashrrev_i32_e32 v17, 31, v17
	v_and_b32_e32 v20, v20, v21
	v_xor_b32_e32 v21, vcc_hi, v17
	v_xor_b32_e32 v17, vcc_lo, v17
	v_and_b32_e32 v19, v19, v17
	v_lshlrev_b32_e32 v17, 26, v18
	v_cmp_gt_i64_e32 vcc, 0, v[16:17]
	v_not_b32_e32 v17, v17
	v_ashrrev_i32_e32 v17, 31, v17
	v_and_b32_e32 v20, v20, v21
	v_xor_b32_e32 v21, vcc_hi, v17
	v_xor_b32_e32 v17, vcc_lo, v17
	v_and_b32_e32 v19, v19, v17
	v_lshlrev_b32_e32 v17, 25, v18
	v_cmp_gt_i64_e32 vcc, 0, v[16:17]
	v_not_b32_e32 v17, v17
	v_ashrrev_i32_e32 v17, 31, v17
	v_and_b32_e32 v20, v20, v21
	v_xor_b32_e32 v21, vcc_hi, v17
	v_xor_b32_e32 v17, vcc_lo, v17
	v_and_b32_e32 v20, v20, v21
	v_and_b32_e32 v21, v19, v17
	v_lshlrev_b32_e32 v17, 24, v18
	v_cmp_gt_i64_e32 vcc, 0, v[16:17]
	v_not_b32_e32 v17, v17
	v_ashrrev_i32_e32 v17, 31, v17
	v_xor_b32_e32 v18, vcc_hi, v17
	v_xor_b32_e32 v17, vcc_lo, v17
	; wave barrier
	ds_read_b32 v72, v73 offset:32
	v_and_b32_e32 v19, v20, v18
	v_and_b32_e32 v18, v21, v17
	v_mbcnt_lo_u32_b32 v17, v18, 0
	v_mbcnt_hi_u32_b32 v74, v19, v17
	v_cmp_eq_u32_e32 vcc, 0, v74
	v_cmp_ne_u64_e64 s[16:17], 0, v[18:19]
	s_and_b64 s[20:21], s[16:17], vcc
	; wave barrier
	s_and_saveexec_b64 s[16:17], s[20:21]
	s_cbranch_execz .LBB160_93
; %bb.92:
	v_bcnt_u32_b32 v17, v18, 0
	v_bcnt_u32_b32 v17, v19, v17
	s_waitcnt lgkmcnt(0)
	v_add_u32_e32 v17, v72, v17
	ds_write_b32 v73, v17 offset:32
.LBB160_93:
	s_or_b64 exec, exec, s[16:17]
	v_and_b32_sdwa v18, s18, v27 dst_sel:DWORD dst_unused:UNUSED_PAD src0_sel:DWORD src1_sel:WORD_0
	v_lshlrev_b32_e32 v17, 3, v18
	v_add_lshl_u32 v76, v22, v17, 2
	v_and_b32_e32 v17, 1, v18
	v_add_co_u32_e32 v19, vcc, -1, v17
	v_addc_co_u32_e64 v20, s[16:17], 0, -1, vcc
	v_cmp_ne_u32_e32 vcc, 0, v17
	v_xor_b32_e32 v17, vcc_hi, v20
	v_and_b32_e32 v20, exec_hi, v17
	v_lshlrev_b32_e32 v17, 30, v18
	v_xor_b32_e32 v19, vcc_lo, v19
	v_cmp_gt_i64_e32 vcc, 0, v[16:17]
	v_not_b32_e32 v17, v17
	v_ashrrev_i32_e32 v17, 31, v17
	v_and_b32_e32 v19, exec_lo, v19
	v_xor_b32_e32 v21, vcc_hi, v17
	v_xor_b32_e32 v17, vcc_lo, v17
	v_and_b32_e32 v19, v19, v17
	v_lshlrev_b32_e32 v17, 29, v18
	v_cmp_gt_i64_e32 vcc, 0, v[16:17]
	v_not_b32_e32 v17, v17
	v_ashrrev_i32_e32 v17, 31, v17
	v_and_b32_e32 v20, v20, v21
	v_xor_b32_e32 v21, vcc_hi, v17
	v_xor_b32_e32 v17, vcc_lo, v17
	v_and_b32_e32 v19, v19, v17
	v_lshlrev_b32_e32 v17, 28, v18
	v_cmp_gt_i64_e32 vcc, 0, v[16:17]
	v_not_b32_e32 v17, v17
	v_ashrrev_i32_e32 v17, 31, v17
	v_and_b32_e32 v20, v20, v21
	;; [unrolled: 8-line block ×5, first 2 shown]
	v_xor_b32_e32 v21, vcc_hi, v17
	v_xor_b32_e32 v17, vcc_lo, v17
	v_and_b32_e32 v19, v19, v17
	v_lshlrev_b32_e32 v17, 24, v18
	v_cmp_gt_i64_e32 vcc, 0, v[16:17]
	v_not_b32_e32 v16, v17
	v_ashrrev_i32_e32 v16, 31, v16
	v_xor_b32_e32 v17, vcc_hi, v16
	v_xor_b32_e32 v16, vcc_lo, v16
	; wave barrier
	ds_read_b32 v75, v76 offset:32
	v_and_b32_e32 v20, v20, v21
	v_and_b32_e32 v16, v19, v16
	;; [unrolled: 1-line block ×3, first 2 shown]
	v_mbcnt_lo_u32_b32 v18, v16, 0
	v_mbcnt_hi_u32_b32 v77, v17, v18
	v_cmp_eq_u32_e32 vcc, 0, v77
	v_cmp_ne_u64_e64 s[16:17], 0, v[16:17]
	s_and_b64 s[20:21], s[16:17], vcc
	; wave barrier
	s_and_saveexec_b64 s[16:17], s[20:21]
	s_cbranch_execz .LBB160_95
; %bb.94:
	v_bcnt_u32_b32 v16, v16, 0
	v_bcnt_u32_b32 v16, v17, v16
	s_waitcnt lgkmcnt(0)
	v_add_u32_e32 v16, v75, v16
	ds_write_b32 v76, v16 offset:32
.LBB160_95:
	s_or_b64 exec, exec, s[16:17]
	v_and_b32_sdwa v18, s18, v26 dst_sel:DWORD dst_unused:UNUSED_PAD src0_sel:DWORD src1_sel:WORD_0
	v_and_b32_e32 v17, 1, v18
	v_add_co_u32_e32 v19, vcc, -1, v17
	v_addc_co_u32_e64 v20, s[16:17], 0, -1, vcc
	v_cmp_ne_u32_e32 vcc, 0, v17
	v_lshlrev_b32_e32 v16, 3, v18
	v_xor_b32_e32 v17, vcc_hi, v20
	v_add_lshl_u32 v79, v22, v16, 2
	v_mov_b32_e32 v16, 0
	v_and_b32_e32 v20, exec_hi, v17
	v_lshlrev_b32_e32 v17, 30, v18
	v_xor_b32_e32 v19, vcc_lo, v19
	v_cmp_gt_i64_e32 vcc, 0, v[16:17]
	v_not_b32_e32 v17, v17
	v_ashrrev_i32_e32 v17, 31, v17
	v_and_b32_e32 v19, exec_lo, v19
	v_xor_b32_e32 v21, vcc_hi, v17
	v_xor_b32_e32 v17, vcc_lo, v17
	v_and_b32_e32 v19, v19, v17
	v_lshlrev_b32_e32 v17, 29, v18
	v_cmp_gt_i64_e32 vcc, 0, v[16:17]
	v_not_b32_e32 v17, v17
	v_ashrrev_i32_e32 v17, 31, v17
	v_and_b32_e32 v20, v20, v21
	v_xor_b32_e32 v21, vcc_hi, v17
	v_xor_b32_e32 v17, vcc_lo, v17
	v_and_b32_e32 v19, v19, v17
	v_lshlrev_b32_e32 v17, 28, v18
	v_cmp_gt_i64_e32 vcc, 0, v[16:17]
	v_not_b32_e32 v17, v17
	v_ashrrev_i32_e32 v17, 31, v17
	v_and_b32_e32 v20, v20, v21
	;; [unrolled: 8-line block ×5, first 2 shown]
	v_xor_b32_e32 v21, vcc_hi, v17
	v_xor_b32_e32 v17, vcc_lo, v17
	v_and_b32_e32 v20, v20, v21
	v_and_b32_e32 v21, v19, v17
	v_lshlrev_b32_e32 v17, 24, v18
	v_cmp_gt_i64_e32 vcc, 0, v[16:17]
	v_not_b32_e32 v17, v17
	v_ashrrev_i32_e32 v17, 31, v17
	v_xor_b32_e32 v18, vcc_hi, v17
	v_xor_b32_e32 v17, vcc_lo, v17
	; wave barrier
	ds_read_b32 v78, v79 offset:32
	v_and_b32_e32 v19, v20, v18
	v_and_b32_e32 v18, v21, v17
	v_mbcnt_lo_u32_b32 v17, v18, 0
	v_mbcnt_hi_u32_b32 v80, v19, v17
	v_cmp_eq_u32_e32 vcc, 0, v80
	v_cmp_ne_u64_e64 s[16:17], 0, v[18:19]
	s_and_b64 s[20:21], s[16:17], vcc
	; wave barrier
	s_and_saveexec_b64 s[16:17], s[20:21]
	s_cbranch_execz .LBB160_97
; %bb.96:
	v_bcnt_u32_b32 v17, v18, 0
	v_bcnt_u32_b32 v17, v19, v17
	s_waitcnt lgkmcnt(0)
	v_add_u32_e32 v17, v78, v17
	ds_write_b32 v79, v17 offset:32
.LBB160_97:
	s_or_b64 exec, exec, s[16:17]
	v_and_b32_sdwa v18, s18, v25 dst_sel:DWORD dst_unused:UNUSED_PAD src0_sel:DWORD src1_sel:WORD_0
	v_lshlrev_b32_e32 v17, 3, v18
	v_add_lshl_u32 v81, v22, v17, 2
	v_and_b32_e32 v17, 1, v18
	v_add_co_u32_e32 v19, vcc, -1, v17
	v_addc_co_u32_e64 v20, s[16:17], 0, -1, vcc
	v_cmp_ne_u32_e32 vcc, 0, v17
	v_xor_b32_e32 v17, vcc_hi, v20
	v_and_b32_e32 v20, exec_hi, v17
	v_lshlrev_b32_e32 v17, 30, v18
	v_xor_b32_e32 v19, vcc_lo, v19
	v_cmp_gt_i64_e32 vcc, 0, v[16:17]
	v_not_b32_e32 v17, v17
	v_ashrrev_i32_e32 v17, 31, v17
	v_and_b32_e32 v19, exec_lo, v19
	v_xor_b32_e32 v21, vcc_hi, v17
	v_xor_b32_e32 v17, vcc_lo, v17
	v_and_b32_e32 v19, v19, v17
	v_lshlrev_b32_e32 v17, 29, v18
	v_cmp_gt_i64_e32 vcc, 0, v[16:17]
	v_not_b32_e32 v17, v17
	v_ashrrev_i32_e32 v17, 31, v17
	v_and_b32_e32 v20, v20, v21
	v_xor_b32_e32 v21, vcc_hi, v17
	v_xor_b32_e32 v17, vcc_lo, v17
	v_and_b32_e32 v19, v19, v17
	v_lshlrev_b32_e32 v17, 28, v18
	v_cmp_gt_i64_e32 vcc, 0, v[16:17]
	v_not_b32_e32 v17, v17
	v_ashrrev_i32_e32 v17, 31, v17
	v_and_b32_e32 v20, v20, v21
	;; [unrolled: 8-line block ×5, first 2 shown]
	v_xor_b32_e32 v21, vcc_hi, v17
	v_xor_b32_e32 v17, vcc_lo, v17
	v_and_b32_e32 v19, v19, v17
	v_lshlrev_b32_e32 v17, 24, v18
	v_cmp_gt_i64_e32 vcc, 0, v[16:17]
	v_not_b32_e32 v16, v17
	v_ashrrev_i32_e32 v16, 31, v16
	v_xor_b32_e32 v17, vcc_hi, v16
	v_xor_b32_e32 v16, vcc_lo, v16
	v_min_u32_e32 v33, 0x1c0, v67
	; wave barrier
	ds_read_b32 v67, v81 offset:32
	v_and_b32_e32 v20, v20, v21
	v_and_b32_e32 v16, v19, v16
	;; [unrolled: 1-line block ×3, first 2 shown]
	v_mbcnt_lo_u32_b32 v18, v16, 0
	v_mbcnt_hi_u32_b32 v82, v17, v18
	v_cmp_eq_u32_e32 vcc, 0, v82
	v_cmp_ne_u64_e64 s[16:17], 0, v[16:17]
	v_add_u32_e32 v23, 32, v64
	v_lshrrev_b32_e32 v24, 6, v46
	s_and_b64 s[18:19], s[16:17], vcc
	; wave barrier
	s_and_saveexec_b64 s[16:17], s[18:19]
	s_cbranch_execz .LBB160_99
; %bb.98:
	v_bcnt_u32_b32 v16, v16, 0
	v_bcnt_u32_b32 v16, v17, v16
	s_waitcnt lgkmcnt(0)
	v_add_u32_e32 v16, v67, v16
	ds_write_b32 v81, v16 offset:32
.LBB160_99:
	s_or_b64 exec, exec, s[16:17]
	; wave barrier
	s_waitcnt lgkmcnt(0)
	s_barrier
	ds_read2_b32 v[18:19], v64 offset0:8 offset1:9
	ds_read2_b32 v[20:21], v23 offset0:2 offset1:3
	v_and_b32_e32 v17, 16, v65
	v_cmp_eq_u32_e32 vcc, 0, v17
	v_or_b32_e32 v17, 63, v33
	v_cmp_eq_u32_e64 s[16:17], v17, v46
	s_waitcnt lgkmcnt(1)
	v_add_u32_e32 v17, v19, v18
	v_and_b32_e32 v16, 15, v65
	s_waitcnt lgkmcnt(0)
	v_add3_u32 v17, v17, v20, v21
	v_cmp_eq_u32_e64 s[24:25], 0, v16
	v_cmp_lt_u32_e64 s[26:27], 1, v16
	v_mov_b32_dpp v21, v17 row_shr:1 row_mask:0xf bank_mask:0xf
	v_cndmask_b32_e64 v21, v21, 0, s[24:25]
	v_add_u32_e32 v17, v21, v17
	v_cmp_lt_u32_e64 s[30:31], 3, v16
	v_cmp_lt_u32_e64 s[34:35], 7, v16
	v_mov_b32_dpp v21, v17 row_shr:2 row_mask:0xf bank_mask:0xf
	v_cndmask_b32_e64 v21, 0, v21, s[26:27]
	v_add_u32_e32 v17, v17, v21
	v_bfe_i32 v34, v65, 4, 1
	v_cmp_lt_u32_e64 s[36:37], 31, v65
	v_mov_b32_dpp v21, v17 row_shr:4 row_mask:0xf bank_mask:0xf
	v_cndmask_b32_e64 v21, 0, v21, s[30:31]
	v_add_u32_e32 v17, v17, v21
	v_lshlrev_b32_e32 v24, 2, v24
	s_nop 0
	v_mov_b32_dpp v21, v17 row_shr:8 row_mask:0xf bank_mask:0xf
	v_cndmask_b32_e64 v16, 0, v21, s[34:35]
	v_add_u32_e32 v16, v17, v16
	s_nop 1
	v_mov_b32_dpp v17, v16 row_bcast:15 row_mask:0xf bank_mask:0xf
	v_and_b32_e32 v17, v34, v17
	v_add_u32_e32 v16, v16, v17
	s_nop 1
	v_mov_b32_dpp v17, v16 row_bcast:31 row_mask:0xf bank_mask:0xf
	v_cndmask_b32_e64 v17, 0, v17, s[36:37]
	v_add_u32_e32 v17, v16, v17
	s_and_saveexec_b64 s[18:19], s[16:17]
	s_cbranch_execz .LBB160_101
; %bb.100:
	ds_write_b32 v24, v17
.LBB160_101:
	s_or_b64 exec, exec, s[18:19]
	v_and_b32_e32 v16, 7, v65
	v_cmp_gt_u32_e64 s[28:29], 8, v46
	v_lshlrev_b32_e32 v21, 2, v46
	v_cmp_eq_u32_e64 s[22:23], 0, v16
	v_cmp_lt_u32_e64 s[20:21], 1, v16
	v_cmp_lt_u32_e64 s[18:19], 3, v16
	s_waitcnt lgkmcnt(0)
	s_barrier
	s_and_saveexec_b64 s[38:39], s[28:29]
	s_cbranch_execz .LBB160_103
; %bb.102:
	ds_read_b32 v16, v21
	s_waitcnt lgkmcnt(0)
	s_nop 0
	v_mov_b32_dpp v33, v16 row_shr:1 row_mask:0xf bank_mask:0xf
	v_cndmask_b32_e64 v33, v33, 0, s[22:23]
	v_add_u32_e32 v16, v33, v16
	s_nop 1
	v_mov_b32_dpp v33, v16 row_shr:2 row_mask:0xf bank_mask:0xf
	v_cndmask_b32_e64 v33, 0, v33, s[20:21]
	v_add_u32_e32 v16, v16, v33
	;; [unrolled: 4-line block ×3, first 2 shown]
	ds_write_b32 v21, v16
.LBB160_103:
	s_or_b64 exec, exec, s[38:39]
	v_cmp_lt_u32_e64 s[38:39], 63, v46
	v_add_u32_e32 v33, -4, v24
	v_mov_b32_e32 v16, 0
	v_mov_b32_e32 v83, 0
	s_waitcnt lgkmcnt(0)
	s_barrier
	s_and_saveexec_b64 s[40:41], s[38:39]
	s_cbranch_execz .LBB160_105
; %bb.104:
	ds_read_b32 v83, v33
.LBB160_105:
	s_or_b64 exec, exec, s[40:41]
	v_add_u32_e32 v34, -1, v65
	v_and_b32_e32 v84, 64, v65
	v_cmp_lt_i32_e64 s[40:41], v34, v84
	v_cndmask_b32_e64 v34, v34, v65, s[40:41]
	v_lshlrev_b32_e32 v34, 2, v34
	s_waitcnt lgkmcnt(0)
	v_add_u32_e32 v17, v83, v17
	ds_bpermute_b32 v17, v34, v17
	v_cmp_eq_u32_e64 s[40:41], 0, v65
	v_cmp_eq_u32_e64 s[42:43], 0, v46
	s_min_u32 s44, s44, 8
	v_and_or_b32 v66, v65, 63, v66
	s_waitcnt lgkmcnt(0)
	v_cndmask_b32_e64 v17, v17, v83, s[40:41]
	v_cndmask_b32_e64 v17, v17, 0, s[42:43]
	v_add_u32_e32 v18, v17, v18
	v_add_u32_e32 v19, v18, v19
	;; [unrolled: 1-line block ×3, first 2 shown]
	ds_write2_b32 v64, v17, v18 offset0:8 offset1:9
	ds_write2_b32 v23, v19, v20 offset0:2 offset1:3
	s_waitcnt lgkmcnt(0)
	s_barrier
	ds_read_b32 v17, v35 offset:32
	ds_read_b32 v18, v38 offset:32
	;; [unrolled: 1-line block ×8, first 2 shown]
	s_waitcnt lgkmcnt(7)
	v_add_u32_e32 v17, v17, v36
	s_waitcnt lgkmcnt(6)
	v_add3_u32 v18, v39, v37, v18
	s_waitcnt lgkmcnt(4)
	v_add3_u32 v36, v71, v69, v20
	v_lshlrev_b32_e32 v20, 1, v17
	v_add3_u32 v19, v68, v40, v19
	s_waitcnt lgkmcnt(0)
	s_barrier
	ds_write_b16 v20, v32
	v_lshlrev_b32_e32 v20, 1, v18
	ds_write_b16 v20, v31
	v_lshlrev_b32_e32 v20, 1, v19
	v_add3_u32 v35, v74, v72, v35
	ds_write_b16 v20, v30
	v_lshlrev_b32_e32 v20, 1, v36
	v_add3_u32 v37, v77, v75, v38
	;; [unrolled: 3-line block ×4, first 2 shown]
	ds_write_b16 v20, v27
	v_lshlrev_b32_e32 v20, 1, v38
	s_lshl_b32 s44, -1, s44
	v_lshlrev_b32_e32 v84, 1, v66
	ds_write_b16 v20, v26
	v_lshlrev_b32_e32 v20, 1, v39
	v_lshlrev_b32_e32 v17, 3, v17
	s_not_b32 s53, s44
	ds_write_b16 v20, v25
	s_waitcnt lgkmcnt(0)
	s_barrier
	ds_read_u16 v31, v84
	ds_read_u16 v30, v84 offset:128
	ds_read_u16 v29, v84 offset:256
	;; [unrolled: 1-line block ×7, first 2 shown]
	s_waitcnt lgkmcnt(0)
	s_barrier
	ds_write_b64 v17, v[12:13]
	v_lshlrev_b32_e32 v12, 3, v18
	v_and_b32_sdwa v18, v31, s53 dst_sel:DWORD dst_unused:UNUSED_PAD src0_sel:BYTE_1 src1_sel:DWORD
	v_lshlrev_b32_e32 v17, 3, v18
	ds_write_b64 v12, v[14:15]
	v_lshlrev_b32_e32 v12, 3, v19
	v_add_lshl_u32 v32, v17, v22, 2
	v_and_b32_e32 v17, 1, v18
	ds_write_b64 v12, v[8:9]
	v_lshlrev_b32_e32 v8, 3, v36
	v_add_co_u32_e64 v19, s[44:45], -1, v17
	ds_write_b64 v8, v[10:11]
	v_lshlrev_b32_e32 v8, 3, v35
	v_addc_co_u32_e64 v35, s[44:45], 0, -1, s[44:45]
	v_cmp_ne_u32_e64 s[44:45], 0, v17
	v_xor_b32_e32 v17, s45, v35
	v_and_b32_e32 v35, exec_hi, v17
	v_lshlrev_b32_e32 v17, 30, v18
	v_xor_b32_e32 v19, s44, v19
	v_cmp_gt_i64_e64 s[44:45], 0, v[16:17]
	v_not_b32_e32 v17, v17
	v_ashrrev_i32_e32 v17, 31, v17
	v_and_b32_e32 v19, exec_lo, v19
	v_xor_b32_e32 v36, s45, v17
	v_xor_b32_e32 v17, s44, v17
	v_and_b32_e32 v19, v19, v17
	v_lshlrev_b32_e32 v17, 29, v18
	v_cmp_gt_i64_e64 s[44:45], 0, v[16:17]
	v_not_b32_e32 v17, v17
	v_ashrrev_i32_e32 v17, 31, v17
	v_and_b32_e32 v35, v35, v36
	v_xor_b32_e32 v36, s45, v17
	v_xor_b32_e32 v17, s44, v17
	v_and_b32_e32 v19, v19, v17
	v_lshlrev_b32_e32 v17, 28, v18
	v_cmp_gt_i64_e64 s[44:45], 0, v[16:17]
	v_not_b32_e32 v17, v17
	v_ashrrev_i32_e32 v17, 31, v17
	v_and_b32_e32 v35, v35, v36
	;; [unrolled: 8-line block ×4, first 2 shown]
	v_xor_b32_e32 v36, s45, v17
	v_xor_b32_e32 v17, s44, v17
	v_and_b32_e32 v19, v19, v17
	v_lshlrev_b32_e32 v17, 25, v18
	v_cmp_gt_i64_e64 s[44:45], 0, v[16:17]
	v_not_b32_e32 v17, v17
	ds_write_b64 v8, v[4:5]
	v_lshlrev_b32_e32 v4, 3, v37
	v_ashrrev_i32_e32 v17, 31, v17
	ds_write_b64 v4, v[6:7]
	v_lshlrev_b32_e32 v4, 3, v38
	v_and_b32_e32 v35, v35, v36
	v_xor_b32_e32 v36, s45, v17
	v_xor_b32_e32 v17, s44, v17
	v_lshlrev_b32_e32 v66, 3, v66
	ds_write_b64 v4, v[0:1]
	v_lshlrev_b32_e32 v0, 3, v39
	v_and_b32_e32 v19, v19, v17
	v_lshlrev_b32_e32 v17, 24, v18
	ds_write_b64 v0, v[2:3]
	s_waitcnt lgkmcnt(0)
	s_barrier
	ds_read2st64_b64 v[12:15], v66 offset1:1
	ds_read2st64_b64 v[8:11], v66 offset0:2 offset1:3
	ds_read2st64_b64 v[4:7], v66 offset0:4 offset1:5
	;; [unrolled: 1-line block ×3, first 2 shown]
	s_waitcnt lgkmcnt(0)
	s_barrier
	ds_write2_b32 v64, v16, v16 offset0:8 offset1:9
	ds_write2_b32 v23, v16, v16 offset0:2 offset1:3
	v_cmp_gt_i64_e64 s[44:45], 0, v[16:17]
	v_not_b32_e32 v16, v17
	v_ashrrev_i32_e32 v16, 31, v16
	v_xor_b32_e32 v17, s45, v16
	v_xor_b32_e32 v16, s44, v16
	v_and_b32_e32 v35, v35, v36
	v_and_b32_e32 v16, v19, v16
	;; [unrolled: 1-line block ×3, first 2 shown]
	v_mbcnt_lo_u32_b32 v18, v16, 0
	v_mbcnt_hi_u32_b32 v35, v17, v18
	v_cmp_eq_u32_e64 s[44:45], 0, v35
	v_cmp_ne_u64_e64 s[46:47], 0, v[16:17]
	s_and_b64 s[46:47], s[46:47], s[44:45]
	s_waitcnt lgkmcnt(0)
	s_barrier
	s_waitcnt lgkmcnt(0)
	; wave barrier
	s_and_saveexec_b64 s[44:45], s[46:47]
	s_cbranch_execz .LBB160_107
; %bb.106:
	v_bcnt_u32_b32 v16, v16, 0
	v_bcnt_u32_b32 v16, v17, v16
	ds_write_b32 v32, v16 offset:32
.LBB160_107:
	s_or_b64 exec, exec, s[44:45]
	v_and_b32_sdwa v18, v30, s53 dst_sel:DWORD dst_unused:UNUSED_PAD src0_sel:BYTE_1 src1_sel:DWORD
	v_and_b32_e32 v17, 1, v18
	v_add_co_u32_e64 v19, s[44:45], -1, v17
	v_addc_co_u32_e64 v38, s[44:45], 0, -1, s[44:45]
	v_cmp_ne_u32_e64 s[44:45], 0, v17
	v_lshlrev_b32_e32 v16, 3, v18
	v_xor_b32_e32 v17, s45, v38
	v_add_lshl_u32 v37, v16, v22, 2
	v_mov_b32_e32 v16, 0
	v_and_b32_e32 v38, exec_hi, v17
	v_lshlrev_b32_e32 v17, 30, v18
	v_xor_b32_e32 v19, s44, v19
	v_cmp_gt_i64_e64 s[44:45], 0, v[16:17]
	v_not_b32_e32 v17, v17
	v_ashrrev_i32_e32 v17, 31, v17
	v_and_b32_e32 v19, exec_lo, v19
	v_xor_b32_e32 v39, s45, v17
	v_xor_b32_e32 v17, s44, v17
	v_and_b32_e32 v19, v19, v17
	v_lshlrev_b32_e32 v17, 29, v18
	v_cmp_gt_i64_e64 s[44:45], 0, v[16:17]
	v_not_b32_e32 v17, v17
	v_ashrrev_i32_e32 v17, 31, v17
	v_and_b32_e32 v38, v38, v39
	v_xor_b32_e32 v39, s45, v17
	v_xor_b32_e32 v17, s44, v17
	v_and_b32_e32 v19, v19, v17
	v_lshlrev_b32_e32 v17, 28, v18
	v_cmp_gt_i64_e64 s[44:45], 0, v[16:17]
	v_not_b32_e32 v17, v17
	v_ashrrev_i32_e32 v17, 31, v17
	v_and_b32_e32 v38, v38, v39
	;; [unrolled: 8-line block ×5, first 2 shown]
	v_xor_b32_e32 v39, s45, v17
	v_xor_b32_e32 v17, s44, v17
	v_and_b32_e32 v38, v38, v39
	v_and_b32_e32 v39, v19, v17
	v_lshlrev_b32_e32 v17, 24, v18
	v_cmp_gt_i64_e64 s[44:45], 0, v[16:17]
	v_not_b32_e32 v17, v17
	v_ashrrev_i32_e32 v17, 31, v17
	v_xor_b32_e32 v18, s45, v17
	v_xor_b32_e32 v17, s44, v17
	; wave barrier
	ds_read_b32 v36, v37 offset:32
	v_and_b32_e32 v19, v38, v18
	v_and_b32_e32 v18, v39, v17
	v_mbcnt_lo_u32_b32 v17, v18, 0
	v_mbcnt_hi_u32_b32 v38, v19, v17
	v_cmp_eq_u32_e64 s[44:45], 0, v38
	v_cmp_ne_u64_e64 s[46:47], 0, v[18:19]
	s_and_b64 s[46:47], s[46:47], s[44:45]
	; wave barrier
	s_and_saveexec_b64 s[44:45], s[46:47]
	s_cbranch_execz .LBB160_109
; %bb.108:
	v_bcnt_u32_b32 v17, v18, 0
	v_bcnt_u32_b32 v17, v19, v17
	s_waitcnt lgkmcnt(0)
	v_add_u32_e32 v17, v36, v17
	ds_write_b32 v37, v17 offset:32
.LBB160_109:
	s_or_b64 exec, exec, s[44:45]
	v_and_b32_sdwa v18, v29, s53 dst_sel:DWORD dst_unused:UNUSED_PAD src0_sel:BYTE_1 src1_sel:DWORD
	v_lshlrev_b32_e32 v17, 3, v18
	v_add_lshl_u32 v40, v17, v22, 2
	v_and_b32_e32 v17, 1, v18
	v_add_co_u32_e64 v19, s[44:45], -1, v17
	v_addc_co_u32_e64 v41, s[44:45], 0, -1, s[44:45]
	v_cmp_ne_u32_e64 s[44:45], 0, v17
	v_xor_b32_e32 v17, s45, v41
	v_and_b32_e32 v41, exec_hi, v17
	v_lshlrev_b32_e32 v17, 30, v18
	v_xor_b32_e32 v19, s44, v19
	v_cmp_gt_i64_e64 s[44:45], 0, v[16:17]
	v_not_b32_e32 v17, v17
	v_ashrrev_i32_e32 v17, 31, v17
	v_and_b32_e32 v19, exec_lo, v19
	v_xor_b32_e32 v46, s45, v17
	v_xor_b32_e32 v17, s44, v17
	v_and_b32_e32 v19, v19, v17
	v_lshlrev_b32_e32 v17, 29, v18
	v_cmp_gt_i64_e64 s[44:45], 0, v[16:17]
	v_not_b32_e32 v17, v17
	v_ashrrev_i32_e32 v17, 31, v17
	v_and_b32_e32 v41, v41, v46
	v_xor_b32_e32 v46, s45, v17
	v_xor_b32_e32 v17, s44, v17
	v_and_b32_e32 v19, v19, v17
	v_lshlrev_b32_e32 v17, 28, v18
	v_cmp_gt_i64_e64 s[44:45], 0, v[16:17]
	v_not_b32_e32 v17, v17
	v_ashrrev_i32_e32 v17, 31, v17
	v_and_b32_e32 v41, v41, v46
	;; [unrolled: 8-line block ×5, first 2 shown]
	v_xor_b32_e32 v46, s45, v17
	v_xor_b32_e32 v17, s44, v17
	v_and_b32_e32 v19, v19, v17
	v_lshlrev_b32_e32 v17, 24, v18
	v_cmp_gt_i64_e64 s[44:45], 0, v[16:17]
	v_not_b32_e32 v16, v17
	v_ashrrev_i32_e32 v16, 31, v16
	v_xor_b32_e32 v17, s45, v16
	v_xor_b32_e32 v16, s44, v16
	; wave barrier
	ds_read_b32 v39, v40 offset:32
	v_and_b32_e32 v41, v41, v46
	v_and_b32_e32 v16, v19, v16
	;; [unrolled: 1-line block ×3, first 2 shown]
	v_mbcnt_lo_u32_b32 v18, v16, 0
	v_mbcnt_hi_u32_b32 v41, v17, v18
	v_cmp_eq_u32_e64 s[44:45], 0, v41
	v_cmp_ne_u64_e64 s[46:47], 0, v[16:17]
	s_and_b64 s[46:47], s[46:47], s[44:45]
	; wave barrier
	s_and_saveexec_b64 s[44:45], s[46:47]
	s_cbranch_execz .LBB160_111
; %bb.110:
	v_bcnt_u32_b32 v16, v16, 0
	v_bcnt_u32_b32 v16, v17, v16
	s_waitcnt lgkmcnt(0)
	v_add_u32_e32 v16, v39, v16
	ds_write_b32 v40, v16 offset:32
.LBB160_111:
	s_or_b64 exec, exec, s[44:45]
	v_and_b32_sdwa v18, v28, s53 dst_sel:DWORD dst_unused:UNUSED_PAD src0_sel:BYTE_1 src1_sel:DWORD
	v_and_b32_e32 v17, 1, v18
	v_add_co_u32_e64 v19, s[44:45], -1, v17
	v_addc_co_u32_e64 v66, s[44:45], 0, -1, s[44:45]
	v_cmp_ne_u32_e64 s[44:45], 0, v17
	v_lshlrev_b32_e32 v16, 3, v18
	v_xor_b32_e32 v17, s45, v66
	v_add_lshl_u32 v65, v16, v22, 2
	v_mov_b32_e32 v16, 0
	v_and_b32_e32 v66, exec_hi, v17
	v_lshlrev_b32_e32 v17, 30, v18
	v_xor_b32_e32 v19, s44, v19
	v_cmp_gt_i64_e64 s[44:45], 0, v[16:17]
	v_not_b32_e32 v17, v17
	v_ashrrev_i32_e32 v17, 31, v17
	v_and_b32_e32 v19, exec_lo, v19
	v_xor_b32_e32 v67, s45, v17
	v_xor_b32_e32 v17, s44, v17
	v_and_b32_e32 v19, v19, v17
	v_lshlrev_b32_e32 v17, 29, v18
	v_cmp_gt_i64_e64 s[44:45], 0, v[16:17]
	v_not_b32_e32 v17, v17
	v_ashrrev_i32_e32 v17, 31, v17
	v_and_b32_e32 v66, v66, v67
	v_xor_b32_e32 v67, s45, v17
	v_xor_b32_e32 v17, s44, v17
	v_and_b32_e32 v19, v19, v17
	v_lshlrev_b32_e32 v17, 28, v18
	v_cmp_gt_i64_e64 s[44:45], 0, v[16:17]
	v_not_b32_e32 v17, v17
	v_ashrrev_i32_e32 v17, 31, v17
	v_and_b32_e32 v66, v66, v67
	;; [unrolled: 8-line block ×5, first 2 shown]
	v_xor_b32_e32 v67, s45, v17
	v_xor_b32_e32 v17, s44, v17
	v_and_b32_e32 v66, v66, v67
	v_and_b32_e32 v67, v19, v17
	v_lshlrev_b32_e32 v17, 24, v18
	v_cmp_gt_i64_e64 s[44:45], 0, v[16:17]
	v_not_b32_e32 v17, v17
	v_ashrrev_i32_e32 v17, 31, v17
	v_xor_b32_e32 v18, s45, v17
	v_xor_b32_e32 v17, s44, v17
	; wave barrier
	ds_read_b32 v46, v65 offset:32
	v_and_b32_e32 v19, v66, v18
	v_and_b32_e32 v18, v67, v17
	v_mbcnt_lo_u32_b32 v17, v18, 0
	v_mbcnt_hi_u32_b32 v66, v19, v17
	v_cmp_eq_u32_e64 s[44:45], 0, v66
	v_cmp_ne_u64_e64 s[46:47], 0, v[18:19]
	s_and_b64 s[46:47], s[46:47], s[44:45]
	; wave barrier
	s_and_saveexec_b64 s[44:45], s[46:47]
	s_cbranch_execz .LBB160_113
; %bb.112:
	v_bcnt_u32_b32 v17, v18, 0
	v_bcnt_u32_b32 v17, v19, v17
	s_waitcnt lgkmcnt(0)
	v_add_u32_e32 v17, v46, v17
	ds_write_b32 v65, v17 offset:32
.LBB160_113:
	s_or_b64 exec, exec, s[44:45]
	v_and_b32_sdwa v18, v27, s53 dst_sel:DWORD dst_unused:UNUSED_PAD src0_sel:BYTE_1 src1_sel:DWORD
	v_lshlrev_b32_e32 v17, 3, v18
	v_add_lshl_u32 v68, v17, v22, 2
	v_and_b32_e32 v17, 1, v18
	v_add_co_u32_e64 v19, s[44:45], -1, v17
	v_addc_co_u32_e64 v69, s[44:45], 0, -1, s[44:45]
	v_cmp_ne_u32_e64 s[44:45], 0, v17
	v_xor_b32_e32 v17, s45, v69
	v_and_b32_e32 v69, exec_hi, v17
	v_lshlrev_b32_e32 v17, 30, v18
	v_xor_b32_e32 v19, s44, v19
	v_cmp_gt_i64_e64 s[44:45], 0, v[16:17]
	v_not_b32_e32 v17, v17
	v_ashrrev_i32_e32 v17, 31, v17
	v_and_b32_e32 v19, exec_lo, v19
	v_xor_b32_e32 v70, s45, v17
	v_xor_b32_e32 v17, s44, v17
	v_and_b32_e32 v19, v19, v17
	v_lshlrev_b32_e32 v17, 29, v18
	v_cmp_gt_i64_e64 s[44:45], 0, v[16:17]
	v_not_b32_e32 v17, v17
	v_ashrrev_i32_e32 v17, 31, v17
	v_and_b32_e32 v69, v69, v70
	v_xor_b32_e32 v70, s45, v17
	v_xor_b32_e32 v17, s44, v17
	v_and_b32_e32 v19, v19, v17
	v_lshlrev_b32_e32 v17, 28, v18
	v_cmp_gt_i64_e64 s[44:45], 0, v[16:17]
	v_not_b32_e32 v17, v17
	v_ashrrev_i32_e32 v17, 31, v17
	v_and_b32_e32 v69, v69, v70
	;; [unrolled: 8-line block ×5, first 2 shown]
	v_xor_b32_e32 v70, s45, v17
	v_xor_b32_e32 v17, s44, v17
	v_and_b32_e32 v19, v19, v17
	v_lshlrev_b32_e32 v17, 24, v18
	v_cmp_gt_i64_e64 s[44:45], 0, v[16:17]
	v_not_b32_e32 v16, v17
	v_ashrrev_i32_e32 v16, 31, v16
	v_xor_b32_e32 v17, s45, v16
	v_xor_b32_e32 v16, s44, v16
	; wave barrier
	ds_read_b32 v67, v68 offset:32
	v_and_b32_e32 v69, v69, v70
	v_and_b32_e32 v16, v19, v16
	;; [unrolled: 1-line block ×3, first 2 shown]
	v_mbcnt_lo_u32_b32 v18, v16, 0
	v_mbcnt_hi_u32_b32 v69, v17, v18
	v_cmp_eq_u32_e64 s[44:45], 0, v69
	v_cmp_ne_u64_e64 s[46:47], 0, v[16:17]
	s_and_b64 s[46:47], s[46:47], s[44:45]
	; wave barrier
	s_and_saveexec_b64 s[44:45], s[46:47]
	s_cbranch_execz .LBB160_115
; %bb.114:
	v_bcnt_u32_b32 v16, v16, 0
	v_bcnt_u32_b32 v16, v17, v16
	s_waitcnt lgkmcnt(0)
	v_add_u32_e32 v16, v67, v16
	ds_write_b32 v68, v16 offset:32
.LBB160_115:
	s_or_b64 exec, exec, s[44:45]
	v_and_b32_sdwa v18, v26, s53 dst_sel:DWORD dst_unused:UNUSED_PAD src0_sel:BYTE_1 src1_sel:DWORD
	v_and_b32_e32 v17, 1, v18
	v_add_co_u32_e64 v19, s[44:45], -1, v17
	v_addc_co_u32_e64 v72, s[44:45], 0, -1, s[44:45]
	v_cmp_ne_u32_e64 s[44:45], 0, v17
	v_lshlrev_b32_e32 v16, 3, v18
	v_xor_b32_e32 v17, s45, v72
	v_add_lshl_u32 v71, v16, v22, 2
	v_mov_b32_e32 v16, 0
	v_and_b32_e32 v72, exec_hi, v17
	v_lshlrev_b32_e32 v17, 30, v18
	v_xor_b32_e32 v19, s44, v19
	v_cmp_gt_i64_e64 s[44:45], 0, v[16:17]
	v_not_b32_e32 v17, v17
	v_ashrrev_i32_e32 v17, 31, v17
	v_and_b32_e32 v19, exec_lo, v19
	v_xor_b32_e32 v73, s45, v17
	v_xor_b32_e32 v17, s44, v17
	v_and_b32_e32 v19, v19, v17
	v_lshlrev_b32_e32 v17, 29, v18
	v_cmp_gt_i64_e64 s[44:45], 0, v[16:17]
	v_not_b32_e32 v17, v17
	v_ashrrev_i32_e32 v17, 31, v17
	v_and_b32_e32 v72, v72, v73
	v_xor_b32_e32 v73, s45, v17
	v_xor_b32_e32 v17, s44, v17
	v_and_b32_e32 v19, v19, v17
	v_lshlrev_b32_e32 v17, 28, v18
	v_cmp_gt_i64_e64 s[44:45], 0, v[16:17]
	v_not_b32_e32 v17, v17
	v_ashrrev_i32_e32 v17, 31, v17
	v_and_b32_e32 v72, v72, v73
	;; [unrolled: 8-line block ×5, first 2 shown]
	v_xor_b32_e32 v73, s45, v17
	v_xor_b32_e32 v17, s44, v17
	v_and_b32_e32 v72, v72, v73
	v_and_b32_e32 v73, v19, v17
	v_lshlrev_b32_e32 v17, 24, v18
	v_cmp_gt_i64_e64 s[44:45], 0, v[16:17]
	v_not_b32_e32 v17, v17
	v_ashrrev_i32_e32 v17, 31, v17
	v_xor_b32_e32 v18, s45, v17
	v_xor_b32_e32 v17, s44, v17
	; wave barrier
	ds_read_b32 v70, v71 offset:32
	v_and_b32_e32 v19, v72, v18
	v_and_b32_e32 v18, v73, v17
	v_mbcnt_lo_u32_b32 v17, v18, 0
	v_mbcnt_hi_u32_b32 v72, v19, v17
	v_cmp_eq_u32_e64 s[44:45], 0, v72
	v_cmp_ne_u64_e64 s[46:47], 0, v[18:19]
	s_and_b64 s[46:47], s[46:47], s[44:45]
	; wave barrier
	s_and_saveexec_b64 s[44:45], s[46:47]
	s_cbranch_execz .LBB160_117
; %bb.116:
	v_bcnt_u32_b32 v17, v18, 0
	v_bcnt_u32_b32 v17, v19, v17
	s_waitcnt lgkmcnt(0)
	v_add_u32_e32 v17, v70, v17
	ds_write_b32 v71, v17 offset:32
.LBB160_117:
	s_or_b64 exec, exec, s[44:45]
	v_and_b32_sdwa v18, v25, s53 dst_sel:DWORD dst_unused:UNUSED_PAD src0_sel:BYTE_1 src1_sel:DWORD
	v_lshlrev_b32_e32 v17, 3, v18
	v_add_lshl_u32 v74, v17, v22, 2
	v_and_b32_e32 v17, 1, v18
	v_add_co_u32_e64 v19, s[44:45], -1, v17
	v_addc_co_u32_e64 v75, s[44:45], 0, -1, s[44:45]
	v_cmp_ne_u32_e64 s[44:45], 0, v17
	v_xor_b32_e32 v17, s45, v75
	v_and_b32_e32 v75, exec_hi, v17
	v_lshlrev_b32_e32 v17, 30, v18
	v_xor_b32_e32 v19, s44, v19
	v_cmp_gt_i64_e64 s[44:45], 0, v[16:17]
	v_not_b32_e32 v17, v17
	v_ashrrev_i32_e32 v17, 31, v17
	v_and_b32_e32 v19, exec_lo, v19
	v_xor_b32_e32 v76, s45, v17
	v_xor_b32_e32 v17, s44, v17
	v_and_b32_e32 v19, v19, v17
	v_lshlrev_b32_e32 v17, 29, v18
	v_cmp_gt_i64_e64 s[44:45], 0, v[16:17]
	v_not_b32_e32 v17, v17
	v_ashrrev_i32_e32 v17, 31, v17
	v_and_b32_e32 v75, v75, v76
	v_xor_b32_e32 v76, s45, v17
	v_xor_b32_e32 v17, s44, v17
	v_and_b32_e32 v19, v19, v17
	v_lshlrev_b32_e32 v17, 28, v18
	v_cmp_gt_i64_e64 s[44:45], 0, v[16:17]
	v_not_b32_e32 v17, v17
	v_ashrrev_i32_e32 v17, 31, v17
	v_and_b32_e32 v75, v75, v76
	;; [unrolled: 8-line block ×5, first 2 shown]
	v_xor_b32_e32 v76, s45, v17
	v_xor_b32_e32 v17, s44, v17
	v_and_b32_e32 v19, v19, v17
	v_lshlrev_b32_e32 v17, 24, v18
	v_cmp_gt_i64_e64 s[44:45], 0, v[16:17]
	v_not_b32_e32 v16, v17
	v_ashrrev_i32_e32 v16, 31, v16
	v_xor_b32_e32 v17, s45, v16
	v_xor_b32_e32 v16, s44, v16
	; wave barrier
	ds_read_b32 v73, v74 offset:32
	v_and_b32_e32 v75, v75, v76
	v_and_b32_e32 v16, v19, v16
	;; [unrolled: 1-line block ×3, first 2 shown]
	v_mbcnt_lo_u32_b32 v18, v16, 0
	v_mbcnt_hi_u32_b32 v75, v17, v18
	v_cmp_eq_u32_e64 s[44:45], 0, v75
	v_cmp_ne_u64_e64 s[46:47], 0, v[16:17]
	s_and_b64 s[46:47], s[46:47], s[44:45]
	; wave barrier
	s_and_saveexec_b64 s[44:45], s[46:47]
	s_cbranch_execz .LBB160_119
; %bb.118:
	v_bcnt_u32_b32 v16, v16, 0
	v_bcnt_u32_b32 v16, v17, v16
	s_waitcnt lgkmcnt(0)
	v_add_u32_e32 v16, v73, v16
	ds_write_b32 v74, v16 offset:32
.LBB160_119:
	s_or_b64 exec, exec, s[44:45]
	v_and_b32_sdwa v18, v20, s53 dst_sel:DWORD dst_unused:UNUSED_PAD src0_sel:BYTE_1 src1_sel:DWORD
	v_and_b32_e32 v17, 1, v18
	v_add_co_u32_e64 v19, s[44:45], -1, v17
	v_addc_co_u32_e64 v77, s[44:45], 0, -1, s[44:45]
	v_cmp_ne_u32_e64 s[44:45], 0, v17
	v_lshlrev_b32_e32 v16, 3, v18
	v_xor_b32_e32 v17, s45, v77
	v_add_lshl_u32 v76, v16, v22, 2
	v_mov_b32_e32 v16, 0
	v_and_b32_e32 v77, exec_hi, v17
	v_lshlrev_b32_e32 v17, 30, v18
	v_xor_b32_e32 v19, s44, v19
	v_cmp_gt_i64_e64 s[44:45], 0, v[16:17]
	v_not_b32_e32 v17, v17
	v_ashrrev_i32_e32 v17, 31, v17
	v_and_b32_e32 v19, exec_lo, v19
	v_xor_b32_e32 v78, s45, v17
	v_xor_b32_e32 v17, s44, v17
	v_and_b32_e32 v19, v19, v17
	v_lshlrev_b32_e32 v17, 29, v18
	v_cmp_gt_i64_e64 s[44:45], 0, v[16:17]
	v_not_b32_e32 v17, v17
	v_ashrrev_i32_e32 v17, 31, v17
	v_and_b32_e32 v77, v77, v78
	v_xor_b32_e32 v78, s45, v17
	v_xor_b32_e32 v17, s44, v17
	v_and_b32_e32 v19, v19, v17
	v_lshlrev_b32_e32 v17, 28, v18
	v_cmp_gt_i64_e64 s[44:45], 0, v[16:17]
	v_not_b32_e32 v17, v17
	v_ashrrev_i32_e32 v17, 31, v17
	v_and_b32_e32 v77, v77, v78
	;; [unrolled: 8-line block ×5, first 2 shown]
	v_xor_b32_e32 v78, s45, v17
	v_xor_b32_e32 v17, s44, v17
	v_and_b32_e32 v19, v19, v17
	v_lshlrev_b32_e32 v17, 24, v18
	v_cmp_gt_i64_e64 s[44:45], 0, v[16:17]
	v_not_b32_e32 v16, v17
	v_ashrrev_i32_e32 v16, 31, v16
	v_xor_b32_e32 v17, s45, v16
	v_xor_b32_e32 v16, s44, v16
	; wave barrier
	ds_read_b32 v22, v76 offset:32
	v_and_b32_e32 v77, v77, v78
	v_and_b32_e32 v16, v19, v16
	;; [unrolled: 1-line block ×3, first 2 shown]
	v_mbcnt_lo_u32_b32 v18, v16, 0
	v_mbcnt_hi_u32_b32 v77, v17, v18
	v_cmp_eq_u32_e64 s[44:45], 0, v77
	v_cmp_ne_u64_e64 s[46:47], 0, v[16:17]
	s_and_b64 s[46:47], s[46:47], s[44:45]
	; wave barrier
	s_and_saveexec_b64 s[44:45], s[46:47]
	s_cbranch_execz .LBB160_121
; %bb.120:
	v_bcnt_u32_b32 v16, v16, 0
	v_bcnt_u32_b32 v16, v17, v16
	s_waitcnt lgkmcnt(0)
	v_add_u32_e32 v16, v22, v16
	ds_write_b32 v76, v16 offset:32
.LBB160_121:
	s_or_b64 exec, exec, s[44:45]
	; wave barrier
	s_waitcnt lgkmcnt(0)
	s_barrier
	ds_read2_b32 v[18:19], v64 offset0:8 offset1:9
	ds_read2_b32 v[16:17], v23 offset0:2 offset1:3
	s_waitcnt lgkmcnt(1)
	v_add_u32_e32 v78, v19, v18
	s_waitcnt lgkmcnt(0)
	v_add3_u32 v17, v78, v16, v17
	s_nop 1
	v_mov_b32_dpp v78, v17 row_shr:1 row_mask:0xf bank_mask:0xf
	v_cndmask_b32_e64 v78, v78, 0, s[24:25]
	v_add_u32_e32 v17, v78, v17
	s_nop 1
	v_mov_b32_dpp v78, v17 row_shr:2 row_mask:0xf bank_mask:0xf
	v_cndmask_b32_e64 v78, 0, v78, s[26:27]
	v_add_u32_e32 v17, v17, v78
	;; [unrolled: 4-line block ×4, first 2 shown]
	s_nop 1
	v_mov_b32_dpp v78, v17 row_bcast:15 row_mask:0xf bank_mask:0xf
	v_cndmask_b32_e64 v78, v78, 0, vcc
	v_add_u32_e32 v17, v17, v78
	s_nop 1
	v_mov_b32_dpp v78, v17 row_bcast:31 row_mask:0xf bank_mask:0xf
	v_cndmask_b32_e64 v78, 0, v78, s[36:37]
	v_add_u32_e32 v17, v17, v78
	s_and_saveexec_b64 s[24:25], s[16:17]
	s_cbranch_execz .LBB160_123
; %bb.122:
	ds_write_b32 v24, v17
.LBB160_123:
	s_or_b64 exec, exec, s[24:25]
	s_waitcnt lgkmcnt(0)
	s_barrier
	s_and_saveexec_b64 s[16:17], s[28:29]
	s_cbranch_execz .LBB160_125
; %bb.124:
	ds_read_b32 v24, v21
	s_waitcnt lgkmcnt(0)
	s_nop 0
	v_mov_b32_dpp v78, v24 row_shr:1 row_mask:0xf bank_mask:0xf
	v_cndmask_b32_e64 v78, v78, 0, s[22:23]
	v_add_u32_e32 v24, v78, v24
	s_nop 1
	v_mov_b32_dpp v78, v24 row_shr:2 row_mask:0xf bank_mask:0xf
	v_cndmask_b32_e64 v78, 0, v78, s[20:21]
	v_add_u32_e32 v24, v24, v78
	;; [unrolled: 4-line block ×3, first 2 shown]
	ds_write_b32 v21, v24
.LBB160_125:
	s_or_b64 exec, exec, s[16:17]
	v_mov_b32_e32 v21, 0
	s_waitcnt lgkmcnt(0)
	s_barrier
	s_and_saveexec_b64 s[16:17], s[38:39]
	s_cbranch_execz .LBB160_127
; %bb.126:
	ds_read_b32 v21, v33
.LBB160_127:
	s_or_b64 exec, exec, s[16:17]
	s_waitcnt lgkmcnt(0)
	v_add_u32_e32 v17, v21, v17
	ds_bpermute_b32 v17, v34, v17
	v_lshlrev_b32_e32 v34, 3, v62
	s_waitcnt lgkmcnt(0)
	v_cndmask_b32_e64 v17, v17, v21, s[40:41]
	v_cndmask_b32_e64 v17, v17, 0, s[42:43]
	v_add_u32_e32 v18, v17, v18
	v_add_u32_e32 v19, v18, v19
	v_add_u32_e32 v16, v19, v16
	ds_write2_b32 v64, v17, v18 offset0:8 offset1:9
	ds_write2_b32 v23, v19, v16 offset0:2 offset1:3
	s_waitcnt lgkmcnt(0)
	s_barrier
	ds_read_b32 v16, v76 offset:32
	ds_read_b32 v17, v74 offset:32
	;; [unrolled: 1-line block ×4, first 2 shown]
	s_waitcnt lgkmcnt(3)
	v_add3_u32 v16, v77, v22, v16
	ds_read_b32 v21, v65 offset:32
	ds_read_b32 v22, v40 offset:32
	;; [unrolled: 1-line block ×4, first 2 shown]
	s_waitcnt lgkmcnt(0)
	s_barrier
	v_add3_u32 v22, v41, v39, v22
	v_add3_u32 v23, v38, v36, v23
	v_add_u32_e32 v24, v24, v35
	v_lshlrev_b32_e32 v32, 1, v24
	ds_write_b16 v32, v31
	v_lshlrev_b32_e32 v31, 1, v23
	v_add3_u32 v21, v66, v46, v21
	ds_write_b16 v31, v30
	v_lshlrev_b32_e32 v30, 1, v22
	v_add3_u32 v19, v69, v67, v19
	;; [unrolled: 3-line block ×4, first 2 shown]
	ds_write_b16 v28, v27
	v_lshlrev_b32_e32 v27, 1, v18
	ds_write_b16 v27, v26
	v_lshlrev_b32_e32 v26, 1, v17
	;; [unrolled: 2-line block ×4, first 2 shown]
	v_lshlrev_b32_e32 v24, 3, v24
	v_lshlrev_b32_e32 v23, 3, v23
	;; [unrolled: 1-line block ×7, first 2 shown]
	s_waitcnt lgkmcnt(0)
	s_barrier
	v_lshlrev_b32_e32 v21, 3, v21
	ds_read_b128 v[16:19], v20
	s_waitcnt lgkmcnt(0)
	s_barrier
	ds_write_b64 v24, v[12:13]
	ds_write_b64 v23, v[14:15]
	;; [unrolled: 1-line block ×8, first 2 shown]
	s_waitcnt lgkmcnt(0)
	s_barrier
	ds_read2_b64 v[22:25], v34 offset1:1
	ds_read2_b64 v[26:29], v34 offset0:2 offset1:3
	ds_read2_b64 v[30:33], v34 offset0:4 offset1:5
	;; [unrolled: 1-line block ×3, first 2 shown]
	v_xor_b32_e32 v38, 0x7fff7fff, v16
	v_xor_b32_e32 v39, 0x7fff7fff, v17
	;; [unrolled: 1-line block ×4, first 2 shown]
.LBB160_128:
	s_waitcnt lgkmcnt(0)
	s_barrier
	ds_write_b128 v54, v[38:41]
	s_waitcnt lgkmcnt(0)
	s_barrier
	ds_read_u16 v8, v43 offset:1024
	ds_read_u16 v7, v48 offset:2048
	;; [unrolled: 1-line block ×7, first 2 shown]
	v_mov_b32_e32 v43, 0
	v_lshlrev_b64 v[0:1], 1, v[42:43]
	v_mov_b32_e32 v9, s48
	v_add_co_u32_e32 v0, vcc, s33, v0
	v_addc_co_u32_e32 v1, vcc, v9, v1, vcc
	s_and_saveexec_b64 s[16:17], s[0:1]
	s_cbranch_execnz .LBB160_147
; %bb.129:
	s_or_b64 exec, exec, s[16:17]
	s_and_saveexec_b64 s[16:17], s[2:3]
	s_cbranch_execnz .LBB160_148
.LBB160_130:
	s_or_b64 exec, exec, s[16:17]
	s_and_saveexec_b64 s[16:17], s[4:5]
	s_cbranch_execnz .LBB160_149
.LBB160_131:
	s_or_b64 exec, exec, s[16:17]
	s_and_saveexec_b64 s[16:17], s[6:7]
	s_cbranch_execnz .LBB160_150
.LBB160_132:
	s_or_b64 exec, exec, s[16:17]
	s_and_saveexec_b64 s[16:17], s[8:9]
	s_cbranch_execnz .LBB160_151
.LBB160_133:
	s_or_b64 exec, exec, s[16:17]
	s_and_saveexec_b64 s[16:17], s[10:11]
	s_cbranch_execnz .LBB160_152
.LBB160_134:
	s_or_b64 exec, exec, s[16:17]
	s_and_saveexec_b64 s[16:17], s[12:13]
	s_cbranch_execnz .LBB160_153
.LBB160_135:
	s_or_b64 exec, exec, s[16:17]
	s_and_saveexec_b64 s[16:17], s[14:15]
	s_cbranch_execz .LBB160_137
.LBB160_136:
	s_mul_i32 s18, s50, 0xe00
	s_mov_b32 s19, 0
	s_lshl_b64 s[18:19], s[18:19], 1
	s_waitcnt lgkmcnt(1)
	v_mov_b32_e32 v3, s19
	v_add_co_u32_e32 v0, vcc, s18, v0
	v_addc_co_u32_e32 v1, vcc, v1, v3, vcc
	s_waitcnt lgkmcnt(0)
	global_store_short v[0:1], v2, off
.LBB160_137:
	s_or_b64 exec, exec, s[16:17]
	s_waitcnt lgkmcnt(0)
	s_barrier
	ds_write2_b64 v63, v[22:23], v[24:25] offset1:1
	ds_write2_b64 v63, v[26:27], v[28:29] offset0:2 offset1:3
	ds_write2_b64 v63, v[30:31], v[32:33] offset0:4 offset1:5
	;; [unrolled: 1-line block ×3, first 2 shown]
	s_waitcnt lgkmcnt(0)
	s_barrier
	ds_read_b64 v[14:15], v45 offset:4096
	ds_read_b64 v[12:13], v56 offset:8192
	;; [unrolled: 1-line block ×7, first 2 shown]
	v_mov_b32_e32 v45, 0
	v_lshlrev_b64 v[2:3], 3, v[44:45]
	v_mov_b32_e32 v16, s51
	v_add_co_u32_e32 v2, vcc, s49, v2
	v_addc_co_u32_e32 v3, vcc, v16, v3, vcc
	s_and_saveexec_b64 s[16:17], s[0:1]
	s_cbranch_execnz .LBB160_154
; %bb.138:
	s_or_b64 exec, exec, s[16:17]
	s_and_saveexec_b64 s[0:1], s[2:3]
	s_cbranch_execnz .LBB160_155
.LBB160_139:
	s_or_b64 exec, exec, s[0:1]
	s_and_saveexec_b64 s[0:1], s[4:5]
	s_cbranch_execnz .LBB160_156
.LBB160_140:
	s_or_b64 exec, exec, s[0:1]
	s_and_saveexec_b64 s[0:1], s[6:7]
	s_cbranch_execnz .LBB160_157
.LBB160_141:
	s_or_b64 exec, exec, s[0:1]
	s_and_saveexec_b64 s[0:1], s[8:9]
	s_cbranch_execnz .LBB160_158
.LBB160_142:
	s_or_b64 exec, exec, s[0:1]
	s_and_saveexec_b64 s[0:1], s[10:11]
	s_cbranch_execnz .LBB160_159
.LBB160_143:
	s_or_b64 exec, exec, s[0:1]
	s_and_saveexec_b64 s[0:1], s[12:13]
	s_cbranch_execnz .LBB160_160
.LBB160_144:
	s_or_b64 exec, exec, s[0:1]
	s_and_saveexec_b64 s[0:1], s[14:15]
	s_cbranch_execz .LBB160_146
.LBB160_145:
	s_mul_i32 s0, s52, 0xe00
	s_mov_b32 s1, 0
	s_lshl_b64 s[0:1], s[0:1], 3
	s_waitcnt lgkmcnt(1)
	v_mov_b32_e32 v4, s1
	v_add_co_u32_e32 v2, vcc, s0, v2
	v_addc_co_u32_e32 v3, vcc, v3, v4, vcc
	s_waitcnt lgkmcnt(0)
	global_store_dwordx2 v[2:3], v[0:1], off
.LBB160_146:
	s_endpgm
.LBB160_147:
	ds_read_u16 v9, v47
	s_waitcnt lgkmcnt(0)
	global_store_short v[0:1], v9, off
	s_or_b64 exec, exec, s[16:17]
	s_and_saveexec_b64 s[16:17], s[2:3]
	s_cbranch_execz .LBB160_130
.LBB160_148:
	s_lshl_b32 s18, s50, 9
	s_mov_b32 s19, 0
	s_lshl_b64 s[18:19], s[18:19], 1
	v_mov_b32_e32 v9, s19
	v_add_co_u32_e32 v10, vcc, s18, v0
	v_addc_co_u32_e32 v11, vcc, v1, v9, vcc
	s_waitcnt lgkmcnt(6)
	global_store_short v[10:11], v8, off
	s_or_b64 exec, exec, s[16:17]
	s_and_saveexec_b64 s[16:17], s[4:5]
	s_cbranch_execz .LBB160_131
.LBB160_149:
	s_lshl_b32 s18, s50, 10
	s_mov_b32 s19, 0
	s_lshl_b64 s[18:19], s[18:19], 1
	v_mov_b32_e32 v9, s19
	s_waitcnt lgkmcnt(6)
	v_add_co_u32_e32 v8, vcc, s18, v0
	v_addc_co_u32_e32 v9, vcc, v1, v9, vcc
	s_waitcnt lgkmcnt(5)
	global_store_short v[8:9], v7, off
	s_or_b64 exec, exec, s[16:17]
	s_and_saveexec_b64 s[16:17], s[6:7]
	s_cbranch_execz .LBB160_132
.LBB160_150:
	s_mul_i32 s18, s50, 0x600
	s_mov_b32 s19, 0
	s_lshl_b64 s[18:19], s[18:19], 1
	s_waitcnt lgkmcnt(5)
	v_mov_b32_e32 v7, s19
	v_add_co_u32_e32 v8, vcc, s18, v0
	v_addc_co_u32_e32 v9, vcc, v1, v7, vcc
	s_waitcnt lgkmcnt(4)
	global_store_short v[8:9], v6, off
	s_or_b64 exec, exec, s[16:17]
	s_and_saveexec_b64 s[16:17], s[8:9]
	s_cbranch_execz .LBB160_133
.LBB160_151:
	s_lshl_b32 s18, s50, 11
	s_mov_b32 s19, 0
	s_lshl_b64 s[18:19], s[18:19], 1
	s_waitcnt lgkmcnt(5)
	v_mov_b32_e32 v7, s19
	s_waitcnt lgkmcnt(4)
	v_add_co_u32_e32 v6, vcc, s18, v0
	v_addc_co_u32_e32 v7, vcc, v1, v7, vcc
	s_waitcnt lgkmcnt(3)
	global_store_short v[6:7], v5, off
	s_or_b64 exec, exec, s[16:17]
	s_and_saveexec_b64 s[16:17], s[10:11]
	s_cbranch_execz .LBB160_134
.LBB160_152:
	s_mul_i32 s18, s50, 0xa00
	s_mov_b32 s19, 0
	s_lshl_b64 s[18:19], s[18:19], 1
	s_waitcnt lgkmcnt(3)
	v_mov_b32_e32 v5, s19
	v_add_co_u32_e32 v6, vcc, s18, v0
	v_addc_co_u32_e32 v7, vcc, v1, v5, vcc
	s_waitcnt lgkmcnt(2)
	global_store_short v[6:7], v4, off
	s_or_b64 exec, exec, s[16:17]
	s_and_saveexec_b64 s[16:17], s[12:13]
	s_cbranch_execz .LBB160_135
.LBB160_153:
	s_mul_i32 s18, s50, 0xc00
	s_mov_b32 s19, 0
	s_lshl_b64 s[18:19], s[18:19], 1
	s_waitcnt lgkmcnt(3)
	v_mov_b32_e32 v5, s19
	s_waitcnt lgkmcnt(2)
	v_add_co_u32_e32 v4, vcc, s18, v0
	v_addc_co_u32_e32 v5, vcc, v1, v5, vcc
	s_waitcnt lgkmcnt(1)
	global_store_short v[4:5], v3, off
	s_or_b64 exec, exec, s[16:17]
	s_and_saveexec_b64 s[16:17], s[14:15]
	s_cbranch_execnz .LBB160_136
	s_branch .LBB160_137
.LBB160_154:
	ds_read_b64 v[16:17], v55
	s_waitcnt lgkmcnt(0)
	global_store_dwordx2 v[2:3], v[16:17], off
	s_or_b64 exec, exec, s[16:17]
	s_and_saveexec_b64 s[0:1], s[2:3]
	s_cbranch_execz .LBB160_139
.LBB160_155:
	s_lshl_b32 s2, s52, 9
	s_mov_b32 s3, 0
	s_lshl_b64 s[2:3], s[2:3], 3
	v_mov_b32_e32 v17, s3
	v_add_co_u32_e32 v16, vcc, s2, v2
	v_addc_co_u32_e32 v17, vcc, v3, v17, vcc
	s_waitcnt lgkmcnt(6)
	global_store_dwordx2 v[16:17], v[14:15], off
	s_or_b64 exec, exec, s[0:1]
	s_and_saveexec_b64 s[0:1], s[4:5]
	s_cbranch_execz .LBB160_140
.LBB160_156:
	s_lshl_b32 s2, s52, 10
	s_mov_b32 s3, 0
	s_lshl_b64 s[2:3], s[2:3], 3
	s_waitcnt lgkmcnt(6)
	v_mov_b32_e32 v15, s3
	v_add_co_u32_e32 v14, vcc, s2, v2
	v_addc_co_u32_e32 v15, vcc, v3, v15, vcc
	s_waitcnt lgkmcnt(5)
	global_store_dwordx2 v[14:15], v[12:13], off
	s_or_b64 exec, exec, s[0:1]
	s_and_saveexec_b64 s[0:1], s[6:7]
	s_cbranch_execz .LBB160_141
.LBB160_157:
	s_mul_i32 s2, s52, 0x600
	s_mov_b32 s3, 0
	s_lshl_b64 s[2:3], s[2:3], 3
	s_waitcnt lgkmcnt(5)
	v_mov_b32_e32 v13, s3
	v_add_co_u32_e32 v12, vcc, s2, v2
	v_addc_co_u32_e32 v13, vcc, v3, v13, vcc
	s_waitcnt lgkmcnt(4)
	global_store_dwordx2 v[12:13], v[10:11], off
	s_or_b64 exec, exec, s[0:1]
	s_and_saveexec_b64 s[0:1], s[8:9]
	s_cbranch_execz .LBB160_142
.LBB160_158:
	s_lshl_b32 s2, s52, 11
	s_mov_b32 s3, 0
	s_lshl_b64 s[2:3], s[2:3], 3
	s_waitcnt lgkmcnt(4)
	v_mov_b32_e32 v11, s3
	v_add_co_u32_e32 v10, vcc, s2, v2
	v_addc_co_u32_e32 v11, vcc, v3, v11, vcc
	s_waitcnt lgkmcnt(3)
	global_store_dwordx2 v[10:11], v[8:9], off
	s_or_b64 exec, exec, s[0:1]
	s_and_saveexec_b64 s[0:1], s[10:11]
	s_cbranch_execz .LBB160_143
.LBB160_159:
	s_mul_i32 s2, s52, 0xa00
	s_mov_b32 s3, 0
	s_lshl_b64 s[2:3], s[2:3], 3
	s_waitcnt lgkmcnt(3)
	v_mov_b32_e32 v9, s3
	v_add_co_u32_e32 v8, vcc, s2, v2
	v_addc_co_u32_e32 v9, vcc, v3, v9, vcc
	s_waitcnt lgkmcnt(2)
	global_store_dwordx2 v[8:9], v[6:7], off
	s_or_b64 exec, exec, s[0:1]
	s_and_saveexec_b64 s[0:1], s[12:13]
	s_cbranch_execz .LBB160_144
.LBB160_160:
	s_mul_i32 s2, s52, 0xc00
	s_mov_b32 s3, 0
	s_lshl_b64 s[2:3], s[2:3], 3
	s_waitcnt lgkmcnt(2)
	v_mov_b32_e32 v7, s3
	v_add_co_u32_e32 v6, vcc, s2, v2
	v_addc_co_u32_e32 v7, vcc, v3, v7, vcc
	s_waitcnt lgkmcnt(1)
	global_store_dwordx2 v[6:7], v[4:5], off
	s_or_b64 exec, exec, s[0:1]
	s_and_saveexec_b64 s[0:1], s[14:15]
	s_cbranch_execnz .LBB160_145
	s_branch .LBB160_146
	.section	.rodata,"a",@progbits
	.p2align	6, 0x0
	.amdhsa_kernel _ZN2at6native18radixSortKVInPlaceILin2ELin1ELi512ELi8EsljEEvNS_4cuda6detail10TensorInfoIT3_T5_EES6_S6_S6_NS4_IT4_S6_EES6_b
		.amdhsa_group_segment_fixed_size 33792
		.amdhsa_private_segment_fixed_size 0
		.amdhsa_kernarg_size 712
		.amdhsa_user_sgpr_count 6
		.amdhsa_user_sgpr_private_segment_buffer 1
		.amdhsa_user_sgpr_dispatch_ptr 0
		.amdhsa_user_sgpr_queue_ptr 0
		.amdhsa_user_sgpr_kernarg_segment_ptr 1
		.amdhsa_user_sgpr_dispatch_id 0
		.amdhsa_user_sgpr_flat_scratch_init 0
		.amdhsa_user_sgpr_kernarg_preload_length 0
		.amdhsa_user_sgpr_kernarg_preload_offset 0
		.amdhsa_user_sgpr_private_segment_size 0
		.amdhsa_uses_dynamic_stack 0
		.amdhsa_system_sgpr_private_segment_wavefront_offset 0
		.amdhsa_system_sgpr_workgroup_id_x 1
		.amdhsa_system_sgpr_workgroup_id_y 1
		.amdhsa_system_sgpr_workgroup_id_z 1
		.amdhsa_system_sgpr_workgroup_info 0
		.amdhsa_system_vgpr_workitem_id 2
		.amdhsa_next_free_vgpr 113
		.amdhsa_next_free_sgpr 56
		.amdhsa_accum_offset 116
		.amdhsa_reserve_vcc 1
		.amdhsa_reserve_flat_scratch 0
		.amdhsa_float_round_mode_32 0
		.amdhsa_float_round_mode_16_64 0
		.amdhsa_float_denorm_mode_32 3
		.amdhsa_float_denorm_mode_16_64 3
		.amdhsa_dx10_clamp 1
		.amdhsa_ieee_mode 1
		.amdhsa_fp16_overflow 0
		.amdhsa_tg_split 0
		.amdhsa_exception_fp_ieee_invalid_op 0
		.amdhsa_exception_fp_denorm_src 0
		.amdhsa_exception_fp_ieee_div_zero 0
		.amdhsa_exception_fp_ieee_overflow 0
		.amdhsa_exception_fp_ieee_underflow 0
		.amdhsa_exception_fp_ieee_inexact 0
		.amdhsa_exception_int_div_zero 0
	.end_amdhsa_kernel
	.section	.text._ZN2at6native18radixSortKVInPlaceILin2ELin1ELi512ELi8EsljEEvNS_4cuda6detail10TensorInfoIT3_T5_EES6_S6_S6_NS4_IT4_S6_EES6_b,"axG",@progbits,_ZN2at6native18radixSortKVInPlaceILin2ELin1ELi512ELi8EsljEEvNS_4cuda6detail10TensorInfoIT3_T5_EES6_S6_S6_NS4_IT4_S6_EES6_b,comdat
.Lfunc_end160:
	.size	_ZN2at6native18radixSortKVInPlaceILin2ELin1ELi512ELi8EsljEEvNS_4cuda6detail10TensorInfoIT3_T5_EES6_S6_S6_NS4_IT4_S6_EES6_b, .Lfunc_end160-_ZN2at6native18radixSortKVInPlaceILin2ELin1ELi512ELi8EsljEEvNS_4cuda6detail10TensorInfoIT3_T5_EES6_S6_S6_NS4_IT4_S6_EES6_b
                                        ; -- End function
	.section	.AMDGPU.csdata,"",@progbits
; Kernel info:
; codeLenInByte = 20624
; NumSgprs: 60
; NumVgprs: 113
; NumAgprs: 0
; TotalNumVgprs: 113
; ScratchSize: 0
; MemoryBound: 0
; FloatMode: 240
; IeeeMode: 1
; LDSByteSize: 33792 bytes/workgroup (compile time only)
; SGPRBlocks: 7
; VGPRBlocks: 14
; NumSGPRsForWavesPerEU: 60
; NumVGPRsForWavesPerEU: 113
; AccumOffset: 116
; Occupancy: 2
; WaveLimiterHint : 1
; COMPUTE_PGM_RSRC2:SCRATCH_EN: 0
; COMPUTE_PGM_RSRC2:USER_SGPR: 6
; COMPUTE_PGM_RSRC2:TRAP_HANDLER: 0
; COMPUTE_PGM_RSRC2:TGID_X_EN: 1
; COMPUTE_PGM_RSRC2:TGID_Y_EN: 1
; COMPUTE_PGM_RSRC2:TGID_Z_EN: 1
; COMPUTE_PGM_RSRC2:TIDIG_COMP_CNT: 2
; COMPUTE_PGM_RSRC3_GFX90A:ACCUM_OFFSET: 28
; COMPUTE_PGM_RSRC3_GFX90A:TG_SPLIT: 0
	.section	.text._ZN2at6native18radixSortKVInPlaceILin2ELin1ELi256ELi8EsljEEvNS_4cuda6detail10TensorInfoIT3_T5_EES6_S6_S6_NS4_IT4_S6_EES6_b,"axG",@progbits,_ZN2at6native18radixSortKVInPlaceILin2ELin1ELi256ELi8EsljEEvNS_4cuda6detail10TensorInfoIT3_T5_EES6_S6_S6_NS4_IT4_S6_EES6_b,comdat
	.protected	_ZN2at6native18radixSortKVInPlaceILin2ELin1ELi256ELi8EsljEEvNS_4cuda6detail10TensorInfoIT3_T5_EES6_S6_S6_NS4_IT4_S6_EES6_b ; -- Begin function _ZN2at6native18radixSortKVInPlaceILin2ELin1ELi256ELi8EsljEEvNS_4cuda6detail10TensorInfoIT3_T5_EES6_S6_S6_NS4_IT4_S6_EES6_b
	.globl	_ZN2at6native18radixSortKVInPlaceILin2ELin1ELi256ELi8EsljEEvNS_4cuda6detail10TensorInfoIT3_T5_EES6_S6_S6_NS4_IT4_S6_EES6_b
	.p2align	8
	.type	_ZN2at6native18radixSortKVInPlaceILin2ELin1ELi256ELi8EsljEEvNS_4cuda6detail10TensorInfoIT3_T5_EES6_S6_S6_NS4_IT4_S6_EES6_b,@function
_ZN2at6native18radixSortKVInPlaceILin2ELin1ELi256ELi8EsljEEvNS_4cuda6detail10TensorInfoIT3_T5_EES6_S6_S6_NS4_IT4_S6_EES6_b: ; @_ZN2at6native18radixSortKVInPlaceILin2ELin1ELi256ELi8EsljEEvNS_4cuda6detail10TensorInfoIT3_T5_EES6_S6_S6_NS4_IT4_S6_EES6_b
; %bb.0:
	s_load_dwordx2 s[0:1], s[4:5], 0x1c8
	s_load_dwordx4 s[44:47], s[4:5], 0xd8
	s_add_u32 s50, s4, 0x1c8
	s_addc_u32 s51, s5, 0
	s_waitcnt lgkmcnt(0)
	s_mul_i32 s1, s1, s8
	s_add_i32 s1, s1, s7
	s_mul_i32 s0, s1, s0
	s_add_i32 s6, s0, s6
	s_cmp_ge_u32 s6, s44
	s_cbranch_scc1 .LBB161_146
; %bb.1:
	s_load_dword s2, s[4:5], 0x1b8
	s_load_dwordx2 s[0:1], s[4:5], 0x0
	s_add_u32 s14, s4, 0xe8
	s_addc_u32 s15, s5, 0
	s_mov_b32 s17, 0
	s_waitcnt lgkmcnt(0)
	s_cmp_lt_i32 s2, 2
	s_mov_b32 s16, s6
	s_cbranch_scc1 .LBB161_4
; %bb.2:
	s_add_i32 s16, s2, -1
	s_add_i32 s7, s2, 1
	s_lshl_b64 s[2:3], s[16:17], 2
	s_add_u32 s2, s2, s14
	s_addc_u32 s3, s3, s15
	s_add_u32 s2, s2, 8
	s_addc_u32 s3, s3, 0
	s_mov_b32 s16, s6
.LBB161_3:                              ; =>This Inner Loop Header: Depth=1
	s_load_dword s8, s[2:3], 0x0
	s_load_dword s10, s[2:3], 0x64
	s_mov_b32 s9, s16
	s_waitcnt lgkmcnt(0)
	v_cvt_f32_u32_e32 v1, s8
	s_sub_i32 s11, 0, s8
	v_rcp_iflag_f32_e32 v1, v1
	v_mul_f32_e32 v1, 0x4f7ffffe, v1
	v_cvt_u32_f32_e32 v1, v1
	v_readfirstlane_b32 s12, v1
	s_mul_i32 s11, s11, s12
	s_mul_hi_u32 s11, s12, s11
	s_add_i32 s12, s12, s11
	s_mul_hi_u32 s11, s16, s12
	s_mul_i32 s12, s11, s8
	s_sub_i32 s12, s16, s12
	s_add_i32 s13, s11, 1
	s_sub_i32 s16, s12, s8
	s_cmp_ge_u32 s12, s8
	s_cselect_b32 s11, s13, s11
	s_cselect_b32 s12, s16, s12
	s_add_i32 s13, s11, 1
	s_cmp_ge_u32 s12, s8
	s_cselect_b32 s16, s13, s11
	s_mul_i32 s8, s16, s8
	s_sub_i32 s8, s9, s8
	s_mul_i32 s8, s10, s8
	s_add_i32 s7, s7, -1
	s_add_i32 s17, s8, s17
	s_add_u32 s2, s2, -4
	s_addc_u32 s3, s3, -1
	s_cmp_gt_u32 s7, 2
	s_cbranch_scc1 .LBB161_3
.LBB161_4:
	s_load_dword s2, s[4:5], 0x6c
	s_load_dwordx2 s[48:49], s[4:5], 0x1c0
	s_mov_b32 s3, 0
	v_and_b32_e32 v46, 0x3ff, v0
	v_mul_lo_u32 v42, v46, s46
	s_waitcnt lgkmcnt(0)
	s_mul_i32 s2, s2, s6
	s_bitcmp1_b32 s49, 0
	s_cselect_b64 s[34:35], -1, 0
	s_mov_b32 s6, 0x8000
	s_and_b64 s[4:5], s[34:35], exec
	s_cselect_b32 s8, s6, 0x7fff
	s_pack_ll_b32_b16 s4, s8, s8
	s_lshl_b64 s[2:3], s[2:3], 1
	s_mov_b32 s5, s4
	s_add_u32 s33, s0, s2
	s_mov_b32 s6, s4
	s_mov_b32 s7, s4
	v_pk_mov_b32 v[2:3], s[4:5], s[4:5] op_sel:[0,1]
	s_addc_u32 s47, s1, s3
	v_cmp_gt_u32_e64 s[0:1], s45, v46
	v_pk_mov_b32 v[4:5], s[6:7], s[6:7] op_sel:[0,1]
	v_mov_b32_e32 v6, s8
	s_and_saveexec_b64 s[2:3], s[0:1]
	s_cbranch_execz .LBB161_6
; %bb.5:
	v_mov_b32_e32 v43, 0
	v_lshlrev_b64 v[2:3], 1, v[42:43]
	v_mov_b32_e32 v1, s47
	v_add_co_u32_e32 v2, vcc, s33, v2
	v_addc_co_u32_e32 v3, vcc, v1, v3, vcc
	global_load_ushort v6, v[2:3], off
	s_mov_b32 s5, 0xffff
	v_mov_b32_e32 v1, s4
	v_mov_b32_e32 v3, s4
	;; [unrolled: 1-line block ×4, first 2 shown]
	s_waitcnt vmcnt(0)
	v_bfi_b32 v2, s5, v6, v1
.LBB161_6:
	s_or_b64 exec, exec, s[2:3]
	v_add_u32_e32 v1, 0x100, v46
	v_cmp_gt_u32_e64 s[2:3], s45, v1
	s_and_saveexec_b64 s[4:5], s[2:3]
	s_cbranch_execz .LBB161_8
; %bb.7:
	v_mul_lo_u32 v8, v1, s46
	v_mov_b32_e32 v9, 0
	v_lshlrev_b64 v[8:9], 1, v[8:9]
	v_mov_b32_e32 v7, s47
	v_add_co_u32_e32 v8, vcc, s33, v8
	v_addc_co_u32_e32 v9, vcc, v7, v9, vcc
	global_load_ushort v7, v[8:9], off
	s_mov_b32 s6, 0x5040100
	s_waitcnt vmcnt(0)
	v_perm_b32 v2, v7, v2, s6
.LBB161_8:
	s_or_b64 exec, exec, s[4:5]
	v_add_u32_e32 v22, 0x200, v46
	v_cmp_gt_u32_e64 s[4:5], s45, v22
	s_and_saveexec_b64 s[6:7], s[4:5]
	s_cbranch_execz .LBB161_10
; %bb.9:
	v_mul_lo_u32 v8, v22, s46
	v_mov_b32_e32 v9, 0
	v_lshlrev_b64 v[8:9], 1, v[8:9]
	v_mov_b32_e32 v7, s47
	v_add_co_u32_e32 v8, vcc, s33, v8
	v_addc_co_u32_e32 v9, vcc, v7, v9, vcc
	global_load_ushort v7, v[8:9], off
	s_mov_b32 s8, 0xffff
	s_waitcnt vmcnt(0)
	v_bfi_b32 v3, s8, v7, v3
.LBB161_10:
	s_or_b64 exec, exec, s[6:7]
	v_add_u32_e32 v23, 0x300, v46
	v_cmp_gt_u32_e64 s[6:7], s45, v23
	s_and_saveexec_b64 s[8:9], s[6:7]
	s_cbranch_execz .LBB161_12
; %bb.11:
	v_mul_lo_u32 v8, v23, s46
	v_mov_b32_e32 v9, 0
	v_lshlrev_b64 v[8:9], 1, v[8:9]
	v_mov_b32_e32 v7, s47
	v_add_co_u32_e32 v8, vcc, s33, v8
	v_addc_co_u32_e32 v9, vcc, v7, v9, vcc
	global_load_ushort v7, v[8:9], off
	s_mov_b32 s10, 0x5040100
	s_waitcnt vmcnt(0)
	v_perm_b32 v3, v7, v3, s10
.LBB161_12:
	s_or_b64 exec, exec, s[8:9]
	v_or_b32_e32 v24, 0x400, v46
	v_cmp_gt_u32_e64 s[8:9], s45, v24
	s_and_saveexec_b64 s[10:11], s[8:9]
	s_cbranch_execz .LBB161_14
; %bb.13:
	v_mul_lo_u32 v8, v24, s46
	v_mov_b32_e32 v9, 0
	v_lshlrev_b64 v[8:9], 1, v[8:9]
	v_mov_b32_e32 v7, s47
	v_add_co_u32_e32 v8, vcc, s33, v8
	v_addc_co_u32_e32 v9, vcc, v7, v9, vcc
	global_load_ushort v7, v[8:9], off
	s_mov_b32 s12, 0xffff
	s_waitcnt vmcnt(0)
	v_bfi_b32 v4, s12, v7, v4
.LBB161_14:
	s_or_b64 exec, exec, s[10:11]
	v_add_u32_e32 v25, 0x500, v46
	v_cmp_gt_u32_e64 s[10:11], s45, v25
	s_and_saveexec_b64 s[12:13], s[10:11]
	s_cbranch_execz .LBB161_16
; %bb.15:
	v_mul_lo_u32 v8, v25, s46
	v_mov_b32_e32 v9, 0
	v_lshlrev_b64 v[8:9], 1, v[8:9]
	v_mov_b32_e32 v7, s47
	v_add_co_u32_e32 v8, vcc, s33, v8
	v_addc_co_u32_e32 v9, vcc, v7, v9, vcc
	global_load_ushort v7, v[8:9], off
	s_mov_b32 s18, 0x5040100
	s_waitcnt vmcnt(0)
	v_perm_b32 v4, v7, v4, s18
.LBB161_16:
	s_or_b64 exec, exec, s[12:13]
	s_load_dwordx2 s[18:19], s[14:15], 0x0
	v_add_u32_e32 v26, 0x600, v46
	v_cmp_gt_u32_e64 s[12:13], s45, v26
	s_and_saveexec_b64 s[20:21], s[12:13]
	s_cbranch_execz .LBB161_18
; %bb.17:
	v_mul_lo_u32 v8, v26, s46
	v_mov_b32_e32 v9, 0
	v_lshlrev_b64 v[8:9], 1, v[8:9]
	v_mov_b32_e32 v7, s47
	v_add_co_u32_e32 v8, vcc, s33, v8
	v_addc_co_u32_e32 v9, vcc, v7, v9, vcc
	global_load_ushort v7, v[8:9], off
	s_mov_b32 s22, 0xffff
	s_waitcnt vmcnt(0)
	v_bfi_b32 v5, s22, v7, v5
.LBB161_18:
	s_or_b64 exec, exec, s[20:21]
	s_load_dword s22, s[14:15], 0x6c
	v_add_u32_e32 v27, 0x700, v46
	v_cmp_gt_u32_e64 s[14:15], s45, v27
	s_and_saveexec_b64 s[20:21], s[14:15]
	s_cbranch_execz .LBB161_20
; %bb.19:
	v_mul_lo_u32 v8, v27, s46
	v_mov_b32_e32 v9, 0
	v_lshlrev_b64 v[8:9], 1, v[8:9]
	v_mov_b32_e32 v7, s47
	v_add_co_u32_e32 v8, vcc, s33, v8
	v_addc_co_u32_e32 v9, vcc, v7, v9, vcc
	global_load_ushort v7, v[8:9], off
	s_mov_b32 s23, 0x5040100
	s_waitcnt vmcnt(0)
	v_perm_b32 v5, v7, v5, s23
.LBB161_20:
	s_or_b64 exec, exec, s[20:21]
	v_lshrrev_b32_e32 v36, 5, v46
	v_and_b32_e32 v7, 30, v36
	v_add_lshl_u32 v47, v7, v46, 1
	v_lshrrev_b32_e32 v35, 5, v1
	ds_write_b16 v47, v6
	v_and_b32_e32 v6, 62, v35
	v_add_lshl_u32 v43, v6, v46, 1
	v_lshrrev_b32_e32 v34, 5, v22
	ds_write_b16_d16_hi v43, v2 offset:512
	v_and_b32_e32 v2, 62, v34
	v_lshrrev_b32_e32 v33, 5, v23
	v_add_lshl_u32 v48, v2, v46, 1
	v_and_b32_e32 v2, 62, v33
	v_lshrrev_b32_e32 v32, 5, v24
	v_add_lshl_u32 v49, v2, v46, 1
	;; [unrolled: 3-line block ×6, first 2 shown]
	v_lshlrev_b32_e32 v62, 3, v46
	v_and_b32_e32 v2, 0xfe, v30
	s_waitcnt lgkmcnt(0)
	s_mul_i32 s16, s22, s16
	v_add_lshl_u32 v54, v2, v62, 1
	s_add_i32 s16, s16, s17
	s_mov_b32 s17, 0
	ds_write_b16 v48, v3 offset:1024
	ds_write_b16_d16_hi v49, v3 offset:1536
	ds_write_b16 v50, v4 offset:2048
	ds_write_b16_d16_hi v51, v4 offset:2560
	;; [unrolled: 2-line block ×3, first 2 shown]
	s_waitcnt lgkmcnt(0)
	s_barrier
	ds_read_b128 v[18:21], v54
	s_lshl_b64 s[20:21], s[16:17], 3
	s_add_u32 s49, s18, s20
	s_mov_b32 s16, s17
	s_addc_u32 s52, s19, s21
	s_mov_b32 s18, s17
	s_mov_b32 s19, s17
	;; [unrolled: 1-line block ×14, first 2 shown]
	v_pk_mov_b32 v[2:3], s[16:17], s[16:17] op_sel:[0,1]
	v_pk_mov_b32 v[4:5], s[18:19], s[18:19] op_sel:[0,1]
	;; [unrolled: 1-line block ×8, first 2 shown]
	v_pk_mov_b32 v[2:3], 0, 0
	v_mul_lo_u32 v44, v46, s48
	s_waitcnt lgkmcnt(0)
	s_barrier
	s_and_saveexec_b64 s[16:17], s[0:1]
	s_cbranch_execnz .LBB161_75
; %bb.21:
	s_or_b64 exec, exec, s[16:17]
	s_and_saveexec_b64 s[16:17], s[2:3]
	s_cbranch_execnz .LBB161_76
.LBB161_22:
	s_or_b64 exec, exec, s[16:17]
	s_and_saveexec_b64 s[16:17], s[4:5]
	s_cbranch_execnz .LBB161_77
.LBB161_23:
	s_or_b64 exec, exec, s[16:17]
	s_and_saveexec_b64 s[16:17], s[6:7]
	s_cbranch_execnz .LBB161_78
.LBB161_24:
	s_or_b64 exec, exec, s[16:17]
	s_and_saveexec_b64 s[16:17], s[8:9]
	s_cbranch_execnz .LBB161_79
.LBB161_25:
	s_or_b64 exec, exec, s[16:17]
	s_and_saveexec_b64 s[16:17], s[10:11]
	s_cbranch_execnz .LBB161_80
.LBB161_26:
	s_or_b64 exec, exec, s[16:17]
	s_and_saveexec_b64 s[16:17], s[12:13]
	s_cbranch_execnz .LBB161_81
.LBB161_27:
	s_or_b64 exec, exec, s[16:17]
	s_xor_b64 s[16:17], s[34:35], -1
	s_and_saveexec_b64 s[18:19], s[14:15]
	s_cbranch_execz .LBB161_29
.LBB161_28:
	v_mul_lo_u32 v16, v27, s48
	v_mov_b32_e32 v17, 0
	v_lshlrev_b64 v[16:17], 3, v[16:17]
	v_mov_b32_e32 v1, s52
	v_add_co_u32_e32 v16, vcc, s49, v16
	v_addc_co_u32_e32 v17, vcc, v1, v17, vcc
	global_load_dwordx2 v[16:17], v[16:17], off
.LBB161_29:
	s_or_b64 exec, exec, s[18:19]
	v_add_lshl_u32 v55, v36, v46, 3
	v_add_lshl_u32 v45, v35, v46, 3
	;; [unrolled: 1-line block ×9, first 2 shown]
	s_waitcnt vmcnt(0)
	ds_write_b64 v55, v[2:3]
	ds_write_b64 v45, v[4:5] offset:2048
	ds_write_b64 v56, v[6:7] offset:4096
	;; [unrolled: 1-line block ×7, first 2 shown]
	s_waitcnt lgkmcnt(0)
	s_barrier
	ds_read2_b64 v[14:17], v63 offset1:1
	ds_read2_b64 v[10:13], v63 offset0:2 offset1:3
	ds_read2_b64 v[6:9], v63 offset0:4 offset1:5
	;; [unrolled: 1-line block ×3, first 2 shown]
	v_mbcnt_lo_u32_b32 v1, -1, 0
	v_mbcnt_hi_u32_b32 v65, -1, v1
	v_and_b32_e32 v67, 0x3c0, v46
	v_add_u32_e32 v1, v65, v67
	v_and_b32_e32 v66, 0x1e00, v62
	v_lshlrev_b32_e32 v22, 3, v1
	v_lshlrev_b32_e32 v73, 4, v1
	v_or_b32_e32 v1, v65, v66
	v_lshlrev_b32_e32 v72, 1, v1
	s_and_b64 vcc, exec, s[16:17]
	v_bfe_u32 v68, v0, 10, 10
	v_bfe_u32 v69, v0, 20, 10
	v_lshlrev_b32_e32 v71, 3, v22
	v_lshlrev_b32_e32 v70, 3, v1
	;; [unrolled: 1-line block ×3, first 2 shown]
	s_waitcnt lgkmcnt(0)
	s_barrier
	s_cbranch_vccz .LBB161_82
; %bb.30:
	s_movk_i32 s16, 0x8000
	v_xor_b32_e32 v0, 0xffff8000, v18
	v_xor_b32_sdwa v1, v18, s16 dst_sel:DWORD dst_unused:UNUSED_PAD src0_sel:WORD_1 src1_sel:DWORD
	v_xor_b32_e32 v22, 0xffff8000, v19
	v_xor_b32_sdwa v23, v19, s16 dst_sel:DWORD dst_unused:UNUSED_PAD src0_sel:WORD_1 src1_sel:DWORD
	;; [unrolled: 2-line block ×4, first 2 shown]
	s_mov_b32 s16, 0x5040100
	v_perm_b32 v25, v27, v25, s16
	v_perm_b32 v24, v26, v24, s16
	;; [unrolled: 1-line block ×4, first 2 shown]
	ds_write_b128 v73, v[22:25]
	; wave barrier
	ds_read_u16 v84, v72
	ds_read_u16 v83, v72 offset:128
	ds_read_u16 v82, v72 offset:256
	;; [unrolled: 1-line block ×7, first 2 shown]
	s_waitcnt lgkmcnt(0)
	s_barrier
	ds_write2_b64 v71, v[14:15], v[16:17] offset1:1
	ds_write2_b64 v71, v[10:11], v[12:13] offset0:2 offset1:3
	ds_write2_b64 v71, v[6:7], v[8:9] offset0:4 offset1:5
	;; [unrolled: 1-line block ×3, first 2 shown]
	; wave barrier
	ds_read2st64_b64 v[34:37], v70 offset1:1
	ds_read2st64_b64 v[30:33], v70 offset0:2 offset1:3
	ds_read2st64_b64 v[26:29], v70 offset0:4 offset1:5
	;; [unrolled: 1-line block ×3, first 2 shown]
	s_waitcnt lgkmcnt(0)
	s_barrier
	s_load_dword s18, s[50:51], 0xc
	s_getpc_b64 s[16:17]
	s_add_u32 s16, s16, _ZN7rocprim17ROCPRIM_400000_NS16block_radix_sortIsLj256ELj8ElLj1ELj1ELj0ELNS0_26block_radix_rank_algorithmE1ELNS0_18block_padding_hintE2ELNS0_4arch9wavefront6targetE1EE19radix_bits_per_passE@rel32@lo+4
	s_addc_u32 s17, s17, _ZN7rocprim17ROCPRIM_400000_NS16block_radix_sortIsLj256ELj8ElLj1ELj1ELj0ELNS0_26block_radix_rank_algorithmE1ELNS0_18block_padding_hintE2ELNS0_4arch9wavefront6targetE1EE19radix_bits_per_passE@rel32@hi+12
	s_load_dword s42, s[16:17], 0x0
	s_waitcnt lgkmcnt(0)
	s_lshr_b32 s16, s18, 16
	s_and_b32 s17, s18, 0xffff
	v_mad_u32_u24 v0, v69, s16, v68
	v_mad_u64_u32 v[0:1], s[16:17], v0, s17, v[46:47]
	s_min_u32 s16, s42, 16
	s_lshl_b32 s16, -1, s16
	s_not_b32 s18, s16
	v_and_b32_sdwa v38, s18, v84 dst_sel:DWORD dst_unused:UNUSED_PAD src0_sel:DWORD src1_sel:WORD_0
	v_lshrrev_b32_e32 v74, 6, v0
	v_lshlrev_b32_e32 v1, 2, v38
	v_add_lshl_u32 v87, v74, v1, 2
	v_and_b32_e32 v1, 1, v38
	v_add_co_u32_e32 v39, vcc, -1, v1
	v_addc_co_u32_e64 v40, s[16:17], 0, -1, vcc
	v_cmp_ne_u32_e32 vcc, 0, v1
	v_xor_b32_e32 v1, vcc_hi, v40
	v_mov_b32_e32 v0, 0
	v_and_b32_e32 v40, exec_hi, v1
	v_lshlrev_b32_e32 v1, 30, v38
	v_xor_b32_e32 v39, vcc_lo, v39
	v_cmp_gt_i64_e32 vcc, 0, v[0:1]
	v_not_b32_e32 v1, v1
	v_ashrrev_i32_e32 v1, 31, v1
	v_and_b32_e32 v39, exec_lo, v39
	v_xor_b32_e32 v41, vcc_hi, v1
	v_xor_b32_e32 v1, vcc_lo, v1
	v_and_b32_e32 v39, v39, v1
	v_lshlrev_b32_e32 v1, 29, v38
	v_cmp_gt_i64_e32 vcc, 0, v[0:1]
	v_not_b32_e32 v1, v1
	v_ashrrev_i32_e32 v1, 31, v1
	v_and_b32_e32 v40, v40, v41
	v_xor_b32_e32 v41, vcc_hi, v1
	v_xor_b32_e32 v1, vcc_lo, v1
	v_and_b32_e32 v39, v39, v1
	v_lshlrev_b32_e32 v1, 28, v38
	v_cmp_gt_i64_e32 vcc, 0, v[0:1]
	v_not_b32_e32 v1, v1
	v_ashrrev_i32_e32 v1, 31, v1
	v_and_b32_e32 v40, v40, v41
	;; [unrolled: 8-line block ×5, first 2 shown]
	v_xor_b32_e32 v41, vcc_hi, v1
	v_xor_b32_e32 v1, vcc_lo, v1
	v_and_b32_e32 v40, v40, v41
	v_and_b32_e32 v41, v39, v1
	v_lshlrev_b32_e32 v1, 24, v38
	v_cmp_gt_i64_e32 vcc, 0, v[0:1]
	v_not_b32_e32 v1, v1
	v_ashrrev_i32_e32 v1, 31, v1
	v_xor_b32_e32 v38, vcc_hi, v1
	v_xor_b32_e32 v1, vcc_lo, v1
	v_and_b32_e32 v39, v40, v38
	v_and_b32_e32 v38, v41, v1
	v_mbcnt_lo_u32_b32 v1, v38, 0
	v_mbcnt_hi_u32_b32 v88, v39, v1
	v_cmp_eq_u32_e32 vcc, 0, v88
	v_cmp_ne_u64_e64 s[16:17], 0, v[38:39]
	s_and_b64 s[20:21], s[16:17], vcc
	ds_write2_b32 v64, v0, v0 offset0:4 offset1:5
	ds_write2_b32 v64, v0, v0 offset0:6 offset1:7
	s_waitcnt lgkmcnt(0)
	s_barrier
	s_waitcnt lgkmcnt(0)
	; wave barrier
	s_and_saveexec_b64 s[16:17], s[20:21]
	s_cbranch_execz .LBB161_32
; %bb.31:
	v_bcnt_u32_b32 v1, v38, 0
	v_bcnt_u32_b32 v1, v39, v1
	ds_write_b32 v87, v1 offset:16
.LBB161_32:
	s_or_b64 exec, exec, s[16:17]
	v_and_b32_sdwa v38, s18, v83 dst_sel:DWORD dst_unused:UNUSED_PAD src0_sel:DWORD src1_sel:WORD_0
	v_lshlrev_b32_e32 v1, 2, v38
	v_add_lshl_u32 v90, v74, v1, 2
	v_and_b32_e32 v1, 1, v38
	v_add_co_u32_e32 v39, vcc, -1, v1
	v_addc_co_u32_e64 v40, s[16:17], 0, -1, vcc
	v_cmp_ne_u32_e32 vcc, 0, v1
	v_xor_b32_e32 v1, vcc_hi, v40
	v_and_b32_e32 v40, exec_hi, v1
	v_lshlrev_b32_e32 v1, 30, v38
	v_xor_b32_e32 v39, vcc_lo, v39
	v_cmp_gt_i64_e32 vcc, 0, v[0:1]
	v_not_b32_e32 v1, v1
	v_ashrrev_i32_e32 v1, 31, v1
	v_and_b32_e32 v39, exec_lo, v39
	v_xor_b32_e32 v41, vcc_hi, v1
	v_xor_b32_e32 v1, vcc_lo, v1
	v_and_b32_e32 v39, v39, v1
	v_lshlrev_b32_e32 v1, 29, v38
	v_cmp_gt_i64_e32 vcc, 0, v[0:1]
	v_not_b32_e32 v1, v1
	v_ashrrev_i32_e32 v1, 31, v1
	v_and_b32_e32 v40, v40, v41
	v_xor_b32_e32 v41, vcc_hi, v1
	v_xor_b32_e32 v1, vcc_lo, v1
	v_and_b32_e32 v39, v39, v1
	v_lshlrev_b32_e32 v1, 28, v38
	v_cmp_gt_i64_e32 vcc, 0, v[0:1]
	v_not_b32_e32 v1, v1
	v_ashrrev_i32_e32 v1, 31, v1
	v_and_b32_e32 v40, v40, v41
	;; [unrolled: 8-line block ×5, first 2 shown]
	v_xor_b32_e32 v41, vcc_hi, v1
	v_xor_b32_e32 v1, vcc_lo, v1
	v_and_b32_e32 v39, v39, v1
	v_lshlrev_b32_e32 v1, 24, v38
	v_cmp_gt_i64_e32 vcc, 0, v[0:1]
	v_not_b32_e32 v0, v1
	v_ashrrev_i32_e32 v0, 31, v0
	v_xor_b32_e32 v1, vcc_hi, v0
	v_xor_b32_e32 v0, vcc_lo, v0
	; wave barrier
	ds_read_b32 v89, v90 offset:16
	v_and_b32_e32 v40, v40, v41
	v_and_b32_e32 v0, v39, v0
	;; [unrolled: 1-line block ×3, first 2 shown]
	v_mbcnt_lo_u32_b32 v38, v0, 0
	v_mbcnt_hi_u32_b32 v91, v1, v38
	v_cmp_eq_u32_e32 vcc, 0, v91
	v_cmp_ne_u64_e64 s[16:17], 0, v[0:1]
	s_and_b64 s[20:21], s[16:17], vcc
	; wave barrier
	s_and_saveexec_b64 s[16:17], s[20:21]
	s_cbranch_execz .LBB161_34
; %bb.33:
	v_bcnt_u32_b32 v0, v0, 0
	v_bcnt_u32_b32 v0, v1, v0
	s_waitcnt lgkmcnt(0)
	v_add_u32_e32 v0, v89, v0
	ds_write_b32 v90, v0 offset:16
.LBB161_34:
	s_or_b64 exec, exec, s[16:17]
	v_and_b32_sdwa v38, s18, v82 dst_sel:DWORD dst_unused:UNUSED_PAD src0_sel:DWORD src1_sel:WORD_0
	v_and_b32_e32 v1, 1, v38
	v_add_co_u32_e32 v39, vcc, -1, v1
	v_addc_co_u32_e64 v40, s[16:17], 0, -1, vcc
	v_cmp_ne_u32_e32 vcc, 0, v1
	v_lshlrev_b32_e32 v0, 2, v38
	v_xor_b32_e32 v1, vcc_hi, v40
	v_add_lshl_u32 v93, v74, v0, 2
	v_mov_b32_e32 v0, 0
	v_and_b32_e32 v40, exec_hi, v1
	v_lshlrev_b32_e32 v1, 30, v38
	v_xor_b32_e32 v39, vcc_lo, v39
	v_cmp_gt_i64_e32 vcc, 0, v[0:1]
	v_not_b32_e32 v1, v1
	v_ashrrev_i32_e32 v1, 31, v1
	v_and_b32_e32 v39, exec_lo, v39
	v_xor_b32_e32 v41, vcc_hi, v1
	v_xor_b32_e32 v1, vcc_lo, v1
	v_and_b32_e32 v39, v39, v1
	v_lshlrev_b32_e32 v1, 29, v38
	v_cmp_gt_i64_e32 vcc, 0, v[0:1]
	v_not_b32_e32 v1, v1
	v_ashrrev_i32_e32 v1, 31, v1
	v_and_b32_e32 v40, v40, v41
	v_xor_b32_e32 v41, vcc_hi, v1
	v_xor_b32_e32 v1, vcc_lo, v1
	v_and_b32_e32 v39, v39, v1
	v_lshlrev_b32_e32 v1, 28, v38
	v_cmp_gt_i64_e32 vcc, 0, v[0:1]
	v_not_b32_e32 v1, v1
	v_ashrrev_i32_e32 v1, 31, v1
	v_and_b32_e32 v40, v40, v41
	v_xor_b32_e32 v41, vcc_hi, v1
	v_xor_b32_e32 v1, vcc_lo, v1
	v_and_b32_e32 v39, v39, v1
	v_lshlrev_b32_e32 v1, 27, v38
	v_cmp_gt_i64_e32 vcc, 0, v[0:1]
	v_not_b32_e32 v1, v1
	v_ashrrev_i32_e32 v1, 31, v1
	v_and_b32_e32 v40, v40, v41
	v_xor_b32_e32 v41, vcc_hi, v1
	v_xor_b32_e32 v1, vcc_lo, v1
	v_and_b32_e32 v39, v39, v1
	v_lshlrev_b32_e32 v1, 26, v38
	v_cmp_gt_i64_e32 vcc, 0, v[0:1]
	v_not_b32_e32 v1, v1
	v_ashrrev_i32_e32 v1, 31, v1
	v_and_b32_e32 v40, v40, v41
	v_xor_b32_e32 v41, vcc_hi, v1
	v_xor_b32_e32 v1, vcc_lo, v1
	v_and_b32_e32 v39, v39, v1
	v_lshlrev_b32_e32 v1, 25, v38
	v_cmp_gt_i64_e32 vcc, 0, v[0:1]
	v_not_b32_e32 v1, v1
	v_ashrrev_i32_e32 v1, 31, v1
	v_and_b32_e32 v40, v40, v41
	v_xor_b32_e32 v41, vcc_hi, v1
	v_xor_b32_e32 v1, vcc_lo, v1
	v_and_b32_e32 v40, v40, v41
	v_and_b32_e32 v41, v39, v1
	v_lshlrev_b32_e32 v1, 24, v38
	v_cmp_gt_i64_e32 vcc, 0, v[0:1]
	v_not_b32_e32 v1, v1
	v_ashrrev_i32_e32 v1, 31, v1
	v_xor_b32_e32 v38, vcc_hi, v1
	v_xor_b32_e32 v1, vcc_lo, v1
	; wave barrier
	ds_read_b32 v92, v93 offset:16
	v_and_b32_e32 v39, v40, v38
	v_and_b32_e32 v38, v41, v1
	v_mbcnt_lo_u32_b32 v1, v38, 0
	v_mbcnt_hi_u32_b32 v94, v39, v1
	v_cmp_eq_u32_e32 vcc, 0, v94
	v_cmp_ne_u64_e64 s[16:17], 0, v[38:39]
	s_and_b64 s[20:21], s[16:17], vcc
	; wave barrier
	s_and_saveexec_b64 s[16:17], s[20:21]
	s_cbranch_execz .LBB161_36
; %bb.35:
	v_bcnt_u32_b32 v1, v38, 0
	v_bcnt_u32_b32 v1, v39, v1
	s_waitcnt lgkmcnt(0)
	v_add_u32_e32 v1, v92, v1
	ds_write_b32 v93, v1 offset:16
.LBB161_36:
	s_or_b64 exec, exec, s[16:17]
	v_and_b32_sdwa v38, s18, v81 dst_sel:DWORD dst_unused:UNUSED_PAD src0_sel:DWORD src1_sel:WORD_0
	v_lshlrev_b32_e32 v1, 2, v38
	v_add_lshl_u32 v96, v74, v1, 2
	v_and_b32_e32 v1, 1, v38
	v_add_co_u32_e32 v39, vcc, -1, v1
	v_addc_co_u32_e64 v40, s[16:17], 0, -1, vcc
	v_cmp_ne_u32_e32 vcc, 0, v1
	v_xor_b32_e32 v1, vcc_hi, v40
	v_and_b32_e32 v40, exec_hi, v1
	v_lshlrev_b32_e32 v1, 30, v38
	v_xor_b32_e32 v39, vcc_lo, v39
	v_cmp_gt_i64_e32 vcc, 0, v[0:1]
	v_not_b32_e32 v1, v1
	v_ashrrev_i32_e32 v1, 31, v1
	v_and_b32_e32 v39, exec_lo, v39
	v_xor_b32_e32 v41, vcc_hi, v1
	v_xor_b32_e32 v1, vcc_lo, v1
	v_and_b32_e32 v39, v39, v1
	v_lshlrev_b32_e32 v1, 29, v38
	v_cmp_gt_i64_e32 vcc, 0, v[0:1]
	v_not_b32_e32 v1, v1
	v_ashrrev_i32_e32 v1, 31, v1
	v_and_b32_e32 v40, v40, v41
	v_xor_b32_e32 v41, vcc_hi, v1
	v_xor_b32_e32 v1, vcc_lo, v1
	v_and_b32_e32 v39, v39, v1
	v_lshlrev_b32_e32 v1, 28, v38
	v_cmp_gt_i64_e32 vcc, 0, v[0:1]
	v_not_b32_e32 v1, v1
	v_ashrrev_i32_e32 v1, 31, v1
	v_and_b32_e32 v40, v40, v41
	;; [unrolled: 8-line block ×5, first 2 shown]
	v_xor_b32_e32 v41, vcc_hi, v1
	v_xor_b32_e32 v1, vcc_lo, v1
	v_and_b32_e32 v39, v39, v1
	v_lshlrev_b32_e32 v1, 24, v38
	v_cmp_gt_i64_e32 vcc, 0, v[0:1]
	v_not_b32_e32 v0, v1
	v_ashrrev_i32_e32 v0, 31, v0
	v_xor_b32_e32 v1, vcc_hi, v0
	v_xor_b32_e32 v0, vcc_lo, v0
	; wave barrier
	ds_read_b32 v95, v96 offset:16
	v_and_b32_e32 v40, v40, v41
	v_and_b32_e32 v0, v39, v0
	;; [unrolled: 1-line block ×3, first 2 shown]
	v_mbcnt_lo_u32_b32 v38, v0, 0
	v_mbcnt_hi_u32_b32 v97, v1, v38
	v_cmp_eq_u32_e32 vcc, 0, v97
	v_cmp_ne_u64_e64 s[16:17], 0, v[0:1]
	s_and_b64 s[20:21], s[16:17], vcc
	; wave barrier
	s_and_saveexec_b64 s[16:17], s[20:21]
	s_cbranch_execz .LBB161_38
; %bb.37:
	v_bcnt_u32_b32 v0, v0, 0
	v_bcnt_u32_b32 v0, v1, v0
	s_waitcnt lgkmcnt(0)
	v_add_u32_e32 v0, v95, v0
	ds_write_b32 v96, v0 offset:16
.LBB161_38:
	s_or_b64 exec, exec, s[16:17]
	v_and_b32_sdwa v38, s18, v80 dst_sel:DWORD dst_unused:UNUSED_PAD src0_sel:DWORD src1_sel:WORD_0
	v_and_b32_e32 v1, 1, v38
	v_add_co_u32_e32 v39, vcc, -1, v1
	v_addc_co_u32_e64 v40, s[16:17], 0, -1, vcc
	v_cmp_ne_u32_e32 vcc, 0, v1
	v_lshlrev_b32_e32 v0, 2, v38
	v_xor_b32_e32 v1, vcc_hi, v40
	v_add_lshl_u32 v99, v74, v0, 2
	v_mov_b32_e32 v0, 0
	v_and_b32_e32 v40, exec_hi, v1
	v_lshlrev_b32_e32 v1, 30, v38
	v_xor_b32_e32 v39, vcc_lo, v39
	v_cmp_gt_i64_e32 vcc, 0, v[0:1]
	v_not_b32_e32 v1, v1
	v_ashrrev_i32_e32 v1, 31, v1
	v_and_b32_e32 v39, exec_lo, v39
	v_xor_b32_e32 v41, vcc_hi, v1
	v_xor_b32_e32 v1, vcc_lo, v1
	v_and_b32_e32 v39, v39, v1
	v_lshlrev_b32_e32 v1, 29, v38
	v_cmp_gt_i64_e32 vcc, 0, v[0:1]
	v_not_b32_e32 v1, v1
	v_ashrrev_i32_e32 v1, 31, v1
	v_and_b32_e32 v40, v40, v41
	v_xor_b32_e32 v41, vcc_hi, v1
	v_xor_b32_e32 v1, vcc_lo, v1
	v_and_b32_e32 v39, v39, v1
	v_lshlrev_b32_e32 v1, 28, v38
	v_cmp_gt_i64_e32 vcc, 0, v[0:1]
	v_not_b32_e32 v1, v1
	v_ashrrev_i32_e32 v1, 31, v1
	v_and_b32_e32 v40, v40, v41
	;; [unrolled: 8-line block ×5, first 2 shown]
	v_xor_b32_e32 v41, vcc_hi, v1
	v_xor_b32_e32 v1, vcc_lo, v1
	v_and_b32_e32 v40, v40, v41
	v_and_b32_e32 v41, v39, v1
	v_lshlrev_b32_e32 v1, 24, v38
	v_cmp_gt_i64_e32 vcc, 0, v[0:1]
	v_not_b32_e32 v1, v1
	v_ashrrev_i32_e32 v1, 31, v1
	v_xor_b32_e32 v38, vcc_hi, v1
	v_xor_b32_e32 v1, vcc_lo, v1
	; wave barrier
	ds_read_b32 v98, v99 offset:16
	v_and_b32_e32 v39, v40, v38
	v_and_b32_e32 v38, v41, v1
	v_mbcnt_lo_u32_b32 v1, v38, 0
	v_mbcnt_hi_u32_b32 v100, v39, v1
	v_cmp_eq_u32_e32 vcc, 0, v100
	v_cmp_ne_u64_e64 s[16:17], 0, v[38:39]
	s_and_b64 s[20:21], s[16:17], vcc
	; wave barrier
	s_and_saveexec_b64 s[16:17], s[20:21]
	s_cbranch_execz .LBB161_40
; %bb.39:
	v_bcnt_u32_b32 v1, v38, 0
	v_bcnt_u32_b32 v1, v39, v1
	s_waitcnt lgkmcnt(0)
	v_add_u32_e32 v1, v98, v1
	ds_write_b32 v99, v1 offset:16
.LBB161_40:
	s_or_b64 exec, exec, s[16:17]
	v_and_b32_sdwa v38, s18, v79 dst_sel:DWORD dst_unused:UNUSED_PAD src0_sel:DWORD src1_sel:WORD_0
	v_lshlrev_b32_e32 v1, 2, v38
	v_add_lshl_u32 v102, v74, v1, 2
	v_and_b32_e32 v1, 1, v38
	v_add_co_u32_e32 v39, vcc, -1, v1
	v_addc_co_u32_e64 v40, s[16:17], 0, -1, vcc
	v_cmp_ne_u32_e32 vcc, 0, v1
	v_xor_b32_e32 v1, vcc_hi, v40
	v_and_b32_e32 v40, exec_hi, v1
	v_lshlrev_b32_e32 v1, 30, v38
	v_xor_b32_e32 v39, vcc_lo, v39
	v_cmp_gt_i64_e32 vcc, 0, v[0:1]
	v_not_b32_e32 v1, v1
	v_ashrrev_i32_e32 v1, 31, v1
	v_and_b32_e32 v39, exec_lo, v39
	v_xor_b32_e32 v41, vcc_hi, v1
	v_xor_b32_e32 v1, vcc_lo, v1
	v_and_b32_e32 v39, v39, v1
	v_lshlrev_b32_e32 v1, 29, v38
	v_cmp_gt_i64_e32 vcc, 0, v[0:1]
	v_not_b32_e32 v1, v1
	v_ashrrev_i32_e32 v1, 31, v1
	v_and_b32_e32 v40, v40, v41
	v_xor_b32_e32 v41, vcc_hi, v1
	v_xor_b32_e32 v1, vcc_lo, v1
	v_and_b32_e32 v39, v39, v1
	v_lshlrev_b32_e32 v1, 28, v38
	v_cmp_gt_i64_e32 vcc, 0, v[0:1]
	v_not_b32_e32 v1, v1
	v_ashrrev_i32_e32 v1, 31, v1
	v_and_b32_e32 v40, v40, v41
	;; [unrolled: 8-line block ×5, first 2 shown]
	v_xor_b32_e32 v41, vcc_hi, v1
	v_xor_b32_e32 v1, vcc_lo, v1
	v_and_b32_e32 v39, v39, v1
	v_lshlrev_b32_e32 v1, 24, v38
	v_cmp_gt_i64_e32 vcc, 0, v[0:1]
	v_not_b32_e32 v0, v1
	v_ashrrev_i32_e32 v0, 31, v0
	v_xor_b32_e32 v1, vcc_hi, v0
	v_xor_b32_e32 v0, vcc_lo, v0
	; wave barrier
	ds_read_b32 v101, v102 offset:16
	v_and_b32_e32 v40, v40, v41
	v_and_b32_e32 v0, v39, v0
	;; [unrolled: 1-line block ×3, first 2 shown]
	v_mbcnt_lo_u32_b32 v38, v0, 0
	v_mbcnt_hi_u32_b32 v103, v1, v38
	v_cmp_eq_u32_e32 vcc, 0, v103
	v_cmp_ne_u64_e64 s[16:17], 0, v[0:1]
	s_and_b64 s[20:21], s[16:17], vcc
	; wave barrier
	s_and_saveexec_b64 s[16:17], s[20:21]
	s_cbranch_execz .LBB161_42
; %bb.41:
	v_bcnt_u32_b32 v0, v0, 0
	v_bcnt_u32_b32 v0, v1, v0
	s_waitcnt lgkmcnt(0)
	v_add_u32_e32 v0, v101, v0
	ds_write_b32 v102, v0 offset:16
.LBB161_42:
	s_or_b64 exec, exec, s[16:17]
	v_and_b32_sdwa v38, s18, v78 dst_sel:DWORD dst_unused:UNUSED_PAD src0_sel:DWORD src1_sel:WORD_0
	v_and_b32_e32 v1, 1, v38
	v_add_co_u32_e32 v39, vcc, -1, v1
	v_addc_co_u32_e64 v40, s[16:17], 0, -1, vcc
	v_cmp_ne_u32_e32 vcc, 0, v1
	v_lshlrev_b32_e32 v0, 2, v38
	v_xor_b32_e32 v1, vcc_hi, v40
	v_add_lshl_u32 v105, v74, v0, 2
	v_mov_b32_e32 v0, 0
	v_and_b32_e32 v40, exec_hi, v1
	v_lshlrev_b32_e32 v1, 30, v38
	v_xor_b32_e32 v39, vcc_lo, v39
	v_cmp_gt_i64_e32 vcc, 0, v[0:1]
	v_not_b32_e32 v1, v1
	v_ashrrev_i32_e32 v1, 31, v1
	v_and_b32_e32 v39, exec_lo, v39
	v_xor_b32_e32 v41, vcc_hi, v1
	v_xor_b32_e32 v1, vcc_lo, v1
	v_and_b32_e32 v39, v39, v1
	v_lshlrev_b32_e32 v1, 29, v38
	v_cmp_gt_i64_e32 vcc, 0, v[0:1]
	v_not_b32_e32 v1, v1
	v_ashrrev_i32_e32 v1, 31, v1
	v_and_b32_e32 v40, v40, v41
	v_xor_b32_e32 v41, vcc_hi, v1
	v_xor_b32_e32 v1, vcc_lo, v1
	v_and_b32_e32 v39, v39, v1
	v_lshlrev_b32_e32 v1, 28, v38
	v_cmp_gt_i64_e32 vcc, 0, v[0:1]
	v_not_b32_e32 v1, v1
	v_ashrrev_i32_e32 v1, 31, v1
	v_and_b32_e32 v40, v40, v41
	;; [unrolled: 8-line block ×5, first 2 shown]
	v_xor_b32_e32 v41, vcc_hi, v1
	v_xor_b32_e32 v1, vcc_lo, v1
	v_and_b32_e32 v40, v40, v41
	v_and_b32_e32 v41, v39, v1
	v_lshlrev_b32_e32 v1, 24, v38
	v_cmp_gt_i64_e32 vcc, 0, v[0:1]
	v_not_b32_e32 v1, v1
	v_ashrrev_i32_e32 v1, 31, v1
	v_xor_b32_e32 v38, vcc_hi, v1
	v_xor_b32_e32 v1, vcc_lo, v1
	; wave barrier
	ds_read_b32 v104, v105 offset:16
	v_and_b32_e32 v39, v40, v38
	v_and_b32_e32 v38, v41, v1
	v_mbcnt_lo_u32_b32 v1, v38, 0
	v_mbcnt_hi_u32_b32 v106, v39, v1
	v_cmp_eq_u32_e32 vcc, 0, v106
	v_cmp_ne_u64_e64 s[16:17], 0, v[38:39]
	s_and_b64 s[20:21], s[16:17], vcc
	; wave barrier
	s_and_saveexec_b64 s[16:17], s[20:21]
	s_cbranch_execz .LBB161_44
; %bb.43:
	v_bcnt_u32_b32 v1, v38, 0
	v_bcnt_u32_b32 v1, v39, v1
	s_waitcnt lgkmcnt(0)
	v_add_u32_e32 v1, v104, v1
	ds_write_b32 v105, v1 offset:16
.LBB161_44:
	s_or_b64 exec, exec, s[16:17]
	v_and_b32_sdwa v38, s18, v77 dst_sel:DWORD dst_unused:UNUSED_PAD src0_sel:DWORD src1_sel:WORD_0
	v_lshlrev_b32_e32 v1, 2, v38
	v_add_lshl_u32 v108, v74, v1, 2
	v_and_b32_e32 v1, 1, v38
	v_add_co_u32_e32 v39, vcc, -1, v1
	v_addc_co_u32_e64 v40, s[16:17], 0, -1, vcc
	v_cmp_ne_u32_e32 vcc, 0, v1
	v_xor_b32_e32 v1, vcc_hi, v40
	v_and_b32_e32 v40, exec_hi, v1
	v_lshlrev_b32_e32 v1, 30, v38
	v_xor_b32_e32 v39, vcc_lo, v39
	v_cmp_gt_i64_e32 vcc, 0, v[0:1]
	v_not_b32_e32 v1, v1
	v_ashrrev_i32_e32 v1, 31, v1
	v_and_b32_e32 v39, exec_lo, v39
	v_xor_b32_e32 v41, vcc_hi, v1
	v_xor_b32_e32 v1, vcc_lo, v1
	v_and_b32_e32 v39, v39, v1
	v_lshlrev_b32_e32 v1, 29, v38
	v_cmp_gt_i64_e32 vcc, 0, v[0:1]
	v_not_b32_e32 v1, v1
	v_ashrrev_i32_e32 v1, 31, v1
	v_and_b32_e32 v40, v40, v41
	v_xor_b32_e32 v41, vcc_hi, v1
	v_xor_b32_e32 v1, vcc_lo, v1
	v_and_b32_e32 v39, v39, v1
	v_lshlrev_b32_e32 v1, 28, v38
	v_cmp_gt_i64_e32 vcc, 0, v[0:1]
	v_not_b32_e32 v1, v1
	v_ashrrev_i32_e32 v1, 31, v1
	v_and_b32_e32 v40, v40, v41
	;; [unrolled: 8-line block ×5, first 2 shown]
	v_xor_b32_e32 v41, vcc_hi, v1
	v_xor_b32_e32 v1, vcc_lo, v1
	v_and_b32_e32 v39, v39, v1
	v_lshlrev_b32_e32 v1, 24, v38
	v_cmp_gt_i64_e32 vcc, 0, v[0:1]
	v_not_b32_e32 v0, v1
	v_ashrrev_i32_e32 v0, 31, v0
	v_xor_b32_e32 v1, vcc_hi, v0
	v_xor_b32_e32 v0, vcc_lo, v0
	; wave barrier
	ds_read_b32 v107, v108 offset:16
	v_and_b32_e32 v40, v40, v41
	v_and_b32_e32 v0, v39, v0
	;; [unrolled: 1-line block ×3, first 2 shown]
	v_mbcnt_lo_u32_b32 v38, v0, 0
	v_mbcnt_hi_u32_b32 v109, v1, v38
	v_cmp_eq_u32_e32 vcc, 0, v109
	v_cmp_ne_u64_e64 s[16:17], 0, v[0:1]
	v_add_u32_e32 v75, 16, v64
	v_lshrrev_b32_e32 v76, 6, v46
	v_min_u32_e32 v85, 0xc0, v67
	s_and_b64 s[18:19], s[16:17], vcc
	; wave barrier
	s_and_saveexec_b64 s[16:17], s[18:19]
	s_cbranch_execz .LBB161_46
; %bb.45:
	v_bcnt_u32_b32 v0, v0, 0
	v_bcnt_u32_b32 v0, v1, v0
	s_waitcnt lgkmcnt(0)
	v_add_u32_e32 v0, v107, v0
	ds_write_b32 v108, v0 offset:16
.LBB161_46:
	s_or_b64 exec, exec, s[16:17]
	; wave barrier
	s_waitcnt lgkmcnt(0)
	s_barrier
	ds_read2_b32 v[38:39], v64 offset0:4 offset1:5
	ds_read2_b32 v[40:41], v75 offset0:2 offset1:3
	v_and_b32_e32 v1, 16, v65
	v_cmp_eq_u32_e32 vcc, 0, v1
	v_or_b32_e32 v1, 63, v85
	v_cmp_eq_u32_e64 s[16:17], v1, v46
	s_waitcnt lgkmcnt(1)
	v_add_u32_e32 v1, v39, v38
	v_and_b32_e32 v0, 15, v65
	s_waitcnt lgkmcnt(0)
	v_add3_u32 v1, v1, v40, v41
	v_cmp_eq_u32_e64 s[22:23], 0, v0
	v_cmp_lt_u32_e64 s[24:25], 1, v0
	v_mov_b32_dpp v41, v1 row_shr:1 row_mask:0xf bank_mask:0xf
	v_cndmask_b32_e64 v41, v41, 0, s[22:23]
	v_add_u32_e32 v1, v41, v1
	v_cmp_lt_u32_e64 s[28:29], 3, v0
	v_cmp_lt_u32_e64 s[30:31], 7, v0
	v_mov_b32_dpp v41, v1 row_shr:2 row_mask:0xf bank_mask:0xf
	v_cndmask_b32_e64 v41, 0, v41, s[24:25]
	v_add_u32_e32 v1, v1, v41
	v_bfe_i32 v86, v65, 4, 1
	v_cmp_lt_u32_e64 s[34:35], 31, v65
	v_mov_b32_dpp v41, v1 row_shr:4 row_mask:0xf bank_mask:0xf
	v_cndmask_b32_e64 v41, 0, v41, s[28:29]
	v_add_u32_e32 v1, v1, v41
	v_lshlrev_b32_e32 v76, 2, v76
	s_nop 0
	v_mov_b32_dpp v41, v1 row_shr:8 row_mask:0xf bank_mask:0xf
	v_cndmask_b32_e64 v0, 0, v41, s[30:31]
	v_add_u32_e32 v0, v1, v0
	s_nop 1
	v_mov_b32_dpp v1, v0 row_bcast:15 row_mask:0xf bank_mask:0xf
	v_and_b32_e32 v1, v86, v1
	v_add_u32_e32 v0, v0, v1
	s_nop 1
	v_mov_b32_dpp v1, v0 row_bcast:31 row_mask:0xf bank_mask:0xf
	v_cndmask_b32_e64 v1, 0, v1, s[34:35]
	v_add_u32_e32 v1, v0, v1
	s_and_saveexec_b64 s[18:19], s[16:17]
	s_cbranch_execz .LBB161_48
; %bb.47:
	ds_write_b32 v76, v1
.LBB161_48:
	s_or_b64 exec, exec, s[18:19]
	v_and_b32_e32 v0, 3, v65
	v_cmp_gt_u32_e64 s[26:27], 4, v46
	v_lshlrev_b32_e32 v41, 2, v46
	v_cmp_eq_u32_e64 s[20:21], 0, v0
	v_cmp_lt_u32_e64 s[18:19], 1, v0
	s_waitcnt lgkmcnt(0)
	s_barrier
	s_and_saveexec_b64 s[36:37], s[26:27]
	s_cbranch_execz .LBB161_50
; %bb.49:
	ds_read_b32 v0, v41
	s_waitcnt lgkmcnt(0)
	s_nop 0
	v_mov_b32_dpp v85, v0 row_shr:1 row_mask:0xf bank_mask:0xf
	v_cndmask_b32_e64 v85, v85, 0, s[20:21]
	v_add_u32_e32 v0, v85, v0
	s_nop 1
	v_mov_b32_dpp v85, v0 row_shr:2 row_mask:0xf bank_mask:0xf
	v_cndmask_b32_e64 v85, 0, v85, s[18:19]
	v_add_u32_e32 v0, v0, v85
	ds_write_b32 v41, v0
.LBB161_50:
	s_or_b64 exec, exec, s[36:37]
	v_cmp_lt_u32_e64 s[36:37], 63, v46
	v_add_u32_e32 v85, -4, v76
	v_mov_b32_e32 v0, 0
	v_mov_b32_e32 v110, 0
	s_waitcnt lgkmcnt(0)
	s_barrier
	s_and_saveexec_b64 s[38:39], s[36:37]
	s_cbranch_execz .LBB161_52
; %bb.51:
	ds_read_b32 v110, v85
.LBB161_52:
	s_or_b64 exec, exec, s[38:39]
	v_add_u32_e32 v86, -1, v65
	v_and_b32_e32 v111, 64, v65
	v_cmp_lt_i32_e64 s[38:39], v86, v111
	v_cndmask_b32_e64 v86, v86, v65, s[38:39]
	v_lshlrev_b32_e32 v86, 2, v86
	s_waitcnt lgkmcnt(0)
	v_add_u32_e32 v1, v110, v1
	ds_bpermute_b32 v1, v86, v1
	v_cmp_eq_u32_e64 s[38:39], 0, v65
	v_cmp_eq_u32_e64 s[40:41], 0, v46
	v_and_or_b32 v111, v65, 63, v66
	v_lshlrev_b32_e32 v112, 1, v111
	s_waitcnt lgkmcnt(0)
	v_cndmask_b32_e64 v1, v1, v110, s[38:39]
	v_cndmask_b32_e64 v1, v1, 0, s[40:41]
	v_add_u32_e32 v38, v1, v38
	v_add_u32_e32 v39, v38, v39
	;; [unrolled: 1-line block ×3, first 2 shown]
	ds_write2_b32 v64, v1, v38 offset0:4 offset1:5
	ds_write2_b32 v75, v39, v40 offset0:2 offset1:3
	s_waitcnt lgkmcnt(0)
	s_barrier
	ds_read_b32 v1, v87 offset:16
	ds_read_b32 v38, v90 offset:16
	;; [unrolled: 1-line block ×8, first 2 shown]
	s_waitcnt lgkmcnt(7)
	v_add_u32_e32 v1, v1, v88
	s_waitcnt lgkmcnt(6)
	v_add3_u32 v38, v91, v89, v38
	s_waitcnt lgkmcnt(4)
	v_add3_u32 v88, v97, v95, v40
	v_lshlrev_b32_e32 v40, 1, v1
	v_add3_u32 v39, v94, v92, v39
	s_waitcnt lgkmcnt(0)
	s_barrier
	ds_write_b16 v40, v84
	v_lshlrev_b32_e32 v40, 1, v38
	ds_write_b16 v40, v83
	v_lshlrev_b32_e32 v40, 1, v39
	v_add3_u32 v87, v100, v98, v87
	ds_write_b16 v40, v82
	v_lshlrev_b32_e32 v40, 1, v88
	v_add3_u32 v89, v103, v101, v90
	;; [unrolled: 3-line block ×4, first 2 shown]
	ds_write_b16 v40, v79
	v_lshlrev_b32_e32 v40, 1, v90
	ds_write_b16 v40, v78
	v_lshlrev_b32_e32 v40, 1, v91
	v_lshlrev_b32_e32 v1, 3, v1
	ds_write_b16 v40, v77
	s_waitcnt lgkmcnt(0)
	s_barrier
	ds_read_u16 v83, v112
	ds_read_u16 v82, v112 offset:128
	ds_read_u16 v81, v112 offset:256
	ds_read_u16 v80, v112 offset:384
	ds_read_u16 v79, v112 offset:512
	ds_read_u16 v78, v112 offset:640
	ds_read_u16 v77, v112 offset:768
	ds_read_u16 v40, v112 offset:896
	s_waitcnt lgkmcnt(0)
	s_barrier
	ds_write_b64 v1, v[34:35]
	v_lshlrev_b32_e32 v1, 3, v38
	ds_write_b64 v1, v[36:37]
	v_lshlrev_b32_e32 v1, 3, v39
	;; [unrolled: 2-line block ×4, first 2 shown]
	s_min_u32 s42, s42, 8
	ds_write_b64 v1, v[26:27]
	v_lshlrev_b32_e32 v1, 3, v89
	s_lshl_b32 s42, -1, s42
	ds_write_b64 v1, v[28:29]
	v_lshlrev_b32_e32 v1, 3, v90
	s_not_b32 s53, s42
	ds_write_b64 v1, v[22:23]
	v_lshlrev_b32_e32 v1, 3, v91
	v_and_b32_sdwa v38, v83, s53 dst_sel:DWORD dst_unused:UNUSED_PAD src0_sel:BYTE_1 src1_sel:DWORD
	ds_write_b64 v1, v[24:25]
	v_lshlrev_b32_e32 v1, 2, v38
	v_add_lshl_u32 v84, v1, v74, 2
	v_and_b32_e32 v1, 1, v38
	v_add_co_u32_e64 v39, s[42:43], -1, v1
	v_addc_co_u32_e64 v87, s[42:43], 0, -1, s[42:43]
	v_cmp_ne_u32_e64 s[42:43], 0, v1
	v_xor_b32_e32 v1, s43, v87
	v_and_b32_e32 v87, exec_hi, v1
	v_lshlrev_b32_e32 v1, 30, v38
	v_xor_b32_e32 v39, s42, v39
	v_cmp_gt_i64_e64 s[42:43], 0, v[0:1]
	v_not_b32_e32 v1, v1
	v_ashrrev_i32_e32 v1, 31, v1
	v_and_b32_e32 v39, exec_lo, v39
	v_xor_b32_e32 v88, s43, v1
	v_xor_b32_e32 v1, s42, v1
	v_and_b32_e32 v39, v39, v1
	v_lshlrev_b32_e32 v1, 29, v38
	v_cmp_gt_i64_e64 s[42:43], 0, v[0:1]
	v_not_b32_e32 v1, v1
	v_ashrrev_i32_e32 v1, 31, v1
	v_and_b32_e32 v87, v87, v88
	v_xor_b32_e32 v88, s43, v1
	v_xor_b32_e32 v1, s42, v1
	v_and_b32_e32 v39, v39, v1
	v_lshlrev_b32_e32 v1, 28, v38
	v_cmp_gt_i64_e64 s[42:43], 0, v[0:1]
	v_not_b32_e32 v1, v1
	v_ashrrev_i32_e32 v1, 31, v1
	v_and_b32_e32 v87, v87, v88
	;; [unrolled: 8-line block ×5, first 2 shown]
	v_xor_b32_e32 v88, s43, v1
	v_xor_b32_e32 v1, s42, v1
	v_lshlrev_b32_e32 v111, 3, v111
	v_and_b32_e32 v39, v39, v1
	v_lshlrev_b32_e32 v1, 24, v38
	s_waitcnt lgkmcnt(0)
	s_barrier
	ds_read2st64_b64 v[34:37], v111 offset1:1
	ds_read2st64_b64 v[30:33], v111 offset0:2 offset1:3
	ds_read2st64_b64 v[26:29], v111 offset0:4 offset1:5
	;; [unrolled: 1-line block ×3, first 2 shown]
	s_waitcnt lgkmcnt(0)
	s_barrier
	ds_write2_b32 v64, v0, v0 offset0:4 offset1:5
	ds_write2_b32 v75, v0, v0 offset0:2 offset1:3
	v_cmp_gt_i64_e64 s[42:43], 0, v[0:1]
	v_not_b32_e32 v0, v1
	v_ashrrev_i32_e32 v0, 31, v0
	v_xor_b32_e32 v1, s43, v0
	v_xor_b32_e32 v0, s42, v0
	v_and_b32_e32 v87, v87, v88
	v_and_b32_e32 v0, v39, v0
	;; [unrolled: 1-line block ×3, first 2 shown]
	v_mbcnt_lo_u32_b32 v38, v0, 0
	v_mbcnt_hi_u32_b32 v87, v1, v38
	v_cmp_eq_u32_e64 s[42:43], 0, v87
	v_cmp_ne_u64_e64 s[44:45], 0, v[0:1]
	s_and_b64 s[44:45], s[44:45], s[42:43]
	s_waitcnt lgkmcnt(0)
	s_barrier
	s_waitcnt lgkmcnt(0)
	; wave barrier
	s_and_saveexec_b64 s[42:43], s[44:45]
	s_cbranch_execz .LBB161_54
; %bb.53:
	v_bcnt_u32_b32 v0, v0, 0
	v_bcnt_u32_b32 v0, v1, v0
	ds_write_b32 v84, v0 offset:16
.LBB161_54:
	s_or_b64 exec, exec, s[42:43]
	v_and_b32_sdwa v38, v82, s53 dst_sel:DWORD dst_unused:UNUSED_PAD src0_sel:BYTE_1 src1_sel:DWORD
	v_and_b32_e32 v1, 1, v38
	v_add_co_u32_e64 v39, s[42:43], -1, v1
	v_addc_co_u32_e64 v90, s[42:43], 0, -1, s[42:43]
	v_cmp_ne_u32_e64 s[42:43], 0, v1
	v_lshlrev_b32_e32 v0, 2, v38
	v_xor_b32_e32 v1, s43, v90
	v_add_lshl_u32 v89, v0, v74, 2
	v_mov_b32_e32 v0, 0
	v_and_b32_e32 v90, exec_hi, v1
	v_lshlrev_b32_e32 v1, 30, v38
	v_xor_b32_e32 v39, s42, v39
	v_cmp_gt_i64_e64 s[42:43], 0, v[0:1]
	v_not_b32_e32 v1, v1
	v_ashrrev_i32_e32 v1, 31, v1
	v_and_b32_e32 v39, exec_lo, v39
	v_xor_b32_e32 v91, s43, v1
	v_xor_b32_e32 v1, s42, v1
	v_and_b32_e32 v39, v39, v1
	v_lshlrev_b32_e32 v1, 29, v38
	v_cmp_gt_i64_e64 s[42:43], 0, v[0:1]
	v_not_b32_e32 v1, v1
	v_ashrrev_i32_e32 v1, 31, v1
	v_and_b32_e32 v90, v90, v91
	v_xor_b32_e32 v91, s43, v1
	v_xor_b32_e32 v1, s42, v1
	v_and_b32_e32 v39, v39, v1
	v_lshlrev_b32_e32 v1, 28, v38
	v_cmp_gt_i64_e64 s[42:43], 0, v[0:1]
	v_not_b32_e32 v1, v1
	v_ashrrev_i32_e32 v1, 31, v1
	v_and_b32_e32 v90, v90, v91
	;; [unrolled: 8-line block ×5, first 2 shown]
	v_xor_b32_e32 v91, s43, v1
	v_xor_b32_e32 v1, s42, v1
	v_and_b32_e32 v90, v90, v91
	v_and_b32_e32 v91, v39, v1
	v_lshlrev_b32_e32 v1, 24, v38
	v_cmp_gt_i64_e64 s[42:43], 0, v[0:1]
	v_not_b32_e32 v1, v1
	v_ashrrev_i32_e32 v1, 31, v1
	v_xor_b32_e32 v38, s43, v1
	v_xor_b32_e32 v1, s42, v1
	; wave barrier
	ds_read_b32 v88, v89 offset:16
	v_and_b32_e32 v39, v90, v38
	v_and_b32_e32 v38, v91, v1
	v_mbcnt_lo_u32_b32 v1, v38, 0
	v_mbcnt_hi_u32_b32 v90, v39, v1
	v_cmp_eq_u32_e64 s[42:43], 0, v90
	v_cmp_ne_u64_e64 s[44:45], 0, v[38:39]
	s_and_b64 s[44:45], s[44:45], s[42:43]
	; wave barrier
	s_and_saveexec_b64 s[42:43], s[44:45]
	s_cbranch_execz .LBB161_56
; %bb.55:
	v_bcnt_u32_b32 v1, v38, 0
	v_bcnt_u32_b32 v1, v39, v1
	s_waitcnt lgkmcnt(0)
	v_add_u32_e32 v1, v88, v1
	ds_write_b32 v89, v1 offset:16
.LBB161_56:
	s_or_b64 exec, exec, s[42:43]
	v_and_b32_sdwa v38, v81, s53 dst_sel:DWORD dst_unused:UNUSED_PAD src0_sel:BYTE_1 src1_sel:DWORD
	v_lshlrev_b32_e32 v1, 2, v38
	v_add_lshl_u32 v92, v1, v74, 2
	v_and_b32_e32 v1, 1, v38
	v_add_co_u32_e64 v39, s[42:43], -1, v1
	v_addc_co_u32_e64 v93, s[42:43], 0, -1, s[42:43]
	v_cmp_ne_u32_e64 s[42:43], 0, v1
	v_xor_b32_e32 v1, s43, v93
	v_and_b32_e32 v93, exec_hi, v1
	v_lshlrev_b32_e32 v1, 30, v38
	v_xor_b32_e32 v39, s42, v39
	v_cmp_gt_i64_e64 s[42:43], 0, v[0:1]
	v_not_b32_e32 v1, v1
	v_ashrrev_i32_e32 v1, 31, v1
	v_and_b32_e32 v39, exec_lo, v39
	v_xor_b32_e32 v94, s43, v1
	v_xor_b32_e32 v1, s42, v1
	v_and_b32_e32 v39, v39, v1
	v_lshlrev_b32_e32 v1, 29, v38
	v_cmp_gt_i64_e64 s[42:43], 0, v[0:1]
	v_not_b32_e32 v1, v1
	v_ashrrev_i32_e32 v1, 31, v1
	v_and_b32_e32 v93, v93, v94
	v_xor_b32_e32 v94, s43, v1
	v_xor_b32_e32 v1, s42, v1
	v_and_b32_e32 v39, v39, v1
	v_lshlrev_b32_e32 v1, 28, v38
	v_cmp_gt_i64_e64 s[42:43], 0, v[0:1]
	v_not_b32_e32 v1, v1
	v_ashrrev_i32_e32 v1, 31, v1
	v_and_b32_e32 v93, v93, v94
	;; [unrolled: 8-line block ×5, first 2 shown]
	v_xor_b32_e32 v94, s43, v1
	v_xor_b32_e32 v1, s42, v1
	v_and_b32_e32 v39, v39, v1
	v_lshlrev_b32_e32 v1, 24, v38
	v_cmp_gt_i64_e64 s[42:43], 0, v[0:1]
	v_not_b32_e32 v0, v1
	v_ashrrev_i32_e32 v0, 31, v0
	v_xor_b32_e32 v1, s43, v0
	v_xor_b32_e32 v0, s42, v0
	; wave barrier
	ds_read_b32 v91, v92 offset:16
	v_and_b32_e32 v93, v93, v94
	v_and_b32_e32 v0, v39, v0
	;; [unrolled: 1-line block ×3, first 2 shown]
	v_mbcnt_lo_u32_b32 v38, v0, 0
	v_mbcnt_hi_u32_b32 v93, v1, v38
	v_cmp_eq_u32_e64 s[42:43], 0, v93
	v_cmp_ne_u64_e64 s[44:45], 0, v[0:1]
	s_and_b64 s[44:45], s[44:45], s[42:43]
	; wave barrier
	s_and_saveexec_b64 s[42:43], s[44:45]
	s_cbranch_execz .LBB161_58
; %bb.57:
	v_bcnt_u32_b32 v0, v0, 0
	v_bcnt_u32_b32 v0, v1, v0
	s_waitcnt lgkmcnt(0)
	v_add_u32_e32 v0, v91, v0
	ds_write_b32 v92, v0 offset:16
.LBB161_58:
	s_or_b64 exec, exec, s[42:43]
	v_and_b32_sdwa v38, v80, s53 dst_sel:DWORD dst_unused:UNUSED_PAD src0_sel:BYTE_1 src1_sel:DWORD
	v_and_b32_e32 v1, 1, v38
	v_add_co_u32_e64 v39, s[42:43], -1, v1
	v_addc_co_u32_e64 v96, s[42:43], 0, -1, s[42:43]
	v_cmp_ne_u32_e64 s[42:43], 0, v1
	v_lshlrev_b32_e32 v0, 2, v38
	v_xor_b32_e32 v1, s43, v96
	v_add_lshl_u32 v95, v0, v74, 2
	v_mov_b32_e32 v0, 0
	v_and_b32_e32 v96, exec_hi, v1
	v_lshlrev_b32_e32 v1, 30, v38
	v_xor_b32_e32 v39, s42, v39
	v_cmp_gt_i64_e64 s[42:43], 0, v[0:1]
	v_not_b32_e32 v1, v1
	v_ashrrev_i32_e32 v1, 31, v1
	v_and_b32_e32 v39, exec_lo, v39
	v_xor_b32_e32 v97, s43, v1
	v_xor_b32_e32 v1, s42, v1
	v_and_b32_e32 v39, v39, v1
	v_lshlrev_b32_e32 v1, 29, v38
	v_cmp_gt_i64_e64 s[42:43], 0, v[0:1]
	v_not_b32_e32 v1, v1
	v_ashrrev_i32_e32 v1, 31, v1
	v_and_b32_e32 v96, v96, v97
	v_xor_b32_e32 v97, s43, v1
	v_xor_b32_e32 v1, s42, v1
	v_and_b32_e32 v39, v39, v1
	v_lshlrev_b32_e32 v1, 28, v38
	v_cmp_gt_i64_e64 s[42:43], 0, v[0:1]
	v_not_b32_e32 v1, v1
	v_ashrrev_i32_e32 v1, 31, v1
	v_and_b32_e32 v96, v96, v97
	;; [unrolled: 8-line block ×5, first 2 shown]
	v_xor_b32_e32 v97, s43, v1
	v_xor_b32_e32 v1, s42, v1
	v_and_b32_e32 v96, v96, v97
	v_and_b32_e32 v97, v39, v1
	v_lshlrev_b32_e32 v1, 24, v38
	v_cmp_gt_i64_e64 s[42:43], 0, v[0:1]
	v_not_b32_e32 v1, v1
	v_ashrrev_i32_e32 v1, 31, v1
	v_xor_b32_e32 v38, s43, v1
	v_xor_b32_e32 v1, s42, v1
	; wave barrier
	ds_read_b32 v94, v95 offset:16
	v_and_b32_e32 v39, v96, v38
	v_and_b32_e32 v38, v97, v1
	v_mbcnt_lo_u32_b32 v1, v38, 0
	v_mbcnt_hi_u32_b32 v96, v39, v1
	v_cmp_eq_u32_e64 s[42:43], 0, v96
	v_cmp_ne_u64_e64 s[44:45], 0, v[38:39]
	s_and_b64 s[44:45], s[44:45], s[42:43]
	; wave barrier
	s_and_saveexec_b64 s[42:43], s[44:45]
	s_cbranch_execz .LBB161_60
; %bb.59:
	v_bcnt_u32_b32 v1, v38, 0
	v_bcnt_u32_b32 v1, v39, v1
	s_waitcnt lgkmcnt(0)
	v_add_u32_e32 v1, v94, v1
	ds_write_b32 v95, v1 offset:16
.LBB161_60:
	s_or_b64 exec, exec, s[42:43]
	v_and_b32_sdwa v38, v79, s53 dst_sel:DWORD dst_unused:UNUSED_PAD src0_sel:BYTE_1 src1_sel:DWORD
	v_lshlrev_b32_e32 v1, 2, v38
	v_add_lshl_u32 v98, v1, v74, 2
	v_and_b32_e32 v1, 1, v38
	v_add_co_u32_e64 v39, s[42:43], -1, v1
	v_addc_co_u32_e64 v99, s[42:43], 0, -1, s[42:43]
	v_cmp_ne_u32_e64 s[42:43], 0, v1
	v_xor_b32_e32 v1, s43, v99
	v_and_b32_e32 v99, exec_hi, v1
	v_lshlrev_b32_e32 v1, 30, v38
	v_xor_b32_e32 v39, s42, v39
	v_cmp_gt_i64_e64 s[42:43], 0, v[0:1]
	v_not_b32_e32 v1, v1
	v_ashrrev_i32_e32 v1, 31, v1
	v_and_b32_e32 v39, exec_lo, v39
	v_xor_b32_e32 v100, s43, v1
	v_xor_b32_e32 v1, s42, v1
	v_and_b32_e32 v39, v39, v1
	v_lshlrev_b32_e32 v1, 29, v38
	v_cmp_gt_i64_e64 s[42:43], 0, v[0:1]
	v_not_b32_e32 v1, v1
	v_ashrrev_i32_e32 v1, 31, v1
	v_and_b32_e32 v99, v99, v100
	v_xor_b32_e32 v100, s43, v1
	v_xor_b32_e32 v1, s42, v1
	v_and_b32_e32 v39, v39, v1
	v_lshlrev_b32_e32 v1, 28, v38
	v_cmp_gt_i64_e64 s[42:43], 0, v[0:1]
	v_not_b32_e32 v1, v1
	v_ashrrev_i32_e32 v1, 31, v1
	v_and_b32_e32 v99, v99, v100
	;; [unrolled: 8-line block ×5, first 2 shown]
	v_xor_b32_e32 v100, s43, v1
	v_xor_b32_e32 v1, s42, v1
	v_and_b32_e32 v39, v39, v1
	v_lshlrev_b32_e32 v1, 24, v38
	v_cmp_gt_i64_e64 s[42:43], 0, v[0:1]
	v_not_b32_e32 v0, v1
	v_ashrrev_i32_e32 v0, 31, v0
	v_xor_b32_e32 v1, s43, v0
	v_xor_b32_e32 v0, s42, v0
	; wave barrier
	ds_read_b32 v97, v98 offset:16
	v_and_b32_e32 v99, v99, v100
	v_and_b32_e32 v0, v39, v0
	;; [unrolled: 1-line block ×3, first 2 shown]
	v_mbcnt_lo_u32_b32 v38, v0, 0
	v_mbcnt_hi_u32_b32 v99, v1, v38
	v_cmp_eq_u32_e64 s[42:43], 0, v99
	v_cmp_ne_u64_e64 s[44:45], 0, v[0:1]
	s_and_b64 s[44:45], s[44:45], s[42:43]
	; wave barrier
	s_and_saveexec_b64 s[42:43], s[44:45]
	s_cbranch_execz .LBB161_62
; %bb.61:
	v_bcnt_u32_b32 v0, v0, 0
	v_bcnt_u32_b32 v0, v1, v0
	s_waitcnt lgkmcnt(0)
	v_add_u32_e32 v0, v97, v0
	ds_write_b32 v98, v0 offset:16
.LBB161_62:
	s_or_b64 exec, exec, s[42:43]
	v_and_b32_sdwa v38, v78, s53 dst_sel:DWORD dst_unused:UNUSED_PAD src0_sel:BYTE_1 src1_sel:DWORD
	v_and_b32_e32 v1, 1, v38
	v_add_co_u32_e64 v39, s[42:43], -1, v1
	v_addc_co_u32_e64 v102, s[42:43], 0, -1, s[42:43]
	v_cmp_ne_u32_e64 s[42:43], 0, v1
	v_lshlrev_b32_e32 v0, 2, v38
	v_xor_b32_e32 v1, s43, v102
	v_add_lshl_u32 v101, v0, v74, 2
	v_mov_b32_e32 v0, 0
	v_and_b32_e32 v102, exec_hi, v1
	v_lshlrev_b32_e32 v1, 30, v38
	v_xor_b32_e32 v39, s42, v39
	v_cmp_gt_i64_e64 s[42:43], 0, v[0:1]
	v_not_b32_e32 v1, v1
	v_ashrrev_i32_e32 v1, 31, v1
	v_and_b32_e32 v39, exec_lo, v39
	v_xor_b32_e32 v103, s43, v1
	v_xor_b32_e32 v1, s42, v1
	v_and_b32_e32 v39, v39, v1
	v_lshlrev_b32_e32 v1, 29, v38
	v_cmp_gt_i64_e64 s[42:43], 0, v[0:1]
	v_not_b32_e32 v1, v1
	v_ashrrev_i32_e32 v1, 31, v1
	v_and_b32_e32 v102, v102, v103
	v_xor_b32_e32 v103, s43, v1
	v_xor_b32_e32 v1, s42, v1
	v_and_b32_e32 v39, v39, v1
	v_lshlrev_b32_e32 v1, 28, v38
	v_cmp_gt_i64_e64 s[42:43], 0, v[0:1]
	v_not_b32_e32 v1, v1
	v_ashrrev_i32_e32 v1, 31, v1
	v_and_b32_e32 v102, v102, v103
	;; [unrolled: 8-line block ×5, first 2 shown]
	v_xor_b32_e32 v103, s43, v1
	v_xor_b32_e32 v1, s42, v1
	v_and_b32_e32 v102, v102, v103
	v_and_b32_e32 v103, v39, v1
	v_lshlrev_b32_e32 v1, 24, v38
	v_cmp_gt_i64_e64 s[42:43], 0, v[0:1]
	v_not_b32_e32 v1, v1
	v_ashrrev_i32_e32 v1, 31, v1
	v_xor_b32_e32 v38, s43, v1
	v_xor_b32_e32 v1, s42, v1
	; wave barrier
	ds_read_b32 v100, v101 offset:16
	v_and_b32_e32 v39, v102, v38
	v_and_b32_e32 v38, v103, v1
	v_mbcnt_lo_u32_b32 v1, v38, 0
	v_mbcnt_hi_u32_b32 v102, v39, v1
	v_cmp_eq_u32_e64 s[42:43], 0, v102
	v_cmp_ne_u64_e64 s[44:45], 0, v[38:39]
	s_and_b64 s[44:45], s[44:45], s[42:43]
	; wave barrier
	s_and_saveexec_b64 s[42:43], s[44:45]
	s_cbranch_execz .LBB161_64
; %bb.63:
	v_bcnt_u32_b32 v1, v38, 0
	v_bcnt_u32_b32 v1, v39, v1
	s_waitcnt lgkmcnt(0)
	v_add_u32_e32 v1, v100, v1
	ds_write_b32 v101, v1 offset:16
.LBB161_64:
	s_or_b64 exec, exec, s[42:43]
	v_and_b32_sdwa v38, v77, s53 dst_sel:DWORD dst_unused:UNUSED_PAD src0_sel:BYTE_1 src1_sel:DWORD
	v_lshlrev_b32_e32 v1, 2, v38
	v_add_lshl_u32 v104, v1, v74, 2
	v_and_b32_e32 v1, 1, v38
	v_add_co_u32_e64 v39, s[42:43], -1, v1
	v_addc_co_u32_e64 v105, s[42:43], 0, -1, s[42:43]
	v_cmp_ne_u32_e64 s[42:43], 0, v1
	v_xor_b32_e32 v1, s43, v105
	v_and_b32_e32 v105, exec_hi, v1
	v_lshlrev_b32_e32 v1, 30, v38
	v_xor_b32_e32 v39, s42, v39
	v_cmp_gt_i64_e64 s[42:43], 0, v[0:1]
	v_not_b32_e32 v1, v1
	v_ashrrev_i32_e32 v1, 31, v1
	v_and_b32_e32 v39, exec_lo, v39
	v_xor_b32_e32 v106, s43, v1
	v_xor_b32_e32 v1, s42, v1
	v_and_b32_e32 v39, v39, v1
	v_lshlrev_b32_e32 v1, 29, v38
	v_cmp_gt_i64_e64 s[42:43], 0, v[0:1]
	v_not_b32_e32 v1, v1
	v_ashrrev_i32_e32 v1, 31, v1
	v_and_b32_e32 v105, v105, v106
	v_xor_b32_e32 v106, s43, v1
	v_xor_b32_e32 v1, s42, v1
	v_and_b32_e32 v39, v39, v1
	v_lshlrev_b32_e32 v1, 28, v38
	v_cmp_gt_i64_e64 s[42:43], 0, v[0:1]
	v_not_b32_e32 v1, v1
	v_ashrrev_i32_e32 v1, 31, v1
	v_and_b32_e32 v105, v105, v106
	;; [unrolled: 8-line block ×5, first 2 shown]
	v_xor_b32_e32 v106, s43, v1
	v_xor_b32_e32 v1, s42, v1
	v_and_b32_e32 v39, v39, v1
	v_lshlrev_b32_e32 v1, 24, v38
	v_cmp_gt_i64_e64 s[42:43], 0, v[0:1]
	v_not_b32_e32 v0, v1
	v_ashrrev_i32_e32 v0, 31, v0
	v_xor_b32_e32 v1, s43, v0
	v_xor_b32_e32 v0, s42, v0
	; wave barrier
	ds_read_b32 v103, v104 offset:16
	v_and_b32_e32 v105, v105, v106
	v_and_b32_e32 v0, v39, v0
	;; [unrolled: 1-line block ×3, first 2 shown]
	v_mbcnt_lo_u32_b32 v38, v0, 0
	v_mbcnt_hi_u32_b32 v105, v1, v38
	v_cmp_eq_u32_e64 s[42:43], 0, v105
	v_cmp_ne_u64_e64 s[44:45], 0, v[0:1]
	s_and_b64 s[44:45], s[44:45], s[42:43]
	; wave barrier
	s_and_saveexec_b64 s[42:43], s[44:45]
	s_cbranch_execz .LBB161_66
; %bb.65:
	v_bcnt_u32_b32 v0, v0, 0
	v_bcnt_u32_b32 v0, v1, v0
	s_waitcnt lgkmcnt(0)
	v_add_u32_e32 v0, v103, v0
	ds_write_b32 v104, v0 offset:16
.LBB161_66:
	s_or_b64 exec, exec, s[42:43]
	v_and_b32_sdwa v38, v40, s53 dst_sel:DWORD dst_unused:UNUSED_PAD src0_sel:BYTE_1 src1_sel:DWORD
	v_and_b32_e32 v1, 1, v38
	v_add_co_u32_e64 v39, s[42:43], -1, v1
	v_addc_co_u32_e64 v107, s[42:43], 0, -1, s[42:43]
	v_cmp_ne_u32_e64 s[42:43], 0, v1
	v_lshlrev_b32_e32 v0, 2, v38
	v_xor_b32_e32 v1, s43, v107
	v_add_lshl_u32 v106, v0, v74, 2
	v_mov_b32_e32 v0, 0
	v_and_b32_e32 v107, exec_hi, v1
	v_lshlrev_b32_e32 v1, 30, v38
	v_xor_b32_e32 v39, s42, v39
	v_cmp_gt_i64_e64 s[42:43], 0, v[0:1]
	v_not_b32_e32 v1, v1
	v_ashrrev_i32_e32 v1, 31, v1
	v_and_b32_e32 v39, exec_lo, v39
	v_xor_b32_e32 v108, s43, v1
	v_xor_b32_e32 v1, s42, v1
	v_and_b32_e32 v39, v39, v1
	v_lshlrev_b32_e32 v1, 29, v38
	v_cmp_gt_i64_e64 s[42:43], 0, v[0:1]
	v_not_b32_e32 v1, v1
	v_ashrrev_i32_e32 v1, 31, v1
	v_and_b32_e32 v107, v107, v108
	v_xor_b32_e32 v108, s43, v1
	v_xor_b32_e32 v1, s42, v1
	v_and_b32_e32 v39, v39, v1
	v_lshlrev_b32_e32 v1, 28, v38
	v_cmp_gt_i64_e64 s[42:43], 0, v[0:1]
	v_not_b32_e32 v1, v1
	v_ashrrev_i32_e32 v1, 31, v1
	v_and_b32_e32 v107, v107, v108
	;; [unrolled: 8-line block ×5, first 2 shown]
	v_xor_b32_e32 v108, s43, v1
	v_xor_b32_e32 v1, s42, v1
	v_and_b32_e32 v39, v39, v1
	v_lshlrev_b32_e32 v1, 24, v38
	v_cmp_gt_i64_e64 s[42:43], 0, v[0:1]
	v_not_b32_e32 v0, v1
	v_ashrrev_i32_e32 v0, 31, v0
	v_xor_b32_e32 v1, s43, v0
	v_xor_b32_e32 v0, s42, v0
	; wave barrier
	ds_read_b32 v74, v106 offset:16
	v_and_b32_e32 v107, v107, v108
	v_and_b32_e32 v0, v39, v0
	;; [unrolled: 1-line block ×3, first 2 shown]
	v_mbcnt_lo_u32_b32 v38, v0, 0
	v_mbcnt_hi_u32_b32 v107, v1, v38
	v_cmp_eq_u32_e64 s[42:43], 0, v107
	v_cmp_ne_u64_e64 s[44:45], 0, v[0:1]
	s_and_b64 s[44:45], s[44:45], s[42:43]
	; wave barrier
	s_and_saveexec_b64 s[42:43], s[44:45]
	s_cbranch_execz .LBB161_68
; %bb.67:
	v_bcnt_u32_b32 v0, v0, 0
	v_bcnt_u32_b32 v0, v1, v0
	s_waitcnt lgkmcnt(0)
	v_add_u32_e32 v0, v74, v0
	ds_write_b32 v106, v0 offset:16
.LBB161_68:
	s_or_b64 exec, exec, s[42:43]
	; wave barrier
	s_waitcnt lgkmcnt(0)
	s_barrier
	ds_read2_b32 v[38:39], v64 offset0:4 offset1:5
	ds_read2_b32 v[0:1], v75 offset0:2 offset1:3
	s_waitcnt lgkmcnt(1)
	v_add_u32_e32 v108, v39, v38
	s_waitcnt lgkmcnt(0)
	v_add3_u32 v1, v108, v0, v1
	s_nop 1
	v_mov_b32_dpp v108, v1 row_shr:1 row_mask:0xf bank_mask:0xf
	v_cndmask_b32_e64 v108, v108, 0, s[22:23]
	v_add_u32_e32 v1, v108, v1
	s_nop 1
	v_mov_b32_dpp v108, v1 row_shr:2 row_mask:0xf bank_mask:0xf
	v_cndmask_b32_e64 v108, 0, v108, s[24:25]
	v_add_u32_e32 v1, v1, v108
	s_nop 1
	v_mov_b32_dpp v108, v1 row_shr:4 row_mask:0xf bank_mask:0xf
	v_cndmask_b32_e64 v108, 0, v108, s[28:29]
	v_add_u32_e32 v1, v1, v108
	s_nop 1
	v_mov_b32_dpp v108, v1 row_shr:8 row_mask:0xf bank_mask:0xf
	v_cndmask_b32_e64 v108, 0, v108, s[30:31]
	v_add_u32_e32 v1, v1, v108
	s_nop 1
	v_mov_b32_dpp v108, v1 row_bcast:15 row_mask:0xf bank_mask:0xf
	v_cndmask_b32_e64 v108, v108, 0, vcc
	v_add_u32_e32 v1, v1, v108
	s_nop 1
	v_mov_b32_dpp v108, v1 row_bcast:31 row_mask:0xf bank_mask:0xf
	v_cndmask_b32_e64 v108, 0, v108, s[34:35]
	v_add_u32_e32 v1, v1, v108
	s_and_saveexec_b64 s[22:23], s[16:17]
	s_cbranch_execz .LBB161_70
; %bb.69:
	ds_write_b32 v76, v1
.LBB161_70:
	s_or_b64 exec, exec, s[22:23]
	s_waitcnt lgkmcnt(0)
	s_barrier
	s_and_saveexec_b64 s[16:17], s[26:27]
	s_cbranch_execz .LBB161_72
; %bb.71:
	ds_read_b32 v76, v41
	s_waitcnt lgkmcnt(0)
	s_nop 0
	v_mov_b32_dpp v108, v76 row_shr:1 row_mask:0xf bank_mask:0xf
	v_cndmask_b32_e64 v108, v108, 0, s[20:21]
	v_add_u32_e32 v76, v108, v76
	s_nop 1
	v_mov_b32_dpp v108, v76 row_shr:2 row_mask:0xf bank_mask:0xf
	v_cndmask_b32_e64 v108, 0, v108, s[18:19]
	v_add_u32_e32 v76, v76, v108
	ds_write_b32 v41, v76
.LBB161_72:
	s_or_b64 exec, exec, s[16:17]
	v_mov_b32_e32 v41, 0
	s_waitcnt lgkmcnt(0)
	s_barrier
	s_and_saveexec_b64 s[16:17], s[36:37]
	s_cbranch_execz .LBB161_74
; %bb.73:
	ds_read_b32 v41, v85
.LBB161_74:
	s_or_b64 exec, exec, s[16:17]
	s_waitcnt lgkmcnt(0)
	v_add_u32_e32 v1, v41, v1
	ds_bpermute_b32 v1, v86, v1
	s_waitcnt lgkmcnt(0)
	v_cndmask_b32_e64 v1, v1, v41, s[38:39]
	v_cndmask_b32_e64 v1, v1, 0, s[40:41]
	v_add_u32_e32 v38, v1, v38
	v_add_u32_e32 v39, v38, v39
	;; [unrolled: 1-line block ×3, first 2 shown]
	ds_write2_b32 v64, v1, v38 offset0:4 offset1:5
	ds_write2_b32 v75, v39, v0 offset0:2 offset1:3
	s_waitcnt lgkmcnt(0)
	s_barrier
	ds_read_b32 v0, v106 offset:16
	ds_read_b32 v1, v104 offset:16
	;; [unrolled: 1-line block ×4, first 2 shown]
	s_waitcnt lgkmcnt(3)
	v_add3_u32 v0, v107, v74, v0
	s_waitcnt lgkmcnt(2)
	v_add3_u32 v1, v105, v103, v1
	;; [unrolled: 2-line block ×3, first 2 shown]
	ds_read_b32 v38, v95 offset:16
	ds_read_b32 v41, v92 offset:16
	;; [unrolled: 1-line block ×4, first 2 shown]
	s_waitcnt lgkmcnt(0)
	s_barrier
	v_add3_u32 v41, v93, v91, v41
	v_add3_u32 v75, v90, v88, v75
	v_add_u32_e32 v76, v76, v87
	v_lshlrev_b32_e32 v84, 1, v76
	ds_write_b16 v84, v83
	v_lshlrev_b32_e32 v83, 1, v75
	v_add3_u32 v38, v96, v94, v38
	ds_write_b16 v83, v82
	v_lshlrev_b32_e32 v82, 1, v41
	v_add3_u32 v39, v99, v97, v39
	ds_write_b16 v82, v81
	v_lshlrev_b32_e32 v81, 1, v38
	ds_write_b16 v81, v80
	v_lshlrev_b32_e32 v80, 1, v39
	;; [unrolled: 2-line block ×6, first 2 shown]
	v_lshlrev_b32_e32 v76, 3, v76
	v_lshlrev_b32_e32 v80, 3, v62
	s_waitcnt lgkmcnt(0)
	s_barrier
	v_lshlrev_b32_e32 v75, 3, v75
	v_lshlrev_b32_e32 v77, 3, v41
	;; [unrolled: 1-line block ×4, first 2 shown]
	ds_read_b128 v[38:41], v40
	v_lshlrev_b32_e32 v74, 3, v74
	v_lshlrev_b32_e32 v1, 3, v1
	;; [unrolled: 1-line block ×3, first 2 shown]
	s_waitcnt lgkmcnt(0)
	s_barrier
	ds_write_b64 v76, v[34:35]
	ds_write_b64 v75, v[36:37]
	;; [unrolled: 1-line block ×8, first 2 shown]
	s_waitcnt lgkmcnt(0)
	s_barrier
	ds_read2_b64 v[22:25], v80 offset1:1
	ds_read2_b64 v[26:29], v80 offset0:2 offset1:3
	ds_read2_b64 v[30:33], v80 offset0:4 offset1:5
	ds_read2_b64 v[34:37], v80 offset0:6 offset1:7
	v_xor_b32_e32 v38, 0x80008000, v38
	v_xor_b32_e32 v39, 0x80008000, v39
	;; [unrolled: 1-line block ×4, first 2 shown]
	s_branch .LBB161_128
.LBB161_75:
	v_mov_b32_e32 v45, 0
	v_lshlrev_b64 v[2:3], 3, v[44:45]
	v_mov_b32_e32 v4, s52
	v_add_co_u32_e32 v2, vcc, s49, v2
	v_addc_co_u32_e32 v3, vcc, v4, v3, vcc
	global_load_dwordx2 v[2:3], v[2:3], off
	v_mov_b32_e32 v4, v45
	v_mov_b32_e32 v5, v45
	;; [unrolled: 1-line block ×14, first 2 shown]
	s_or_b64 exec, exec, s[16:17]
	s_and_saveexec_b64 s[16:17], s[2:3]
	s_cbranch_execz .LBB161_22
.LBB161_76:
	v_mul_lo_u32 v4, v1, s48
	v_mov_b32_e32 v5, 0
	v_lshlrev_b64 v[4:5], 3, v[4:5]
	v_mov_b32_e32 v1, s52
	v_add_co_u32_e32 v4, vcc, s49, v4
	v_addc_co_u32_e32 v5, vcc, v1, v5, vcc
	global_load_dwordx2 v[4:5], v[4:5], off
	s_or_b64 exec, exec, s[16:17]
	s_and_saveexec_b64 s[16:17], s[4:5]
	s_cbranch_execz .LBB161_23
.LBB161_77:
	v_mul_lo_u32 v6, v22, s48
	v_mov_b32_e32 v7, 0
	v_lshlrev_b64 v[6:7], 3, v[6:7]
	v_mov_b32_e32 v1, s52
	v_add_co_u32_e32 v6, vcc, s49, v6
	v_addc_co_u32_e32 v7, vcc, v1, v7, vcc
	global_load_dwordx2 v[6:7], v[6:7], off
	s_or_b64 exec, exec, s[16:17]
	s_and_saveexec_b64 s[16:17], s[6:7]
	s_cbranch_execz .LBB161_24
.LBB161_78:
	v_mul_lo_u32 v8, v23, s48
	v_mov_b32_e32 v9, 0
	v_lshlrev_b64 v[8:9], 3, v[8:9]
	v_mov_b32_e32 v1, s52
	v_add_co_u32_e32 v8, vcc, s49, v8
	v_addc_co_u32_e32 v9, vcc, v1, v9, vcc
	global_load_dwordx2 v[8:9], v[8:9], off
	s_or_b64 exec, exec, s[16:17]
	s_and_saveexec_b64 s[16:17], s[8:9]
	s_cbranch_execz .LBB161_25
.LBB161_79:
	v_mul_lo_u32 v10, v24, s48
	v_mov_b32_e32 v11, 0
	v_lshlrev_b64 v[10:11], 3, v[10:11]
	v_mov_b32_e32 v1, s52
	v_add_co_u32_e32 v10, vcc, s49, v10
	v_addc_co_u32_e32 v11, vcc, v1, v11, vcc
	global_load_dwordx2 v[10:11], v[10:11], off
	s_or_b64 exec, exec, s[16:17]
	s_and_saveexec_b64 s[16:17], s[10:11]
	s_cbranch_execz .LBB161_26
.LBB161_80:
	v_mul_lo_u32 v12, v25, s48
	v_mov_b32_e32 v13, 0
	v_lshlrev_b64 v[12:13], 3, v[12:13]
	v_mov_b32_e32 v1, s52
	v_add_co_u32_e32 v12, vcc, s49, v12
	v_addc_co_u32_e32 v13, vcc, v1, v13, vcc
	global_load_dwordx2 v[12:13], v[12:13], off
	s_or_b64 exec, exec, s[16:17]
	s_and_saveexec_b64 s[16:17], s[12:13]
	s_cbranch_execz .LBB161_27
.LBB161_81:
	v_mul_lo_u32 v14, v26, s48
	v_mov_b32_e32 v15, 0
	v_lshlrev_b64 v[14:15], 3, v[14:15]
	v_mov_b32_e32 v1, s52
	v_add_co_u32_e32 v14, vcc, s49, v14
	v_addc_co_u32_e32 v15, vcc, v1, v15, vcc
	global_load_dwordx2 v[14:15], v[14:15], off
	s_or_b64 exec, exec, s[16:17]
	s_xor_b64 s[16:17], s[34:35], -1
	s_and_saveexec_b64 s[18:19], s[14:15]
	s_cbranch_execnz .LBB161_28
	s_branch .LBB161_29
.LBB161_82:
                                        ; implicit-def: $vgpr41
                                        ; implicit-def: $vgpr36_vgpr37
                                        ; implicit-def: $vgpr32_vgpr33
                                        ; implicit-def: $vgpr28_vgpr29
                                        ; implicit-def: $vgpr24_vgpr25
	s_cbranch_execz .LBB161_128
; %bb.83:
	s_movk_i32 s16, 0x7fff
	v_xor_b32_e32 v0, 0x7fff, v18
	v_xor_b32_sdwa v1, v18, s16 dst_sel:DWORD dst_unused:UNUSED_PAD src0_sel:WORD_1 src1_sel:DWORD
	v_xor_b32_e32 v18, 0x7fff, v19
	v_xor_b32_sdwa v19, v19, s16 dst_sel:DWORD dst_unused:UNUSED_PAD src0_sel:WORD_1 src1_sel:DWORD
	s_waitcnt lgkmcnt(3)
	v_xor_b32_e32 v22, 0x7fff, v20
	v_xor_b32_sdwa v20, v20, s16 dst_sel:DWORD dst_unused:UNUSED_PAD src0_sel:WORD_1 src1_sel:DWORD
	v_xor_b32_e32 v23, 0x7fff, v21
	v_xor_b32_sdwa v21, v21, s16 dst_sel:DWORD dst_unused:UNUSED_PAD src0_sel:WORD_1 src1_sel:DWORD
	s_mov_b32 s16, 0x5040100
	v_perm_b32 v21, v21, v23, s16
	v_perm_b32 v20, v20, v22, s16
	;; [unrolled: 1-line block ×4, first 2 shown]
	ds_write_b128 v73, v[18:21]
	; wave barrier
	s_waitcnt lgkmcnt(2)
	ds_read_u16 v32, v72
	ds_read_u16 v31, v72 offset:128
	ds_read_u16 v30, v72 offset:256
	;; [unrolled: 1-line block ×7, first 2 shown]
	s_waitcnt lgkmcnt(0)
	s_barrier
	ds_write2_b64 v71, v[14:15], v[16:17] offset1:1
	ds_write2_b64 v71, v[10:11], v[12:13] offset0:2 offset1:3
	ds_write2_b64 v71, v[6:7], v[8:9] offset0:4 offset1:5
	;; [unrolled: 1-line block ×3, first 2 shown]
	; wave barrier
	ds_read2st64_b64 v[12:15], v70 offset1:1
	ds_read2st64_b64 v[8:11], v70 offset0:2 offset1:3
	ds_read2st64_b64 v[4:7], v70 offset0:4 offset1:5
	;; [unrolled: 1-line block ×3, first 2 shown]
	s_waitcnt lgkmcnt(0)
	s_barrier
	s_load_dword s18, s[50:51], 0xc
	s_getpc_b64 s[16:17]
	s_add_u32 s16, s16, _ZN7rocprim17ROCPRIM_400000_NS16block_radix_sortIsLj256ELj8ElLj1ELj1ELj0ELNS0_26block_radix_rank_algorithmE1ELNS0_18block_padding_hintE2ELNS0_4arch9wavefront6targetE1EE19radix_bits_per_passE@rel32@lo+4
	s_addc_u32 s17, s17, _ZN7rocprim17ROCPRIM_400000_NS16block_radix_sortIsLj256ELj8ElLj1ELj1ELj0ELNS0_26block_radix_rank_algorithmE1ELNS0_18block_padding_hintE2ELNS0_4arch9wavefront6targetE1EE19radix_bits_per_passE@rel32@hi+12
	s_load_dword s42, s[16:17], 0x0
	s_waitcnt lgkmcnt(0)
	s_lshr_b32 s16, s18, 16
	s_and_b32 s17, s18, 0xffff
	v_mad_u32_u24 v16, v69, s16, v68
	v_mad_u64_u32 v[16:17], s[16:17], v16, s17, v[46:47]
	s_min_u32 s16, s42, 16
	s_lshl_b32 s16, -1, s16
	s_not_b32 s18, s16
	v_and_b32_sdwa v18, s18, v32 dst_sel:DWORD dst_unused:UNUSED_PAD src0_sel:DWORD src1_sel:WORD_0
	v_lshrrev_b32_e32 v22, 6, v16
	v_lshlrev_b32_e32 v17, 2, v18
	v_add_lshl_u32 v35, v22, v17, 2
	v_and_b32_e32 v17, 1, v18
	v_add_co_u32_e32 v19, vcc, -1, v17
	v_addc_co_u32_e64 v20, s[16:17], 0, -1, vcc
	v_cmp_ne_u32_e32 vcc, 0, v17
	v_xor_b32_e32 v17, vcc_hi, v20
	v_mov_b32_e32 v16, 0
	v_and_b32_e32 v20, exec_hi, v17
	v_lshlrev_b32_e32 v17, 30, v18
	v_xor_b32_e32 v19, vcc_lo, v19
	v_cmp_gt_i64_e32 vcc, 0, v[16:17]
	v_not_b32_e32 v17, v17
	v_ashrrev_i32_e32 v17, 31, v17
	v_and_b32_e32 v19, exec_lo, v19
	v_xor_b32_e32 v21, vcc_hi, v17
	v_xor_b32_e32 v17, vcc_lo, v17
	v_and_b32_e32 v19, v19, v17
	v_lshlrev_b32_e32 v17, 29, v18
	v_cmp_gt_i64_e32 vcc, 0, v[16:17]
	v_not_b32_e32 v17, v17
	v_ashrrev_i32_e32 v17, 31, v17
	v_and_b32_e32 v20, v20, v21
	v_xor_b32_e32 v21, vcc_hi, v17
	v_xor_b32_e32 v17, vcc_lo, v17
	v_and_b32_e32 v19, v19, v17
	v_lshlrev_b32_e32 v17, 28, v18
	v_cmp_gt_i64_e32 vcc, 0, v[16:17]
	v_not_b32_e32 v17, v17
	v_ashrrev_i32_e32 v17, 31, v17
	v_and_b32_e32 v20, v20, v21
	;; [unrolled: 8-line block ×5, first 2 shown]
	v_xor_b32_e32 v21, vcc_hi, v17
	v_xor_b32_e32 v17, vcc_lo, v17
	v_and_b32_e32 v20, v20, v21
	v_and_b32_e32 v21, v19, v17
	v_lshlrev_b32_e32 v17, 24, v18
	v_cmp_gt_i64_e32 vcc, 0, v[16:17]
	v_not_b32_e32 v17, v17
	v_ashrrev_i32_e32 v17, 31, v17
	v_xor_b32_e32 v18, vcc_hi, v17
	v_xor_b32_e32 v17, vcc_lo, v17
	v_and_b32_e32 v19, v20, v18
	v_and_b32_e32 v18, v21, v17
	v_mbcnt_lo_u32_b32 v17, v18, 0
	v_mbcnt_hi_u32_b32 v36, v19, v17
	v_cmp_eq_u32_e32 vcc, 0, v36
	v_cmp_ne_u64_e64 s[16:17], 0, v[18:19]
	s_and_b64 s[20:21], s[16:17], vcc
	ds_write2_b32 v64, v16, v16 offset0:4 offset1:5
	ds_write2_b32 v64, v16, v16 offset0:6 offset1:7
	s_waitcnt lgkmcnt(0)
	s_barrier
	s_waitcnt lgkmcnt(0)
	; wave barrier
	s_and_saveexec_b64 s[16:17], s[20:21]
	s_cbranch_execz .LBB161_85
; %bb.84:
	v_bcnt_u32_b32 v17, v18, 0
	v_bcnt_u32_b32 v17, v19, v17
	ds_write_b32 v35, v17 offset:16
.LBB161_85:
	s_or_b64 exec, exec, s[16:17]
	v_and_b32_sdwa v18, s18, v31 dst_sel:DWORD dst_unused:UNUSED_PAD src0_sel:DWORD src1_sel:WORD_0
	v_lshlrev_b32_e32 v17, 2, v18
	v_add_lshl_u32 v38, v22, v17, 2
	v_and_b32_e32 v17, 1, v18
	v_add_co_u32_e32 v19, vcc, -1, v17
	v_addc_co_u32_e64 v20, s[16:17], 0, -1, vcc
	v_cmp_ne_u32_e32 vcc, 0, v17
	v_xor_b32_e32 v17, vcc_hi, v20
	v_and_b32_e32 v20, exec_hi, v17
	v_lshlrev_b32_e32 v17, 30, v18
	v_xor_b32_e32 v19, vcc_lo, v19
	v_cmp_gt_i64_e32 vcc, 0, v[16:17]
	v_not_b32_e32 v17, v17
	v_ashrrev_i32_e32 v17, 31, v17
	v_and_b32_e32 v19, exec_lo, v19
	v_xor_b32_e32 v21, vcc_hi, v17
	v_xor_b32_e32 v17, vcc_lo, v17
	v_and_b32_e32 v19, v19, v17
	v_lshlrev_b32_e32 v17, 29, v18
	v_cmp_gt_i64_e32 vcc, 0, v[16:17]
	v_not_b32_e32 v17, v17
	v_ashrrev_i32_e32 v17, 31, v17
	v_and_b32_e32 v20, v20, v21
	v_xor_b32_e32 v21, vcc_hi, v17
	v_xor_b32_e32 v17, vcc_lo, v17
	v_and_b32_e32 v19, v19, v17
	v_lshlrev_b32_e32 v17, 28, v18
	v_cmp_gt_i64_e32 vcc, 0, v[16:17]
	v_not_b32_e32 v17, v17
	v_ashrrev_i32_e32 v17, 31, v17
	v_and_b32_e32 v20, v20, v21
	;; [unrolled: 8-line block ×5, first 2 shown]
	v_xor_b32_e32 v21, vcc_hi, v17
	v_xor_b32_e32 v17, vcc_lo, v17
	v_and_b32_e32 v19, v19, v17
	v_lshlrev_b32_e32 v17, 24, v18
	v_cmp_gt_i64_e32 vcc, 0, v[16:17]
	v_not_b32_e32 v16, v17
	v_ashrrev_i32_e32 v16, 31, v16
	v_xor_b32_e32 v17, vcc_hi, v16
	v_xor_b32_e32 v16, vcc_lo, v16
	; wave barrier
	ds_read_b32 v37, v38 offset:16
	v_and_b32_e32 v20, v20, v21
	v_and_b32_e32 v16, v19, v16
	;; [unrolled: 1-line block ×3, first 2 shown]
	v_mbcnt_lo_u32_b32 v18, v16, 0
	v_mbcnt_hi_u32_b32 v39, v17, v18
	v_cmp_eq_u32_e32 vcc, 0, v39
	v_cmp_ne_u64_e64 s[16:17], 0, v[16:17]
	s_and_b64 s[20:21], s[16:17], vcc
	; wave barrier
	s_and_saveexec_b64 s[16:17], s[20:21]
	s_cbranch_execz .LBB161_87
; %bb.86:
	v_bcnt_u32_b32 v16, v16, 0
	v_bcnt_u32_b32 v16, v17, v16
	s_waitcnt lgkmcnt(0)
	v_add_u32_e32 v16, v37, v16
	ds_write_b32 v38, v16 offset:16
.LBB161_87:
	s_or_b64 exec, exec, s[16:17]
	v_and_b32_sdwa v18, s18, v30 dst_sel:DWORD dst_unused:UNUSED_PAD src0_sel:DWORD src1_sel:WORD_0
	v_and_b32_e32 v17, 1, v18
	v_add_co_u32_e32 v19, vcc, -1, v17
	v_addc_co_u32_e64 v20, s[16:17], 0, -1, vcc
	v_cmp_ne_u32_e32 vcc, 0, v17
	v_lshlrev_b32_e32 v16, 2, v18
	v_xor_b32_e32 v17, vcc_hi, v20
	v_add_lshl_u32 v41, v22, v16, 2
	v_mov_b32_e32 v16, 0
	v_and_b32_e32 v20, exec_hi, v17
	v_lshlrev_b32_e32 v17, 30, v18
	v_xor_b32_e32 v19, vcc_lo, v19
	v_cmp_gt_i64_e32 vcc, 0, v[16:17]
	v_not_b32_e32 v17, v17
	v_ashrrev_i32_e32 v17, 31, v17
	v_and_b32_e32 v19, exec_lo, v19
	v_xor_b32_e32 v21, vcc_hi, v17
	v_xor_b32_e32 v17, vcc_lo, v17
	v_and_b32_e32 v19, v19, v17
	v_lshlrev_b32_e32 v17, 29, v18
	v_cmp_gt_i64_e32 vcc, 0, v[16:17]
	v_not_b32_e32 v17, v17
	v_ashrrev_i32_e32 v17, 31, v17
	v_and_b32_e32 v20, v20, v21
	v_xor_b32_e32 v21, vcc_hi, v17
	v_xor_b32_e32 v17, vcc_lo, v17
	v_and_b32_e32 v19, v19, v17
	v_lshlrev_b32_e32 v17, 28, v18
	v_cmp_gt_i64_e32 vcc, 0, v[16:17]
	v_not_b32_e32 v17, v17
	v_ashrrev_i32_e32 v17, 31, v17
	v_and_b32_e32 v20, v20, v21
	;; [unrolled: 8-line block ×5, first 2 shown]
	v_xor_b32_e32 v21, vcc_hi, v17
	v_xor_b32_e32 v17, vcc_lo, v17
	v_and_b32_e32 v20, v20, v21
	v_and_b32_e32 v21, v19, v17
	v_lshlrev_b32_e32 v17, 24, v18
	v_cmp_gt_i64_e32 vcc, 0, v[16:17]
	v_not_b32_e32 v17, v17
	v_ashrrev_i32_e32 v17, 31, v17
	v_xor_b32_e32 v18, vcc_hi, v17
	v_xor_b32_e32 v17, vcc_lo, v17
	; wave barrier
	ds_read_b32 v40, v41 offset:16
	v_and_b32_e32 v19, v20, v18
	v_and_b32_e32 v18, v21, v17
	v_mbcnt_lo_u32_b32 v17, v18, 0
	v_mbcnt_hi_u32_b32 v68, v19, v17
	v_cmp_eq_u32_e32 vcc, 0, v68
	v_cmp_ne_u64_e64 s[16:17], 0, v[18:19]
	s_and_b64 s[20:21], s[16:17], vcc
	; wave barrier
	s_and_saveexec_b64 s[16:17], s[20:21]
	s_cbranch_execz .LBB161_89
; %bb.88:
	v_bcnt_u32_b32 v17, v18, 0
	v_bcnt_u32_b32 v17, v19, v17
	s_waitcnt lgkmcnt(0)
	v_add_u32_e32 v17, v40, v17
	ds_write_b32 v41, v17 offset:16
.LBB161_89:
	s_or_b64 exec, exec, s[16:17]
	v_and_b32_sdwa v18, s18, v29 dst_sel:DWORD dst_unused:UNUSED_PAD src0_sel:DWORD src1_sel:WORD_0
	v_lshlrev_b32_e32 v17, 2, v18
	v_add_lshl_u32 v70, v22, v17, 2
	v_and_b32_e32 v17, 1, v18
	v_add_co_u32_e32 v19, vcc, -1, v17
	v_addc_co_u32_e64 v20, s[16:17], 0, -1, vcc
	v_cmp_ne_u32_e32 vcc, 0, v17
	v_xor_b32_e32 v17, vcc_hi, v20
	v_and_b32_e32 v20, exec_hi, v17
	v_lshlrev_b32_e32 v17, 30, v18
	v_xor_b32_e32 v19, vcc_lo, v19
	v_cmp_gt_i64_e32 vcc, 0, v[16:17]
	v_not_b32_e32 v17, v17
	v_ashrrev_i32_e32 v17, 31, v17
	v_and_b32_e32 v19, exec_lo, v19
	v_xor_b32_e32 v21, vcc_hi, v17
	v_xor_b32_e32 v17, vcc_lo, v17
	v_and_b32_e32 v19, v19, v17
	v_lshlrev_b32_e32 v17, 29, v18
	v_cmp_gt_i64_e32 vcc, 0, v[16:17]
	v_not_b32_e32 v17, v17
	v_ashrrev_i32_e32 v17, 31, v17
	v_and_b32_e32 v20, v20, v21
	v_xor_b32_e32 v21, vcc_hi, v17
	v_xor_b32_e32 v17, vcc_lo, v17
	v_and_b32_e32 v19, v19, v17
	v_lshlrev_b32_e32 v17, 28, v18
	v_cmp_gt_i64_e32 vcc, 0, v[16:17]
	v_not_b32_e32 v17, v17
	v_ashrrev_i32_e32 v17, 31, v17
	v_and_b32_e32 v20, v20, v21
	;; [unrolled: 8-line block ×5, first 2 shown]
	v_xor_b32_e32 v21, vcc_hi, v17
	v_xor_b32_e32 v17, vcc_lo, v17
	v_and_b32_e32 v19, v19, v17
	v_lshlrev_b32_e32 v17, 24, v18
	v_cmp_gt_i64_e32 vcc, 0, v[16:17]
	v_not_b32_e32 v16, v17
	v_ashrrev_i32_e32 v16, 31, v16
	v_xor_b32_e32 v17, vcc_hi, v16
	v_xor_b32_e32 v16, vcc_lo, v16
	; wave barrier
	ds_read_b32 v69, v70 offset:16
	v_and_b32_e32 v20, v20, v21
	v_and_b32_e32 v16, v19, v16
	;; [unrolled: 1-line block ×3, first 2 shown]
	v_mbcnt_lo_u32_b32 v18, v16, 0
	v_mbcnt_hi_u32_b32 v71, v17, v18
	v_cmp_eq_u32_e32 vcc, 0, v71
	v_cmp_ne_u64_e64 s[16:17], 0, v[16:17]
	s_and_b64 s[20:21], s[16:17], vcc
	; wave barrier
	s_and_saveexec_b64 s[16:17], s[20:21]
	s_cbranch_execz .LBB161_91
; %bb.90:
	v_bcnt_u32_b32 v16, v16, 0
	v_bcnt_u32_b32 v16, v17, v16
	s_waitcnt lgkmcnt(0)
	v_add_u32_e32 v16, v69, v16
	ds_write_b32 v70, v16 offset:16
.LBB161_91:
	s_or_b64 exec, exec, s[16:17]
	v_and_b32_sdwa v18, s18, v28 dst_sel:DWORD dst_unused:UNUSED_PAD src0_sel:DWORD src1_sel:WORD_0
	v_and_b32_e32 v17, 1, v18
	v_add_co_u32_e32 v19, vcc, -1, v17
	v_addc_co_u32_e64 v20, s[16:17], 0, -1, vcc
	v_cmp_ne_u32_e32 vcc, 0, v17
	v_lshlrev_b32_e32 v16, 2, v18
	v_xor_b32_e32 v17, vcc_hi, v20
	v_add_lshl_u32 v73, v22, v16, 2
	v_mov_b32_e32 v16, 0
	v_and_b32_e32 v20, exec_hi, v17
	v_lshlrev_b32_e32 v17, 30, v18
	v_xor_b32_e32 v19, vcc_lo, v19
	v_cmp_gt_i64_e32 vcc, 0, v[16:17]
	v_not_b32_e32 v17, v17
	v_ashrrev_i32_e32 v17, 31, v17
	v_and_b32_e32 v19, exec_lo, v19
	v_xor_b32_e32 v21, vcc_hi, v17
	v_xor_b32_e32 v17, vcc_lo, v17
	v_and_b32_e32 v19, v19, v17
	v_lshlrev_b32_e32 v17, 29, v18
	v_cmp_gt_i64_e32 vcc, 0, v[16:17]
	v_not_b32_e32 v17, v17
	v_ashrrev_i32_e32 v17, 31, v17
	v_and_b32_e32 v20, v20, v21
	v_xor_b32_e32 v21, vcc_hi, v17
	v_xor_b32_e32 v17, vcc_lo, v17
	v_and_b32_e32 v19, v19, v17
	v_lshlrev_b32_e32 v17, 28, v18
	v_cmp_gt_i64_e32 vcc, 0, v[16:17]
	v_not_b32_e32 v17, v17
	v_ashrrev_i32_e32 v17, 31, v17
	v_and_b32_e32 v20, v20, v21
	;; [unrolled: 8-line block ×5, first 2 shown]
	v_xor_b32_e32 v21, vcc_hi, v17
	v_xor_b32_e32 v17, vcc_lo, v17
	v_and_b32_e32 v20, v20, v21
	v_and_b32_e32 v21, v19, v17
	v_lshlrev_b32_e32 v17, 24, v18
	v_cmp_gt_i64_e32 vcc, 0, v[16:17]
	v_not_b32_e32 v17, v17
	v_ashrrev_i32_e32 v17, 31, v17
	v_xor_b32_e32 v18, vcc_hi, v17
	v_xor_b32_e32 v17, vcc_lo, v17
	; wave barrier
	ds_read_b32 v72, v73 offset:16
	v_and_b32_e32 v19, v20, v18
	v_and_b32_e32 v18, v21, v17
	v_mbcnt_lo_u32_b32 v17, v18, 0
	v_mbcnt_hi_u32_b32 v74, v19, v17
	v_cmp_eq_u32_e32 vcc, 0, v74
	v_cmp_ne_u64_e64 s[16:17], 0, v[18:19]
	s_and_b64 s[20:21], s[16:17], vcc
	; wave barrier
	s_and_saveexec_b64 s[16:17], s[20:21]
	s_cbranch_execz .LBB161_93
; %bb.92:
	v_bcnt_u32_b32 v17, v18, 0
	v_bcnt_u32_b32 v17, v19, v17
	s_waitcnt lgkmcnt(0)
	v_add_u32_e32 v17, v72, v17
	ds_write_b32 v73, v17 offset:16
.LBB161_93:
	s_or_b64 exec, exec, s[16:17]
	v_and_b32_sdwa v18, s18, v27 dst_sel:DWORD dst_unused:UNUSED_PAD src0_sel:DWORD src1_sel:WORD_0
	v_lshlrev_b32_e32 v17, 2, v18
	v_add_lshl_u32 v76, v22, v17, 2
	v_and_b32_e32 v17, 1, v18
	v_add_co_u32_e32 v19, vcc, -1, v17
	v_addc_co_u32_e64 v20, s[16:17], 0, -1, vcc
	v_cmp_ne_u32_e32 vcc, 0, v17
	v_xor_b32_e32 v17, vcc_hi, v20
	v_and_b32_e32 v20, exec_hi, v17
	v_lshlrev_b32_e32 v17, 30, v18
	v_xor_b32_e32 v19, vcc_lo, v19
	v_cmp_gt_i64_e32 vcc, 0, v[16:17]
	v_not_b32_e32 v17, v17
	v_ashrrev_i32_e32 v17, 31, v17
	v_and_b32_e32 v19, exec_lo, v19
	v_xor_b32_e32 v21, vcc_hi, v17
	v_xor_b32_e32 v17, vcc_lo, v17
	v_and_b32_e32 v19, v19, v17
	v_lshlrev_b32_e32 v17, 29, v18
	v_cmp_gt_i64_e32 vcc, 0, v[16:17]
	v_not_b32_e32 v17, v17
	v_ashrrev_i32_e32 v17, 31, v17
	v_and_b32_e32 v20, v20, v21
	v_xor_b32_e32 v21, vcc_hi, v17
	v_xor_b32_e32 v17, vcc_lo, v17
	v_and_b32_e32 v19, v19, v17
	v_lshlrev_b32_e32 v17, 28, v18
	v_cmp_gt_i64_e32 vcc, 0, v[16:17]
	v_not_b32_e32 v17, v17
	v_ashrrev_i32_e32 v17, 31, v17
	v_and_b32_e32 v20, v20, v21
	;; [unrolled: 8-line block ×5, first 2 shown]
	v_xor_b32_e32 v21, vcc_hi, v17
	v_xor_b32_e32 v17, vcc_lo, v17
	v_and_b32_e32 v19, v19, v17
	v_lshlrev_b32_e32 v17, 24, v18
	v_cmp_gt_i64_e32 vcc, 0, v[16:17]
	v_not_b32_e32 v16, v17
	v_ashrrev_i32_e32 v16, 31, v16
	v_xor_b32_e32 v17, vcc_hi, v16
	v_xor_b32_e32 v16, vcc_lo, v16
	; wave barrier
	ds_read_b32 v75, v76 offset:16
	v_and_b32_e32 v20, v20, v21
	v_and_b32_e32 v16, v19, v16
	v_and_b32_e32 v17, v20, v17
	v_mbcnt_lo_u32_b32 v18, v16, 0
	v_mbcnt_hi_u32_b32 v77, v17, v18
	v_cmp_eq_u32_e32 vcc, 0, v77
	v_cmp_ne_u64_e64 s[16:17], 0, v[16:17]
	s_and_b64 s[20:21], s[16:17], vcc
	; wave barrier
	s_and_saveexec_b64 s[16:17], s[20:21]
	s_cbranch_execz .LBB161_95
; %bb.94:
	v_bcnt_u32_b32 v16, v16, 0
	v_bcnt_u32_b32 v16, v17, v16
	s_waitcnt lgkmcnt(0)
	v_add_u32_e32 v16, v75, v16
	ds_write_b32 v76, v16 offset:16
.LBB161_95:
	s_or_b64 exec, exec, s[16:17]
	v_and_b32_sdwa v18, s18, v26 dst_sel:DWORD dst_unused:UNUSED_PAD src0_sel:DWORD src1_sel:WORD_0
	v_and_b32_e32 v17, 1, v18
	v_add_co_u32_e32 v19, vcc, -1, v17
	v_addc_co_u32_e64 v20, s[16:17], 0, -1, vcc
	v_cmp_ne_u32_e32 vcc, 0, v17
	v_lshlrev_b32_e32 v16, 2, v18
	v_xor_b32_e32 v17, vcc_hi, v20
	v_add_lshl_u32 v79, v22, v16, 2
	v_mov_b32_e32 v16, 0
	v_and_b32_e32 v20, exec_hi, v17
	v_lshlrev_b32_e32 v17, 30, v18
	v_xor_b32_e32 v19, vcc_lo, v19
	v_cmp_gt_i64_e32 vcc, 0, v[16:17]
	v_not_b32_e32 v17, v17
	v_ashrrev_i32_e32 v17, 31, v17
	v_and_b32_e32 v19, exec_lo, v19
	v_xor_b32_e32 v21, vcc_hi, v17
	v_xor_b32_e32 v17, vcc_lo, v17
	v_and_b32_e32 v19, v19, v17
	v_lshlrev_b32_e32 v17, 29, v18
	v_cmp_gt_i64_e32 vcc, 0, v[16:17]
	v_not_b32_e32 v17, v17
	v_ashrrev_i32_e32 v17, 31, v17
	v_and_b32_e32 v20, v20, v21
	v_xor_b32_e32 v21, vcc_hi, v17
	v_xor_b32_e32 v17, vcc_lo, v17
	v_and_b32_e32 v19, v19, v17
	v_lshlrev_b32_e32 v17, 28, v18
	v_cmp_gt_i64_e32 vcc, 0, v[16:17]
	v_not_b32_e32 v17, v17
	v_ashrrev_i32_e32 v17, 31, v17
	v_and_b32_e32 v20, v20, v21
	;; [unrolled: 8-line block ×5, first 2 shown]
	v_xor_b32_e32 v21, vcc_hi, v17
	v_xor_b32_e32 v17, vcc_lo, v17
	v_and_b32_e32 v20, v20, v21
	v_and_b32_e32 v21, v19, v17
	v_lshlrev_b32_e32 v17, 24, v18
	v_cmp_gt_i64_e32 vcc, 0, v[16:17]
	v_not_b32_e32 v17, v17
	v_ashrrev_i32_e32 v17, 31, v17
	v_xor_b32_e32 v18, vcc_hi, v17
	v_xor_b32_e32 v17, vcc_lo, v17
	; wave barrier
	ds_read_b32 v78, v79 offset:16
	v_and_b32_e32 v19, v20, v18
	v_and_b32_e32 v18, v21, v17
	v_mbcnt_lo_u32_b32 v17, v18, 0
	v_mbcnt_hi_u32_b32 v80, v19, v17
	v_cmp_eq_u32_e32 vcc, 0, v80
	v_cmp_ne_u64_e64 s[16:17], 0, v[18:19]
	s_and_b64 s[20:21], s[16:17], vcc
	; wave barrier
	s_and_saveexec_b64 s[16:17], s[20:21]
	s_cbranch_execz .LBB161_97
; %bb.96:
	v_bcnt_u32_b32 v17, v18, 0
	v_bcnt_u32_b32 v17, v19, v17
	s_waitcnt lgkmcnt(0)
	v_add_u32_e32 v17, v78, v17
	ds_write_b32 v79, v17 offset:16
.LBB161_97:
	s_or_b64 exec, exec, s[16:17]
	v_and_b32_sdwa v18, s18, v25 dst_sel:DWORD dst_unused:UNUSED_PAD src0_sel:DWORD src1_sel:WORD_0
	v_lshlrev_b32_e32 v17, 2, v18
	v_add_lshl_u32 v81, v22, v17, 2
	v_and_b32_e32 v17, 1, v18
	v_add_co_u32_e32 v19, vcc, -1, v17
	v_addc_co_u32_e64 v20, s[16:17], 0, -1, vcc
	v_cmp_ne_u32_e32 vcc, 0, v17
	v_xor_b32_e32 v17, vcc_hi, v20
	v_and_b32_e32 v20, exec_hi, v17
	v_lshlrev_b32_e32 v17, 30, v18
	v_xor_b32_e32 v19, vcc_lo, v19
	v_cmp_gt_i64_e32 vcc, 0, v[16:17]
	v_not_b32_e32 v17, v17
	v_ashrrev_i32_e32 v17, 31, v17
	v_and_b32_e32 v19, exec_lo, v19
	v_xor_b32_e32 v21, vcc_hi, v17
	v_xor_b32_e32 v17, vcc_lo, v17
	v_and_b32_e32 v19, v19, v17
	v_lshlrev_b32_e32 v17, 29, v18
	v_cmp_gt_i64_e32 vcc, 0, v[16:17]
	v_not_b32_e32 v17, v17
	v_ashrrev_i32_e32 v17, 31, v17
	v_and_b32_e32 v20, v20, v21
	v_xor_b32_e32 v21, vcc_hi, v17
	v_xor_b32_e32 v17, vcc_lo, v17
	v_and_b32_e32 v19, v19, v17
	v_lshlrev_b32_e32 v17, 28, v18
	v_cmp_gt_i64_e32 vcc, 0, v[16:17]
	v_not_b32_e32 v17, v17
	v_ashrrev_i32_e32 v17, 31, v17
	v_and_b32_e32 v20, v20, v21
	;; [unrolled: 8-line block ×5, first 2 shown]
	v_xor_b32_e32 v21, vcc_hi, v17
	v_xor_b32_e32 v17, vcc_lo, v17
	v_and_b32_e32 v19, v19, v17
	v_lshlrev_b32_e32 v17, 24, v18
	v_cmp_gt_i64_e32 vcc, 0, v[16:17]
	v_not_b32_e32 v16, v17
	v_ashrrev_i32_e32 v16, 31, v16
	v_xor_b32_e32 v17, vcc_hi, v16
	v_xor_b32_e32 v16, vcc_lo, v16
	v_min_u32_e32 v33, 0xc0, v67
	; wave barrier
	ds_read_b32 v67, v81 offset:16
	v_and_b32_e32 v20, v20, v21
	v_and_b32_e32 v16, v19, v16
	;; [unrolled: 1-line block ×3, first 2 shown]
	v_mbcnt_lo_u32_b32 v18, v16, 0
	v_mbcnt_hi_u32_b32 v82, v17, v18
	v_cmp_eq_u32_e32 vcc, 0, v82
	v_cmp_ne_u64_e64 s[16:17], 0, v[16:17]
	v_add_u32_e32 v23, 16, v64
	v_lshrrev_b32_e32 v24, 6, v46
	s_and_b64 s[18:19], s[16:17], vcc
	; wave barrier
	s_and_saveexec_b64 s[16:17], s[18:19]
	s_cbranch_execz .LBB161_99
; %bb.98:
	v_bcnt_u32_b32 v16, v16, 0
	v_bcnt_u32_b32 v16, v17, v16
	s_waitcnt lgkmcnt(0)
	v_add_u32_e32 v16, v67, v16
	ds_write_b32 v81, v16 offset:16
.LBB161_99:
	s_or_b64 exec, exec, s[16:17]
	; wave barrier
	s_waitcnt lgkmcnt(0)
	s_barrier
	ds_read2_b32 v[18:19], v64 offset0:4 offset1:5
	ds_read2_b32 v[20:21], v23 offset0:2 offset1:3
	v_and_b32_e32 v17, 16, v65
	v_cmp_eq_u32_e32 vcc, 0, v17
	v_or_b32_e32 v17, 63, v33
	v_cmp_eq_u32_e64 s[16:17], v17, v46
	s_waitcnt lgkmcnt(1)
	v_add_u32_e32 v17, v19, v18
	v_and_b32_e32 v16, 15, v65
	s_waitcnt lgkmcnt(0)
	v_add3_u32 v17, v17, v20, v21
	v_cmp_eq_u32_e64 s[22:23], 0, v16
	v_cmp_lt_u32_e64 s[24:25], 1, v16
	v_mov_b32_dpp v21, v17 row_shr:1 row_mask:0xf bank_mask:0xf
	v_cndmask_b32_e64 v21, v21, 0, s[22:23]
	v_add_u32_e32 v17, v21, v17
	v_cmp_lt_u32_e64 s[28:29], 3, v16
	v_cmp_lt_u32_e64 s[30:31], 7, v16
	v_mov_b32_dpp v21, v17 row_shr:2 row_mask:0xf bank_mask:0xf
	v_cndmask_b32_e64 v21, 0, v21, s[24:25]
	v_add_u32_e32 v17, v17, v21
	v_bfe_i32 v34, v65, 4, 1
	v_cmp_lt_u32_e64 s[34:35], 31, v65
	v_mov_b32_dpp v21, v17 row_shr:4 row_mask:0xf bank_mask:0xf
	v_cndmask_b32_e64 v21, 0, v21, s[28:29]
	v_add_u32_e32 v17, v17, v21
	v_lshlrev_b32_e32 v24, 2, v24
	s_nop 0
	v_mov_b32_dpp v21, v17 row_shr:8 row_mask:0xf bank_mask:0xf
	v_cndmask_b32_e64 v16, 0, v21, s[30:31]
	v_add_u32_e32 v16, v17, v16
	s_nop 1
	v_mov_b32_dpp v17, v16 row_bcast:15 row_mask:0xf bank_mask:0xf
	v_and_b32_e32 v17, v34, v17
	v_add_u32_e32 v16, v16, v17
	s_nop 1
	v_mov_b32_dpp v17, v16 row_bcast:31 row_mask:0xf bank_mask:0xf
	v_cndmask_b32_e64 v17, 0, v17, s[34:35]
	v_add_u32_e32 v17, v16, v17
	s_and_saveexec_b64 s[18:19], s[16:17]
	s_cbranch_execz .LBB161_101
; %bb.100:
	ds_write_b32 v24, v17
.LBB161_101:
	s_or_b64 exec, exec, s[18:19]
	v_and_b32_e32 v16, 3, v65
	v_cmp_gt_u32_e64 s[26:27], 4, v46
	v_lshlrev_b32_e32 v21, 2, v46
	v_cmp_eq_u32_e64 s[20:21], 0, v16
	v_cmp_lt_u32_e64 s[18:19], 1, v16
	s_waitcnt lgkmcnt(0)
	s_barrier
	s_and_saveexec_b64 s[36:37], s[26:27]
	s_cbranch_execz .LBB161_103
; %bb.102:
	ds_read_b32 v16, v21
	s_waitcnt lgkmcnt(0)
	s_nop 0
	v_mov_b32_dpp v33, v16 row_shr:1 row_mask:0xf bank_mask:0xf
	v_cndmask_b32_e64 v33, v33, 0, s[20:21]
	v_add_u32_e32 v16, v33, v16
	s_nop 1
	v_mov_b32_dpp v33, v16 row_shr:2 row_mask:0xf bank_mask:0xf
	v_cndmask_b32_e64 v33, 0, v33, s[18:19]
	v_add_u32_e32 v16, v16, v33
	ds_write_b32 v21, v16
.LBB161_103:
	s_or_b64 exec, exec, s[36:37]
	v_cmp_lt_u32_e64 s[36:37], 63, v46
	v_add_u32_e32 v33, -4, v24
	v_mov_b32_e32 v16, 0
	v_mov_b32_e32 v83, 0
	s_waitcnt lgkmcnt(0)
	s_barrier
	s_and_saveexec_b64 s[38:39], s[36:37]
	s_cbranch_execz .LBB161_105
; %bb.104:
	ds_read_b32 v83, v33
.LBB161_105:
	s_or_b64 exec, exec, s[38:39]
	v_add_u32_e32 v34, -1, v65
	v_and_b32_e32 v84, 64, v65
	v_cmp_lt_i32_e64 s[38:39], v34, v84
	v_cndmask_b32_e64 v34, v34, v65, s[38:39]
	v_lshlrev_b32_e32 v34, 2, v34
	s_waitcnt lgkmcnt(0)
	v_add_u32_e32 v17, v83, v17
	ds_bpermute_b32 v17, v34, v17
	v_cmp_eq_u32_e64 s[38:39], 0, v65
	v_cmp_eq_u32_e64 s[40:41], 0, v46
	s_min_u32 s42, s42, 8
	v_and_or_b32 v66, v65, 63, v66
	s_waitcnt lgkmcnt(0)
	v_cndmask_b32_e64 v17, v17, v83, s[38:39]
	v_cndmask_b32_e64 v17, v17, 0, s[40:41]
	v_add_u32_e32 v18, v17, v18
	v_add_u32_e32 v19, v18, v19
	;; [unrolled: 1-line block ×3, first 2 shown]
	ds_write2_b32 v64, v17, v18 offset0:4 offset1:5
	ds_write2_b32 v23, v19, v20 offset0:2 offset1:3
	s_waitcnt lgkmcnt(0)
	s_barrier
	ds_read_b32 v17, v35 offset:16
	ds_read_b32 v18, v38 offset:16
	ds_read_b32 v19, v41 offset:16
	ds_read_b32 v20, v70 offset:16
	ds_read_b32 v35, v73 offset:16
	ds_read_b32 v38, v76 offset:16
	ds_read_b32 v41, v79 offset:16
	ds_read_b32 v46, v81 offset:16
	s_waitcnt lgkmcnt(7)
	v_add_u32_e32 v17, v17, v36
	s_waitcnt lgkmcnt(6)
	v_add3_u32 v18, v39, v37, v18
	s_waitcnt lgkmcnt(4)
	v_add3_u32 v36, v71, v69, v20
	v_lshlrev_b32_e32 v20, 1, v17
	v_add3_u32 v19, v68, v40, v19
	s_waitcnt lgkmcnt(0)
	s_barrier
	ds_write_b16 v20, v32
	v_lshlrev_b32_e32 v20, 1, v18
	ds_write_b16 v20, v31
	v_lshlrev_b32_e32 v20, 1, v19
	v_add3_u32 v35, v74, v72, v35
	ds_write_b16 v20, v30
	v_lshlrev_b32_e32 v20, 1, v36
	v_add3_u32 v37, v77, v75, v38
	;; [unrolled: 3-line block ×4, first 2 shown]
	ds_write_b16 v20, v27
	v_lshlrev_b32_e32 v20, 1, v38
	s_lshl_b32 s42, -1, s42
	v_lshlrev_b32_e32 v84, 1, v66
	ds_write_b16 v20, v26
	v_lshlrev_b32_e32 v20, 1, v39
	v_lshlrev_b32_e32 v17, 3, v17
	s_not_b32 s50, s42
	ds_write_b16 v20, v25
	s_waitcnt lgkmcnt(0)
	s_barrier
	ds_read_u16 v31, v84
	ds_read_u16 v30, v84 offset:128
	ds_read_u16 v29, v84 offset:256
	;; [unrolled: 1-line block ×7, first 2 shown]
	s_waitcnt lgkmcnt(0)
	s_barrier
	ds_write_b64 v17, v[12:13]
	v_lshlrev_b32_e32 v12, 3, v18
	v_and_b32_sdwa v18, v31, s50 dst_sel:DWORD dst_unused:UNUSED_PAD src0_sel:BYTE_1 src1_sel:DWORD
	v_lshlrev_b32_e32 v17, 2, v18
	ds_write_b64 v12, v[14:15]
	v_lshlrev_b32_e32 v12, 3, v19
	v_add_lshl_u32 v32, v17, v22, 2
	v_and_b32_e32 v17, 1, v18
	ds_write_b64 v12, v[8:9]
	v_lshlrev_b32_e32 v8, 3, v36
	v_add_co_u32_e64 v19, s[42:43], -1, v17
	ds_write_b64 v8, v[10:11]
	v_lshlrev_b32_e32 v8, 3, v35
	v_addc_co_u32_e64 v35, s[42:43], 0, -1, s[42:43]
	v_cmp_ne_u32_e64 s[42:43], 0, v17
	v_xor_b32_e32 v17, s43, v35
	v_and_b32_e32 v35, exec_hi, v17
	v_lshlrev_b32_e32 v17, 30, v18
	v_xor_b32_e32 v19, s42, v19
	v_cmp_gt_i64_e64 s[42:43], 0, v[16:17]
	v_not_b32_e32 v17, v17
	v_ashrrev_i32_e32 v17, 31, v17
	v_and_b32_e32 v19, exec_lo, v19
	v_xor_b32_e32 v36, s43, v17
	v_xor_b32_e32 v17, s42, v17
	v_and_b32_e32 v19, v19, v17
	v_lshlrev_b32_e32 v17, 29, v18
	v_cmp_gt_i64_e64 s[42:43], 0, v[16:17]
	v_not_b32_e32 v17, v17
	v_ashrrev_i32_e32 v17, 31, v17
	v_and_b32_e32 v35, v35, v36
	v_xor_b32_e32 v36, s43, v17
	v_xor_b32_e32 v17, s42, v17
	v_and_b32_e32 v19, v19, v17
	v_lshlrev_b32_e32 v17, 28, v18
	v_cmp_gt_i64_e64 s[42:43], 0, v[16:17]
	v_not_b32_e32 v17, v17
	v_ashrrev_i32_e32 v17, 31, v17
	v_and_b32_e32 v35, v35, v36
	;; [unrolled: 8-line block ×4, first 2 shown]
	v_xor_b32_e32 v36, s43, v17
	v_xor_b32_e32 v17, s42, v17
	v_and_b32_e32 v19, v19, v17
	v_lshlrev_b32_e32 v17, 25, v18
	v_cmp_gt_i64_e64 s[42:43], 0, v[16:17]
	v_not_b32_e32 v17, v17
	ds_write_b64 v8, v[4:5]
	v_lshlrev_b32_e32 v4, 3, v37
	v_ashrrev_i32_e32 v17, 31, v17
	ds_write_b64 v4, v[6:7]
	v_lshlrev_b32_e32 v4, 3, v38
	v_and_b32_e32 v35, v35, v36
	v_xor_b32_e32 v36, s43, v17
	v_xor_b32_e32 v17, s42, v17
	v_lshlrev_b32_e32 v66, 3, v66
	ds_write_b64 v4, v[0:1]
	v_lshlrev_b32_e32 v0, 3, v39
	v_and_b32_e32 v19, v19, v17
	v_lshlrev_b32_e32 v17, 24, v18
	ds_write_b64 v0, v[2:3]
	s_waitcnt lgkmcnt(0)
	s_barrier
	ds_read2st64_b64 v[12:15], v66 offset1:1
	ds_read2st64_b64 v[8:11], v66 offset0:2 offset1:3
	ds_read2st64_b64 v[4:7], v66 offset0:4 offset1:5
	;; [unrolled: 1-line block ×3, first 2 shown]
	s_waitcnt lgkmcnt(0)
	s_barrier
	ds_write2_b32 v64, v16, v16 offset0:4 offset1:5
	ds_write2_b32 v23, v16, v16 offset0:2 offset1:3
	v_cmp_gt_i64_e64 s[42:43], 0, v[16:17]
	v_not_b32_e32 v16, v17
	v_ashrrev_i32_e32 v16, 31, v16
	v_xor_b32_e32 v17, s43, v16
	v_xor_b32_e32 v16, s42, v16
	v_and_b32_e32 v35, v35, v36
	v_and_b32_e32 v16, v19, v16
	;; [unrolled: 1-line block ×3, first 2 shown]
	v_mbcnt_lo_u32_b32 v18, v16, 0
	v_mbcnt_hi_u32_b32 v35, v17, v18
	v_cmp_eq_u32_e64 s[42:43], 0, v35
	v_cmp_ne_u64_e64 s[44:45], 0, v[16:17]
	s_and_b64 s[44:45], s[44:45], s[42:43]
	s_waitcnt lgkmcnt(0)
	s_barrier
	s_waitcnt lgkmcnt(0)
	; wave barrier
	s_and_saveexec_b64 s[42:43], s[44:45]
	s_cbranch_execz .LBB161_107
; %bb.106:
	v_bcnt_u32_b32 v16, v16, 0
	v_bcnt_u32_b32 v16, v17, v16
	ds_write_b32 v32, v16 offset:16
.LBB161_107:
	s_or_b64 exec, exec, s[42:43]
	v_and_b32_sdwa v18, v30, s50 dst_sel:DWORD dst_unused:UNUSED_PAD src0_sel:BYTE_1 src1_sel:DWORD
	v_and_b32_e32 v17, 1, v18
	v_add_co_u32_e64 v19, s[42:43], -1, v17
	v_addc_co_u32_e64 v38, s[42:43], 0, -1, s[42:43]
	v_cmp_ne_u32_e64 s[42:43], 0, v17
	v_lshlrev_b32_e32 v16, 2, v18
	v_xor_b32_e32 v17, s43, v38
	v_add_lshl_u32 v37, v16, v22, 2
	v_mov_b32_e32 v16, 0
	v_and_b32_e32 v38, exec_hi, v17
	v_lshlrev_b32_e32 v17, 30, v18
	v_xor_b32_e32 v19, s42, v19
	v_cmp_gt_i64_e64 s[42:43], 0, v[16:17]
	v_not_b32_e32 v17, v17
	v_ashrrev_i32_e32 v17, 31, v17
	v_and_b32_e32 v19, exec_lo, v19
	v_xor_b32_e32 v39, s43, v17
	v_xor_b32_e32 v17, s42, v17
	v_and_b32_e32 v19, v19, v17
	v_lshlrev_b32_e32 v17, 29, v18
	v_cmp_gt_i64_e64 s[42:43], 0, v[16:17]
	v_not_b32_e32 v17, v17
	v_ashrrev_i32_e32 v17, 31, v17
	v_and_b32_e32 v38, v38, v39
	v_xor_b32_e32 v39, s43, v17
	v_xor_b32_e32 v17, s42, v17
	v_and_b32_e32 v19, v19, v17
	v_lshlrev_b32_e32 v17, 28, v18
	v_cmp_gt_i64_e64 s[42:43], 0, v[16:17]
	v_not_b32_e32 v17, v17
	v_ashrrev_i32_e32 v17, 31, v17
	v_and_b32_e32 v38, v38, v39
	v_xor_b32_e32 v39, s43, v17
	v_xor_b32_e32 v17, s42, v17
	v_and_b32_e32 v19, v19, v17
	v_lshlrev_b32_e32 v17, 27, v18
	v_cmp_gt_i64_e64 s[42:43], 0, v[16:17]
	v_not_b32_e32 v17, v17
	v_ashrrev_i32_e32 v17, 31, v17
	v_and_b32_e32 v38, v38, v39
	v_xor_b32_e32 v39, s43, v17
	v_xor_b32_e32 v17, s42, v17
	v_and_b32_e32 v19, v19, v17
	v_lshlrev_b32_e32 v17, 26, v18
	v_cmp_gt_i64_e64 s[42:43], 0, v[16:17]
	v_not_b32_e32 v17, v17
	v_ashrrev_i32_e32 v17, 31, v17
	v_and_b32_e32 v38, v38, v39
	v_xor_b32_e32 v39, s43, v17
	v_xor_b32_e32 v17, s42, v17
	v_and_b32_e32 v19, v19, v17
	v_lshlrev_b32_e32 v17, 25, v18
	v_cmp_gt_i64_e64 s[42:43], 0, v[16:17]
	v_not_b32_e32 v17, v17
	v_ashrrev_i32_e32 v17, 31, v17
	v_and_b32_e32 v38, v38, v39
	v_xor_b32_e32 v39, s43, v17
	v_xor_b32_e32 v17, s42, v17
	v_and_b32_e32 v38, v38, v39
	v_and_b32_e32 v39, v19, v17
	v_lshlrev_b32_e32 v17, 24, v18
	v_cmp_gt_i64_e64 s[42:43], 0, v[16:17]
	v_not_b32_e32 v17, v17
	v_ashrrev_i32_e32 v17, 31, v17
	v_xor_b32_e32 v18, s43, v17
	v_xor_b32_e32 v17, s42, v17
	; wave barrier
	ds_read_b32 v36, v37 offset:16
	v_and_b32_e32 v19, v38, v18
	v_and_b32_e32 v18, v39, v17
	v_mbcnt_lo_u32_b32 v17, v18, 0
	v_mbcnt_hi_u32_b32 v38, v19, v17
	v_cmp_eq_u32_e64 s[42:43], 0, v38
	v_cmp_ne_u64_e64 s[44:45], 0, v[18:19]
	s_and_b64 s[44:45], s[44:45], s[42:43]
	; wave barrier
	s_and_saveexec_b64 s[42:43], s[44:45]
	s_cbranch_execz .LBB161_109
; %bb.108:
	v_bcnt_u32_b32 v17, v18, 0
	v_bcnt_u32_b32 v17, v19, v17
	s_waitcnt lgkmcnt(0)
	v_add_u32_e32 v17, v36, v17
	ds_write_b32 v37, v17 offset:16
.LBB161_109:
	s_or_b64 exec, exec, s[42:43]
	v_and_b32_sdwa v18, v29, s50 dst_sel:DWORD dst_unused:UNUSED_PAD src0_sel:BYTE_1 src1_sel:DWORD
	v_lshlrev_b32_e32 v17, 2, v18
	v_add_lshl_u32 v40, v17, v22, 2
	v_and_b32_e32 v17, 1, v18
	v_add_co_u32_e64 v19, s[42:43], -1, v17
	v_addc_co_u32_e64 v41, s[42:43], 0, -1, s[42:43]
	v_cmp_ne_u32_e64 s[42:43], 0, v17
	v_xor_b32_e32 v17, s43, v41
	v_and_b32_e32 v41, exec_hi, v17
	v_lshlrev_b32_e32 v17, 30, v18
	v_xor_b32_e32 v19, s42, v19
	v_cmp_gt_i64_e64 s[42:43], 0, v[16:17]
	v_not_b32_e32 v17, v17
	v_ashrrev_i32_e32 v17, 31, v17
	v_and_b32_e32 v19, exec_lo, v19
	v_xor_b32_e32 v46, s43, v17
	v_xor_b32_e32 v17, s42, v17
	v_and_b32_e32 v19, v19, v17
	v_lshlrev_b32_e32 v17, 29, v18
	v_cmp_gt_i64_e64 s[42:43], 0, v[16:17]
	v_not_b32_e32 v17, v17
	v_ashrrev_i32_e32 v17, 31, v17
	v_and_b32_e32 v41, v41, v46
	v_xor_b32_e32 v46, s43, v17
	v_xor_b32_e32 v17, s42, v17
	v_and_b32_e32 v19, v19, v17
	v_lshlrev_b32_e32 v17, 28, v18
	v_cmp_gt_i64_e64 s[42:43], 0, v[16:17]
	v_not_b32_e32 v17, v17
	v_ashrrev_i32_e32 v17, 31, v17
	v_and_b32_e32 v41, v41, v46
	;; [unrolled: 8-line block ×5, first 2 shown]
	v_xor_b32_e32 v46, s43, v17
	v_xor_b32_e32 v17, s42, v17
	v_and_b32_e32 v19, v19, v17
	v_lshlrev_b32_e32 v17, 24, v18
	v_cmp_gt_i64_e64 s[42:43], 0, v[16:17]
	v_not_b32_e32 v16, v17
	v_ashrrev_i32_e32 v16, 31, v16
	v_xor_b32_e32 v17, s43, v16
	v_xor_b32_e32 v16, s42, v16
	; wave barrier
	ds_read_b32 v39, v40 offset:16
	v_and_b32_e32 v41, v41, v46
	v_and_b32_e32 v16, v19, v16
	;; [unrolled: 1-line block ×3, first 2 shown]
	v_mbcnt_lo_u32_b32 v18, v16, 0
	v_mbcnt_hi_u32_b32 v41, v17, v18
	v_cmp_eq_u32_e64 s[42:43], 0, v41
	v_cmp_ne_u64_e64 s[44:45], 0, v[16:17]
	s_and_b64 s[44:45], s[44:45], s[42:43]
	; wave barrier
	s_and_saveexec_b64 s[42:43], s[44:45]
	s_cbranch_execz .LBB161_111
; %bb.110:
	v_bcnt_u32_b32 v16, v16, 0
	v_bcnt_u32_b32 v16, v17, v16
	s_waitcnt lgkmcnt(0)
	v_add_u32_e32 v16, v39, v16
	ds_write_b32 v40, v16 offset:16
.LBB161_111:
	s_or_b64 exec, exec, s[42:43]
	v_and_b32_sdwa v18, v28, s50 dst_sel:DWORD dst_unused:UNUSED_PAD src0_sel:BYTE_1 src1_sel:DWORD
	v_and_b32_e32 v17, 1, v18
	v_add_co_u32_e64 v19, s[42:43], -1, v17
	v_addc_co_u32_e64 v66, s[42:43], 0, -1, s[42:43]
	v_cmp_ne_u32_e64 s[42:43], 0, v17
	v_lshlrev_b32_e32 v16, 2, v18
	v_xor_b32_e32 v17, s43, v66
	v_add_lshl_u32 v65, v16, v22, 2
	v_mov_b32_e32 v16, 0
	v_and_b32_e32 v66, exec_hi, v17
	v_lshlrev_b32_e32 v17, 30, v18
	v_xor_b32_e32 v19, s42, v19
	v_cmp_gt_i64_e64 s[42:43], 0, v[16:17]
	v_not_b32_e32 v17, v17
	v_ashrrev_i32_e32 v17, 31, v17
	v_and_b32_e32 v19, exec_lo, v19
	v_xor_b32_e32 v67, s43, v17
	v_xor_b32_e32 v17, s42, v17
	v_and_b32_e32 v19, v19, v17
	v_lshlrev_b32_e32 v17, 29, v18
	v_cmp_gt_i64_e64 s[42:43], 0, v[16:17]
	v_not_b32_e32 v17, v17
	v_ashrrev_i32_e32 v17, 31, v17
	v_and_b32_e32 v66, v66, v67
	v_xor_b32_e32 v67, s43, v17
	v_xor_b32_e32 v17, s42, v17
	v_and_b32_e32 v19, v19, v17
	v_lshlrev_b32_e32 v17, 28, v18
	v_cmp_gt_i64_e64 s[42:43], 0, v[16:17]
	v_not_b32_e32 v17, v17
	v_ashrrev_i32_e32 v17, 31, v17
	v_and_b32_e32 v66, v66, v67
	;; [unrolled: 8-line block ×5, first 2 shown]
	v_xor_b32_e32 v67, s43, v17
	v_xor_b32_e32 v17, s42, v17
	v_and_b32_e32 v66, v66, v67
	v_and_b32_e32 v67, v19, v17
	v_lshlrev_b32_e32 v17, 24, v18
	v_cmp_gt_i64_e64 s[42:43], 0, v[16:17]
	v_not_b32_e32 v17, v17
	v_ashrrev_i32_e32 v17, 31, v17
	v_xor_b32_e32 v18, s43, v17
	v_xor_b32_e32 v17, s42, v17
	; wave barrier
	ds_read_b32 v46, v65 offset:16
	v_and_b32_e32 v19, v66, v18
	v_and_b32_e32 v18, v67, v17
	v_mbcnt_lo_u32_b32 v17, v18, 0
	v_mbcnt_hi_u32_b32 v66, v19, v17
	v_cmp_eq_u32_e64 s[42:43], 0, v66
	v_cmp_ne_u64_e64 s[44:45], 0, v[18:19]
	s_and_b64 s[44:45], s[44:45], s[42:43]
	; wave barrier
	s_and_saveexec_b64 s[42:43], s[44:45]
	s_cbranch_execz .LBB161_113
; %bb.112:
	v_bcnt_u32_b32 v17, v18, 0
	v_bcnt_u32_b32 v17, v19, v17
	s_waitcnt lgkmcnt(0)
	v_add_u32_e32 v17, v46, v17
	ds_write_b32 v65, v17 offset:16
.LBB161_113:
	s_or_b64 exec, exec, s[42:43]
	v_and_b32_sdwa v18, v27, s50 dst_sel:DWORD dst_unused:UNUSED_PAD src0_sel:BYTE_1 src1_sel:DWORD
	v_lshlrev_b32_e32 v17, 2, v18
	v_add_lshl_u32 v68, v17, v22, 2
	v_and_b32_e32 v17, 1, v18
	v_add_co_u32_e64 v19, s[42:43], -1, v17
	v_addc_co_u32_e64 v69, s[42:43], 0, -1, s[42:43]
	v_cmp_ne_u32_e64 s[42:43], 0, v17
	v_xor_b32_e32 v17, s43, v69
	v_and_b32_e32 v69, exec_hi, v17
	v_lshlrev_b32_e32 v17, 30, v18
	v_xor_b32_e32 v19, s42, v19
	v_cmp_gt_i64_e64 s[42:43], 0, v[16:17]
	v_not_b32_e32 v17, v17
	v_ashrrev_i32_e32 v17, 31, v17
	v_and_b32_e32 v19, exec_lo, v19
	v_xor_b32_e32 v70, s43, v17
	v_xor_b32_e32 v17, s42, v17
	v_and_b32_e32 v19, v19, v17
	v_lshlrev_b32_e32 v17, 29, v18
	v_cmp_gt_i64_e64 s[42:43], 0, v[16:17]
	v_not_b32_e32 v17, v17
	v_ashrrev_i32_e32 v17, 31, v17
	v_and_b32_e32 v69, v69, v70
	v_xor_b32_e32 v70, s43, v17
	v_xor_b32_e32 v17, s42, v17
	v_and_b32_e32 v19, v19, v17
	v_lshlrev_b32_e32 v17, 28, v18
	v_cmp_gt_i64_e64 s[42:43], 0, v[16:17]
	v_not_b32_e32 v17, v17
	v_ashrrev_i32_e32 v17, 31, v17
	v_and_b32_e32 v69, v69, v70
	;; [unrolled: 8-line block ×5, first 2 shown]
	v_xor_b32_e32 v70, s43, v17
	v_xor_b32_e32 v17, s42, v17
	v_and_b32_e32 v19, v19, v17
	v_lshlrev_b32_e32 v17, 24, v18
	v_cmp_gt_i64_e64 s[42:43], 0, v[16:17]
	v_not_b32_e32 v16, v17
	v_ashrrev_i32_e32 v16, 31, v16
	v_xor_b32_e32 v17, s43, v16
	v_xor_b32_e32 v16, s42, v16
	; wave barrier
	ds_read_b32 v67, v68 offset:16
	v_and_b32_e32 v69, v69, v70
	v_and_b32_e32 v16, v19, v16
	v_and_b32_e32 v17, v69, v17
	v_mbcnt_lo_u32_b32 v18, v16, 0
	v_mbcnt_hi_u32_b32 v69, v17, v18
	v_cmp_eq_u32_e64 s[42:43], 0, v69
	v_cmp_ne_u64_e64 s[44:45], 0, v[16:17]
	s_and_b64 s[44:45], s[44:45], s[42:43]
	; wave barrier
	s_and_saveexec_b64 s[42:43], s[44:45]
	s_cbranch_execz .LBB161_115
; %bb.114:
	v_bcnt_u32_b32 v16, v16, 0
	v_bcnt_u32_b32 v16, v17, v16
	s_waitcnt lgkmcnt(0)
	v_add_u32_e32 v16, v67, v16
	ds_write_b32 v68, v16 offset:16
.LBB161_115:
	s_or_b64 exec, exec, s[42:43]
	v_and_b32_sdwa v18, v26, s50 dst_sel:DWORD dst_unused:UNUSED_PAD src0_sel:BYTE_1 src1_sel:DWORD
	v_and_b32_e32 v17, 1, v18
	v_add_co_u32_e64 v19, s[42:43], -1, v17
	v_addc_co_u32_e64 v72, s[42:43], 0, -1, s[42:43]
	v_cmp_ne_u32_e64 s[42:43], 0, v17
	v_lshlrev_b32_e32 v16, 2, v18
	v_xor_b32_e32 v17, s43, v72
	v_add_lshl_u32 v71, v16, v22, 2
	v_mov_b32_e32 v16, 0
	v_and_b32_e32 v72, exec_hi, v17
	v_lshlrev_b32_e32 v17, 30, v18
	v_xor_b32_e32 v19, s42, v19
	v_cmp_gt_i64_e64 s[42:43], 0, v[16:17]
	v_not_b32_e32 v17, v17
	v_ashrrev_i32_e32 v17, 31, v17
	v_and_b32_e32 v19, exec_lo, v19
	v_xor_b32_e32 v73, s43, v17
	v_xor_b32_e32 v17, s42, v17
	v_and_b32_e32 v19, v19, v17
	v_lshlrev_b32_e32 v17, 29, v18
	v_cmp_gt_i64_e64 s[42:43], 0, v[16:17]
	v_not_b32_e32 v17, v17
	v_ashrrev_i32_e32 v17, 31, v17
	v_and_b32_e32 v72, v72, v73
	v_xor_b32_e32 v73, s43, v17
	v_xor_b32_e32 v17, s42, v17
	v_and_b32_e32 v19, v19, v17
	v_lshlrev_b32_e32 v17, 28, v18
	v_cmp_gt_i64_e64 s[42:43], 0, v[16:17]
	v_not_b32_e32 v17, v17
	v_ashrrev_i32_e32 v17, 31, v17
	v_and_b32_e32 v72, v72, v73
	;; [unrolled: 8-line block ×5, first 2 shown]
	v_xor_b32_e32 v73, s43, v17
	v_xor_b32_e32 v17, s42, v17
	v_and_b32_e32 v72, v72, v73
	v_and_b32_e32 v73, v19, v17
	v_lshlrev_b32_e32 v17, 24, v18
	v_cmp_gt_i64_e64 s[42:43], 0, v[16:17]
	v_not_b32_e32 v17, v17
	v_ashrrev_i32_e32 v17, 31, v17
	v_xor_b32_e32 v18, s43, v17
	v_xor_b32_e32 v17, s42, v17
	; wave barrier
	ds_read_b32 v70, v71 offset:16
	v_and_b32_e32 v19, v72, v18
	v_and_b32_e32 v18, v73, v17
	v_mbcnt_lo_u32_b32 v17, v18, 0
	v_mbcnt_hi_u32_b32 v72, v19, v17
	v_cmp_eq_u32_e64 s[42:43], 0, v72
	v_cmp_ne_u64_e64 s[44:45], 0, v[18:19]
	s_and_b64 s[44:45], s[44:45], s[42:43]
	; wave barrier
	s_and_saveexec_b64 s[42:43], s[44:45]
	s_cbranch_execz .LBB161_117
; %bb.116:
	v_bcnt_u32_b32 v17, v18, 0
	v_bcnt_u32_b32 v17, v19, v17
	s_waitcnt lgkmcnt(0)
	v_add_u32_e32 v17, v70, v17
	ds_write_b32 v71, v17 offset:16
.LBB161_117:
	s_or_b64 exec, exec, s[42:43]
	v_and_b32_sdwa v18, v25, s50 dst_sel:DWORD dst_unused:UNUSED_PAD src0_sel:BYTE_1 src1_sel:DWORD
	v_lshlrev_b32_e32 v17, 2, v18
	v_add_lshl_u32 v74, v17, v22, 2
	v_and_b32_e32 v17, 1, v18
	v_add_co_u32_e64 v19, s[42:43], -1, v17
	v_addc_co_u32_e64 v75, s[42:43], 0, -1, s[42:43]
	v_cmp_ne_u32_e64 s[42:43], 0, v17
	v_xor_b32_e32 v17, s43, v75
	v_and_b32_e32 v75, exec_hi, v17
	v_lshlrev_b32_e32 v17, 30, v18
	v_xor_b32_e32 v19, s42, v19
	v_cmp_gt_i64_e64 s[42:43], 0, v[16:17]
	v_not_b32_e32 v17, v17
	v_ashrrev_i32_e32 v17, 31, v17
	v_and_b32_e32 v19, exec_lo, v19
	v_xor_b32_e32 v76, s43, v17
	v_xor_b32_e32 v17, s42, v17
	v_and_b32_e32 v19, v19, v17
	v_lshlrev_b32_e32 v17, 29, v18
	v_cmp_gt_i64_e64 s[42:43], 0, v[16:17]
	v_not_b32_e32 v17, v17
	v_ashrrev_i32_e32 v17, 31, v17
	v_and_b32_e32 v75, v75, v76
	v_xor_b32_e32 v76, s43, v17
	v_xor_b32_e32 v17, s42, v17
	v_and_b32_e32 v19, v19, v17
	v_lshlrev_b32_e32 v17, 28, v18
	v_cmp_gt_i64_e64 s[42:43], 0, v[16:17]
	v_not_b32_e32 v17, v17
	v_ashrrev_i32_e32 v17, 31, v17
	v_and_b32_e32 v75, v75, v76
	;; [unrolled: 8-line block ×5, first 2 shown]
	v_xor_b32_e32 v76, s43, v17
	v_xor_b32_e32 v17, s42, v17
	v_and_b32_e32 v19, v19, v17
	v_lshlrev_b32_e32 v17, 24, v18
	v_cmp_gt_i64_e64 s[42:43], 0, v[16:17]
	v_not_b32_e32 v16, v17
	v_ashrrev_i32_e32 v16, 31, v16
	v_xor_b32_e32 v17, s43, v16
	v_xor_b32_e32 v16, s42, v16
	; wave barrier
	ds_read_b32 v73, v74 offset:16
	v_and_b32_e32 v75, v75, v76
	v_and_b32_e32 v16, v19, v16
	;; [unrolled: 1-line block ×3, first 2 shown]
	v_mbcnt_lo_u32_b32 v18, v16, 0
	v_mbcnt_hi_u32_b32 v75, v17, v18
	v_cmp_eq_u32_e64 s[42:43], 0, v75
	v_cmp_ne_u64_e64 s[44:45], 0, v[16:17]
	s_and_b64 s[44:45], s[44:45], s[42:43]
	; wave barrier
	s_and_saveexec_b64 s[42:43], s[44:45]
	s_cbranch_execz .LBB161_119
; %bb.118:
	v_bcnt_u32_b32 v16, v16, 0
	v_bcnt_u32_b32 v16, v17, v16
	s_waitcnt lgkmcnt(0)
	v_add_u32_e32 v16, v73, v16
	ds_write_b32 v74, v16 offset:16
.LBB161_119:
	s_or_b64 exec, exec, s[42:43]
	v_and_b32_sdwa v18, v20, s50 dst_sel:DWORD dst_unused:UNUSED_PAD src0_sel:BYTE_1 src1_sel:DWORD
	v_and_b32_e32 v17, 1, v18
	v_add_co_u32_e64 v19, s[42:43], -1, v17
	v_addc_co_u32_e64 v77, s[42:43], 0, -1, s[42:43]
	v_cmp_ne_u32_e64 s[42:43], 0, v17
	v_lshlrev_b32_e32 v16, 2, v18
	v_xor_b32_e32 v17, s43, v77
	v_add_lshl_u32 v76, v16, v22, 2
	v_mov_b32_e32 v16, 0
	v_and_b32_e32 v77, exec_hi, v17
	v_lshlrev_b32_e32 v17, 30, v18
	v_xor_b32_e32 v19, s42, v19
	v_cmp_gt_i64_e64 s[42:43], 0, v[16:17]
	v_not_b32_e32 v17, v17
	v_ashrrev_i32_e32 v17, 31, v17
	v_and_b32_e32 v19, exec_lo, v19
	v_xor_b32_e32 v78, s43, v17
	v_xor_b32_e32 v17, s42, v17
	v_and_b32_e32 v19, v19, v17
	v_lshlrev_b32_e32 v17, 29, v18
	v_cmp_gt_i64_e64 s[42:43], 0, v[16:17]
	v_not_b32_e32 v17, v17
	v_ashrrev_i32_e32 v17, 31, v17
	v_and_b32_e32 v77, v77, v78
	v_xor_b32_e32 v78, s43, v17
	v_xor_b32_e32 v17, s42, v17
	v_and_b32_e32 v19, v19, v17
	v_lshlrev_b32_e32 v17, 28, v18
	v_cmp_gt_i64_e64 s[42:43], 0, v[16:17]
	v_not_b32_e32 v17, v17
	v_ashrrev_i32_e32 v17, 31, v17
	v_and_b32_e32 v77, v77, v78
	;; [unrolled: 8-line block ×5, first 2 shown]
	v_xor_b32_e32 v78, s43, v17
	v_xor_b32_e32 v17, s42, v17
	v_and_b32_e32 v19, v19, v17
	v_lshlrev_b32_e32 v17, 24, v18
	v_cmp_gt_i64_e64 s[42:43], 0, v[16:17]
	v_not_b32_e32 v16, v17
	v_ashrrev_i32_e32 v16, 31, v16
	v_xor_b32_e32 v17, s43, v16
	v_xor_b32_e32 v16, s42, v16
	; wave barrier
	ds_read_b32 v22, v76 offset:16
	v_and_b32_e32 v77, v77, v78
	v_and_b32_e32 v16, v19, v16
	;; [unrolled: 1-line block ×3, first 2 shown]
	v_mbcnt_lo_u32_b32 v18, v16, 0
	v_mbcnt_hi_u32_b32 v77, v17, v18
	v_cmp_eq_u32_e64 s[42:43], 0, v77
	v_cmp_ne_u64_e64 s[44:45], 0, v[16:17]
	s_and_b64 s[44:45], s[44:45], s[42:43]
	; wave barrier
	s_and_saveexec_b64 s[42:43], s[44:45]
	s_cbranch_execz .LBB161_121
; %bb.120:
	v_bcnt_u32_b32 v16, v16, 0
	v_bcnt_u32_b32 v16, v17, v16
	s_waitcnt lgkmcnt(0)
	v_add_u32_e32 v16, v22, v16
	ds_write_b32 v76, v16 offset:16
.LBB161_121:
	s_or_b64 exec, exec, s[42:43]
	; wave barrier
	s_waitcnt lgkmcnt(0)
	s_barrier
	ds_read2_b32 v[18:19], v64 offset0:4 offset1:5
	ds_read2_b32 v[16:17], v23 offset0:2 offset1:3
	s_waitcnt lgkmcnt(1)
	v_add_u32_e32 v78, v19, v18
	s_waitcnt lgkmcnt(0)
	v_add3_u32 v17, v78, v16, v17
	s_nop 1
	v_mov_b32_dpp v78, v17 row_shr:1 row_mask:0xf bank_mask:0xf
	v_cndmask_b32_e64 v78, v78, 0, s[22:23]
	v_add_u32_e32 v17, v78, v17
	s_nop 1
	v_mov_b32_dpp v78, v17 row_shr:2 row_mask:0xf bank_mask:0xf
	v_cndmask_b32_e64 v78, 0, v78, s[24:25]
	v_add_u32_e32 v17, v17, v78
	;; [unrolled: 4-line block ×4, first 2 shown]
	s_nop 1
	v_mov_b32_dpp v78, v17 row_bcast:15 row_mask:0xf bank_mask:0xf
	v_cndmask_b32_e64 v78, v78, 0, vcc
	v_add_u32_e32 v17, v17, v78
	s_nop 1
	v_mov_b32_dpp v78, v17 row_bcast:31 row_mask:0xf bank_mask:0xf
	v_cndmask_b32_e64 v78, 0, v78, s[34:35]
	v_add_u32_e32 v17, v17, v78
	s_and_saveexec_b64 s[22:23], s[16:17]
	s_cbranch_execz .LBB161_123
; %bb.122:
	ds_write_b32 v24, v17
.LBB161_123:
	s_or_b64 exec, exec, s[22:23]
	s_waitcnt lgkmcnt(0)
	s_barrier
	s_and_saveexec_b64 s[16:17], s[26:27]
	s_cbranch_execz .LBB161_125
; %bb.124:
	ds_read_b32 v24, v21
	s_waitcnt lgkmcnt(0)
	s_nop 0
	v_mov_b32_dpp v78, v24 row_shr:1 row_mask:0xf bank_mask:0xf
	v_cndmask_b32_e64 v78, v78, 0, s[20:21]
	v_add_u32_e32 v24, v78, v24
	s_nop 1
	v_mov_b32_dpp v78, v24 row_shr:2 row_mask:0xf bank_mask:0xf
	v_cndmask_b32_e64 v78, 0, v78, s[18:19]
	v_add_u32_e32 v24, v24, v78
	ds_write_b32 v21, v24
.LBB161_125:
	s_or_b64 exec, exec, s[16:17]
	v_mov_b32_e32 v21, 0
	s_waitcnt lgkmcnt(0)
	s_barrier
	s_and_saveexec_b64 s[16:17], s[36:37]
	s_cbranch_execz .LBB161_127
; %bb.126:
	ds_read_b32 v21, v33
.LBB161_127:
	s_or_b64 exec, exec, s[16:17]
	s_waitcnt lgkmcnt(0)
	v_add_u32_e32 v17, v21, v17
	ds_bpermute_b32 v17, v34, v17
	v_lshlrev_b32_e32 v34, 3, v62
	s_waitcnt lgkmcnt(0)
	v_cndmask_b32_e64 v17, v17, v21, s[38:39]
	v_cndmask_b32_e64 v17, v17, 0, s[40:41]
	v_add_u32_e32 v18, v17, v18
	v_add_u32_e32 v19, v18, v19
	;; [unrolled: 1-line block ×3, first 2 shown]
	ds_write2_b32 v64, v17, v18 offset0:4 offset1:5
	ds_write2_b32 v23, v19, v16 offset0:2 offset1:3
	s_waitcnt lgkmcnt(0)
	s_barrier
	ds_read_b32 v16, v76 offset:16
	ds_read_b32 v17, v74 offset:16
	;; [unrolled: 1-line block ×4, first 2 shown]
	s_waitcnt lgkmcnt(3)
	v_add3_u32 v16, v77, v22, v16
	ds_read_b32 v21, v65 offset:16
	ds_read_b32 v22, v40 offset:16
	;; [unrolled: 1-line block ×4, first 2 shown]
	s_waitcnt lgkmcnt(0)
	s_barrier
	v_add3_u32 v22, v41, v39, v22
	v_add3_u32 v23, v38, v36, v23
	v_add_u32_e32 v24, v24, v35
	v_lshlrev_b32_e32 v32, 1, v24
	ds_write_b16 v32, v31
	v_lshlrev_b32_e32 v31, 1, v23
	v_add3_u32 v21, v66, v46, v21
	ds_write_b16 v31, v30
	v_lshlrev_b32_e32 v30, 1, v22
	v_add3_u32 v19, v69, v67, v19
	;; [unrolled: 3-line block ×4, first 2 shown]
	ds_write_b16 v28, v27
	v_lshlrev_b32_e32 v27, 1, v18
	ds_write_b16 v27, v26
	v_lshlrev_b32_e32 v26, 1, v17
	;; [unrolled: 2-line block ×4, first 2 shown]
	v_lshlrev_b32_e32 v24, 3, v24
	v_lshlrev_b32_e32 v23, 3, v23
	;; [unrolled: 1-line block ×7, first 2 shown]
	s_waitcnt lgkmcnt(0)
	s_barrier
	v_lshlrev_b32_e32 v21, 3, v21
	ds_read_b128 v[16:19], v20
	s_waitcnt lgkmcnt(0)
	s_barrier
	ds_write_b64 v24, v[12:13]
	ds_write_b64 v23, v[14:15]
	;; [unrolled: 1-line block ×8, first 2 shown]
	s_waitcnt lgkmcnt(0)
	s_barrier
	ds_read2_b64 v[22:25], v34 offset1:1
	ds_read2_b64 v[26:29], v34 offset0:2 offset1:3
	ds_read2_b64 v[30:33], v34 offset0:4 offset1:5
	;; [unrolled: 1-line block ×3, first 2 shown]
	v_xor_b32_e32 v38, 0x7fff7fff, v16
	v_xor_b32_e32 v39, 0x7fff7fff, v17
	;; [unrolled: 1-line block ×4, first 2 shown]
.LBB161_128:
	s_waitcnt lgkmcnt(0)
	s_barrier
	ds_write_b128 v54, v[38:41]
	s_waitcnt lgkmcnt(0)
	s_barrier
	ds_read_u16 v8, v43 offset:512
	ds_read_u16 v7, v48 offset:1024
	;; [unrolled: 1-line block ×7, first 2 shown]
	v_mov_b32_e32 v43, 0
	v_lshlrev_b64 v[0:1], 1, v[42:43]
	v_mov_b32_e32 v9, s47
	v_add_co_u32_e32 v0, vcc, s33, v0
	v_addc_co_u32_e32 v1, vcc, v9, v1, vcc
	s_and_saveexec_b64 s[16:17], s[0:1]
	s_cbranch_execnz .LBB161_147
; %bb.129:
	s_or_b64 exec, exec, s[16:17]
	s_and_saveexec_b64 s[16:17], s[2:3]
	s_cbranch_execnz .LBB161_148
.LBB161_130:
	s_or_b64 exec, exec, s[16:17]
	s_and_saveexec_b64 s[16:17], s[4:5]
	s_cbranch_execnz .LBB161_149
.LBB161_131:
	s_or_b64 exec, exec, s[16:17]
	s_and_saveexec_b64 s[16:17], s[6:7]
	s_cbranch_execnz .LBB161_150
.LBB161_132:
	s_or_b64 exec, exec, s[16:17]
	s_and_saveexec_b64 s[16:17], s[8:9]
	s_cbranch_execnz .LBB161_151
.LBB161_133:
	s_or_b64 exec, exec, s[16:17]
	s_and_saveexec_b64 s[16:17], s[10:11]
	s_cbranch_execnz .LBB161_152
.LBB161_134:
	s_or_b64 exec, exec, s[16:17]
	s_and_saveexec_b64 s[16:17], s[12:13]
	s_cbranch_execnz .LBB161_153
.LBB161_135:
	s_or_b64 exec, exec, s[16:17]
	s_and_saveexec_b64 s[16:17], s[14:15]
	s_cbranch_execz .LBB161_137
.LBB161_136:
	s_mul_i32 s18, s46, 0x700
	s_mov_b32 s19, 0
	s_lshl_b64 s[18:19], s[18:19], 1
	s_waitcnt lgkmcnt(1)
	v_mov_b32_e32 v3, s19
	v_add_co_u32_e32 v0, vcc, s18, v0
	v_addc_co_u32_e32 v1, vcc, v1, v3, vcc
	s_waitcnt lgkmcnt(0)
	global_store_short v[0:1], v2, off
.LBB161_137:
	s_or_b64 exec, exec, s[16:17]
	s_waitcnt lgkmcnt(0)
	s_barrier
	ds_write2_b64 v63, v[22:23], v[24:25] offset1:1
	ds_write2_b64 v63, v[26:27], v[28:29] offset0:2 offset1:3
	ds_write2_b64 v63, v[30:31], v[32:33] offset0:4 offset1:5
	;; [unrolled: 1-line block ×3, first 2 shown]
	s_waitcnt lgkmcnt(0)
	s_barrier
	ds_read_b64 v[14:15], v45 offset:2048
	ds_read_b64 v[12:13], v56 offset:4096
	;; [unrolled: 1-line block ×7, first 2 shown]
	v_mov_b32_e32 v45, 0
	v_lshlrev_b64 v[2:3], 3, v[44:45]
	v_mov_b32_e32 v16, s52
	v_add_co_u32_e32 v2, vcc, s49, v2
	v_addc_co_u32_e32 v3, vcc, v16, v3, vcc
	s_and_saveexec_b64 s[16:17], s[0:1]
	s_cbranch_execnz .LBB161_154
; %bb.138:
	s_or_b64 exec, exec, s[16:17]
	s_and_saveexec_b64 s[0:1], s[2:3]
	s_cbranch_execnz .LBB161_155
.LBB161_139:
	s_or_b64 exec, exec, s[0:1]
	s_and_saveexec_b64 s[0:1], s[4:5]
	s_cbranch_execnz .LBB161_156
.LBB161_140:
	s_or_b64 exec, exec, s[0:1]
	s_and_saveexec_b64 s[0:1], s[6:7]
	s_cbranch_execnz .LBB161_157
.LBB161_141:
	s_or_b64 exec, exec, s[0:1]
	s_and_saveexec_b64 s[0:1], s[8:9]
	s_cbranch_execnz .LBB161_158
.LBB161_142:
	s_or_b64 exec, exec, s[0:1]
	s_and_saveexec_b64 s[0:1], s[10:11]
	s_cbranch_execnz .LBB161_159
.LBB161_143:
	s_or_b64 exec, exec, s[0:1]
	s_and_saveexec_b64 s[0:1], s[12:13]
	s_cbranch_execnz .LBB161_160
.LBB161_144:
	s_or_b64 exec, exec, s[0:1]
	s_and_saveexec_b64 s[0:1], s[14:15]
	s_cbranch_execz .LBB161_146
.LBB161_145:
	s_mul_i32 s0, s48, 0x700
	s_mov_b32 s1, 0
	s_lshl_b64 s[0:1], s[0:1], 3
	s_waitcnt lgkmcnt(1)
	v_mov_b32_e32 v4, s1
	v_add_co_u32_e32 v2, vcc, s0, v2
	v_addc_co_u32_e32 v3, vcc, v3, v4, vcc
	s_waitcnt lgkmcnt(0)
	global_store_dwordx2 v[2:3], v[0:1], off
.LBB161_146:
	s_endpgm
.LBB161_147:
	ds_read_u16 v9, v47
	s_waitcnt lgkmcnt(0)
	global_store_short v[0:1], v9, off
	s_or_b64 exec, exec, s[16:17]
	s_and_saveexec_b64 s[16:17], s[2:3]
	s_cbranch_execz .LBB161_130
.LBB161_148:
	s_lshl_b32 s18, s46, 8
	s_mov_b32 s19, 0
	s_lshl_b64 s[18:19], s[18:19], 1
	v_mov_b32_e32 v9, s19
	v_add_co_u32_e32 v10, vcc, s18, v0
	v_addc_co_u32_e32 v11, vcc, v1, v9, vcc
	s_waitcnt lgkmcnt(6)
	global_store_short v[10:11], v8, off
	s_or_b64 exec, exec, s[16:17]
	s_and_saveexec_b64 s[16:17], s[4:5]
	s_cbranch_execz .LBB161_131
.LBB161_149:
	s_lshl_b32 s18, s46, 9
	s_mov_b32 s19, 0
	s_lshl_b64 s[18:19], s[18:19], 1
	v_mov_b32_e32 v9, s19
	s_waitcnt lgkmcnt(6)
	v_add_co_u32_e32 v8, vcc, s18, v0
	v_addc_co_u32_e32 v9, vcc, v1, v9, vcc
	s_waitcnt lgkmcnt(5)
	global_store_short v[8:9], v7, off
	s_or_b64 exec, exec, s[16:17]
	s_and_saveexec_b64 s[16:17], s[6:7]
	s_cbranch_execz .LBB161_132
.LBB161_150:
	s_mul_i32 s18, s46, 0x300
	s_mov_b32 s19, 0
	s_lshl_b64 s[18:19], s[18:19], 1
	s_waitcnt lgkmcnt(5)
	v_mov_b32_e32 v7, s19
	v_add_co_u32_e32 v8, vcc, s18, v0
	v_addc_co_u32_e32 v9, vcc, v1, v7, vcc
	s_waitcnt lgkmcnt(4)
	global_store_short v[8:9], v6, off
	s_or_b64 exec, exec, s[16:17]
	s_and_saveexec_b64 s[16:17], s[8:9]
	s_cbranch_execz .LBB161_133
.LBB161_151:
	s_lshl_b32 s18, s46, 10
	s_mov_b32 s19, 0
	s_lshl_b64 s[18:19], s[18:19], 1
	s_waitcnt lgkmcnt(5)
	v_mov_b32_e32 v7, s19
	s_waitcnt lgkmcnt(4)
	v_add_co_u32_e32 v6, vcc, s18, v0
	v_addc_co_u32_e32 v7, vcc, v1, v7, vcc
	s_waitcnt lgkmcnt(3)
	global_store_short v[6:7], v5, off
	s_or_b64 exec, exec, s[16:17]
	s_and_saveexec_b64 s[16:17], s[10:11]
	s_cbranch_execz .LBB161_134
.LBB161_152:
	s_mul_i32 s18, s46, 0x500
	s_mov_b32 s19, 0
	s_lshl_b64 s[18:19], s[18:19], 1
	s_waitcnt lgkmcnt(3)
	v_mov_b32_e32 v5, s19
	v_add_co_u32_e32 v6, vcc, s18, v0
	v_addc_co_u32_e32 v7, vcc, v1, v5, vcc
	s_waitcnt lgkmcnt(2)
	global_store_short v[6:7], v4, off
	s_or_b64 exec, exec, s[16:17]
	s_and_saveexec_b64 s[16:17], s[12:13]
	s_cbranch_execz .LBB161_135
.LBB161_153:
	s_mul_i32 s18, s46, 0x600
	s_mov_b32 s19, 0
	s_lshl_b64 s[18:19], s[18:19], 1
	s_waitcnt lgkmcnt(3)
	v_mov_b32_e32 v5, s19
	s_waitcnt lgkmcnt(2)
	v_add_co_u32_e32 v4, vcc, s18, v0
	v_addc_co_u32_e32 v5, vcc, v1, v5, vcc
	s_waitcnt lgkmcnt(1)
	global_store_short v[4:5], v3, off
	s_or_b64 exec, exec, s[16:17]
	s_and_saveexec_b64 s[16:17], s[14:15]
	s_cbranch_execnz .LBB161_136
	s_branch .LBB161_137
.LBB161_154:
	ds_read_b64 v[16:17], v55
	s_waitcnt lgkmcnt(0)
	global_store_dwordx2 v[2:3], v[16:17], off
	s_or_b64 exec, exec, s[16:17]
	s_and_saveexec_b64 s[0:1], s[2:3]
	s_cbranch_execz .LBB161_139
.LBB161_155:
	s_lshl_b32 s2, s48, 8
	s_mov_b32 s3, 0
	s_lshl_b64 s[2:3], s[2:3], 3
	v_mov_b32_e32 v17, s3
	v_add_co_u32_e32 v16, vcc, s2, v2
	v_addc_co_u32_e32 v17, vcc, v3, v17, vcc
	s_waitcnt lgkmcnt(6)
	global_store_dwordx2 v[16:17], v[14:15], off
	s_or_b64 exec, exec, s[0:1]
	s_and_saveexec_b64 s[0:1], s[4:5]
	s_cbranch_execz .LBB161_140
.LBB161_156:
	s_lshl_b32 s2, s48, 9
	s_mov_b32 s3, 0
	s_lshl_b64 s[2:3], s[2:3], 3
	s_waitcnt lgkmcnt(6)
	v_mov_b32_e32 v15, s3
	v_add_co_u32_e32 v14, vcc, s2, v2
	v_addc_co_u32_e32 v15, vcc, v3, v15, vcc
	s_waitcnt lgkmcnt(5)
	global_store_dwordx2 v[14:15], v[12:13], off
	s_or_b64 exec, exec, s[0:1]
	s_and_saveexec_b64 s[0:1], s[6:7]
	s_cbranch_execz .LBB161_141
.LBB161_157:
	s_mul_i32 s2, s48, 0x300
	s_mov_b32 s3, 0
	s_lshl_b64 s[2:3], s[2:3], 3
	s_waitcnt lgkmcnt(5)
	v_mov_b32_e32 v13, s3
	v_add_co_u32_e32 v12, vcc, s2, v2
	v_addc_co_u32_e32 v13, vcc, v3, v13, vcc
	s_waitcnt lgkmcnt(4)
	global_store_dwordx2 v[12:13], v[10:11], off
	s_or_b64 exec, exec, s[0:1]
	s_and_saveexec_b64 s[0:1], s[8:9]
	s_cbranch_execz .LBB161_142
.LBB161_158:
	s_lshl_b32 s2, s48, 10
	s_mov_b32 s3, 0
	s_lshl_b64 s[2:3], s[2:3], 3
	s_waitcnt lgkmcnt(4)
	v_mov_b32_e32 v11, s3
	v_add_co_u32_e32 v10, vcc, s2, v2
	v_addc_co_u32_e32 v11, vcc, v3, v11, vcc
	s_waitcnt lgkmcnt(3)
	global_store_dwordx2 v[10:11], v[8:9], off
	s_or_b64 exec, exec, s[0:1]
	s_and_saveexec_b64 s[0:1], s[10:11]
	s_cbranch_execz .LBB161_143
.LBB161_159:
	s_mul_i32 s2, s48, 0x500
	s_mov_b32 s3, 0
	s_lshl_b64 s[2:3], s[2:3], 3
	s_waitcnt lgkmcnt(3)
	v_mov_b32_e32 v9, s3
	v_add_co_u32_e32 v8, vcc, s2, v2
	v_addc_co_u32_e32 v9, vcc, v3, v9, vcc
	s_waitcnt lgkmcnt(2)
	global_store_dwordx2 v[8:9], v[6:7], off
	s_or_b64 exec, exec, s[0:1]
	s_and_saveexec_b64 s[0:1], s[12:13]
	s_cbranch_execz .LBB161_144
.LBB161_160:
	s_mul_i32 s2, s48, 0x600
	s_mov_b32 s3, 0
	s_lshl_b64 s[2:3], s[2:3], 3
	s_waitcnt lgkmcnt(2)
	v_mov_b32_e32 v7, s3
	v_add_co_u32_e32 v6, vcc, s2, v2
	v_addc_co_u32_e32 v7, vcc, v3, v7, vcc
	s_waitcnt lgkmcnt(1)
	global_store_dwordx2 v[6:7], v[4:5], off
	s_or_b64 exec, exec, s[0:1]
	s_and_saveexec_b64 s[0:1], s[14:15]
	s_cbranch_execnz .LBB161_145
	s_branch .LBB161_146
	.section	.rodata,"a",@progbits
	.p2align	6, 0x0
	.amdhsa_kernel _ZN2at6native18radixSortKVInPlaceILin2ELin1ELi256ELi8EsljEEvNS_4cuda6detail10TensorInfoIT3_T5_EES6_S6_S6_NS4_IT4_S6_EES6_b
		.amdhsa_group_segment_fixed_size 16896
		.amdhsa_private_segment_fixed_size 0
		.amdhsa_kernarg_size 712
		.amdhsa_user_sgpr_count 6
		.amdhsa_user_sgpr_private_segment_buffer 1
		.amdhsa_user_sgpr_dispatch_ptr 0
		.amdhsa_user_sgpr_queue_ptr 0
		.amdhsa_user_sgpr_kernarg_segment_ptr 1
		.amdhsa_user_sgpr_dispatch_id 0
		.amdhsa_user_sgpr_flat_scratch_init 0
		.amdhsa_user_sgpr_kernarg_preload_length 0
		.amdhsa_user_sgpr_kernarg_preload_offset 0
		.amdhsa_user_sgpr_private_segment_size 0
		.amdhsa_uses_dynamic_stack 0
		.amdhsa_system_sgpr_private_segment_wavefront_offset 0
		.amdhsa_system_sgpr_workgroup_id_x 1
		.amdhsa_system_sgpr_workgroup_id_y 1
		.amdhsa_system_sgpr_workgroup_id_z 1
		.amdhsa_system_sgpr_workgroup_info 0
		.amdhsa_system_vgpr_workitem_id 2
		.amdhsa_next_free_vgpr 113
		.amdhsa_next_free_sgpr 54
		.amdhsa_accum_offset 116
		.amdhsa_reserve_vcc 1
		.amdhsa_reserve_flat_scratch 0
		.amdhsa_float_round_mode_32 0
		.amdhsa_float_round_mode_16_64 0
		.amdhsa_float_denorm_mode_32 3
		.amdhsa_float_denorm_mode_16_64 3
		.amdhsa_dx10_clamp 1
		.amdhsa_ieee_mode 1
		.amdhsa_fp16_overflow 0
		.amdhsa_tg_split 0
		.amdhsa_exception_fp_ieee_invalid_op 0
		.amdhsa_exception_fp_denorm_src 0
		.amdhsa_exception_fp_ieee_div_zero 0
		.amdhsa_exception_fp_ieee_overflow 0
		.amdhsa_exception_fp_ieee_underflow 0
		.amdhsa_exception_fp_ieee_inexact 0
		.amdhsa_exception_int_div_zero 0
	.end_amdhsa_kernel
	.section	.text._ZN2at6native18radixSortKVInPlaceILin2ELin1ELi256ELi8EsljEEvNS_4cuda6detail10TensorInfoIT3_T5_EES6_S6_S6_NS4_IT4_S6_EES6_b,"axG",@progbits,_ZN2at6native18radixSortKVInPlaceILin2ELin1ELi256ELi8EsljEEvNS_4cuda6detail10TensorInfoIT3_T5_EES6_S6_S6_NS4_IT4_S6_EES6_b,comdat
.Lfunc_end161:
	.size	_ZN2at6native18radixSortKVInPlaceILin2ELin1ELi256ELi8EsljEEvNS_4cuda6detail10TensorInfoIT3_T5_EES6_S6_S6_NS4_IT4_S6_EES6_b, .Lfunc_end161-_ZN2at6native18radixSortKVInPlaceILin2ELin1ELi256ELi8EsljEEvNS_4cuda6detail10TensorInfoIT3_T5_EES6_S6_S6_NS4_IT4_S6_EES6_b
                                        ; -- End function
	.section	.AMDGPU.csdata,"",@progbits
; Kernel info:
; codeLenInByte = 20504
; NumSgprs: 58
; NumVgprs: 113
; NumAgprs: 0
; TotalNumVgprs: 113
; ScratchSize: 0
; MemoryBound: 0
; FloatMode: 240
; IeeeMode: 1
; LDSByteSize: 16896 bytes/workgroup (compile time only)
; SGPRBlocks: 7
; VGPRBlocks: 14
; NumSGPRsForWavesPerEU: 58
; NumVGPRsForWavesPerEU: 113
; AccumOffset: 116
; Occupancy: 3
; WaveLimiterHint : 1
; COMPUTE_PGM_RSRC2:SCRATCH_EN: 0
; COMPUTE_PGM_RSRC2:USER_SGPR: 6
; COMPUTE_PGM_RSRC2:TRAP_HANDLER: 0
; COMPUTE_PGM_RSRC2:TGID_X_EN: 1
; COMPUTE_PGM_RSRC2:TGID_Y_EN: 1
; COMPUTE_PGM_RSRC2:TGID_Z_EN: 1
; COMPUTE_PGM_RSRC2:TIDIG_COMP_CNT: 2
; COMPUTE_PGM_RSRC3_GFX90A:ACCUM_OFFSET: 28
; COMPUTE_PGM_RSRC3_GFX90A:TG_SPLIT: 0
	.section	.text._ZN2at6native18radixSortKVInPlaceILin2ELin1ELi128ELi8EsljEEvNS_4cuda6detail10TensorInfoIT3_T5_EES6_S6_S6_NS4_IT4_S6_EES6_b,"axG",@progbits,_ZN2at6native18radixSortKVInPlaceILin2ELin1ELi128ELi8EsljEEvNS_4cuda6detail10TensorInfoIT3_T5_EES6_S6_S6_NS4_IT4_S6_EES6_b,comdat
	.protected	_ZN2at6native18radixSortKVInPlaceILin2ELin1ELi128ELi8EsljEEvNS_4cuda6detail10TensorInfoIT3_T5_EES6_S6_S6_NS4_IT4_S6_EES6_b ; -- Begin function _ZN2at6native18radixSortKVInPlaceILin2ELin1ELi128ELi8EsljEEvNS_4cuda6detail10TensorInfoIT3_T5_EES6_S6_S6_NS4_IT4_S6_EES6_b
	.globl	_ZN2at6native18radixSortKVInPlaceILin2ELin1ELi128ELi8EsljEEvNS_4cuda6detail10TensorInfoIT3_T5_EES6_S6_S6_NS4_IT4_S6_EES6_b
	.p2align	8
	.type	_ZN2at6native18radixSortKVInPlaceILin2ELin1ELi128ELi8EsljEEvNS_4cuda6detail10TensorInfoIT3_T5_EES6_S6_S6_NS4_IT4_S6_EES6_b,@function
_ZN2at6native18radixSortKVInPlaceILin2ELin1ELi128ELi8EsljEEvNS_4cuda6detail10TensorInfoIT3_T5_EES6_S6_S6_NS4_IT4_S6_EES6_b: ; @_ZN2at6native18radixSortKVInPlaceILin2ELin1ELi128ELi8EsljEEvNS_4cuda6detail10TensorInfoIT3_T5_EES6_S6_S6_NS4_IT4_S6_EES6_b
; %bb.0:
	s_load_dwordx2 s[0:1], s[4:5], 0x1c8
	s_load_dwordx4 s[44:47], s[4:5], 0xd8
	s_add_u32 s50, s4, 0x1c8
	s_addc_u32 s51, s5, 0
	s_waitcnt lgkmcnt(0)
	s_mul_i32 s1, s1, s8
	s_add_i32 s1, s1, s7
	s_mul_i32 s0, s1, s0
	s_add_i32 s6, s0, s6
	s_cmp_ge_u32 s6, s44
	s_cbranch_scc1 .LBB162_146
; %bb.1:
	s_load_dword s2, s[4:5], 0x1b8
	s_load_dwordx2 s[0:1], s[4:5], 0x0
	s_add_u32 s14, s4, 0xe8
	s_addc_u32 s15, s5, 0
	s_mov_b32 s17, 0
	s_waitcnt lgkmcnt(0)
	s_cmp_lt_i32 s2, 2
	s_mov_b32 s16, s6
	s_cbranch_scc1 .LBB162_4
; %bb.2:
	s_add_i32 s16, s2, -1
	s_add_i32 s7, s2, 1
	s_lshl_b64 s[2:3], s[16:17], 2
	s_add_u32 s2, s2, s14
	s_addc_u32 s3, s3, s15
	s_add_u32 s2, s2, 8
	s_addc_u32 s3, s3, 0
	s_mov_b32 s16, s6
.LBB162_3:                              ; =>This Inner Loop Header: Depth=1
	s_load_dword s8, s[2:3], 0x0
	s_load_dword s10, s[2:3], 0x64
	s_mov_b32 s9, s16
	s_waitcnt lgkmcnt(0)
	v_cvt_f32_u32_e32 v1, s8
	s_sub_i32 s11, 0, s8
	v_rcp_iflag_f32_e32 v1, v1
	v_mul_f32_e32 v1, 0x4f7ffffe, v1
	v_cvt_u32_f32_e32 v1, v1
	v_readfirstlane_b32 s12, v1
	s_mul_i32 s11, s11, s12
	s_mul_hi_u32 s11, s12, s11
	s_add_i32 s12, s12, s11
	s_mul_hi_u32 s11, s16, s12
	s_mul_i32 s12, s11, s8
	s_sub_i32 s12, s16, s12
	s_add_i32 s13, s11, 1
	s_sub_i32 s16, s12, s8
	s_cmp_ge_u32 s12, s8
	s_cselect_b32 s11, s13, s11
	s_cselect_b32 s12, s16, s12
	s_add_i32 s13, s11, 1
	s_cmp_ge_u32 s12, s8
	s_cselect_b32 s16, s13, s11
	s_mul_i32 s8, s16, s8
	s_sub_i32 s8, s9, s8
	s_mul_i32 s8, s10, s8
	s_add_i32 s7, s7, -1
	s_add_i32 s17, s8, s17
	s_add_u32 s2, s2, -4
	s_addc_u32 s3, s3, -1
	s_cmp_gt_u32 s7, 2
	s_cbranch_scc1 .LBB162_3
.LBB162_4:
	s_load_dword s2, s[4:5], 0x6c
	s_load_dwordx2 s[48:49], s[4:5], 0x1c0
	s_mov_b32 s3, 0
	v_and_b32_e32 v46, 0x3ff, v0
	v_mul_lo_u32 v42, v46, s46
	s_waitcnt lgkmcnt(0)
	s_mul_i32 s2, s2, s6
	s_bitcmp1_b32 s49, 0
	s_cselect_b64 s[34:35], -1, 0
	s_mov_b32 s6, 0x8000
	s_and_b64 s[4:5], s[34:35], exec
	s_cselect_b32 s8, s6, 0x7fff
	s_pack_ll_b32_b16 s4, s8, s8
	s_lshl_b64 s[2:3], s[2:3], 1
	s_mov_b32 s5, s4
	s_add_u32 s33, s0, s2
	s_mov_b32 s6, s4
	s_mov_b32 s7, s4
	v_pk_mov_b32 v[2:3], s[4:5], s[4:5] op_sel:[0,1]
	s_addc_u32 s44, s1, s3
	v_cmp_gt_u32_e64 s[0:1], s45, v46
	v_pk_mov_b32 v[4:5], s[6:7], s[6:7] op_sel:[0,1]
	v_mov_b32_e32 v6, s8
	s_and_saveexec_b64 s[2:3], s[0:1]
	s_cbranch_execz .LBB162_6
; %bb.5:
	v_mov_b32_e32 v43, 0
	v_lshlrev_b64 v[2:3], 1, v[42:43]
	v_mov_b32_e32 v1, s44
	v_add_co_u32_e32 v2, vcc, s33, v2
	v_addc_co_u32_e32 v3, vcc, v1, v3, vcc
	global_load_ushort v6, v[2:3], off
	s_mov_b32 s5, 0xffff
	v_mov_b32_e32 v1, s4
	v_mov_b32_e32 v3, s4
	;; [unrolled: 1-line block ×4, first 2 shown]
	s_waitcnt vmcnt(0)
	v_bfi_b32 v2, s5, v6, v1
.LBB162_6:
	s_or_b64 exec, exec, s[2:3]
	v_add_u32_e32 v1, 0x80, v46
	v_cmp_gt_u32_e64 s[2:3], s45, v1
	s_and_saveexec_b64 s[4:5], s[2:3]
	s_cbranch_execz .LBB162_8
; %bb.7:
	v_mul_lo_u32 v8, v1, s46
	v_mov_b32_e32 v9, 0
	v_lshlrev_b64 v[8:9], 1, v[8:9]
	v_mov_b32_e32 v7, s44
	v_add_co_u32_e32 v8, vcc, s33, v8
	v_addc_co_u32_e32 v9, vcc, v7, v9, vcc
	global_load_ushort v7, v[8:9], off
	s_mov_b32 s6, 0x5040100
	s_waitcnt vmcnt(0)
	v_perm_b32 v2, v7, v2, s6
.LBB162_8:
	s_or_b64 exec, exec, s[4:5]
	v_add_u32_e32 v22, 0x100, v46
	v_cmp_gt_u32_e64 s[4:5], s45, v22
	s_and_saveexec_b64 s[6:7], s[4:5]
	s_cbranch_execz .LBB162_10
; %bb.9:
	v_mul_lo_u32 v8, v22, s46
	v_mov_b32_e32 v9, 0
	v_lshlrev_b64 v[8:9], 1, v[8:9]
	v_mov_b32_e32 v7, s44
	v_add_co_u32_e32 v8, vcc, s33, v8
	v_addc_co_u32_e32 v9, vcc, v7, v9, vcc
	global_load_ushort v7, v[8:9], off
	s_mov_b32 s8, 0xffff
	s_waitcnt vmcnt(0)
	v_bfi_b32 v3, s8, v7, v3
.LBB162_10:
	s_or_b64 exec, exec, s[6:7]
	v_add_u32_e32 v23, 0x180, v46
	v_cmp_gt_u32_e64 s[6:7], s45, v23
	s_and_saveexec_b64 s[8:9], s[6:7]
	s_cbranch_execz .LBB162_12
; %bb.11:
	v_mul_lo_u32 v8, v23, s46
	v_mov_b32_e32 v9, 0
	v_lshlrev_b64 v[8:9], 1, v[8:9]
	v_mov_b32_e32 v7, s44
	v_add_co_u32_e32 v8, vcc, s33, v8
	v_addc_co_u32_e32 v9, vcc, v7, v9, vcc
	global_load_ushort v7, v[8:9], off
	s_mov_b32 s10, 0x5040100
	s_waitcnt vmcnt(0)
	v_perm_b32 v3, v7, v3, s10
.LBB162_12:
	s_or_b64 exec, exec, s[8:9]
	v_add_u32_e32 v24, 0x200, v46
	v_cmp_gt_u32_e64 s[8:9], s45, v24
	s_and_saveexec_b64 s[10:11], s[8:9]
	s_cbranch_execz .LBB162_14
; %bb.13:
	v_mul_lo_u32 v8, v24, s46
	v_mov_b32_e32 v9, 0
	v_lshlrev_b64 v[8:9], 1, v[8:9]
	v_mov_b32_e32 v7, s44
	v_add_co_u32_e32 v8, vcc, s33, v8
	v_addc_co_u32_e32 v9, vcc, v7, v9, vcc
	global_load_ushort v7, v[8:9], off
	s_mov_b32 s12, 0xffff
	s_waitcnt vmcnt(0)
	v_bfi_b32 v4, s12, v7, v4
.LBB162_14:
	s_or_b64 exec, exec, s[10:11]
	v_add_u32_e32 v25, 0x280, v46
	v_cmp_gt_u32_e64 s[10:11], s45, v25
	s_and_saveexec_b64 s[12:13], s[10:11]
	s_cbranch_execz .LBB162_16
; %bb.15:
	v_mul_lo_u32 v8, v25, s46
	v_mov_b32_e32 v9, 0
	v_lshlrev_b64 v[8:9], 1, v[8:9]
	v_mov_b32_e32 v7, s44
	v_add_co_u32_e32 v8, vcc, s33, v8
	v_addc_co_u32_e32 v9, vcc, v7, v9, vcc
	global_load_ushort v7, v[8:9], off
	s_mov_b32 s18, 0x5040100
	s_waitcnt vmcnt(0)
	v_perm_b32 v4, v7, v4, s18
.LBB162_16:
	s_or_b64 exec, exec, s[12:13]
	s_load_dwordx2 s[18:19], s[14:15], 0x0
	v_add_u32_e32 v26, 0x300, v46
	v_cmp_gt_u32_e64 s[12:13], s45, v26
	s_and_saveexec_b64 s[20:21], s[12:13]
	s_cbranch_execz .LBB162_18
; %bb.17:
	v_mul_lo_u32 v8, v26, s46
	v_mov_b32_e32 v9, 0
	v_lshlrev_b64 v[8:9], 1, v[8:9]
	v_mov_b32_e32 v7, s44
	v_add_co_u32_e32 v8, vcc, s33, v8
	v_addc_co_u32_e32 v9, vcc, v7, v9, vcc
	global_load_ushort v7, v[8:9], off
	s_mov_b32 s22, 0xffff
	s_waitcnt vmcnt(0)
	v_bfi_b32 v5, s22, v7, v5
.LBB162_18:
	s_or_b64 exec, exec, s[20:21]
	s_load_dword s22, s[14:15], 0x6c
	v_add_u32_e32 v27, 0x380, v46
	v_cmp_gt_u32_e64 s[14:15], s45, v27
	s_and_saveexec_b64 s[20:21], s[14:15]
	s_cbranch_execz .LBB162_20
; %bb.19:
	v_mul_lo_u32 v8, v27, s46
	v_mov_b32_e32 v9, 0
	v_lshlrev_b64 v[8:9], 1, v[8:9]
	v_mov_b32_e32 v7, s44
	v_add_co_u32_e32 v8, vcc, s33, v8
	v_addc_co_u32_e32 v9, vcc, v7, v9, vcc
	global_load_ushort v7, v[8:9], off
	s_mov_b32 s23, 0x5040100
	s_waitcnt vmcnt(0)
	v_perm_b32 v5, v7, v5, s23
.LBB162_20:
	s_or_b64 exec, exec, s[20:21]
	v_lshrrev_b32_e32 v36, 5, v46
	v_and_b32_e32 v7, 30, v36
	v_add_lshl_u32 v47, v7, v46, 1
	v_lshrrev_b32_e32 v35, 5, v1
	ds_write_b16 v47, v6
	v_and_b32_e32 v6, 62, v35
	v_add_lshl_u32 v43, v6, v46, 1
	v_lshrrev_b32_e32 v34, 5, v22
	ds_write_b16_d16_hi v43, v2 offset:256
	v_and_b32_e32 v2, 62, v34
	v_lshrrev_b32_e32 v33, 5, v23
	v_add_lshl_u32 v48, v2, v46, 1
	v_and_b32_e32 v2, 62, v33
	v_lshrrev_b32_e32 v32, 5, v24
	v_add_lshl_u32 v49, v2, v46, 1
	;; [unrolled: 3-line block ×6, first 2 shown]
	v_lshlrev_b32_e32 v62, 3, v46
	v_and_b32_e32 v2, 0xfe, v30
	s_waitcnt lgkmcnt(0)
	s_mul_i32 s16, s22, s16
	v_add_lshl_u32 v54, v2, v62, 1
	s_add_i32 s16, s16, s17
	s_mov_b32 s17, 0
	ds_write_b16 v48, v3 offset:512
	ds_write_b16_d16_hi v49, v3 offset:768
	ds_write_b16 v50, v4 offset:1024
	ds_write_b16_d16_hi v51, v4 offset:1280
	;; [unrolled: 2-line block ×3, first 2 shown]
	s_waitcnt lgkmcnt(0)
	s_barrier
	ds_read_b128 v[18:21], v54
	s_lshl_b64 s[20:21], s[16:17], 3
	s_add_u32 s45, s18, s20
	s_mov_b32 s16, s17
	s_addc_u32 s47, s19, s21
	s_mov_b32 s18, s17
	s_mov_b32 s19, s17
	;; [unrolled: 1-line block ×14, first 2 shown]
	v_pk_mov_b32 v[2:3], s[16:17], s[16:17] op_sel:[0,1]
	v_pk_mov_b32 v[4:5], s[18:19], s[18:19] op_sel:[0,1]
	;; [unrolled: 1-line block ×8, first 2 shown]
	v_pk_mov_b32 v[2:3], 0, 0
	v_mul_lo_u32 v44, v46, s48
	s_waitcnt lgkmcnt(0)
	s_barrier
	s_and_saveexec_b64 s[16:17], s[0:1]
	s_cbranch_execnz .LBB162_75
; %bb.21:
	s_or_b64 exec, exec, s[16:17]
	s_and_saveexec_b64 s[16:17], s[2:3]
	s_cbranch_execnz .LBB162_76
.LBB162_22:
	s_or_b64 exec, exec, s[16:17]
	s_and_saveexec_b64 s[16:17], s[4:5]
	s_cbranch_execnz .LBB162_77
.LBB162_23:
	s_or_b64 exec, exec, s[16:17]
	s_and_saveexec_b64 s[16:17], s[6:7]
	s_cbranch_execnz .LBB162_78
.LBB162_24:
	s_or_b64 exec, exec, s[16:17]
	s_and_saveexec_b64 s[16:17], s[8:9]
	s_cbranch_execnz .LBB162_79
.LBB162_25:
	s_or_b64 exec, exec, s[16:17]
	s_and_saveexec_b64 s[16:17], s[10:11]
	s_cbranch_execnz .LBB162_80
.LBB162_26:
	s_or_b64 exec, exec, s[16:17]
	s_and_saveexec_b64 s[16:17], s[12:13]
	s_cbranch_execnz .LBB162_81
.LBB162_27:
	s_or_b64 exec, exec, s[16:17]
	s_xor_b64 s[16:17], s[34:35], -1
	s_and_saveexec_b64 s[18:19], s[14:15]
	s_cbranch_execz .LBB162_29
.LBB162_28:
	v_mul_lo_u32 v16, v27, s48
	v_mov_b32_e32 v17, 0
	v_lshlrev_b64 v[16:17], 3, v[16:17]
	v_mov_b32_e32 v1, s47
	v_add_co_u32_e32 v16, vcc, s45, v16
	v_addc_co_u32_e32 v17, vcc, v1, v17, vcc
	global_load_dwordx2 v[16:17], v[16:17], off
.LBB162_29:
	s_or_b64 exec, exec, s[18:19]
	v_add_lshl_u32 v55, v36, v46, 3
	v_add_lshl_u32 v45, v35, v46, 3
	v_add_lshl_u32 v56, v34, v46, 3
	v_add_lshl_u32 v57, v33, v46, 3
	v_add_lshl_u32 v58, v32, v46, 3
	v_add_lshl_u32 v59, v31, v46, 3
	v_add_lshl_u32 v60, v29, v46, 3
	v_add_lshl_u32 v61, v28, v46, 3
	v_add_lshl_u32 v63, v30, v62, 3
	s_waitcnt vmcnt(0)
	ds_write_b64 v55, v[2:3]
	ds_write_b64 v45, v[4:5] offset:1024
	ds_write_b64 v56, v[6:7] offset:2048
	;; [unrolled: 1-line block ×7, first 2 shown]
	s_waitcnt lgkmcnt(0)
	s_barrier
	ds_read2_b64 v[14:17], v63 offset1:1
	ds_read2_b64 v[10:13], v63 offset0:2 offset1:3
	ds_read2_b64 v[6:9], v63 offset0:4 offset1:5
	ds_read2_b64 v[2:5], v63 offset0:6 offset1:7
	v_mbcnt_lo_u32_b32 v1, -1, 0
	v_mbcnt_hi_u32_b32 v65, -1, v1
	v_and_b32_e32 v67, 0x3c0, v46
	v_add_u32_e32 v1, v65, v67
	v_and_b32_e32 v66, 0x1e00, v62
	v_lshlrev_b32_e32 v22, 3, v1
	v_lshlrev_b32_e32 v73, 4, v1
	v_or_b32_e32 v1, v65, v66
	v_lshlrev_b32_e32 v72, 1, v1
	s_and_b64 vcc, exec, s[16:17]
	v_bfe_u32 v68, v0, 10, 10
	v_bfe_u32 v69, v0, 20, 10
	v_lshlrev_b32_e32 v71, 3, v22
	v_lshlrev_b32_e32 v70, 3, v1
	;; [unrolled: 1-line block ×3, first 2 shown]
	s_waitcnt lgkmcnt(0)
	s_barrier
	s_cbranch_vccz .LBB162_82
; %bb.30:
	s_movk_i32 s16, 0x8000
	v_xor_b32_e32 v0, 0xffff8000, v18
	v_xor_b32_sdwa v1, v18, s16 dst_sel:DWORD dst_unused:UNUSED_PAD src0_sel:WORD_1 src1_sel:DWORD
	v_xor_b32_e32 v22, 0xffff8000, v19
	v_xor_b32_sdwa v23, v19, s16 dst_sel:DWORD dst_unused:UNUSED_PAD src0_sel:WORD_1 src1_sel:DWORD
	;; [unrolled: 2-line block ×4, first 2 shown]
	s_mov_b32 s16, 0x5040100
	v_perm_b32 v25, v27, v25, s16
	v_perm_b32 v24, v26, v24, s16
	;; [unrolled: 1-line block ×4, first 2 shown]
	ds_write_b128 v73, v[22:25]
	; wave barrier
	ds_read_u16 v84, v72
	ds_read_u16 v83, v72 offset:128
	ds_read_u16 v82, v72 offset:256
	;; [unrolled: 1-line block ×7, first 2 shown]
	s_waitcnt lgkmcnt(0)
	s_barrier
	ds_write2_b64 v71, v[14:15], v[16:17] offset1:1
	ds_write2_b64 v71, v[10:11], v[12:13] offset0:2 offset1:3
	ds_write2_b64 v71, v[6:7], v[8:9] offset0:4 offset1:5
	;; [unrolled: 1-line block ×3, first 2 shown]
	; wave barrier
	ds_read2st64_b64 v[34:37], v70 offset1:1
	ds_read2st64_b64 v[30:33], v70 offset0:2 offset1:3
	ds_read2st64_b64 v[26:29], v70 offset0:4 offset1:5
	;; [unrolled: 1-line block ×3, first 2 shown]
	s_waitcnt lgkmcnt(0)
	s_barrier
	s_load_dword s18, s[50:51], 0xc
	s_getpc_b64 s[16:17]
	s_add_u32 s16, s16, _ZN7rocprim17ROCPRIM_400000_NS16block_radix_sortIsLj128ELj8ElLj1ELj1ELj0ELNS0_26block_radix_rank_algorithmE1ELNS0_18block_padding_hintE2ELNS0_4arch9wavefront6targetE1EE19radix_bits_per_passE@rel32@lo+4
	s_addc_u32 s17, s17, _ZN7rocprim17ROCPRIM_400000_NS16block_radix_sortIsLj128ELj8ElLj1ELj1ELj0ELNS0_26block_radix_rank_algorithmE1ELNS0_18block_padding_hintE2ELNS0_4arch9wavefront6targetE1EE19radix_bits_per_passE@rel32@hi+12
	s_load_dword s40, s[16:17], 0x0
	s_waitcnt lgkmcnt(0)
	s_lshr_b32 s16, s18, 16
	s_and_b32 s17, s18, 0xffff
	v_mad_u32_u24 v0, v69, s16, v68
	v_mad_u64_u32 v[0:1], s[16:17], v0, s17, v[46:47]
	s_min_u32 s16, s40, 16
	s_lshl_b32 s16, -1, s16
	s_not_b32 s18, s16
	v_and_b32_sdwa v38, s18, v84 dst_sel:DWORD dst_unused:UNUSED_PAD src0_sel:DWORD src1_sel:WORD_0
	v_lshrrev_b32_e32 v74, 6, v0
	v_lshlrev_b32_e32 v1, 1, v38
	v_add_lshl_u32 v87, v74, v1, 2
	v_and_b32_e32 v1, 1, v38
	v_add_co_u32_e32 v39, vcc, -1, v1
	v_addc_co_u32_e64 v40, s[16:17], 0, -1, vcc
	v_cmp_ne_u32_e32 vcc, 0, v1
	v_xor_b32_e32 v1, vcc_hi, v40
	v_mov_b32_e32 v0, 0
	v_and_b32_e32 v40, exec_hi, v1
	v_lshlrev_b32_e32 v1, 30, v38
	v_xor_b32_e32 v39, vcc_lo, v39
	v_cmp_gt_i64_e32 vcc, 0, v[0:1]
	v_not_b32_e32 v1, v1
	v_ashrrev_i32_e32 v1, 31, v1
	v_and_b32_e32 v39, exec_lo, v39
	v_xor_b32_e32 v41, vcc_hi, v1
	v_xor_b32_e32 v1, vcc_lo, v1
	v_and_b32_e32 v39, v39, v1
	v_lshlrev_b32_e32 v1, 29, v38
	v_cmp_gt_i64_e32 vcc, 0, v[0:1]
	v_not_b32_e32 v1, v1
	v_ashrrev_i32_e32 v1, 31, v1
	v_and_b32_e32 v40, v40, v41
	v_xor_b32_e32 v41, vcc_hi, v1
	v_xor_b32_e32 v1, vcc_lo, v1
	v_and_b32_e32 v39, v39, v1
	v_lshlrev_b32_e32 v1, 28, v38
	v_cmp_gt_i64_e32 vcc, 0, v[0:1]
	v_not_b32_e32 v1, v1
	v_ashrrev_i32_e32 v1, 31, v1
	v_and_b32_e32 v40, v40, v41
	v_xor_b32_e32 v41, vcc_hi, v1
	v_xor_b32_e32 v1, vcc_lo, v1
	v_and_b32_e32 v39, v39, v1
	v_lshlrev_b32_e32 v1, 27, v38
	v_cmp_gt_i64_e32 vcc, 0, v[0:1]
	v_not_b32_e32 v1, v1
	v_ashrrev_i32_e32 v1, 31, v1
	v_and_b32_e32 v40, v40, v41
	v_xor_b32_e32 v41, vcc_hi, v1
	v_xor_b32_e32 v1, vcc_lo, v1
	v_and_b32_e32 v39, v39, v1
	v_lshlrev_b32_e32 v1, 26, v38
	v_cmp_gt_i64_e32 vcc, 0, v[0:1]
	v_not_b32_e32 v1, v1
	v_ashrrev_i32_e32 v1, 31, v1
	v_and_b32_e32 v40, v40, v41
	v_xor_b32_e32 v41, vcc_hi, v1
	v_xor_b32_e32 v1, vcc_lo, v1
	v_and_b32_e32 v39, v39, v1
	v_lshlrev_b32_e32 v1, 25, v38
	v_cmp_gt_i64_e32 vcc, 0, v[0:1]
	v_not_b32_e32 v1, v1
	v_ashrrev_i32_e32 v1, 31, v1
	v_and_b32_e32 v40, v40, v41
	v_xor_b32_e32 v41, vcc_hi, v1
	v_xor_b32_e32 v1, vcc_lo, v1
	v_and_b32_e32 v40, v40, v41
	v_and_b32_e32 v41, v39, v1
	v_lshlrev_b32_e32 v1, 24, v38
	v_cmp_gt_i64_e32 vcc, 0, v[0:1]
	v_not_b32_e32 v1, v1
	v_ashrrev_i32_e32 v1, 31, v1
	v_xor_b32_e32 v38, vcc_hi, v1
	v_xor_b32_e32 v1, vcc_lo, v1
	v_and_b32_e32 v39, v40, v38
	v_and_b32_e32 v38, v41, v1
	v_mbcnt_lo_u32_b32 v1, v38, 0
	v_mbcnt_hi_u32_b32 v88, v39, v1
	v_cmp_eq_u32_e32 vcc, 0, v88
	v_cmp_ne_u64_e64 s[16:17], 0, v[38:39]
	s_and_b64 s[20:21], s[16:17], vcc
	ds_write2_b32 v64, v0, v0 offset0:2 offset1:3
	ds_write2_b32 v64, v0, v0 offset0:4 offset1:5
	s_waitcnt lgkmcnt(0)
	s_barrier
	s_waitcnt lgkmcnt(0)
	; wave barrier
	s_and_saveexec_b64 s[16:17], s[20:21]
	s_cbranch_execz .LBB162_32
; %bb.31:
	v_bcnt_u32_b32 v1, v38, 0
	v_bcnt_u32_b32 v1, v39, v1
	ds_write_b32 v87, v1 offset:8
.LBB162_32:
	s_or_b64 exec, exec, s[16:17]
	v_and_b32_sdwa v38, s18, v83 dst_sel:DWORD dst_unused:UNUSED_PAD src0_sel:DWORD src1_sel:WORD_0
	v_lshlrev_b32_e32 v1, 1, v38
	v_add_lshl_u32 v90, v74, v1, 2
	v_and_b32_e32 v1, 1, v38
	v_add_co_u32_e32 v39, vcc, -1, v1
	v_addc_co_u32_e64 v40, s[16:17], 0, -1, vcc
	v_cmp_ne_u32_e32 vcc, 0, v1
	v_xor_b32_e32 v1, vcc_hi, v40
	v_and_b32_e32 v40, exec_hi, v1
	v_lshlrev_b32_e32 v1, 30, v38
	v_xor_b32_e32 v39, vcc_lo, v39
	v_cmp_gt_i64_e32 vcc, 0, v[0:1]
	v_not_b32_e32 v1, v1
	v_ashrrev_i32_e32 v1, 31, v1
	v_and_b32_e32 v39, exec_lo, v39
	v_xor_b32_e32 v41, vcc_hi, v1
	v_xor_b32_e32 v1, vcc_lo, v1
	v_and_b32_e32 v39, v39, v1
	v_lshlrev_b32_e32 v1, 29, v38
	v_cmp_gt_i64_e32 vcc, 0, v[0:1]
	v_not_b32_e32 v1, v1
	v_ashrrev_i32_e32 v1, 31, v1
	v_and_b32_e32 v40, v40, v41
	v_xor_b32_e32 v41, vcc_hi, v1
	v_xor_b32_e32 v1, vcc_lo, v1
	v_and_b32_e32 v39, v39, v1
	v_lshlrev_b32_e32 v1, 28, v38
	v_cmp_gt_i64_e32 vcc, 0, v[0:1]
	v_not_b32_e32 v1, v1
	v_ashrrev_i32_e32 v1, 31, v1
	v_and_b32_e32 v40, v40, v41
	v_xor_b32_e32 v41, vcc_hi, v1
	v_xor_b32_e32 v1, vcc_lo, v1
	v_and_b32_e32 v39, v39, v1
	v_lshlrev_b32_e32 v1, 27, v38
	v_cmp_gt_i64_e32 vcc, 0, v[0:1]
	v_not_b32_e32 v1, v1
	v_ashrrev_i32_e32 v1, 31, v1
	v_and_b32_e32 v40, v40, v41
	v_xor_b32_e32 v41, vcc_hi, v1
	v_xor_b32_e32 v1, vcc_lo, v1
	v_and_b32_e32 v39, v39, v1
	v_lshlrev_b32_e32 v1, 26, v38
	v_cmp_gt_i64_e32 vcc, 0, v[0:1]
	v_not_b32_e32 v1, v1
	v_ashrrev_i32_e32 v1, 31, v1
	v_and_b32_e32 v40, v40, v41
	v_xor_b32_e32 v41, vcc_hi, v1
	v_xor_b32_e32 v1, vcc_lo, v1
	v_and_b32_e32 v39, v39, v1
	v_lshlrev_b32_e32 v1, 25, v38
	v_cmp_gt_i64_e32 vcc, 0, v[0:1]
	v_not_b32_e32 v1, v1
	v_ashrrev_i32_e32 v1, 31, v1
	v_and_b32_e32 v40, v40, v41
	v_xor_b32_e32 v41, vcc_hi, v1
	v_xor_b32_e32 v1, vcc_lo, v1
	v_and_b32_e32 v39, v39, v1
	v_lshlrev_b32_e32 v1, 24, v38
	v_cmp_gt_i64_e32 vcc, 0, v[0:1]
	v_not_b32_e32 v0, v1
	v_ashrrev_i32_e32 v0, 31, v0
	v_xor_b32_e32 v1, vcc_hi, v0
	v_xor_b32_e32 v0, vcc_lo, v0
	; wave barrier
	ds_read_b32 v89, v90 offset:8
	v_and_b32_e32 v40, v40, v41
	v_and_b32_e32 v0, v39, v0
	;; [unrolled: 1-line block ×3, first 2 shown]
	v_mbcnt_lo_u32_b32 v38, v0, 0
	v_mbcnt_hi_u32_b32 v91, v1, v38
	v_cmp_eq_u32_e32 vcc, 0, v91
	v_cmp_ne_u64_e64 s[16:17], 0, v[0:1]
	s_and_b64 s[20:21], s[16:17], vcc
	; wave barrier
	s_and_saveexec_b64 s[16:17], s[20:21]
	s_cbranch_execz .LBB162_34
; %bb.33:
	v_bcnt_u32_b32 v0, v0, 0
	v_bcnt_u32_b32 v0, v1, v0
	s_waitcnt lgkmcnt(0)
	v_add_u32_e32 v0, v89, v0
	ds_write_b32 v90, v0 offset:8
.LBB162_34:
	s_or_b64 exec, exec, s[16:17]
	v_and_b32_sdwa v38, s18, v82 dst_sel:DWORD dst_unused:UNUSED_PAD src0_sel:DWORD src1_sel:WORD_0
	v_and_b32_e32 v1, 1, v38
	v_add_co_u32_e32 v39, vcc, -1, v1
	v_addc_co_u32_e64 v40, s[16:17], 0, -1, vcc
	v_cmp_ne_u32_e32 vcc, 0, v1
	v_lshlrev_b32_e32 v0, 1, v38
	v_xor_b32_e32 v1, vcc_hi, v40
	v_add_lshl_u32 v93, v74, v0, 2
	v_mov_b32_e32 v0, 0
	v_and_b32_e32 v40, exec_hi, v1
	v_lshlrev_b32_e32 v1, 30, v38
	v_xor_b32_e32 v39, vcc_lo, v39
	v_cmp_gt_i64_e32 vcc, 0, v[0:1]
	v_not_b32_e32 v1, v1
	v_ashrrev_i32_e32 v1, 31, v1
	v_and_b32_e32 v39, exec_lo, v39
	v_xor_b32_e32 v41, vcc_hi, v1
	v_xor_b32_e32 v1, vcc_lo, v1
	v_and_b32_e32 v39, v39, v1
	v_lshlrev_b32_e32 v1, 29, v38
	v_cmp_gt_i64_e32 vcc, 0, v[0:1]
	v_not_b32_e32 v1, v1
	v_ashrrev_i32_e32 v1, 31, v1
	v_and_b32_e32 v40, v40, v41
	v_xor_b32_e32 v41, vcc_hi, v1
	v_xor_b32_e32 v1, vcc_lo, v1
	v_and_b32_e32 v39, v39, v1
	v_lshlrev_b32_e32 v1, 28, v38
	v_cmp_gt_i64_e32 vcc, 0, v[0:1]
	v_not_b32_e32 v1, v1
	v_ashrrev_i32_e32 v1, 31, v1
	v_and_b32_e32 v40, v40, v41
	;; [unrolled: 8-line block ×5, first 2 shown]
	v_xor_b32_e32 v41, vcc_hi, v1
	v_xor_b32_e32 v1, vcc_lo, v1
	v_and_b32_e32 v40, v40, v41
	v_and_b32_e32 v41, v39, v1
	v_lshlrev_b32_e32 v1, 24, v38
	v_cmp_gt_i64_e32 vcc, 0, v[0:1]
	v_not_b32_e32 v1, v1
	v_ashrrev_i32_e32 v1, 31, v1
	v_xor_b32_e32 v38, vcc_hi, v1
	v_xor_b32_e32 v1, vcc_lo, v1
	; wave barrier
	ds_read_b32 v92, v93 offset:8
	v_and_b32_e32 v39, v40, v38
	v_and_b32_e32 v38, v41, v1
	v_mbcnt_lo_u32_b32 v1, v38, 0
	v_mbcnt_hi_u32_b32 v94, v39, v1
	v_cmp_eq_u32_e32 vcc, 0, v94
	v_cmp_ne_u64_e64 s[16:17], 0, v[38:39]
	s_and_b64 s[20:21], s[16:17], vcc
	; wave barrier
	s_and_saveexec_b64 s[16:17], s[20:21]
	s_cbranch_execz .LBB162_36
; %bb.35:
	v_bcnt_u32_b32 v1, v38, 0
	v_bcnt_u32_b32 v1, v39, v1
	s_waitcnt lgkmcnt(0)
	v_add_u32_e32 v1, v92, v1
	ds_write_b32 v93, v1 offset:8
.LBB162_36:
	s_or_b64 exec, exec, s[16:17]
	v_and_b32_sdwa v38, s18, v81 dst_sel:DWORD dst_unused:UNUSED_PAD src0_sel:DWORD src1_sel:WORD_0
	v_lshlrev_b32_e32 v1, 1, v38
	v_add_lshl_u32 v96, v74, v1, 2
	v_and_b32_e32 v1, 1, v38
	v_add_co_u32_e32 v39, vcc, -1, v1
	v_addc_co_u32_e64 v40, s[16:17], 0, -1, vcc
	v_cmp_ne_u32_e32 vcc, 0, v1
	v_xor_b32_e32 v1, vcc_hi, v40
	v_and_b32_e32 v40, exec_hi, v1
	v_lshlrev_b32_e32 v1, 30, v38
	v_xor_b32_e32 v39, vcc_lo, v39
	v_cmp_gt_i64_e32 vcc, 0, v[0:1]
	v_not_b32_e32 v1, v1
	v_ashrrev_i32_e32 v1, 31, v1
	v_and_b32_e32 v39, exec_lo, v39
	v_xor_b32_e32 v41, vcc_hi, v1
	v_xor_b32_e32 v1, vcc_lo, v1
	v_and_b32_e32 v39, v39, v1
	v_lshlrev_b32_e32 v1, 29, v38
	v_cmp_gt_i64_e32 vcc, 0, v[0:1]
	v_not_b32_e32 v1, v1
	v_ashrrev_i32_e32 v1, 31, v1
	v_and_b32_e32 v40, v40, v41
	v_xor_b32_e32 v41, vcc_hi, v1
	v_xor_b32_e32 v1, vcc_lo, v1
	v_and_b32_e32 v39, v39, v1
	v_lshlrev_b32_e32 v1, 28, v38
	v_cmp_gt_i64_e32 vcc, 0, v[0:1]
	v_not_b32_e32 v1, v1
	v_ashrrev_i32_e32 v1, 31, v1
	v_and_b32_e32 v40, v40, v41
	;; [unrolled: 8-line block ×5, first 2 shown]
	v_xor_b32_e32 v41, vcc_hi, v1
	v_xor_b32_e32 v1, vcc_lo, v1
	v_and_b32_e32 v39, v39, v1
	v_lshlrev_b32_e32 v1, 24, v38
	v_cmp_gt_i64_e32 vcc, 0, v[0:1]
	v_not_b32_e32 v0, v1
	v_ashrrev_i32_e32 v0, 31, v0
	v_xor_b32_e32 v1, vcc_hi, v0
	v_xor_b32_e32 v0, vcc_lo, v0
	; wave barrier
	ds_read_b32 v95, v96 offset:8
	v_and_b32_e32 v40, v40, v41
	v_and_b32_e32 v0, v39, v0
	;; [unrolled: 1-line block ×3, first 2 shown]
	v_mbcnt_lo_u32_b32 v38, v0, 0
	v_mbcnt_hi_u32_b32 v97, v1, v38
	v_cmp_eq_u32_e32 vcc, 0, v97
	v_cmp_ne_u64_e64 s[16:17], 0, v[0:1]
	s_and_b64 s[20:21], s[16:17], vcc
	; wave barrier
	s_and_saveexec_b64 s[16:17], s[20:21]
	s_cbranch_execz .LBB162_38
; %bb.37:
	v_bcnt_u32_b32 v0, v0, 0
	v_bcnt_u32_b32 v0, v1, v0
	s_waitcnt lgkmcnt(0)
	v_add_u32_e32 v0, v95, v0
	ds_write_b32 v96, v0 offset:8
.LBB162_38:
	s_or_b64 exec, exec, s[16:17]
	v_and_b32_sdwa v38, s18, v80 dst_sel:DWORD dst_unused:UNUSED_PAD src0_sel:DWORD src1_sel:WORD_0
	v_and_b32_e32 v1, 1, v38
	v_add_co_u32_e32 v39, vcc, -1, v1
	v_addc_co_u32_e64 v40, s[16:17], 0, -1, vcc
	v_cmp_ne_u32_e32 vcc, 0, v1
	v_lshlrev_b32_e32 v0, 1, v38
	v_xor_b32_e32 v1, vcc_hi, v40
	v_add_lshl_u32 v99, v74, v0, 2
	v_mov_b32_e32 v0, 0
	v_and_b32_e32 v40, exec_hi, v1
	v_lshlrev_b32_e32 v1, 30, v38
	v_xor_b32_e32 v39, vcc_lo, v39
	v_cmp_gt_i64_e32 vcc, 0, v[0:1]
	v_not_b32_e32 v1, v1
	v_ashrrev_i32_e32 v1, 31, v1
	v_and_b32_e32 v39, exec_lo, v39
	v_xor_b32_e32 v41, vcc_hi, v1
	v_xor_b32_e32 v1, vcc_lo, v1
	v_and_b32_e32 v39, v39, v1
	v_lshlrev_b32_e32 v1, 29, v38
	v_cmp_gt_i64_e32 vcc, 0, v[0:1]
	v_not_b32_e32 v1, v1
	v_ashrrev_i32_e32 v1, 31, v1
	v_and_b32_e32 v40, v40, v41
	v_xor_b32_e32 v41, vcc_hi, v1
	v_xor_b32_e32 v1, vcc_lo, v1
	v_and_b32_e32 v39, v39, v1
	v_lshlrev_b32_e32 v1, 28, v38
	v_cmp_gt_i64_e32 vcc, 0, v[0:1]
	v_not_b32_e32 v1, v1
	v_ashrrev_i32_e32 v1, 31, v1
	v_and_b32_e32 v40, v40, v41
	v_xor_b32_e32 v41, vcc_hi, v1
	v_xor_b32_e32 v1, vcc_lo, v1
	v_and_b32_e32 v39, v39, v1
	v_lshlrev_b32_e32 v1, 27, v38
	v_cmp_gt_i64_e32 vcc, 0, v[0:1]
	v_not_b32_e32 v1, v1
	v_ashrrev_i32_e32 v1, 31, v1
	v_and_b32_e32 v40, v40, v41
	v_xor_b32_e32 v41, vcc_hi, v1
	v_xor_b32_e32 v1, vcc_lo, v1
	v_and_b32_e32 v39, v39, v1
	v_lshlrev_b32_e32 v1, 26, v38
	v_cmp_gt_i64_e32 vcc, 0, v[0:1]
	v_not_b32_e32 v1, v1
	v_ashrrev_i32_e32 v1, 31, v1
	v_and_b32_e32 v40, v40, v41
	v_xor_b32_e32 v41, vcc_hi, v1
	v_xor_b32_e32 v1, vcc_lo, v1
	v_and_b32_e32 v39, v39, v1
	v_lshlrev_b32_e32 v1, 25, v38
	v_cmp_gt_i64_e32 vcc, 0, v[0:1]
	v_not_b32_e32 v1, v1
	v_ashrrev_i32_e32 v1, 31, v1
	v_and_b32_e32 v40, v40, v41
	v_xor_b32_e32 v41, vcc_hi, v1
	v_xor_b32_e32 v1, vcc_lo, v1
	v_and_b32_e32 v40, v40, v41
	v_and_b32_e32 v41, v39, v1
	v_lshlrev_b32_e32 v1, 24, v38
	v_cmp_gt_i64_e32 vcc, 0, v[0:1]
	v_not_b32_e32 v1, v1
	v_ashrrev_i32_e32 v1, 31, v1
	v_xor_b32_e32 v38, vcc_hi, v1
	v_xor_b32_e32 v1, vcc_lo, v1
	; wave barrier
	ds_read_b32 v98, v99 offset:8
	v_and_b32_e32 v39, v40, v38
	v_and_b32_e32 v38, v41, v1
	v_mbcnt_lo_u32_b32 v1, v38, 0
	v_mbcnt_hi_u32_b32 v100, v39, v1
	v_cmp_eq_u32_e32 vcc, 0, v100
	v_cmp_ne_u64_e64 s[16:17], 0, v[38:39]
	s_and_b64 s[20:21], s[16:17], vcc
	; wave barrier
	s_and_saveexec_b64 s[16:17], s[20:21]
	s_cbranch_execz .LBB162_40
; %bb.39:
	v_bcnt_u32_b32 v1, v38, 0
	v_bcnt_u32_b32 v1, v39, v1
	s_waitcnt lgkmcnt(0)
	v_add_u32_e32 v1, v98, v1
	ds_write_b32 v99, v1 offset:8
.LBB162_40:
	s_or_b64 exec, exec, s[16:17]
	v_and_b32_sdwa v38, s18, v79 dst_sel:DWORD dst_unused:UNUSED_PAD src0_sel:DWORD src1_sel:WORD_0
	v_lshlrev_b32_e32 v1, 1, v38
	v_add_lshl_u32 v102, v74, v1, 2
	v_and_b32_e32 v1, 1, v38
	v_add_co_u32_e32 v39, vcc, -1, v1
	v_addc_co_u32_e64 v40, s[16:17], 0, -1, vcc
	v_cmp_ne_u32_e32 vcc, 0, v1
	v_xor_b32_e32 v1, vcc_hi, v40
	v_and_b32_e32 v40, exec_hi, v1
	v_lshlrev_b32_e32 v1, 30, v38
	v_xor_b32_e32 v39, vcc_lo, v39
	v_cmp_gt_i64_e32 vcc, 0, v[0:1]
	v_not_b32_e32 v1, v1
	v_ashrrev_i32_e32 v1, 31, v1
	v_and_b32_e32 v39, exec_lo, v39
	v_xor_b32_e32 v41, vcc_hi, v1
	v_xor_b32_e32 v1, vcc_lo, v1
	v_and_b32_e32 v39, v39, v1
	v_lshlrev_b32_e32 v1, 29, v38
	v_cmp_gt_i64_e32 vcc, 0, v[0:1]
	v_not_b32_e32 v1, v1
	v_ashrrev_i32_e32 v1, 31, v1
	v_and_b32_e32 v40, v40, v41
	v_xor_b32_e32 v41, vcc_hi, v1
	v_xor_b32_e32 v1, vcc_lo, v1
	v_and_b32_e32 v39, v39, v1
	v_lshlrev_b32_e32 v1, 28, v38
	v_cmp_gt_i64_e32 vcc, 0, v[0:1]
	v_not_b32_e32 v1, v1
	v_ashrrev_i32_e32 v1, 31, v1
	v_and_b32_e32 v40, v40, v41
	v_xor_b32_e32 v41, vcc_hi, v1
	v_xor_b32_e32 v1, vcc_lo, v1
	v_and_b32_e32 v39, v39, v1
	v_lshlrev_b32_e32 v1, 27, v38
	v_cmp_gt_i64_e32 vcc, 0, v[0:1]
	v_not_b32_e32 v1, v1
	v_ashrrev_i32_e32 v1, 31, v1
	v_and_b32_e32 v40, v40, v41
	v_xor_b32_e32 v41, vcc_hi, v1
	v_xor_b32_e32 v1, vcc_lo, v1
	v_and_b32_e32 v39, v39, v1
	v_lshlrev_b32_e32 v1, 26, v38
	v_cmp_gt_i64_e32 vcc, 0, v[0:1]
	v_not_b32_e32 v1, v1
	v_ashrrev_i32_e32 v1, 31, v1
	v_and_b32_e32 v40, v40, v41
	v_xor_b32_e32 v41, vcc_hi, v1
	v_xor_b32_e32 v1, vcc_lo, v1
	v_and_b32_e32 v39, v39, v1
	v_lshlrev_b32_e32 v1, 25, v38
	v_cmp_gt_i64_e32 vcc, 0, v[0:1]
	v_not_b32_e32 v1, v1
	v_ashrrev_i32_e32 v1, 31, v1
	v_and_b32_e32 v40, v40, v41
	v_xor_b32_e32 v41, vcc_hi, v1
	v_xor_b32_e32 v1, vcc_lo, v1
	v_and_b32_e32 v39, v39, v1
	v_lshlrev_b32_e32 v1, 24, v38
	v_cmp_gt_i64_e32 vcc, 0, v[0:1]
	v_not_b32_e32 v0, v1
	v_ashrrev_i32_e32 v0, 31, v0
	v_xor_b32_e32 v1, vcc_hi, v0
	v_xor_b32_e32 v0, vcc_lo, v0
	; wave barrier
	ds_read_b32 v101, v102 offset:8
	v_and_b32_e32 v40, v40, v41
	v_and_b32_e32 v0, v39, v0
	;; [unrolled: 1-line block ×3, first 2 shown]
	v_mbcnt_lo_u32_b32 v38, v0, 0
	v_mbcnt_hi_u32_b32 v103, v1, v38
	v_cmp_eq_u32_e32 vcc, 0, v103
	v_cmp_ne_u64_e64 s[16:17], 0, v[0:1]
	s_and_b64 s[20:21], s[16:17], vcc
	; wave barrier
	s_and_saveexec_b64 s[16:17], s[20:21]
	s_cbranch_execz .LBB162_42
; %bb.41:
	v_bcnt_u32_b32 v0, v0, 0
	v_bcnt_u32_b32 v0, v1, v0
	s_waitcnt lgkmcnt(0)
	v_add_u32_e32 v0, v101, v0
	ds_write_b32 v102, v0 offset:8
.LBB162_42:
	s_or_b64 exec, exec, s[16:17]
	v_and_b32_sdwa v38, s18, v78 dst_sel:DWORD dst_unused:UNUSED_PAD src0_sel:DWORD src1_sel:WORD_0
	v_and_b32_e32 v1, 1, v38
	v_add_co_u32_e32 v39, vcc, -1, v1
	v_addc_co_u32_e64 v40, s[16:17], 0, -1, vcc
	v_cmp_ne_u32_e32 vcc, 0, v1
	v_lshlrev_b32_e32 v0, 1, v38
	v_xor_b32_e32 v1, vcc_hi, v40
	v_add_lshl_u32 v105, v74, v0, 2
	v_mov_b32_e32 v0, 0
	v_and_b32_e32 v40, exec_hi, v1
	v_lshlrev_b32_e32 v1, 30, v38
	v_xor_b32_e32 v39, vcc_lo, v39
	v_cmp_gt_i64_e32 vcc, 0, v[0:1]
	v_not_b32_e32 v1, v1
	v_ashrrev_i32_e32 v1, 31, v1
	v_and_b32_e32 v39, exec_lo, v39
	v_xor_b32_e32 v41, vcc_hi, v1
	v_xor_b32_e32 v1, vcc_lo, v1
	v_and_b32_e32 v39, v39, v1
	v_lshlrev_b32_e32 v1, 29, v38
	v_cmp_gt_i64_e32 vcc, 0, v[0:1]
	v_not_b32_e32 v1, v1
	v_ashrrev_i32_e32 v1, 31, v1
	v_and_b32_e32 v40, v40, v41
	v_xor_b32_e32 v41, vcc_hi, v1
	v_xor_b32_e32 v1, vcc_lo, v1
	v_and_b32_e32 v39, v39, v1
	v_lshlrev_b32_e32 v1, 28, v38
	v_cmp_gt_i64_e32 vcc, 0, v[0:1]
	v_not_b32_e32 v1, v1
	v_ashrrev_i32_e32 v1, 31, v1
	v_and_b32_e32 v40, v40, v41
	;; [unrolled: 8-line block ×5, first 2 shown]
	v_xor_b32_e32 v41, vcc_hi, v1
	v_xor_b32_e32 v1, vcc_lo, v1
	v_and_b32_e32 v40, v40, v41
	v_and_b32_e32 v41, v39, v1
	v_lshlrev_b32_e32 v1, 24, v38
	v_cmp_gt_i64_e32 vcc, 0, v[0:1]
	v_not_b32_e32 v1, v1
	v_ashrrev_i32_e32 v1, 31, v1
	v_xor_b32_e32 v38, vcc_hi, v1
	v_xor_b32_e32 v1, vcc_lo, v1
	; wave barrier
	ds_read_b32 v104, v105 offset:8
	v_and_b32_e32 v39, v40, v38
	v_and_b32_e32 v38, v41, v1
	v_mbcnt_lo_u32_b32 v1, v38, 0
	v_mbcnt_hi_u32_b32 v106, v39, v1
	v_cmp_eq_u32_e32 vcc, 0, v106
	v_cmp_ne_u64_e64 s[16:17], 0, v[38:39]
	s_and_b64 s[20:21], s[16:17], vcc
	; wave barrier
	s_and_saveexec_b64 s[16:17], s[20:21]
	s_cbranch_execz .LBB162_44
; %bb.43:
	v_bcnt_u32_b32 v1, v38, 0
	v_bcnt_u32_b32 v1, v39, v1
	s_waitcnt lgkmcnt(0)
	v_add_u32_e32 v1, v104, v1
	ds_write_b32 v105, v1 offset:8
.LBB162_44:
	s_or_b64 exec, exec, s[16:17]
	v_and_b32_sdwa v38, s18, v77 dst_sel:DWORD dst_unused:UNUSED_PAD src0_sel:DWORD src1_sel:WORD_0
	v_lshlrev_b32_e32 v1, 1, v38
	v_add_lshl_u32 v108, v74, v1, 2
	v_and_b32_e32 v1, 1, v38
	v_add_co_u32_e32 v39, vcc, -1, v1
	v_addc_co_u32_e64 v40, s[16:17], 0, -1, vcc
	v_cmp_ne_u32_e32 vcc, 0, v1
	v_xor_b32_e32 v1, vcc_hi, v40
	v_and_b32_e32 v40, exec_hi, v1
	v_lshlrev_b32_e32 v1, 30, v38
	v_xor_b32_e32 v39, vcc_lo, v39
	v_cmp_gt_i64_e32 vcc, 0, v[0:1]
	v_not_b32_e32 v1, v1
	v_ashrrev_i32_e32 v1, 31, v1
	v_and_b32_e32 v39, exec_lo, v39
	v_xor_b32_e32 v41, vcc_hi, v1
	v_xor_b32_e32 v1, vcc_lo, v1
	v_and_b32_e32 v39, v39, v1
	v_lshlrev_b32_e32 v1, 29, v38
	v_cmp_gt_i64_e32 vcc, 0, v[0:1]
	v_not_b32_e32 v1, v1
	v_ashrrev_i32_e32 v1, 31, v1
	v_and_b32_e32 v40, v40, v41
	v_xor_b32_e32 v41, vcc_hi, v1
	v_xor_b32_e32 v1, vcc_lo, v1
	v_and_b32_e32 v39, v39, v1
	v_lshlrev_b32_e32 v1, 28, v38
	v_cmp_gt_i64_e32 vcc, 0, v[0:1]
	v_not_b32_e32 v1, v1
	v_ashrrev_i32_e32 v1, 31, v1
	v_and_b32_e32 v40, v40, v41
	;; [unrolled: 8-line block ×5, first 2 shown]
	v_xor_b32_e32 v41, vcc_hi, v1
	v_xor_b32_e32 v1, vcc_lo, v1
	v_and_b32_e32 v39, v39, v1
	v_lshlrev_b32_e32 v1, 24, v38
	v_cmp_gt_i64_e32 vcc, 0, v[0:1]
	v_not_b32_e32 v0, v1
	v_ashrrev_i32_e32 v0, 31, v0
	v_xor_b32_e32 v1, vcc_hi, v0
	v_xor_b32_e32 v0, vcc_lo, v0
	; wave barrier
	ds_read_b32 v107, v108 offset:8
	v_and_b32_e32 v40, v40, v41
	v_and_b32_e32 v0, v39, v0
	;; [unrolled: 1-line block ×3, first 2 shown]
	v_mbcnt_lo_u32_b32 v38, v0, 0
	v_mbcnt_hi_u32_b32 v109, v1, v38
	v_cmp_eq_u32_e32 vcc, 0, v109
	v_cmp_ne_u64_e64 s[16:17], 0, v[0:1]
	v_or_b32_e32 v75, 8, v64
	v_lshrrev_b32_e32 v76, 6, v46
	v_min_u32_e32 v85, 64, v67
	s_and_b64 s[18:19], s[16:17], vcc
	; wave barrier
	s_and_saveexec_b64 s[16:17], s[18:19]
	s_cbranch_execz .LBB162_46
; %bb.45:
	v_bcnt_u32_b32 v0, v0, 0
	v_bcnt_u32_b32 v0, v1, v0
	s_waitcnt lgkmcnt(0)
	v_add_u32_e32 v0, v107, v0
	ds_write_b32 v108, v0 offset:8
.LBB162_46:
	s_or_b64 exec, exec, s[16:17]
	; wave barrier
	s_waitcnt lgkmcnt(0)
	s_barrier
	ds_read2_b32 v[38:39], v64 offset0:2 offset1:3
	ds_read2_b32 v[40:41], v75 offset0:2 offset1:3
	v_and_b32_e32 v1, 16, v65
	v_cmp_eq_u32_e32 vcc, 0, v1
	v_or_b32_e32 v1, 63, v85
	v_cmp_eq_u32_e64 s[16:17], v1, v46
	s_waitcnt lgkmcnt(1)
	v_add_u32_e32 v1, v39, v38
	v_and_b32_e32 v0, 15, v65
	s_waitcnt lgkmcnt(0)
	v_add3_u32 v1, v1, v40, v41
	v_cmp_eq_u32_e64 s[20:21], 0, v0
	v_cmp_lt_u32_e64 s[22:23], 1, v0
	v_mov_b32_dpp v41, v1 row_shr:1 row_mask:0xf bank_mask:0xf
	v_cndmask_b32_e64 v41, v41, 0, s[20:21]
	v_add_u32_e32 v1, v41, v1
	v_cmp_lt_u32_e64 s[26:27], 3, v0
	v_cmp_lt_u32_e64 s[28:29], 7, v0
	v_mov_b32_dpp v41, v1 row_shr:2 row_mask:0xf bank_mask:0xf
	v_cndmask_b32_e64 v41, 0, v41, s[22:23]
	v_add_u32_e32 v1, v1, v41
	v_bfe_i32 v86, v65, 4, 1
	v_cmp_lt_u32_e64 s[34:35], 31, v65
	v_mov_b32_dpp v41, v1 row_shr:4 row_mask:0xf bank_mask:0xf
	v_cndmask_b32_e64 v41, 0, v41, s[26:27]
	v_add_u32_e32 v1, v1, v41
	v_lshlrev_b32_e32 v76, 2, v76
	s_nop 0
	v_mov_b32_dpp v41, v1 row_shr:8 row_mask:0xf bank_mask:0xf
	v_cndmask_b32_e64 v0, 0, v41, s[28:29]
	v_add_u32_e32 v0, v1, v0
	s_nop 1
	v_mov_b32_dpp v1, v0 row_bcast:15 row_mask:0xf bank_mask:0xf
	v_and_b32_e32 v1, v86, v1
	v_add_u32_e32 v0, v0, v1
	s_nop 1
	v_mov_b32_dpp v1, v0 row_bcast:31 row_mask:0xf bank_mask:0xf
	v_cndmask_b32_e64 v1, 0, v1, s[34:35]
	v_add_u32_e32 v1, v0, v1
	s_and_saveexec_b64 s[18:19], s[16:17]
	s_cbranch_execz .LBB162_48
; %bb.47:
	ds_write_b32 v76, v1
.LBB162_48:
	s_or_b64 exec, exec, s[18:19]
	v_and_b32_e32 v0, 1, v65
	v_cmp_gt_u32_e64 s[24:25], 2, v46
	v_lshlrev_b32_e32 v41, 2, v46
	v_cmp_eq_u32_e64 s[18:19], 0, v0
	s_waitcnt lgkmcnt(0)
	s_barrier
	s_and_saveexec_b64 s[30:31], s[24:25]
	s_cbranch_execz .LBB162_50
; %bb.49:
	ds_read_b32 v0, v41
	s_waitcnt lgkmcnt(0)
	s_nop 0
	v_mov_b32_dpp v85, v0 row_shr:1 row_mask:0xf bank_mask:0xf
	v_cndmask_b32_e64 v85, v85, 0, s[18:19]
	v_add_u32_e32 v0, v85, v0
	ds_write_b32 v41, v0
.LBB162_50:
	s_or_b64 exec, exec, s[30:31]
	v_cmp_lt_u32_e64 s[30:31], 63, v46
	v_add_u32_e32 v85, -4, v76
	v_mov_b32_e32 v0, 0
	v_mov_b32_e32 v110, 0
	s_waitcnt lgkmcnt(0)
	s_barrier
	s_and_saveexec_b64 s[36:37], s[30:31]
	s_cbranch_execz .LBB162_52
; %bb.51:
	ds_read_b32 v110, v85
.LBB162_52:
	s_or_b64 exec, exec, s[36:37]
	v_add_u32_e32 v86, -1, v65
	v_and_b32_e32 v111, 64, v65
	v_cmp_lt_i32_e64 s[36:37], v86, v111
	v_cndmask_b32_e64 v86, v86, v65, s[36:37]
	v_lshlrev_b32_e32 v86, 2, v86
	s_waitcnt lgkmcnt(0)
	v_add_u32_e32 v1, v110, v1
	ds_bpermute_b32 v1, v86, v1
	v_cmp_eq_u32_e64 s[36:37], 0, v65
	v_cmp_eq_u32_e64 s[38:39], 0, v46
	v_and_or_b32 v111, v65, 63, v66
	v_lshlrev_b32_e32 v112, 1, v111
	s_waitcnt lgkmcnt(0)
	v_cndmask_b32_e64 v1, v1, v110, s[36:37]
	v_cndmask_b32_e64 v1, v1, 0, s[38:39]
	v_add_u32_e32 v38, v1, v38
	v_add_u32_e32 v39, v38, v39
	;; [unrolled: 1-line block ×3, first 2 shown]
	ds_write2_b32 v64, v1, v38 offset0:2 offset1:3
	ds_write2_b32 v75, v39, v40 offset0:2 offset1:3
	s_waitcnt lgkmcnt(0)
	s_barrier
	ds_read_b32 v1, v87 offset:8
	ds_read_b32 v38, v90 offset:8
	;; [unrolled: 1-line block ×8, first 2 shown]
	s_waitcnt lgkmcnt(7)
	v_add_u32_e32 v1, v1, v88
	s_waitcnt lgkmcnt(6)
	v_add3_u32 v38, v91, v89, v38
	s_waitcnt lgkmcnt(4)
	v_add3_u32 v88, v97, v95, v40
	v_lshlrev_b32_e32 v40, 1, v1
	v_add3_u32 v39, v94, v92, v39
	s_waitcnt lgkmcnt(0)
	s_barrier
	ds_write_b16 v40, v84
	v_lshlrev_b32_e32 v40, 1, v38
	ds_write_b16 v40, v83
	v_lshlrev_b32_e32 v40, 1, v39
	v_add3_u32 v87, v100, v98, v87
	ds_write_b16 v40, v82
	v_lshlrev_b32_e32 v40, 1, v88
	v_add3_u32 v89, v103, v101, v90
	;; [unrolled: 3-line block ×4, first 2 shown]
	ds_write_b16 v40, v79
	v_lshlrev_b32_e32 v40, 1, v90
	ds_write_b16 v40, v78
	v_lshlrev_b32_e32 v40, 1, v91
	v_lshlrev_b32_e32 v1, 3, v1
	ds_write_b16 v40, v77
	s_waitcnt lgkmcnt(0)
	s_barrier
	ds_read_u16 v83, v112
	ds_read_u16 v82, v112 offset:128
	ds_read_u16 v81, v112 offset:256
	;; [unrolled: 1-line block ×7, first 2 shown]
	s_waitcnt lgkmcnt(0)
	s_barrier
	ds_write_b64 v1, v[34:35]
	v_lshlrev_b32_e32 v1, 3, v38
	ds_write_b64 v1, v[36:37]
	v_lshlrev_b32_e32 v1, 3, v39
	;; [unrolled: 2-line block ×4, first 2 shown]
	s_min_u32 s40, s40, 8
	ds_write_b64 v1, v[26:27]
	v_lshlrev_b32_e32 v1, 3, v89
	s_lshl_b32 s40, -1, s40
	ds_write_b64 v1, v[28:29]
	v_lshlrev_b32_e32 v1, 3, v90
	s_not_b32 s49, s40
	ds_write_b64 v1, v[22:23]
	v_lshlrev_b32_e32 v1, 3, v91
	v_and_b32_sdwa v38, v83, s49 dst_sel:DWORD dst_unused:UNUSED_PAD src0_sel:BYTE_1 src1_sel:DWORD
	ds_write_b64 v1, v[24:25]
	v_lshlrev_b32_e32 v1, 1, v38
	v_add_lshl_u32 v84, v1, v74, 2
	v_and_b32_e32 v1, 1, v38
	v_add_co_u32_e64 v39, s[40:41], -1, v1
	v_addc_co_u32_e64 v87, s[40:41], 0, -1, s[40:41]
	v_cmp_ne_u32_e64 s[40:41], 0, v1
	v_xor_b32_e32 v1, s41, v87
	v_and_b32_e32 v87, exec_hi, v1
	v_lshlrev_b32_e32 v1, 30, v38
	v_xor_b32_e32 v39, s40, v39
	v_cmp_gt_i64_e64 s[40:41], 0, v[0:1]
	v_not_b32_e32 v1, v1
	v_ashrrev_i32_e32 v1, 31, v1
	v_and_b32_e32 v39, exec_lo, v39
	v_xor_b32_e32 v88, s41, v1
	v_xor_b32_e32 v1, s40, v1
	v_and_b32_e32 v39, v39, v1
	v_lshlrev_b32_e32 v1, 29, v38
	v_cmp_gt_i64_e64 s[40:41], 0, v[0:1]
	v_not_b32_e32 v1, v1
	v_ashrrev_i32_e32 v1, 31, v1
	v_and_b32_e32 v87, v87, v88
	v_xor_b32_e32 v88, s41, v1
	v_xor_b32_e32 v1, s40, v1
	v_and_b32_e32 v39, v39, v1
	v_lshlrev_b32_e32 v1, 28, v38
	v_cmp_gt_i64_e64 s[40:41], 0, v[0:1]
	v_not_b32_e32 v1, v1
	v_ashrrev_i32_e32 v1, 31, v1
	v_and_b32_e32 v87, v87, v88
	v_xor_b32_e32 v88, s41, v1
	v_xor_b32_e32 v1, s40, v1
	v_and_b32_e32 v39, v39, v1
	v_lshlrev_b32_e32 v1, 27, v38
	v_cmp_gt_i64_e64 s[40:41], 0, v[0:1]
	v_not_b32_e32 v1, v1
	v_ashrrev_i32_e32 v1, 31, v1
	v_and_b32_e32 v87, v87, v88
	v_xor_b32_e32 v88, s41, v1
	v_xor_b32_e32 v1, s40, v1
	v_and_b32_e32 v39, v39, v1
	v_lshlrev_b32_e32 v1, 26, v38
	v_cmp_gt_i64_e64 s[40:41], 0, v[0:1]
	v_not_b32_e32 v1, v1
	v_ashrrev_i32_e32 v1, 31, v1
	v_and_b32_e32 v87, v87, v88
	v_xor_b32_e32 v88, s41, v1
	v_xor_b32_e32 v1, s40, v1
	v_and_b32_e32 v39, v39, v1
	v_lshlrev_b32_e32 v1, 25, v38
	v_cmp_gt_i64_e64 s[40:41], 0, v[0:1]
	v_not_b32_e32 v1, v1
	v_ashrrev_i32_e32 v1, 31, v1
	v_and_b32_e32 v87, v87, v88
	v_xor_b32_e32 v88, s41, v1
	v_xor_b32_e32 v1, s40, v1
	v_lshlrev_b32_e32 v111, 3, v111
	v_and_b32_e32 v39, v39, v1
	v_lshlrev_b32_e32 v1, 24, v38
	s_waitcnt lgkmcnt(0)
	s_barrier
	ds_read2st64_b64 v[34:37], v111 offset1:1
	ds_read2st64_b64 v[30:33], v111 offset0:2 offset1:3
	ds_read2st64_b64 v[26:29], v111 offset0:4 offset1:5
	;; [unrolled: 1-line block ×3, first 2 shown]
	s_waitcnt lgkmcnt(0)
	s_barrier
	ds_write2_b32 v64, v0, v0 offset0:2 offset1:3
	ds_write2_b32 v75, v0, v0 offset0:2 offset1:3
	v_cmp_gt_i64_e64 s[40:41], 0, v[0:1]
	v_not_b32_e32 v0, v1
	v_ashrrev_i32_e32 v0, 31, v0
	v_xor_b32_e32 v1, s41, v0
	v_xor_b32_e32 v0, s40, v0
	v_and_b32_e32 v87, v87, v88
	v_and_b32_e32 v0, v39, v0
	;; [unrolled: 1-line block ×3, first 2 shown]
	v_mbcnt_lo_u32_b32 v38, v0, 0
	v_mbcnt_hi_u32_b32 v87, v1, v38
	v_cmp_eq_u32_e64 s[40:41], 0, v87
	v_cmp_ne_u64_e64 s[42:43], 0, v[0:1]
	s_and_b64 s[42:43], s[42:43], s[40:41]
	s_waitcnt lgkmcnt(0)
	s_barrier
	s_waitcnt lgkmcnt(0)
	; wave barrier
	s_and_saveexec_b64 s[40:41], s[42:43]
	s_cbranch_execz .LBB162_54
; %bb.53:
	v_bcnt_u32_b32 v0, v0, 0
	v_bcnt_u32_b32 v0, v1, v0
	ds_write_b32 v84, v0 offset:8
.LBB162_54:
	s_or_b64 exec, exec, s[40:41]
	v_and_b32_sdwa v38, v82, s49 dst_sel:DWORD dst_unused:UNUSED_PAD src0_sel:BYTE_1 src1_sel:DWORD
	v_and_b32_e32 v1, 1, v38
	v_add_co_u32_e64 v39, s[40:41], -1, v1
	v_addc_co_u32_e64 v90, s[40:41], 0, -1, s[40:41]
	v_cmp_ne_u32_e64 s[40:41], 0, v1
	v_lshlrev_b32_e32 v0, 1, v38
	v_xor_b32_e32 v1, s41, v90
	v_add_lshl_u32 v89, v0, v74, 2
	v_mov_b32_e32 v0, 0
	v_and_b32_e32 v90, exec_hi, v1
	v_lshlrev_b32_e32 v1, 30, v38
	v_xor_b32_e32 v39, s40, v39
	v_cmp_gt_i64_e64 s[40:41], 0, v[0:1]
	v_not_b32_e32 v1, v1
	v_ashrrev_i32_e32 v1, 31, v1
	v_and_b32_e32 v39, exec_lo, v39
	v_xor_b32_e32 v91, s41, v1
	v_xor_b32_e32 v1, s40, v1
	v_and_b32_e32 v39, v39, v1
	v_lshlrev_b32_e32 v1, 29, v38
	v_cmp_gt_i64_e64 s[40:41], 0, v[0:1]
	v_not_b32_e32 v1, v1
	v_ashrrev_i32_e32 v1, 31, v1
	v_and_b32_e32 v90, v90, v91
	v_xor_b32_e32 v91, s41, v1
	v_xor_b32_e32 v1, s40, v1
	v_and_b32_e32 v39, v39, v1
	v_lshlrev_b32_e32 v1, 28, v38
	v_cmp_gt_i64_e64 s[40:41], 0, v[0:1]
	v_not_b32_e32 v1, v1
	v_ashrrev_i32_e32 v1, 31, v1
	v_and_b32_e32 v90, v90, v91
	;; [unrolled: 8-line block ×5, first 2 shown]
	v_xor_b32_e32 v91, s41, v1
	v_xor_b32_e32 v1, s40, v1
	v_and_b32_e32 v90, v90, v91
	v_and_b32_e32 v91, v39, v1
	v_lshlrev_b32_e32 v1, 24, v38
	v_cmp_gt_i64_e64 s[40:41], 0, v[0:1]
	v_not_b32_e32 v1, v1
	v_ashrrev_i32_e32 v1, 31, v1
	v_xor_b32_e32 v38, s41, v1
	v_xor_b32_e32 v1, s40, v1
	; wave barrier
	ds_read_b32 v88, v89 offset:8
	v_and_b32_e32 v39, v90, v38
	v_and_b32_e32 v38, v91, v1
	v_mbcnt_lo_u32_b32 v1, v38, 0
	v_mbcnt_hi_u32_b32 v90, v39, v1
	v_cmp_eq_u32_e64 s[40:41], 0, v90
	v_cmp_ne_u64_e64 s[42:43], 0, v[38:39]
	s_and_b64 s[42:43], s[42:43], s[40:41]
	; wave barrier
	s_and_saveexec_b64 s[40:41], s[42:43]
	s_cbranch_execz .LBB162_56
; %bb.55:
	v_bcnt_u32_b32 v1, v38, 0
	v_bcnt_u32_b32 v1, v39, v1
	s_waitcnt lgkmcnt(0)
	v_add_u32_e32 v1, v88, v1
	ds_write_b32 v89, v1 offset:8
.LBB162_56:
	s_or_b64 exec, exec, s[40:41]
	v_and_b32_sdwa v38, v81, s49 dst_sel:DWORD dst_unused:UNUSED_PAD src0_sel:BYTE_1 src1_sel:DWORD
	v_lshlrev_b32_e32 v1, 1, v38
	v_add_lshl_u32 v92, v1, v74, 2
	v_and_b32_e32 v1, 1, v38
	v_add_co_u32_e64 v39, s[40:41], -1, v1
	v_addc_co_u32_e64 v93, s[40:41], 0, -1, s[40:41]
	v_cmp_ne_u32_e64 s[40:41], 0, v1
	v_xor_b32_e32 v1, s41, v93
	v_and_b32_e32 v93, exec_hi, v1
	v_lshlrev_b32_e32 v1, 30, v38
	v_xor_b32_e32 v39, s40, v39
	v_cmp_gt_i64_e64 s[40:41], 0, v[0:1]
	v_not_b32_e32 v1, v1
	v_ashrrev_i32_e32 v1, 31, v1
	v_and_b32_e32 v39, exec_lo, v39
	v_xor_b32_e32 v94, s41, v1
	v_xor_b32_e32 v1, s40, v1
	v_and_b32_e32 v39, v39, v1
	v_lshlrev_b32_e32 v1, 29, v38
	v_cmp_gt_i64_e64 s[40:41], 0, v[0:1]
	v_not_b32_e32 v1, v1
	v_ashrrev_i32_e32 v1, 31, v1
	v_and_b32_e32 v93, v93, v94
	v_xor_b32_e32 v94, s41, v1
	v_xor_b32_e32 v1, s40, v1
	v_and_b32_e32 v39, v39, v1
	v_lshlrev_b32_e32 v1, 28, v38
	v_cmp_gt_i64_e64 s[40:41], 0, v[0:1]
	v_not_b32_e32 v1, v1
	v_ashrrev_i32_e32 v1, 31, v1
	v_and_b32_e32 v93, v93, v94
	;; [unrolled: 8-line block ×5, first 2 shown]
	v_xor_b32_e32 v94, s41, v1
	v_xor_b32_e32 v1, s40, v1
	v_and_b32_e32 v39, v39, v1
	v_lshlrev_b32_e32 v1, 24, v38
	v_cmp_gt_i64_e64 s[40:41], 0, v[0:1]
	v_not_b32_e32 v0, v1
	v_ashrrev_i32_e32 v0, 31, v0
	v_xor_b32_e32 v1, s41, v0
	v_xor_b32_e32 v0, s40, v0
	; wave barrier
	ds_read_b32 v91, v92 offset:8
	v_and_b32_e32 v93, v93, v94
	v_and_b32_e32 v0, v39, v0
	;; [unrolled: 1-line block ×3, first 2 shown]
	v_mbcnt_lo_u32_b32 v38, v0, 0
	v_mbcnt_hi_u32_b32 v93, v1, v38
	v_cmp_eq_u32_e64 s[40:41], 0, v93
	v_cmp_ne_u64_e64 s[42:43], 0, v[0:1]
	s_and_b64 s[42:43], s[42:43], s[40:41]
	; wave barrier
	s_and_saveexec_b64 s[40:41], s[42:43]
	s_cbranch_execz .LBB162_58
; %bb.57:
	v_bcnt_u32_b32 v0, v0, 0
	v_bcnt_u32_b32 v0, v1, v0
	s_waitcnt lgkmcnt(0)
	v_add_u32_e32 v0, v91, v0
	ds_write_b32 v92, v0 offset:8
.LBB162_58:
	s_or_b64 exec, exec, s[40:41]
	v_and_b32_sdwa v38, v80, s49 dst_sel:DWORD dst_unused:UNUSED_PAD src0_sel:BYTE_1 src1_sel:DWORD
	v_and_b32_e32 v1, 1, v38
	v_add_co_u32_e64 v39, s[40:41], -1, v1
	v_addc_co_u32_e64 v96, s[40:41], 0, -1, s[40:41]
	v_cmp_ne_u32_e64 s[40:41], 0, v1
	v_lshlrev_b32_e32 v0, 1, v38
	v_xor_b32_e32 v1, s41, v96
	v_add_lshl_u32 v95, v0, v74, 2
	v_mov_b32_e32 v0, 0
	v_and_b32_e32 v96, exec_hi, v1
	v_lshlrev_b32_e32 v1, 30, v38
	v_xor_b32_e32 v39, s40, v39
	v_cmp_gt_i64_e64 s[40:41], 0, v[0:1]
	v_not_b32_e32 v1, v1
	v_ashrrev_i32_e32 v1, 31, v1
	v_and_b32_e32 v39, exec_lo, v39
	v_xor_b32_e32 v97, s41, v1
	v_xor_b32_e32 v1, s40, v1
	v_and_b32_e32 v39, v39, v1
	v_lshlrev_b32_e32 v1, 29, v38
	v_cmp_gt_i64_e64 s[40:41], 0, v[0:1]
	v_not_b32_e32 v1, v1
	v_ashrrev_i32_e32 v1, 31, v1
	v_and_b32_e32 v96, v96, v97
	v_xor_b32_e32 v97, s41, v1
	v_xor_b32_e32 v1, s40, v1
	v_and_b32_e32 v39, v39, v1
	v_lshlrev_b32_e32 v1, 28, v38
	v_cmp_gt_i64_e64 s[40:41], 0, v[0:1]
	v_not_b32_e32 v1, v1
	v_ashrrev_i32_e32 v1, 31, v1
	v_and_b32_e32 v96, v96, v97
	;; [unrolled: 8-line block ×5, first 2 shown]
	v_xor_b32_e32 v97, s41, v1
	v_xor_b32_e32 v1, s40, v1
	v_and_b32_e32 v96, v96, v97
	v_and_b32_e32 v97, v39, v1
	v_lshlrev_b32_e32 v1, 24, v38
	v_cmp_gt_i64_e64 s[40:41], 0, v[0:1]
	v_not_b32_e32 v1, v1
	v_ashrrev_i32_e32 v1, 31, v1
	v_xor_b32_e32 v38, s41, v1
	v_xor_b32_e32 v1, s40, v1
	; wave barrier
	ds_read_b32 v94, v95 offset:8
	v_and_b32_e32 v39, v96, v38
	v_and_b32_e32 v38, v97, v1
	v_mbcnt_lo_u32_b32 v1, v38, 0
	v_mbcnt_hi_u32_b32 v96, v39, v1
	v_cmp_eq_u32_e64 s[40:41], 0, v96
	v_cmp_ne_u64_e64 s[42:43], 0, v[38:39]
	s_and_b64 s[42:43], s[42:43], s[40:41]
	; wave barrier
	s_and_saveexec_b64 s[40:41], s[42:43]
	s_cbranch_execz .LBB162_60
; %bb.59:
	v_bcnt_u32_b32 v1, v38, 0
	v_bcnt_u32_b32 v1, v39, v1
	s_waitcnt lgkmcnt(0)
	v_add_u32_e32 v1, v94, v1
	ds_write_b32 v95, v1 offset:8
.LBB162_60:
	s_or_b64 exec, exec, s[40:41]
	v_and_b32_sdwa v38, v79, s49 dst_sel:DWORD dst_unused:UNUSED_PAD src0_sel:BYTE_1 src1_sel:DWORD
	v_lshlrev_b32_e32 v1, 1, v38
	v_add_lshl_u32 v98, v1, v74, 2
	v_and_b32_e32 v1, 1, v38
	v_add_co_u32_e64 v39, s[40:41], -1, v1
	v_addc_co_u32_e64 v99, s[40:41], 0, -1, s[40:41]
	v_cmp_ne_u32_e64 s[40:41], 0, v1
	v_xor_b32_e32 v1, s41, v99
	v_and_b32_e32 v99, exec_hi, v1
	v_lshlrev_b32_e32 v1, 30, v38
	v_xor_b32_e32 v39, s40, v39
	v_cmp_gt_i64_e64 s[40:41], 0, v[0:1]
	v_not_b32_e32 v1, v1
	v_ashrrev_i32_e32 v1, 31, v1
	v_and_b32_e32 v39, exec_lo, v39
	v_xor_b32_e32 v100, s41, v1
	v_xor_b32_e32 v1, s40, v1
	v_and_b32_e32 v39, v39, v1
	v_lshlrev_b32_e32 v1, 29, v38
	v_cmp_gt_i64_e64 s[40:41], 0, v[0:1]
	v_not_b32_e32 v1, v1
	v_ashrrev_i32_e32 v1, 31, v1
	v_and_b32_e32 v99, v99, v100
	v_xor_b32_e32 v100, s41, v1
	v_xor_b32_e32 v1, s40, v1
	v_and_b32_e32 v39, v39, v1
	v_lshlrev_b32_e32 v1, 28, v38
	v_cmp_gt_i64_e64 s[40:41], 0, v[0:1]
	v_not_b32_e32 v1, v1
	v_ashrrev_i32_e32 v1, 31, v1
	v_and_b32_e32 v99, v99, v100
	;; [unrolled: 8-line block ×5, first 2 shown]
	v_xor_b32_e32 v100, s41, v1
	v_xor_b32_e32 v1, s40, v1
	v_and_b32_e32 v39, v39, v1
	v_lshlrev_b32_e32 v1, 24, v38
	v_cmp_gt_i64_e64 s[40:41], 0, v[0:1]
	v_not_b32_e32 v0, v1
	v_ashrrev_i32_e32 v0, 31, v0
	v_xor_b32_e32 v1, s41, v0
	v_xor_b32_e32 v0, s40, v0
	; wave barrier
	ds_read_b32 v97, v98 offset:8
	v_and_b32_e32 v99, v99, v100
	v_and_b32_e32 v0, v39, v0
	v_and_b32_e32 v1, v99, v1
	v_mbcnt_lo_u32_b32 v38, v0, 0
	v_mbcnt_hi_u32_b32 v99, v1, v38
	v_cmp_eq_u32_e64 s[40:41], 0, v99
	v_cmp_ne_u64_e64 s[42:43], 0, v[0:1]
	s_and_b64 s[42:43], s[42:43], s[40:41]
	; wave barrier
	s_and_saveexec_b64 s[40:41], s[42:43]
	s_cbranch_execz .LBB162_62
; %bb.61:
	v_bcnt_u32_b32 v0, v0, 0
	v_bcnt_u32_b32 v0, v1, v0
	s_waitcnt lgkmcnt(0)
	v_add_u32_e32 v0, v97, v0
	ds_write_b32 v98, v0 offset:8
.LBB162_62:
	s_or_b64 exec, exec, s[40:41]
	v_and_b32_sdwa v38, v78, s49 dst_sel:DWORD dst_unused:UNUSED_PAD src0_sel:BYTE_1 src1_sel:DWORD
	v_and_b32_e32 v1, 1, v38
	v_add_co_u32_e64 v39, s[40:41], -1, v1
	v_addc_co_u32_e64 v102, s[40:41], 0, -1, s[40:41]
	v_cmp_ne_u32_e64 s[40:41], 0, v1
	v_lshlrev_b32_e32 v0, 1, v38
	v_xor_b32_e32 v1, s41, v102
	v_add_lshl_u32 v101, v0, v74, 2
	v_mov_b32_e32 v0, 0
	v_and_b32_e32 v102, exec_hi, v1
	v_lshlrev_b32_e32 v1, 30, v38
	v_xor_b32_e32 v39, s40, v39
	v_cmp_gt_i64_e64 s[40:41], 0, v[0:1]
	v_not_b32_e32 v1, v1
	v_ashrrev_i32_e32 v1, 31, v1
	v_and_b32_e32 v39, exec_lo, v39
	v_xor_b32_e32 v103, s41, v1
	v_xor_b32_e32 v1, s40, v1
	v_and_b32_e32 v39, v39, v1
	v_lshlrev_b32_e32 v1, 29, v38
	v_cmp_gt_i64_e64 s[40:41], 0, v[0:1]
	v_not_b32_e32 v1, v1
	v_ashrrev_i32_e32 v1, 31, v1
	v_and_b32_e32 v102, v102, v103
	v_xor_b32_e32 v103, s41, v1
	v_xor_b32_e32 v1, s40, v1
	v_and_b32_e32 v39, v39, v1
	v_lshlrev_b32_e32 v1, 28, v38
	v_cmp_gt_i64_e64 s[40:41], 0, v[0:1]
	v_not_b32_e32 v1, v1
	v_ashrrev_i32_e32 v1, 31, v1
	v_and_b32_e32 v102, v102, v103
	;; [unrolled: 8-line block ×5, first 2 shown]
	v_xor_b32_e32 v103, s41, v1
	v_xor_b32_e32 v1, s40, v1
	v_and_b32_e32 v102, v102, v103
	v_and_b32_e32 v103, v39, v1
	v_lshlrev_b32_e32 v1, 24, v38
	v_cmp_gt_i64_e64 s[40:41], 0, v[0:1]
	v_not_b32_e32 v1, v1
	v_ashrrev_i32_e32 v1, 31, v1
	v_xor_b32_e32 v38, s41, v1
	v_xor_b32_e32 v1, s40, v1
	; wave barrier
	ds_read_b32 v100, v101 offset:8
	v_and_b32_e32 v39, v102, v38
	v_and_b32_e32 v38, v103, v1
	v_mbcnt_lo_u32_b32 v1, v38, 0
	v_mbcnt_hi_u32_b32 v102, v39, v1
	v_cmp_eq_u32_e64 s[40:41], 0, v102
	v_cmp_ne_u64_e64 s[42:43], 0, v[38:39]
	s_and_b64 s[42:43], s[42:43], s[40:41]
	; wave barrier
	s_and_saveexec_b64 s[40:41], s[42:43]
	s_cbranch_execz .LBB162_64
; %bb.63:
	v_bcnt_u32_b32 v1, v38, 0
	v_bcnt_u32_b32 v1, v39, v1
	s_waitcnt lgkmcnt(0)
	v_add_u32_e32 v1, v100, v1
	ds_write_b32 v101, v1 offset:8
.LBB162_64:
	s_or_b64 exec, exec, s[40:41]
	v_and_b32_sdwa v38, v77, s49 dst_sel:DWORD dst_unused:UNUSED_PAD src0_sel:BYTE_1 src1_sel:DWORD
	v_lshlrev_b32_e32 v1, 1, v38
	v_add_lshl_u32 v104, v1, v74, 2
	v_and_b32_e32 v1, 1, v38
	v_add_co_u32_e64 v39, s[40:41], -1, v1
	v_addc_co_u32_e64 v105, s[40:41], 0, -1, s[40:41]
	v_cmp_ne_u32_e64 s[40:41], 0, v1
	v_xor_b32_e32 v1, s41, v105
	v_and_b32_e32 v105, exec_hi, v1
	v_lshlrev_b32_e32 v1, 30, v38
	v_xor_b32_e32 v39, s40, v39
	v_cmp_gt_i64_e64 s[40:41], 0, v[0:1]
	v_not_b32_e32 v1, v1
	v_ashrrev_i32_e32 v1, 31, v1
	v_and_b32_e32 v39, exec_lo, v39
	v_xor_b32_e32 v106, s41, v1
	v_xor_b32_e32 v1, s40, v1
	v_and_b32_e32 v39, v39, v1
	v_lshlrev_b32_e32 v1, 29, v38
	v_cmp_gt_i64_e64 s[40:41], 0, v[0:1]
	v_not_b32_e32 v1, v1
	v_ashrrev_i32_e32 v1, 31, v1
	v_and_b32_e32 v105, v105, v106
	v_xor_b32_e32 v106, s41, v1
	v_xor_b32_e32 v1, s40, v1
	v_and_b32_e32 v39, v39, v1
	v_lshlrev_b32_e32 v1, 28, v38
	v_cmp_gt_i64_e64 s[40:41], 0, v[0:1]
	v_not_b32_e32 v1, v1
	v_ashrrev_i32_e32 v1, 31, v1
	v_and_b32_e32 v105, v105, v106
	;; [unrolled: 8-line block ×5, first 2 shown]
	v_xor_b32_e32 v106, s41, v1
	v_xor_b32_e32 v1, s40, v1
	v_and_b32_e32 v39, v39, v1
	v_lshlrev_b32_e32 v1, 24, v38
	v_cmp_gt_i64_e64 s[40:41], 0, v[0:1]
	v_not_b32_e32 v0, v1
	v_ashrrev_i32_e32 v0, 31, v0
	v_xor_b32_e32 v1, s41, v0
	v_xor_b32_e32 v0, s40, v0
	; wave barrier
	ds_read_b32 v103, v104 offset:8
	v_and_b32_e32 v105, v105, v106
	v_and_b32_e32 v0, v39, v0
	;; [unrolled: 1-line block ×3, first 2 shown]
	v_mbcnt_lo_u32_b32 v38, v0, 0
	v_mbcnt_hi_u32_b32 v105, v1, v38
	v_cmp_eq_u32_e64 s[40:41], 0, v105
	v_cmp_ne_u64_e64 s[42:43], 0, v[0:1]
	s_and_b64 s[42:43], s[42:43], s[40:41]
	; wave barrier
	s_and_saveexec_b64 s[40:41], s[42:43]
	s_cbranch_execz .LBB162_66
; %bb.65:
	v_bcnt_u32_b32 v0, v0, 0
	v_bcnt_u32_b32 v0, v1, v0
	s_waitcnt lgkmcnt(0)
	v_add_u32_e32 v0, v103, v0
	ds_write_b32 v104, v0 offset:8
.LBB162_66:
	s_or_b64 exec, exec, s[40:41]
	v_and_b32_sdwa v38, v40, s49 dst_sel:DWORD dst_unused:UNUSED_PAD src0_sel:BYTE_1 src1_sel:DWORD
	v_and_b32_e32 v1, 1, v38
	v_add_co_u32_e64 v39, s[40:41], -1, v1
	v_addc_co_u32_e64 v107, s[40:41], 0, -1, s[40:41]
	v_cmp_ne_u32_e64 s[40:41], 0, v1
	v_lshlrev_b32_e32 v0, 1, v38
	v_xor_b32_e32 v1, s41, v107
	v_add_lshl_u32 v106, v0, v74, 2
	v_mov_b32_e32 v0, 0
	v_and_b32_e32 v107, exec_hi, v1
	v_lshlrev_b32_e32 v1, 30, v38
	v_xor_b32_e32 v39, s40, v39
	v_cmp_gt_i64_e64 s[40:41], 0, v[0:1]
	v_not_b32_e32 v1, v1
	v_ashrrev_i32_e32 v1, 31, v1
	v_and_b32_e32 v39, exec_lo, v39
	v_xor_b32_e32 v108, s41, v1
	v_xor_b32_e32 v1, s40, v1
	v_and_b32_e32 v39, v39, v1
	v_lshlrev_b32_e32 v1, 29, v38
	v_cmp_gt_i64_e64 s[40:41], 0, v[0:1]
	v_not_b32_e32 v1, v1
	v_ashrrev_i32_e32 v1, 31, v1
	v_and_b32_e32 v107, v107, v108
	v_xor_b32_e32 v108, s41, v1
	v_xor_b32_e32 v1, s40, v1
	v_and_b32_e32 v39, v39, v1
	v_lshlrev_b32_e32 v1, 28, v38
	v_cmp_gt_i64_e64 s[40:41], 0, v[0:1]
	v_not_b32_e32 v1, v1
	v_ashrrev_i32_e32 v1, 31, v1
	v_and_b32_e32 v107, v107, v108
	v_xor_b32_e32 v108, s41, v1
	v_xor_b32_e32 v1, s40, v1
	v_and_b32_e32 v39, v39, v1
	v_lshlrev_b32_e32 v1, 27, v38
	v_cmp_gt_i64_e64 s[40:41], 0, v[0:1]
	v_not_b32_e32 v1, v1
	v_ashrrev_i32_e32 v1, 31, v1
	v_and_b32_e32 v107, v107, v108
	v_xor_b32_e32 v108, s41, v1
	v_xor_b32_e32 v1, s40, v1
	v_and_b32_e32 v39, v39, v1
	v_lshlrev_b32_e32 v1, 26, v38
	v_cmp_gt_i64_e64 s[40:41], 0, v[0:1]
	v_not_b32_e32 v1, v1
	v_ashrrev_i32_e32 v1, 31, v1
	v_and_b32_e32 v107, v107, v108
	v_xor_b32_e32 v108, s41, v1
	v_xor_b32_e32 v1, s40, v1
	v_and_b32_e32 v39, v39, v1
	v_lshlrev_b32_e32 v1, 25, v38
	v_cmp_gt_i64_e64 s[40:41], 0, v[0:1]
	v_not_b32_e32 v1, v1
	v_ashrrev_i32_e32 v1, 31, v1
	v_and_b32_e32 v107, v107, v108
	v_xor_b32_e32 v108, s41, v1
	v_xor_b32_e32 v1, s40, v1
	v_and_b32_e32 v39, v39, v1
	v_lshlrev_b32_e32 v1, 24, v38
	v_cmp_gt_i64_e64 s[40:41], 0, v[0:1]
	v_not_b32_e32 v0, v1
	v_ashrrev_i32_e32 v0, 31, v0
	v_xor_b32_e32 v1, s41, v0
	v_xor_b32_e32 v0, s40, v0
	; wave barrier
	ds_read_b32 v74, v106 offset:8
	v_and_b32_e32 v107, v107, v108
	v_and_b32_e32 v0, v39, v0
	;; [unrolled: 1-line block ×3, first 2 shown]
	v_mbcnt_lo_u32_b32 v38, v0, 0
	v_mbcnt_hi_u32_b32 v107, v1, v38
	v_cmp_eq_u32_e64 s[40:41], 0, v107
	v_cmp_ne_u64_e64 s[42:43], 0, v[0:1]
	s_and_b64 s[42:43], s[42:43], s[40:41]
	; wave barrier
	s_and_saveexec_b64 s[40:41], s[42:43]
	s_cbranch_execz .LBB162_68
; %bb.67:
	v_bcnt_u32_b32 v0, v0, 0
	v_bcnt_u32_b32 v0, v1, v0
	s_waitcnt lgkmcnt(0)
	v_add_u32_e32 v0, v74, v0
	ds_write_b32 v106, v0 offset:8
.LBB162_68:
	s_or_b64 exec, exec, s[40:41]
	; wave barrier
	s_waitcnt lgkmcnt(0)
	s_barrier
	ds_read2_b32 v[38:39], v64 offset0:2 offset1:3
	ds_read2_b32 v[0:1], v75 offset0:2 offset1:3
	s_waitcnt lgkmcnt(1)
	v_add_u32_e32 v108, v39, v38
	s_waitcnt lgkmcnt(0)
	v_add3_u32 v1, v108, v0, v1
	s_nop 1
	v_mov_b32_dpp v108, v1 row_shr:1 row_mask:0xf bank_mask:0xf
	v_cndmask_b32_e64 v108, v108, 0, s[20:21]
	v_add_u32_e32 v1, v108, v1
	s_nop 1
	v_mov_b32_dpp v108, v1 row_shr:2 row_mask:0xf bank_mask:0xf
	v_cndmask_b32_e64 v108, 0, v108, s[22:23]
	v_add_u32_e32 v1, v1, v108
	;; [unrolled: 4-line block ×4, first 2 shown]
	s_nop 1
	v_mov_b32_dpp v108, v1 row_bcast:15 row_mask:0xf bank_mask:0xf
	v_cndmask_b32_e64 v108, v108, 0, vcc
	v_add_u32_e32 v1, v1, v108
	s_nop 1
	v_mov_b32_dpp v108, v1 row_bcast:31 row_mask:0xf bank_mask:0xf
	v_cndmask_b32_e64 v108, 0, v108, s[34:35]
	v_add_u32_e32 v1, v1, v108
	s_and_saveexec_b64 s[20:21], s[16:17]
	s_cbranch_execz .LBB162_70
; %bb.69:
	ds_write_b32 v76, v1
.LBB162_70:
	s_or_b64 exec, exec, s[20:21]
	s_waitcnt lgkmcnt(0)
	s_barrier
	s_and_saveexec_b64 s[16:17], s[24:25]
	s_cbranch_execz .LBB162_72
; %bb.71:
	ds_read_b32 v76, v41
	s_waitcnt lgkmcnt(0)
	s_nop 0
	v_mov_b32_dpp v108, v76 row_shr:1 row_mask:0xf bank_mask:0xf
	v_cndmask_b32_e64 v108, v108, 0, s[18:19]
	v_add_u32_e32 v76, v108, v76
	ds_write_b32 v41, v76
.LBB162_72:
	s_or_b64 exec, exec, s[16:17]
	v_mov_b32_e32 v41, 0
	s_waitcnt lgkmcnt(0)
	s_barrier
	s_and_saveexec_b64 s[16:17], s[30:31]
	s_cbranch_execz .LBB162_74
; %bb.73:
	ds_read_b32 v41, v85
.LBB162_74:
	s_or_b64 exec, exec, s[16:17]
	s_waitcnt lgkmcnt(0)
	v_add_u32_e32 v1, v41, v1
	ds_bpermute_b32 v1, v86, v1
	s_waitcnt lgkmcnt(0)
	v_cndmask_b32_e64 v1, v1, v41, s[36:37]
	v_cndmask_b32_e64 v1, v1, 0, s[38:39]
	v_add_u32_e32 v38, v1, v38
	v_add_u32_e32 v39, v38, v39
	;; [unrolled: 1-line block ×3, first 2 shown]
	ds_write2_b32 v64, v1, v38 offset0:2 offset1:3
	ds_write2_b32 v75, v39, v0 offset0:2 offset1:3
	s_waitcnt lgkmcnt(0)
	s_barrier
	ds_read_b32 v0, v106 offset:8
	ds_read_b32 v1, v104 offset:8
	;; [unrolled: 1-line block ×4, first 2 shown]
	s_waitcnt lgkmcnt(3)
	v_add3_u32 v0, v107, v74, v0
	s_waitcnt lgkmcnt(2)
	v_add3_u32 v1, v105, v103, v1
	;; [unrolled: 2-line block ×3, first 2 shown]
	ds_read_b32 v38, v95 offset:8
	ds_read_b32 v41, v92 offset:8
	;; [unrolled: 1-line block ×4, first 2 shown]
	s_waitcnt lgkmcnt(0)
	s_barrier
	v_add3_u32 v41, v93, v91, v41
	v_add3_u32 v75, v90, v88, v75
	v_add_u32_e32 v76, v76, v87
	v_lshlrev_b32_e32 v84, 1, v76
	ds_write_b16 v84, v83
	v_lshlrev_b32_e32 v83, 1, v75
	v_add3_u32 v38, v96, v94, v38
	ds_write_b16 v83, v82
	v_lshlrev_b32_e32 v82, 1, v41
	v_add3_u32 v39, v99, v97, v39
	ds_write_b16 v82, v81
	v_lshlrev_b32_e32 v81, 1, v38
	ds_write_b16 v81, v80
	v_lshlrev_b32_e32 v80, 1, v39
	;; [unrolled: 2-line block ×6, first 2 shown]
	v_lshlrev_b32_e32 v76, 3, v76
	v_lshlrev_b32_e32 v80, 3, v62
	s_waitcnt lgkmcnt(0)
	s_barrier
	v_lshlrev_b32_e32 v75, 3, v75
	v_lshlrev_b32_e32 v77, 3, v41
	v_lshlrev_b32_e32 v78, 3, v38
	v_lshlrev_b32_e32 v79, 3, v39
	ds_read_b128 v[38:41], v40
	v_lshlrev_b32_e32 v74, 3, v74
	v_lshlrev_b32_e32 v1, 3, v1
	;; [unrolled: 1-line block ×3, first 2 shown]
	s_waitcnt lgkmcnt(0)
	s_barrier
	ds_write_b64 v76, v[34:35]
	ds_write_b64 v75, v[36:37]
	;; [unrolled: 1-line block ×8, first 2 shown]
	s_waitcnt lgkmcnt(0)
	s_barrier
	ds_read2_b64 v[22:25], v80 offset1:1
	ds_read2_b64 v[26:29], v80 offset0:2 offset1:3
	ds_read2_b64 v[30:33], v80 offset0:4 offset1:5
	;; [unrolled: 1-line block ×3, first 2 shown]
	v_xor_b32_e32 v38, 0x80008000, v38
	v_xor_b32_e32 v39, 0x80008000, v39
	v_xor_b32_e32 v40, 0x80008000, v40
	v_xor_b32_e32 v41, 0x80008000, v41
	s_branch .LBB162_128
.LBB162_75:
	v_mov_b32_e32 v45, 0
	v_lshlrev_b64 v[2:3], 3, v[44:45]
	v_mov_b32_e32 v4, s47
	v_add_co_u32_e32 v2, vcc, s45, v2
	v_addc_co_u32_e32 v3, vcc, v4, v3, vcc
	global_load_dwordx2 v[2:3], v[2:3], off
	v_mov_b32_e32 v4, v45
	v_mov_b32_e32 v5, v45
	;; [unrolled: 1-line block ×14, first 2 shown]
	s_or_b64 exec, exec, s[16:17]
	s_and_saveexec_b64 s[16:17], s[2:3]
	s_cbranch_execz .LBB162_22
.LBB162_76:
	v_mul_lo_u32 v4, v1, s48
	v_mov_b32_e32 v5, 0
	v_lshlrev_b64 v[4:5], 3, v[4:5]
	v_mov_b32_e32 v1, s47
	v_add_co_u32_e32 v4, vcc, s45, v4
	v_addc_co_u32_e32 v5, vcc, v1, v5, vcc
	global_load_dwordx2 v[4:5], v[4:5], off
	s_or_b64 exec, exec, s[16:17]
	s_and_saveexec_b64 s[16:17], s[4:5]
	s_cbranch_execz .LBB162_23
.LBB162_77:
	v_mul_lo_u32 v6, v22, s48
	v_mov_b32_e32 v7, 0
	v_lshlrev_b64 v[6:7], 3, v[6:7]
	v_mov_b32_e32 v1, s47
	v_add_co_u32_e32 v6, vcc, s45, v6
	v_addc_co_u32_e32 v7, vcc, v1, v7, vcc
	global_load_dwordx2 v[6:7], v[6:7], off
	s_or_b64 exec, exec, s[16:17]
	s_and_saveexec_b64 s[16:17], s[6:7]
	s_cbranch_execz .LBB162_24
.LBB162_78:
	v_mul_lo_u32 v8, v23, s48
	v_mov_b32_e32 v9, 0
	v_lshlrev_b64 v[8:9], 3, v[8:9]
	v_mov_b32_e32 v1, s47
	v_add_co_u32_e32 v8, vcc, s45, v8
	v_addc_co_u32_e32 v9, vcc, v1, v9, vcc
	global_load_dwordx2 v[8:9], v[8:9], off
	s_or_b64 exec, exec, s[16:17]
	s_and_saveexec_b64 s[16:17], s[8:9]
	s_cbranch_execz .LBB162_25
.LBB162_79:
	v_mul_lo_u32 v10, v24, s48
	v_mov_b32_e32 v11, 0
	v_lshlrev_b64 v[10:11], 3, v[10:11]
	v_mov_b32_e32 v1, s47
	v_add_co_u32_e32 v10, vcc, s45, v10
	v_addc_co_u32_e32 v11, vcc, v1, v11, vcc
	global_load_dwordx2 v[10:11], v[10:11], off
	s_or_b64 exec, exec, s[16:17]
	s_and_saveexec_b64 s[16:17], s[10:11]
	s_cbranch_execz .LBB162_26
.LBB162_80:
	v_mul_lo_u32 v12, v25, s48
	v_mov_b32_e32 v13, 0
	v_lshlrev_b64 v[12:13], 3, v[12:13]
	v_mov_b32_e32 v1, s47
	v_add_co_u32_e32 v12, vcc, s45, v12
	v_addc_co_u32_e32 v13, vcc, v1, v13, vcc
	global_load_dwordx2 v[12:13], v[12:13], off
	s_or_b64 exec, exec, s[16:17]
	s_and_saveexec_b64 s[16:17], s[12:13]
	s_cbranch_execz .LBB162_27
.LBB162_81:
	v_mul_lo_u32 v14, v26, s48
	v_mov_b32_e32 v15, 0
	v_lshlrev_b64 v[14:15], 3, v[14:15]
	v_mov_b32_e32 v1, s47
	v_add_co_u32_e32 v14, vcc, s45, v14
	v_addc_co_u32_e32 v15, vcc, v1, v15, vcc
	global_load_dwordx2 v[14:15], v[14:15], off
	s_or_b64 exec, exec, s[16:17]
	s_xor_b64 s[16:17], s[34:35], -1
	s_and_saveexec_b64 s[18:19], s[14:15]
	s_cbranch_execnz .LBB162_28
	s_branch .LBB162_29
.LBB162_82:
                                        ; implicit-def: $vgpr41
                                        ; implicit-def: $vgpr36_vgpr37
                                        ; implicit-def: $vgpr32_vgpr33
                                        ; implicit-def: $vgpr28_vgpr29
                                        ; implicit-def: $vgpr24_vgpr25
	s_cbranch_execz .LBB162_128
; %bb.83:
	s_movk_i32 s16, 0x7fff
	v_xor_b32_e32 v0, 0x7fff, v18
	v_xor_b32_sdwa v1, v18, s16 dst_sel:DWORD dst_unused:UNUSED_PAD src0_sel:WORD_1 src1_sel:DWORD
	v_xor_b32_e32 v18, 0x7fff, v19
	v_xor_b32_sdwa v19, v19, s16 dst_sel:DWORD dst_unused:UNUSED_PAD src0_sel:WORD_1 src1_sel:DWORD
	s_waitcnt lgkmcnt(3)
	v_xor_b32_e32 v22, 0x7fff, v20
	v_xor_b32_sdwa v20, v20, s16 dst_sel:DWORD dst_unused:UNUSED_PAD src0_sel:WORD_1 src1_sel:DWORD
	v_xor_b32_e32 v23, 0x7fff, v21
	v_xor_b32_sdwa v21, v21, s16 dst_sel:DWORD dst_unused:UNUSED_PAD src0_sel:WORD_1 src1_sel:DWORD
	s_mov_b32 s16, 0x5040100
	v_perm_b32 v21, v21, v23, s16
	v_perm_b32 v20, v20, v22, s16
	;; [unrolled: 1-line block ×4, first 2 shown]
	ds_write_b128 v73, v[18:21]
	; wave barrier
	s_waitcnt lgkmcnt(2)
	ds_read_u16 v32, v72
	ds_read_u16 v31, v72 offset:128
	ds_read_u16 v30, v72 offset:256
	;; [unrolled: 1-line block ×7, first 2 shown]
	s_waitcnt lgkmcnt(0)
	s_barrier
	ds_write2_b64 v71, v[14:15], v[16:17] offset1:1
	ds_write2_b64 v71, v[10:11], v[12:13] offset0:2 offset1:3
	ds_write2_b64 v71, v[6:7], v[8:9] offset0:4 offset1:5
	;; [unrolled: 1-line block ×3, first 2 shown]
	; wave barrier
	ds_read2st64_b64 v[12:15], v70 offset1:1
	ds_read2st64_b64 v[8:11], v70 offset0:2 offset1:3
	ds_read2st64_b64 v[4:7], v70 offset0:4 offset1:5
	;; [unrolled: 1-line block ×3, first 2 shown]
	s_waitcnt lgkmcnt(0)
	s_barrier
	s_load_dword s18, s[50:51], 0xc
	s_getpc_b64 s[16:17]
	s_add_u32 s16, s16, _ZN7rocprim17ROCPRIM_400000_NS16block_radix_sortIsLj128ELj8ElLj1ELj1ELj0ELNS0_26block_radix_rank_algorithmE1ELNS0_18block_padding_hintE2ELNS0_4arch9wavefront6targetE1EE19radix_bits_per_passE@rel32@lo+4
	s_addc_u32 s17, s17, _ZN7rocprim17ROCPRIM_400000_NS16block_radix_sortIsLj128ELj8ElLj1ELj1ELj0ELNS0_26block_radix_rank_algorithmE1ELNS0_18block_padding_hintE2ELNS0_4arch9wavefront6targetE1EE19radix_bits_per_passE@rel32@hi+12
	s_load_dword s40, s[16:17], 0x0
	s_waitcnt lgkmcnt(0)
	s_lshr_b32 s16, s18, 16
	s_and_b32 s17, s18, 0xffff
	v_mad_u32_u24 v16, v69, s16, v68
	v_mad_u64_u32 v[16:17], s[16:17], v16, s17, v[46:47]
	s_min_u32 s16, s40, 16
	s_lshl_b32 s16, -1, s16
	s_not_b32 s18, s16
	v_and_b32_sdwa v18, s18, v32 dst_sel:DWORD dst_unused:UNUSED_PAD src0_sel:DWORD src1_sel:WORD_0
	v_lshrrev_b32_e32 v22, 6, v16
	v_lshlrev_b32_e32 v17, 1, v18
	v_add_lshl_u32 v35, v22, v17, 2
	v_and_b32_e32 v17, 1, v18
	v_add_co_u32_e32 v19, vcc, -1, v17
	v_addc_co_u32_e64 v20, s[16:17], 0, -1, vcc
	v_cmp_ne_u32_e32 vcc, 0, v17
	v_xor_b32_e32 v17, vcc_hi, v20
	v_mov_b32_e32 v16, 0
	v_and_b32_e32 v20, exec_hi, v17
	v_lshlrev_b32_e32 v17, 30, v18
	v_xor_b32_e32 v19, vcc_lo, v19
	v_cmp_gt_i64_e32 vcc, 0, v[16:17]
	v_not_b32_e32 v17, v17
	v_ashrrev_i32_e32 v17, 31, v17
	v_and_b32_e32 v19, exec_lo, v19
	v_xor_b32_e32 v21, vcc_hi, v17
	v_xor_b32_e32 v17, vcc_lo, v17
	v_and_b32_e32 v19, v19, v17
	v_lshlrev_b32_e32 v17, 29, v18
	v_cmp_gt_i64_e32 vcc, 0, v[16:17]
	v_not_b32_e32 v17, v17
	v_ashrrev_i32_e32 v17, 31, v17
	v_and_b32_e32 v20, v20, v21
	v_xor_b32_e32 v21, vcc_hi, v17
	v_xor_b32_e32 v17, vcc_lo, v17
	v_and_b32_e32 v19, v19, v17
	v_lshlrev_b32_e32 v17, 28, v18
	v_cmp_gt_i64_e32 vcc, 0, v[16:17]
	v_not_b32_e32 v17, v17
	v_ashrrev_i32_e32 v17, 31, v17
	v_and_b32_e32 v20, v20, v21
	;; [unrolled: 8-line block ×5, first 2 shown]
	v_xor_b32_e32 v21, vcc_hi, v17
	v_xor_b32_e32 v17, vcc_lo, v17
	v_and_b32_e32 v20, v20, v21
	v_and_b32_e32 v21, v19, v17
	v_lshlrev_b32_e32 v17, 24, v18
	v_cmp_gt_i64_e32 vcc, 0, v[16:17]
	v_not_b32_e32 v17, v17
	v_ashrrev_i32_e32 v17, 31, v17
	v_xor_b32_e32 v18, vcc_hi, v17
	v_xor_b32_e32 v17, vcc_lo, v17
	v_and_b32_e32 v19, v20, v18
	v_and_b32_e32 v18, v21, v17
	v_mbcnt_lo_u32_b32 v17, v18, 0
	v_mbcnt_hi_u32_b32 v36, v19, v17
	v_cmp_eq_u32_e32 vcc, 0, v36
	v_cmp_ne_u64_e64 s[16:17], 0, v[18:19]
	s_and_b64 s[20:21], s[16:17], vcc
	ds_write2_b32 v64, v16, v16 offset0:2 offset1:3
	ds_write2_b32 v64, v16, v16 offset0:4 offset1:5
	s_waitcnt lgkmcnt(0)
	s_barrier
	s_waitcnt lgkmcnt(0)
	; wave barrier
	s_and_saveexec_b64 s[16:17], s[20:21]
	s_cbranch_execz .LBB162_85
; %bb.84:
	v_bcnt_u32_b32 v17, v18, 0
	v_bcnt_u32_b32 v17, v19, v17
	ds_write_b32 v35, v17 offset:8
.LBB162_85:
	s_or_b64 exec, exec, s[16:17]
	v_and_b32_sdwa v18, s18, v31 dst_sel:DWORD dst_unused:UNUSED_PAD src0_sel:DWORD src1_sel:WORD_0
	v_lshlrev_b32_e32 v17, 1, v18
	v_add_lshl_u32 v38, v22, v17, 2
	v_and_b32_e32 v17, 1, v18
	v_add_co_u32_e32 v19, vcc, -1, v17
	v_addc_co_u32_e64 v20, s[16:17], 0, -1, vcc
	v_cmp_ne_u32_e32 vcc, 0, v17
	v_xor_b32_e32 v17, vcc_hi, v20
	v_and_b32_e32 v20, exec_hi, v17
	v_lshlrev_b32_e32 v17, 30, v18
	v_xor_b32_e32 v19, vcc_lo, v19
	v_cmp_gt_i64_e32 vcc, 0, v[16:17]
	v_not_b32_e32 v17, v17
	v_ashrrev_i32_e32 v17, 31, v17
	v_and_b32_e32 v19, exec_lo, v19
	v_xor_b32_e32 v21, vcc_hi, v17
	v_xor_b32_e32 v17, vcc_lo, v17
	v_and_b32_e32 v19, v19, v17
	v_lshlrev_b32_e32 v17, 29, v18
	v_cmp_gt_i64_e32 vcc, 0, v[16:17]
	v_not_b32_e32 v17, v17
	v_ashrrev_i32_e32 v17, 31, v17
	v_and_b32_e32 v20, v20, v21
	v_xor_b32_e32 v21, vcc_hi, v17
	v_xor_b32_e32 v17, vcc_lo, v17
	v_and_b32_e32 v19, v19, v17
	v_lshlrev_b32_e32 v17, 28, v18
	v_cmp_gt_i64_e32 vcc, 0, v[16:17]
	v_not_b32_e32 v17, v17
	v_ashrrev_i32_e32 v17, 31, v17
	v_and_b32_e32 v20, v20, v21
	;; [unrolled: 8-line block ×5, first 2 shown]
	v_xor_b32_e32 v21, vcc_hi, v17
	v_xor_b32_e32 v17, vcc_lo, v17
	v_and_b32_e32 v19, v19, v17
	v_lshlrev_b32_e32 v17, 24, v18
	v_cmp_gt_i64_e32 vcc, 0, v[16:17]
	v_not_b32_e32 v16, v17
	v_ashrrev_i32_e32 v16, 31, v16
	v_xor_b32_e32 v17, vcc_hi, v16
	v_xor_b32_e32 v16, vcc_lo, v16
	; wave barrier
	ds_read_b32 v37, v38 offset:8
	v_and_b32_e32 v20, v20, v21
	v_and_b32_e32 v16, v19, v16
	;; [unrolled: 1-line block ×3, first 2 shown]
	v_mbcnt_lo_u32_b32 v18, v16, 0
	v_mbcnt_hi_u32_b32 v39, v17, v18
	v_cmp_eq_u32_e32 vcc, 0, v39
	v_cmp_ne_u64_e64 s[16:17], 0, v[16:17]
	s_and_b64 s[20:21], s[16:17], vcc
	; wave barrier
	s_and_saveexec_b64 s[16:17], s[20:21]
	s_cbranch_execz .LBB162_87
; %bb.86:
	v_bcnt_u32_b32 v16, v16, 0
	v_bcnt_u32_b32 v16, v17, v16
	s_waitcnt lgkmcnt(0)
	v_add_u32_e32 v16, v37, v16
	ds_write_b32 v38, v16 offset:8
.LBB162_87:
	s_or_b64 exec, exec, s[16:17]
	v_and_b32_sdwa v18, s18, v30 dst_sel:DWORD dst_unused:UNUSED_PAD src0_sel:DWORD src1_sel:WORD_0
	v_and_b32_e32 v17, 1, v18
	v_add_co_u32_e32 v19, vcc, -1, v17
	v_addc_co_u32_e64 v20, s[16:17], 0, -1, vcc
	v_cmp_ne_u32_e32 vcc, 0, v17
	v_lshlrev_b32_e32 v16, 1, v18
	v_xor_b32_e32 v17, vcc_hi, v20
	v_add_lshl_u32 v41, v22, v16, 2
	v_mov_b32_e32 v16, 0
	v_and_b32_e32 v20, exec_hi, v17
	v_lshlrev_b32_e32 v17, 30, v18
	v_xor_b32_e32 v19, vcc_lo, v19
	v_cmp_gt_i64_e32 vcc, 0, v[16:17]
	v_not_b32_e32 v17, v17
	v_ashrrev_i32_e32 v17, 31, v17
	v_and_b32_e32 v19, exec_lo, v19
	v_xor_b32_e32 v21, vcc_hi, v17
	v_xor_b32_e32 v17, vcc_lo, v17
	v_and_b32_e32 v19, v19, v17
	v_lshlrev_b32_e32 v17, 29, v18
	v_cmp_gt_i64_e32 vcc, 0, v[16:17]
	v_not_b32_e32 v17, v17
	v_ashrrev_i32_e32 v17, 31, v17
	v_and_b32_e32 v20, v20, v21
	v_xor_b32_e32 v21, vcc_hi, v17
	v_xor_b32_e32 v17, vcc_lo, v17
	v_and_b32_e32 v19, v19, v17
	v_lshlrev_b32_e32 v17, 28, v18
	v_cmp_gt_i64_e32 vcc, 0, v[16:17]
	v_not_b32_e32 v17, v17
	v_ashrrev_i32_e32 v17, 31, v17
	v_and_b32_e32 v20, v20, v21
	v_xor_b32_e32 v21, vcc_hi, v17
	v_xor_b32_e32 v17, vcc_lo, v17
	v_and_b32_e32 v19, v19, v17
	v_lshlrev_b32_e32 v17, 27, v18
	v_cmp_gt_i64_e32 vcc, 0, v[16:17]
	v_not_b32_e32 v17, v17
	v_ashrrev_i32_e32 v17, 31, v17
	v_and_b32_e32 v20, v20, v21
	v_xor_b32_e32 v21, vcc_hi, v17
	v_xor_b32_e32 v17, vcc_lo, v17
	v_and_b32_e32 v19, v19, v17
	v_lshlrev_b32_e32 v17, 26, v18
	v_cmp_gt_i64_e32 vcc, 0, v[16:17]
	v_not_b32_e32 v17, v17
	v_ashrrev_i32_e32 v17, 31, v17
	v_and_b32_e32 v20, v20, v21
	v_xor_b32_e32 v21, vcc_hi, v17
	v_xor_b32_e32 v17, vcc_lo, v17
	v_and_b32_e32 v19, v19, v17
	v_lshlrev_b32_e32 v17, 25, v18
	v_cmp_gt_i64_e32 vcc, 0, v[16:17]
	v_not_b32_e32 v17, v17
	v_ashrrev_i32_e32 v17, 31, v17
	v_and_b32_e32 v20, v20, v21
	v_xor_b32_e32 v21, vcc_hi, v17
	v_xor_b32_e32 v17, vcc_lo, v17
	v_and_b32_e32 v20, v20, v21
	v_and_b32_e32 v21, v19, v17
	v_lshlrev_b32_e32 v17, 24, v18
	v_cmp_gt_i64_e32 vcc, 0, v[16:17]
	v_not_b32_e32 v17, v17
	v_ashrrev_i32_e32 v17, 31, v17
	v_xor_b32_e32 v18, vcc_hi, v17
	v_xor_b32_e32 v17, vcc_lo, v17
	; wave barrier
	ds_read_b32 v40, v41 offset:8
	v_and_b32_e32 v19, v20, v18
	v_and_b32_e32 v18, v21, v17
	v_mbcnt_lo_u32_b32 v17, v18, 0
	v_mbcnt_hi_u32_b32 v68, v19, v17
	v_cmp_eq_u32_e32 vcc, 0, v68
	v_cmp_ne_u64_e64 s[16:17], 0, v[18:19]
	s_and_b64 s[20:21], s[16:17], vcc
	; wave barrier
	s_and_saveexec_b64 s[16:17], s[20:21]
	s_cbranch_execz .LBB162_89
; %bb.88:
	v_bcnt_u32_b32 v17, v18, 0
	v_bcnt_u32_b32 v17, v19, v17
	s_waitcnt lgkmcnt(0)
	v_add_u32_e32 v17, v40, v17
	ds_write_b32 v41, v17 offset:8
.LBB162_89:
	s_or_b64 exec, exec, s[16:17]
	v_and_b32_sdwa v18, s18, v29 dst_sel:DWORD dst_unused:UNUSED_PAD src0_sel:DWORD src1_sel:WORD_0
	v_lshlrev_b32_e32 v17, 1, v18
	v_add_lshl_u32 v70, v22, v17, 2
	v_and_b32_e32 v17, 1, v18
	v_add_co_u32_e32 v19, vcc, -1, v17
	v_addc_co_u32_e64 v20, s[16:17], 0, -1, vcc
	v_cmp_ne_u32_e32 vcc, 0, v17
	v_xor_b32_e32 v17, vcc_hi, v20
	v_and_b32_e32 v20, exec_hi, v17
	v_lshlrev_b32_e32 v17, 30, v18
	v_xor_b32_e32 v19, vcc_lo, v19
	v_cmp_gt_i64_e32 vcc, 0, v[16:17]
	v_not_b32_e32 v17, v17
	v_ashrrev_i32_e32 v17, 31, v17
	v_and_b32_e32 v19, exec_lo, v19
	v_xor_b32_e32 v21, vcc_hi, v17
	v_xor_b32_e32 v17, vcc_lo, v17
	v_and_b32_e32 v19, v19, v17
	v_lshlrev_b32_e32 v17, 29, v18
	v_cmp_gt_i64_e32 vcc, 0, v[16:17]
	v_not_b32_e32 v17, v17
	v_ashrrev_i32_e32 v17, 31, v17
	v_and_b32_e32 v20, v20, v21
	v_xor_b32_e32 v21, vcc_hi, v17
	v_xor_b32_e32 v17, vcc_lo, v17
	v_and_b32_e32 v19, v19, v17
	v_lshlrev_b32_e32 v17, 28, v18
	v_cmp_gt_i64_e32 vcc, 0, v[16:17]
	v_not_b32_e32 v17, v17
	v_ashrrev_i32_e32 v17, 31, v17
	v_and_b32_e32 v20, v20, v21
	v_xor_b32_e32 v21, vcc_hi, v17
	v_xor_b32_e32 v17, vcc_lo, v17
	v_and_b32_e32 v19, v19, v17
	v_lshlrev_b32_e32 v17, 27, v18
	v_cmp_gt_i64_e32 vcc, 0, v[16:17]
	v_not_b32_e32 v17, v17
	v_ashrrev_i32_e32 v17, 31, v17
	v_and_b32_e32 v20, v20, v21
	v_xor_b32_e32 v21, vcc_hi, v17
	v_xor_b32_e32 v17, vcc_lo, v17
	v_and_b32_e32 v19, v19, v17
	v_lshlrev_b32_e32 v17, 26, v18
	v_cmp_gt_i64_e32 vcc, 0, v[16:17]
	v_not_b32_e32 v17, v17
	v_ashrrev_i32_e32 v17, 31, v17
	v_and_b32_e32 v20, v20, v21
	v_xor_b32_e32 v21, vcc_hi, v17
	v_xor_b32_e32 v17, vcc_lo, v17
	v_and_b32_e32 v19, v19, v17
	v_lshlrev_b32_e32 v17, 25, v18
	v_cmp_gt_i64_e32 vcc, 0, v[16:17]
	v_not_b32_e32 v17, v17
	v_ashrrev_i32_e32 v17, 31, v17
	v_and_b32_e32 v20, v20, v21
	v_xor_b32_e32 v21, vcc_hi, v17
	v_xor_b32_e32 v17, vcc_lo, v17
	v_and_b32_e32 v19, v19, v17
	v_lshlrev_b32_e32 v17, 24, v18
	v_cmp_gt_i64_e32 vcc, 0, v[16:17]
	v_not_b32_e32 v16, v17
	v_ashrrev_i32_e32 v16, 31, v16
	v_xor_b32_e32 v17, vcc_hi, v16
	v_xor_b32_e32 v16, vcc_lo, v16
	; wave barrier
	ds_read_b32 v69, v70 offset:8
	v_and_b32_e32 v20, v20, v21
	v_and_b32_e32 v16, v19, v16
	;; [unrolled: 1-line block ×3, first 2 shown]
	v_mbcnt_lo_u32_b32 v18, v16, 0
	v_mbcnt_hi_u32_b32 v71, v17, v18
	v_cmp_eq_u32_e32 vcc, 0, v71
	v_cmp_ne_u64_e64 s[16:17], 0, v[16:17]
	s_and_b64 s[20:21], s[16:17], vcc
	; wave barrier
	s_and_saveexec_b64 s[16:17], s[20:21]
	s_cbranch_execz .LBB162_91
; %bb.90:
	v_bcnt_u32_b32 v16, v16, 0
	v_bcnt_u32_b32 v16, v17, v16
	s_waitcnt lgkmcnt(0)
	v_add_u32_e32 v16, v69, v16
	ds_write_b32 v70, v16 offset:8
.LBB162_91:
	s_or_b64 exec, exec, s[16:17]
	v_and_b32_sdwa v18, s18, v28 dst_sel:DWORD dst_unused:UNUSED_PAD src0_sel:DWORD src1_sel:WORD_0
	v_and_b32_e32 v17, 1, v18
	v_add_co_u32_e32 v19, vcc, -1, v17
	v_addc_co_u32_e64 v20, s[16:17], 0, -1, vcc
	v_cmp_ne_u32_e32 vcc, 0, v17
	v_lshlrev_b32_e32 v16, 1, v18
	v_xor_b32_e32 v17, vcc_hi, v20
	v_add_lshl_u32 v73, v22, v16, 2
	v_mov_b32_e32 v16, 0
	v_and_b32_e32 v20, exec_hi, v17
	v_lshlrev_b32_e32 v17, 30, v18
	v_xor_b32_e32 v19, vcc_lo, v19
	v_cmp_gt_i64_e32 vcc, 0, v[16:17]
	v_not_b32_e32 v17, v17
	v_ashrrev_i32_e32 v17, 31, v17
	v_and_b32_e32 v19, exec_lo, v19
	v_xor_b32_e32 v21, vcc_hi, v17
	v_xor_b32_e32 v17, vcc_lo, v17
	v_and_b32_e32 v19, v19, v17
	v_lshlrev_b32_e32 v17, 29, v18
	v_cmp_gt_i64_e32 vcc, 0, v[16:17]
	v_not_b32_e32 v17, v17
	v_ashrrev_i32_e32 v17, 31, v17
	v_and_b32_e32 v20, v20, v21
	v_xor_b32_e32 v21, vcc_hi, v17
	v_xor_b32_e32 v17, vcc_lo, v17
	v_and_b32_e32 v19, v19, v17
	v_lshlrev_b32_e32 v17, 28, v18
	v_cmp_gt_i64_e32 vcc, 0, v[16:17]
	v_not_b32_e32 v17, v17
	v_ashrrev_i32_e32 v17, 31, v17
	v_and_b32_e32 v20, v20, v21
	;; [unrolled: 8-line block ×5, first 2 shown]
	v_xor_b32_e32 v21, vcc_hi, v17
	v_xor_b32_e32 v17, vcc_lo, v17
	v_and_b32_e32 v20, v20, v21
	v_and_b32_e32 v21, v19, v17
	v_lshlrev_b32_e32 v17, 24, v18
	v_cmp_gt_i64_e32 vcc, 0, v[16:17]
	v_not_b32_e32 v17, v17
	v_ashrrev_i32_e32 v17, 31, v17
	v_xor_b32_e32 v18, vcc_hi, v17
	v_xor_b32_e32 v17, vcc_lo, v17
	; wave barrier
	ds_read_b32 v72, v73 offset:8
	v_and_b32_e32 v19, v20, v18
	v_and_b32_e32 v18, v21, v17
	v_mbcnt_lo_u32_b32 v17, v18, 0
	v_mbcnt_hi_u32_b32 v74, v19, v17
	v_cmp_eq_u32_e32 vcc, 0, v74
	v_cmp_ne_u64_e64 s[16:17], 0, v[18:19]
	s_and_b64 s[20:21], s[16:17], vcc
	; wave barrier
	s_and_saveexec_b64 s[16:17], s[20:21]
	s_cbranch_execz .LBB162_93
; %bb.92:
	v_bcnt_u32_b32 v17, v18, 0
	v_bcnt_u32_b32 v17, v19, v17
	s_waitcnt lgkmcnt(0)
	v_add_u32_e32 v17, v72, v17
	ds_write_b32 v73, v17 offset:8
.LBB162_93:
	s_or_b64 exec, exec, s[16:17]
	v_and_b32_sdwa v18, s18, v27 dst_sel:DWORD dst_unused:UNUSED_PAD src0_sel:DWORD src1_sel:WORD_0
	v_lshlrev_b32_e32 v17, 1, v18
	v_add_lshl_u32 v76, v22, v17, 2
	v_and_b32_e32 v17, 1, v18
	v_add_co_u32_e32 v19, vcc, -1, v17
	v_addc_co_u32_e64 v20, s[16:17], 0, -1, vcc
	v_cmp_ne_u32_e32 vcc, 0, v17
	v_xor_b32_e32 v17, vcc_hi, v20
	v_and_b32_e32 v20, exec_hi, v17
	v_lshlrev_b32_e32 v17, 30, v18
	v_xor_b32_e32 v19, vcc_lo, v19
	v_cmp_gt_i64_e32 vcc, 0, v[16:17]
	v_not_b32_e32 v17, v17
	v_ashrrev_i32_e32 v17, 31, v17
	v_and_b32_e32 v19, exec_lo, v19
	v_xor_b32_e32 v21, vcc_hi, v17
	v_xor_b32_e32 v17, vcc_lo, v17
	v_and_b32_e32 v19, v19, v17
	v_lshlrev_b32_e32 v17, 29, v18
	v_cmp_gt_i64_e32 vcc, 0, v[16:17]
	v_not_b32_e32 v17, v17
	v_ashrrev_i32_e32 v17, 31, v17
	v_and_b32_e32 v20, v20, v21
	v_xor_b32_e32 v21, vcc_hi, v17
	v_xor_b32_e32 v17, vcc_lo, v17
	v_and_b32_e32 v19, v19, v17
	v_lshlrev_b32_e32 v17, 28, v18
	v_cmp_gt_i64_e32 vcc, 0, v[16:17]
	v_not_b32_e32 v17, v17
	v_ashrrev_i32_e32 v17, 31, v17
	v_and_b32_e32 v20, v20, v21
	;; [unrolled: 8-line block ×5, first 2 shown]
	v_xor_b32_e32 v21, vcc_hi, v17
	v_xor_b32_e32 v17, vcc_lo, v17
	v_and_b32_e32 v19, v19, v17
	v_lshlrev_b32_e32 v17, 24, v18
	v_cmp_gt_i64_e32 vcc, 0, v[16:17]
	v_not_b32_e32 v16, v17
	v_ashrrev_i32_e32 v16, 31, v16
	v_xor_b32_e32 v17, vcc_hi, v16
	v_xor_b32_e32 v16, vcc_lo, v16
	; wave barrier
	ds_read_b32 v75, v76 offset:8
	v_and_b32_e32 v20, v20, v21
	v_and_b32_e32 v16, v19, v16
	;; [unrolled: 1-line block ×3, first 2 shown]
	v_mbcnt_lo_u32_b32 v18, v16, 0
	v_mbcnt_hi_u32_b32 v77, v17, v18
	v_cmp_eq_u32_e32 vcc, 0, v77
	v_cmp_ne_u64_e64 s[16:17], 0, v[16:17]
	s_and_b64 s[20:21], s[16:17], vcc
	; wave barrier
	s_and_saveexec_b64 s[16:17], s[20:21]
	s_cbranch_execz .LBB162_95
; %bb.94:
	v_bcnt_u32_b32 v16, v16, 0
	v_bcnt_u32_b32 v16, v17, v16
	s_waitcnt lgkmcnt(0)
	v_add_u32_e32 v16, v75, v16
	ds_write_b32 v76, v16 offset:8
.LBB162_95:
	s_or_b64 exec, exec, s[16:17]
	v_and_b32_sdwa v18, s18, v26 dst_sel:DWORD dst_unused:UNUSED_PAD src0_sel:DWORD src1_sel:WORD_0
	v_and_b32_e32 v17, 1, v18
	v_add_co_u32_e32 v19, vcc, -1, v17
	v_addc_co_u32_e64 v20, s[16:17], 0, -1, vcc
	v_cmp_ne_u32_e32 vcc, 0, v17
	v_lshlrev_b32_e32 v16, 1, v18
	v_xor_b32_e32 v17, vcc_hi, v20
	v_add_lshl_u32 v79, v22, v16, 2
	v_mov_b32_e32 v16, 0
	v_and_b32_e32 v20, exec_hi, v17
	v_lshlrev_b32_e32 v17, 30, v18
	v_xor_b32_e32 v19, vcc_lo, v19
	v_cmp_gt_i64_e32 vcc, 0, v[16:17]
	v_not_b32_e32 v17, v17
	v_ashrrev_i32_e32 v17, 31, v17
	v_and_b32_e32 v19, exec_lo, v19
	v_xor_b32_e32 v21, vcc_hi, v17
	v_xor_b32_e32 v17, vcc_lo, v17
	v_and_b32_e32 v19, v19, v17
	v_lshlrev_b32_e32 v17, 29, v18
	v_cmp_gt_i64_e32 vcc, 0, v[16:17]
	v_not_b32_e32 v17, v17
	v_ashrrev_i32_e32 v17, 31, v17
	v_and_b32_e32 v20, v20, v21
	v_xor_b32_e32 v21, vcc_hi, v17
	v_xor_b32_e32 v17, vcc_lo, v17
	v_and_b32_e32 v19, v19, v17
	v_lshlrev_b32_e32 v17, 28, v18
	v_cmp_gt_i64_e32 vcc, 0, v[16:17]
	v_not_b32_e32 v17, v17
	v_ashrrev_i32_e32 v17, 31, v17
	v_and_b32_e32 v20, v20, v21
	;; [unrolled: 8-line block ×5, first 2 shown]
	v_xor_b32_e32 v21, vcc_hi, v17
	v_xor_b32_e32 v17, vcc_lo, v17
	v_and_b32_e32 v20, v20, v21
	v_and_b32_e32 v21, v19, v17
	v_lshlrev_b32_e32 v17, 24, v18
	v_cmp_gt_i64_e32 vcc, 0, v[16:17]
	v_not_b32_e32 v17, v17
	v_ashrrev_i32_e32 v17, 31, v17
	v_xor_b32_e32 v18, vcc_hi, v17
	v_xor_b32_e32 v17, vcc_lo, v17
	; wave barrier
	ds_read_b32 v78, v79 offset:8
	v_and_b32_e32 v19, v20, v18
	v_and_b32_e32 v18, v21, v17
	v_mbcnt_lo_u32_b32 v17, v18, 0
	v_mbcnt_hi_u32_b32 v80, v19, v17
	v_cmp_eq_u32_e32 vcc, 0, v80
	v_cmp_ne_u64_e64 s[16:17], 0, v[18:19]
	s_and_b64 s[20:21], s[16:17], vcc
	; wave barrier
	s_and_saveexec_b64 s[16:17], s[20:21]
	s_cbranch_execz .LBB162_97
; %bb.96:
	v_bcnt_u32_b32 v17, v18, 0
	v_bcnt_u32_b32 v17, v19, v17
	s_waitcnt lgkmcnt(0)
	v_add_u32_e32 v17, v78, v17
	ds_write_b32 v79, v17 offset:8
.LBB162_97:
	s_or_b64 exec, exec, s[16:17]
	v_and_b32_sdwa v18, s18, v25 dst_sel:DWORD dst_unused:UNUSED_PAD src0_sel:DWORD src1_sel:WORD_0
	v_lshlrev_b32_e32 v17, 1, v18
	v_add_lshl_u32 v81, v22, v17, 2
	v_and_b32_e32 v17, 1, v18
	v_add_co_u32_e32 v19, vcc, -1, v17
	v_addc_co_u32_e64 v20, s[16:17], 0, -1, vcc
	v_cmp_ne_u32_e32 vcc, 0, v17
	v_xor_b32_e32 v17, vcc_hi, v20
	v_and_b32_e32 v20, exec_hi, v17
	v_lshlrev_b32_e32 v17, 30, v18
	v_xor_b32_e32 v19, vcc_lo, v19
	v_cmp_gt_i64_e32 vcc, 0, v[16:17]
	v_not_b32_e32 v17, v17
	v_ashrrev_i32_e32 v17, 31, v17
	v_and_b32_e32 v19, exec_lo, v19
	v_xor_b32_e32 v21, vcc_hi, v17
	v_xor_b32_e32 v17, vcc_lo, v17
	v_and_b32_e32 v19, v19, v17
	v_lshlrev_b32_e32 v17, 29, v18
	v_cmp_gt_i64_e32 vcc, 0, v[16:17]
	v_not_b32_e32 v17, v17
	v_ashrrev_i32_e32 v17, 31, v17
	v_and_b32_e32 v20, v20, v21
	v_xor_b32_e32 v21, vcc_hi, v17
	v_xor_b32_e32 v17, vcc_lo, v17
	v_and_b32_e32 v19, v19, v17
	v_lshlrev_b32_e32 v17, 28, v18
	v_cmp_gt_i64_e32 vcc, 0, v[16:17]
	v_not_b32_e32 v17, v17
	v_ashrrev_i32_e32 v17, 31, v17
	v_and_b32_e32 v20, v20, v21
	;; [unrolled: 8-line block ×5, first 2 shown]
	v_xor_b32_e32 v21, vcc_hi, v17
	v_xor_b32_e32 v17, vcc_lo, v17
	v_and_b32_e32 v19, v19, v17
	v_lshlrev_b32_e32 v17, 24, v18
	v_cmp_gt_i64_e32 vcc, 0, v[16:17]
	v_not_b32_e32 v16, v17
	v_ashrrev_i32_e32 v16, 31, v16
	v_xor_b32_e32 v17, vcc_hi, v16
	v_xor_b32_e32 v16, vcc_lo, v16
	v_min_u32_e32 v33, 64, v67
	; wave barrier
	ds_read_b32 v67, v81 offset:8
	v_and_b32_e32 v20, v20, v21
	v_and_b32_e32 v16, v19, v16
	;; [unrolled: 1-line block ×3, first 2 shown]
	v_mbcnt_lo_u32_b32 v18, v16, 0
	v_mbcnt_hi_u32_b32 v82, v17, v18
	v_cmp_eq_u32_e32 vcc, 0, v82
	v_cmp_ne_u64_e64 s[16:17], 0, v[16:17]
	v_or_b32_e32 v23, 8, v64
	v_lshrrev_b32_e32 v24, 6, v46
	s_and_b64 s[18:19], s[16:17], vcc
	; wave barrier
	s_and_saveexec_b64 s[16:17], s[18:19]
	s_cbranch_execz .LBB162_99
; %bb.98:
	v_bcnt_u32_b32 v16, v16, 0
	v_bcnt_u32_b32 v16, v17, v16
	s_waitcnt lgkmcnt(0)
	v_add_u32_e32 v16, v67, v16
	ds_write_b32 v81, v16 offset:8
.LBB162_99:
	s_or_b64 exec, exec, s[16:17]
	; wave barrier
	s_waitcnt lgkmcnt(0)
	s_barrier
	ds_read2_b32 v[18:19], v64 offset0:2 offset1:3
	ds_read2_b32 v[20:21], v23 offset0:2 offset1:3
	v_and_b32_e32 v17, 16, v65
	v_cmp_eq_u32_e32 vcc, 0, v17
	v_or_b32_e32 v17, 63, v33
	v_cmp_eq_u32_e64 s[16:17], v17, v46
	s_waitcnt lgkmcnt(1)
	v_add_u32_e32 v17, v19, v18
	v_and_b32_e32 v16, 15, v65
	s_waitcnt lgkmcnt(0)
	v_add3_u32 v17, v17, v20, v21
	v_cmp_eq_u32_e64 s[20:21], 0, v16
	v_cmp_lt_u32_e64 s[22:23], 1, v16
	v_mov_b32_dpp v21, v17 row_shr:1 row_mask:0xf bank_mask:0xf
	v_cndmask_b32_e64 v21, v21, 0, s[20:21]
	v_add_u32_e32 v17, v21, v17
	v_cmp_lt_u32_e64 s[26:27], 3, v16
	v_cmp_lt_u32_e64 s[28:29], 7, v16
	v_mov_b32_dpp v21, v17 row_shr:2 row_mask:0xf bank_mask:0xf
	v_cndmask_b32_e64 v21, 0, v21, s[22:23]
	v_add_u32_e32 v17, v17, v21
	v_bfe_i32 v34, v65, 4, 1
	v_cmp_lt_u32_e64 s[34:35], 31, v65
	v_mov_b32_dpp v21, v17 row_shr:4 row_mask:0xf bank_mask:0xf
	v_cndmask_b32_e64 v21, 0, v21, s[26:27]
	v_add_u32_e32 v17, v17, v21
	v_lshlrev_b32_e32 v24, 2, v24
	s_nop 0
	v_mov_b32_dpp v21, v17 row_shr:8 row_mask:0xf bank_mask:0xf
	v_cndmask_b32_e64 v16, 0, v21, s[28:29]
	v_add_u32_e32 v16, v17, v16
	s_nop 1
	v_mov_b32_dpp v17, v16 row_bcast:15 row_mask:0xf bank_mask:0xf
	v_and_b32_e32 v17, v34, v17
	v_add_u32_e32 v16, v16, v17
	s_nop 1
	v_mov_b32_dpp v17, v16 row_bcast:31 row_mask:0xf bank_mask:0xf
	v_cndmask_b32_e64 v17, 0, v17, s[34:35]
	v_add_u32_e32 v17, v16, v17
	s_and_saveexec_b64 s[18:19], s[16:17]
	s_cbranch_execz .LBB162_101
; %bb.100:
	ds_write_b32 v24, v17
.LBB162_101:
	s_or_b64 exec, exec, s[18:19]
	v_and_b32_e32 v16, 1, v65
	v_cmp_gt_u32_e64 s[24:25], 2, v46
	v_lshlrev_b32_e32 v21, 2, v46
	v_cmp_eq_u32_e64 s[18:19], 0, v16
	s_waitcnt lgkmcnt(0)
	s_barrier
	s_and_saveexec_b64 s[30:31], s[24:25]
	s_cbranch_execz .LBB162_103
; %bb.102:
	ds_read_b32 v16, v21
	s_waitcnt lgkmcnt(0)
	s_nop 0
	v_mov_b32_dpp v33, v16 row_shr:1 row_mask:0xf bank_mask:0xf
	v_cndmask_b32_e64 v33, v33, 0, s[18:19]
	v_add_u32_e32 v16, v33, v16
	ds_write_b32 v21, v16
.LBB162_103:
	s_or_b64 exec, exec, s[30:31]
	v_cmp_lt_u32_e64 s[30:31], 63, v46
	v_add_u32_e32 v33, -4, v24
	v_mov_b32_e32 v16, 0
	v_mov_b32_e32 v83, 0
	s_waitcnt lgkmcnt(0)
	s_barrier
	s_and_saveexec_b64 s[36:37], s[30:31]
	s_cbranch_execz .LBB162_105
; %bb.104:
	ds_read_b32 v83, v33
.LBB162_105:
	s_or_b64 exec, exec, s[36:37]
	v_add_u32_e32 v34, -1, v65
	v_and_b32_e32 v84, 64, v65
	v_cmp_lt_i32_e64 s[36:37], v34, v84
	v_cndmask_b32_e64 v34, v34, v65, s[36:37]
	v_lshlrev_b32_e32 v34, 2, v34
	s_waitcnt lgkmcnt(0)
	v_add_u32_e32 v17, v83, v17
	ds_bpermute_b32 v17, v34, v17
	v_cmp_eq_u32_e64 s[36:37], 0, v65
	v_cmp_eq_u32_e64 s[38:39], 0, v46
	s_min_u32 s40, s40, 8
	v_and_or_b32 v66, v65, 63, v66
	s_waitcnt lgkmcnt(0)
	v_cndmask_b32_e64 v17, v17, v83, s[36:37]
	v_cndmask_b32_e64 v17, v17, 0, s[38:39]
	v_add_u32_e32 v18, v17, v18
	v_add_u32_e32 v19, v18, v19
	;; [unrolled: 1-line block ×3, first 2 shown]
	ds_write2_b32 v64, v17, v18 offset0:2 offset1:3
	ds_write2_b32 v23, v19, v20 offset0:2 offset1:3
	s_waitcnt lgkmcnt(0)
	s_barrier
	ds_read_b32 v17, v35 offset:8
	ds_read_b32 v18, v38 offset:8
	;; [unrolled: 1-line block ×8, first 2 shown]
	s_waitcnt lgkmcnt(7)
	v_add_u32_e32 v17, v17, v36
	s_waitcnt lgkmcnt(6)
	v_add3_u32 v18, v39, v37, v18
	s_waitcnt lgkmcnt(4)
	v_add3_u32 v36, v71, v69, v20
	v_lshlrev_b32_e32 v20, 1, v17
	v_add3_u32 v19, v68, v40, v19
	s_waitcnt lgkmcnt(0)
	s_barrier
	ds_write_b16 v20, v32
	v_lshlrev_b32_e32 v20, 1, v18
	ds_write_b16 v20, v31
	v_lshlrev_b32_e32 v20, 1, v19
	v_add3_u32 v35, v74, v72, v35
	ds_write_b16 v20, v30
	v_lshlrev_b32_e32 v20, 1, v36
	v_add3_u32 v37, v77, v75, v38
	;; [unrolled: 3-line block ×4, first 2 shown]
	ds_write_b16 v20, v27
	v_lshlrev_b32_e32 v20, 1, v38
	s_lshl_b32 s40, -1, s40
	v_lshlrev_b32_e32 v84, 1, v66
	ds_write_b16 v20, v26
	v_lshlrev_b32_e32 v20, 1, v39
	v_lshlrev_b32_e32 v17, 3, v17
	s_not_b32 s49, s40
	ds_write_b16 v20, v25
	s_waitcnt lgkmcnt(0)
	s_barrier
	ds_read_u16 v31, v84
	ds_read_u16 v30, v84 offset:128
	ds_read_u16 v29, v84 offset:256
	;; [unrolled: 1-line block ×7, first 2 shown]
	s_waitcnt lgkmcnt(0)
	s_barrier
	ds_write_b64 v17, v[12:13]
	v_lshlrev_b32_e32 v12, 3, v18
	v_and_b32_sdwa v18, v31, s49 dst_sel:DWORD dst_unused:UNUSED_PAD src0_sel:BYTE_1 src1_sel:DWORD
	v_lshlrev_b32_e32 v17, 1, v18
	ds_write_b64 v12, v[14:15]
	v_lshlrev_b32_e32 v12, 3, v19
	v_add_lshl_u32 v32, v17, v22, 2
	v_and_b32_e32 v17, 1, v18
	ds_write_b64 v12, v[8:9]
	v_lshlrev_b32_e32 v8, 3, v36
	v_add_co_u32_e64 v19, s[40:41], -1, v17
	ds_write_b64 v8, v[10:11]
	v_lshlrev_b32_e32 v8, 3, v35
	v_addc_co_u32_e64 v35, s[40:41], 0, -1, s[40:41]
	v_cmp_ne_u32_e64 s[40:41], 0, v17
	v_xor_b32_e32 v17, s41, v35
	v_and_b32_e32 v35, exec_hi, v17
	v_lshlrev_b32_e32 v17, 30, v18
	v_xor_b32_e32 v19, s40, v19
	v_cmp_gt_i64_e64 s[40:41], 0, v[16:17]
	v_not_b32_e32 v17, v17
	v_ashrrev_i32_e32 v17, 31, v17
	v_and_b32_e32 v19, exec_lo, v19
	v_xor_b32_e32 v36, s41, v17
	v_xor_b32_e32 v17, s40, v17
	v_and_b32_e32 v19, v19, v17
	v_lshlrev_b32_e32 v17, 29, v18
	v_cmp_gt_i64_e64 s[40:41], 0, v[16:17]
	v_not_b32_e32 v17, v17
	v_ashrrev_i32_e32 v17, 31, v17
	v_and_b32_e32 v35, v35, v36
	v_xor_b32_e32 v36, s41, v17
	v_xor_b32_e32 v17, s40, v17
	v_and_b32_e32 v19, v19, v17
	v_lshlrev_b32_e32 v17, 28, v18
	v_cmp_gt_i64_e64 s[40:41], 0, v[16:17]
	v_not_b32_e32 v17, v17
	v_ashrrev_i32_e32 v17, 31, v17
	v_and_b32_e32 v35, v35, v36
	;; [unrolled: 8-line block ×4, first 2 shown]
	v_xor_b32_e32 v36, s41, v17
	v_xor_b32_e32 v17, s40, v17
	v_and_b32_e32 v19, v19, v17
	v_lshlrev_b32_e32 v17, 25, v18
	v_cmp_gt_i64_e64 s[40:41], 0, v[16:17]
	v_not_b32_e32 v17, v17
	ds_write_b64 v8, v[4:5]
	v_lshlrev_b32_e32 v4, 3, v37
	v_ashrrev_i32_e32 v17, 31, v17
	ds_write_b64 v4, v[6:7]
	v_lshlrev_b32_e32 v4, 3, v38
	v_and_b32_e32 v35, v35, v36
	v_xor_b32_e32 v36, s41, v17
	v_xor_b32_e32 v17, s40, v17
	v_lshlrev_b32_e32 v66, 3, v66
	ds_write_b64 v4, v[0:1]
	v_lshlrev_b32_e32 v0, 3, v39
	v_and_b32_e32 v19, v19, v17
	v_lshlrev_b32_e32 v17, 24, v18
	ds_write_b64 v0, v[2:3]
	s_waitcnt lgkmcnt(0)
	s_barrier
	ds_read2st64_b64 v[12:15], v66 offset1:1
	ds_read2st64_b64 v[8:11], v66 offset0:2 offset1:3
	ds_read2st64_b64 v[4:7], v66 offset0:4 offset1:5
	;; [unrolled: 1-line block ×3, first 2 shown]
	s_waitcnt lgkmcnt(0)
	s_barrier
	ds_write2_b32 v64, v16, v16 offset0:2 offset1:3
	ds_write2_b32 v23, v16, v16 offset0:2 offset1:3
	v_cmp_gt_i64_e64 s[40:41], 0, v[16:17]
	v_not_b32_e32 v16, v17
	v_ashrrev_i32_e32 v16, 31, v16
	v_xor_b32_e32 v17, s41, v16
	v_xor_b32_e32 v16, s40, v16
	v_and_b32_e32 v35, v35, v36
	v_and_b32_e32 v16, v19, v16
	;; [unrolled: 1-line block ×3, first 2 shown]
	v_mbcnt_lo_u32_b32 v18, v16, 0
	v_mbcnt_hi_u32_b32 v35, v17, v18
	v_cmp_eq_u32_e64 s[40:41], 0, v35
	v_cmp_ne_u64_e64 s[42:43], 0, v[16:17]
	s_and_b64 s[42:43], s[42:43], s[40:41]
	s_waitcnt lgkmcnt(0)
	s_barrier
	s_waitcnt lgkmcnt(0)
	; wave barrier
	s_and_saveexec_b64 s[40:41], s[42:43]
	s_cbranch_execz .LBB162_107
; %bb.106:
	v_bcnt_u32_b32 v16, v16, 0
	v_bcnt_u32_b32 v16, v17, v16
	ds_write_b32 v32, v16 offset:8
.LBB162_107:
	s_or_b64 exec, exec, s[40:41]
	v_and_b32_sdwa v18, v30, s49 dst_sel:DWORD dst_unused:UNUSED_PAD src0_sel:BYTE_1 src1_sel:DWORD
	v_and_b32_e32 v17, 1, v18
	v_add_co_u32_e64 v19, s[40:41], -1, v17
	v_addc_co_u32_e64 v38, s[40:41], 0, -1, s[40:41]
	v_cmp_ne_u32_e64 s[40:41], 0, v17
	v_lshlrev_b32_e32 v16, 1, v18
	v_xor_b32_e32 v17, s41, v38
	v_add_lshl_u32 v37, v16, v22, 2
	v_mov_b32_e32 v16, 0
	v_and_b32_e32 v38, exec_hi, v17
	v_lshlrev_b32_e32 v17, 30, v18
	v_xor_b32_e32 v19, s40, v19
	v_cmp_gt_i64_e64 s[40:41], 0, v[16:17]
	v_not_b32_e32 v17, v17
	v_ashrrev_i32_e32 v17, 31, v17
	v_and_b32_e32 v19, exec_lo, v19
	v_xor_b32_e32 v39, s41, v17
	v_xor_b32_e32 v17, s40, v17
	v_and_b32_e32 v19, v19, v17
	v_lshlrev_b32_e32 v17, 29, v18
	v_cmp_gt_i64_e64 s[40:41], 0, v[16:17]
	v_not_b32_e32 v17, v17
	v_ashrrev_i32_e32 v17, 31, v17
	v_and_b32_e32 v38, v38, v39
	v_xor_b32_e32 v39, s41, v17
	v_xor_b32_e32 v17, s40, v17
	v_and_b32_e32 v19, v19, v17
	v_lshlrev_b32_e32 v17, 28, v18
	v_cmp_gt_i64_e64 s[40:41], 0, v[16:17]
	v_not_b32_e32 v17, v17
	v_ashrrev_i32_e32 v17, 31, v17
	v_and_b32_e32 v38, v38, v39
	;; [unrolled: 8-line block ×5, first 2 shown]
	v_xor_b32_e32 v39, s41, v17
	v_xor_b32_e32 v17, s40, v17
	v_and_b32_e32 v38, v38, v39
	v_and_b32_e32 v39, v19, v17
	v_lshlrev_b32_e32 v17, 24, v18
	v_cmp_gt_i64_e64 s[40:41], 0, v[16:17]
	v_not_b32_e32 v17, v17
	v_ashrrev_i32_e32 v17, 31, v17
	v_xor_b32_e32 v18, s41, v17
	v_xor_b32_e32 v17, s40, v17
	; wave barrier
	ds_read_b32 v36, v37 offset:8
	v_and_b32_e32 v19, v38, v18
	v_and_b32_e32 v18, v39, v17
	v_mbcnt_lo_u32_b32 v17, v18, 0
	v_mbcnt_hi_u32_b32 v38, v19, v17
	v_cmp_eq_u32_e64 s[40:41], 0, v38
	v_cmp_ne_u64_e64 s[42:43], 0, v[18:19]
	s_and_b64 s[42:43], s[42:43], s[40:41]
	; wave barrier
	s_and_saveexec_b64 s[40:41], s[42:43]
	s_cbranch_execz .LBB162_109
; %bb.108:
	v_bcnt_u32_b32 v17, v18, 0
	v_bcnt_u32_b32 v17, v19, v17
	s_waitcnt lgkmcnt(0)
	v_add_u32_e32 v17, v36, v17
	ds_write_b32 v37, v17 offset:8
.LBB162_109:
	s_or_b64 exec, exec, s[40:41]
	v_and_b32_sdwa v18, v29, s49 dst_sel:DWORD dst_unused:UNUSED_PAD src0_sel:BYTE_1 src1_sel:DWORD
	v_lshlrev_b32_e32 v17, 1, v18
	v_add_lshl_u32 v40, v17, v22, 2
	v_and_b32_e32 v17, 1, v18
	v_add_co_u32_e64 v19, s[40:41], -1, v17
	v_addc_co_u32_e64 v41, s[40:41], 0, -1, s[40:41]
	v_cmp_ne_u32_e64 s[40:41], 0, v17
	v_xor_b32_e32 v17, s41, v41
	v_and_b32_e32 v41, exec_hi, v17
	v_lshlrev_b32_e32 v17, 30, v18
	v_xor_b32_e32 v19, s40, v19
	v_cmp_gt_i64_e64 s[40:41], 0, v[16:17]
	v_not_b32_e32 v17, v17
	v_ashrrev_i32_e32 v17, 31, v17
	v_and_b32_e32 v19, exec_lo, v19
	v_xor_b32_e32 v46, s41, v17
	v_xor_b32_e32 v17, s40, v17
	v_and_b32_e32 v19, v19, v17
	v_lshlrev_b32_e32 v17, 29, v18
	v_cmp_gt_i64_e64 s[40:41], 0, v[16:17]
	v_not_b32_e32 v17, v17
	v_ashrrev_i32_e32 v17, 31, v17
	v_and_b32_e32 v41, v41, v46
	v_xor_b32_e32 v46, s41, v17
	v_xor_b32_e32 v17, s40, v17
	v_and_b32_e32 v19, v19, v17
	v_lshlrev_b32_e32 v17, 28, v18
	v_cmp_gt_i64_e64 s[40:41], 0, v[16:17]
	v_not_b32_e32 v17, v17
	v_ashrrev_i32_e32 v17, 31, v17
	v_and_b32_e32 v41, v41, v46
	;; [unrolled: 8-line block ×5, first 2 shown]
	v_xor_b32_e32 v46, s41, v17
	v_xor_b32_e32 v17, s40, v17
	v_and_b32_e32 v19, v19, v17
	v_lshlrev_b32_e32 v17, 24, v18
	v_cmp_gt_i64_e64 s[40:41], 0, v[16:17]
	v_not_b32_e32 v16, v17
	v_ashrrev_i32_e32 v16, 31, v16
	v_xor_b32_e32 v17, s41, v16
	v_xor_b32_e32 v16, s40, v16
	; wave barrier
	ds_read_b32 v39, v40 offset:8
	v_and_b32_e32 v41, v41, v46
	v_and_b32_e32 v16, v19, v16
	;; [unrolled: 1-line block ×3, first 2 shown]
	v_mbcnt_lo_u32_b32 v18, v16, 0
	v_mbcnt_hi_u32_b32 v41, v17, v18
	v_cmp_eq_u32_e64 s[40:41], 0, v41
	v_cmp_ne_u64_e64 s[42:43], 0, v[16:17]
	s_and_b64 s[42:43], s[42:43], s[40:41]
	; wave barrier
	s_and_saveexec_b64 s[40:41], s[42:43]
	s_cbranch_execz .LBB162_111
; %bb.110:
	v_bcnt_u32_b32 v16, v16, 0
	v_bcnt_u32_b32 v16, v17, v16
	s_waitcnt lgkmcnt(0)
	v_add_u32_e32 v16, v39, v16
	ds_write_b32 v40, v16 offset:8
.LBB162_111:
	s_or_b64 exec, exec, s[40:41]
	v_and_b32_sdwa v18, v28, s49 dst_sel:DWORD dst_unused:UNUSED_PAD src0_sel:BYTE_1 src1_sel:DWORD
	v_and_b32_e32 v17, 1, v18
	v_add_co_u32_e64 v19, s[40:41], -1, v17
	v_addc_co_u32_e64 v66, s[40:41], 0, -1, s[40:41]
	v_cmp_ne_u32_e64 s[40:41], 0, v17
	v_lshlrev_b32_e32 v16, 1, v18
	v_xor_b32_e32 v17, s41, v66
	v_add_lshl_u32 v65, v16, v22, 2
	v_mov_b32_e32 v16, 0
	v_and_b32_e32 v66, exec_hi, v17
	v_lshlrev_b32_e32 v17, 30, v18
	v_xor_b32_e32 v19, s40, v19
	v_cmp_gt_i64_e64 s[40:41], 0, v[16:17]
	v_not_b32_e32 v17, v17
	v_ashrrev_i32_e32 v17, 31, v17
	v_and_b32_e32 v19, exec_lo, v19
	v_xor_b32_e32 v67, s41, v17
	v_xor_b32_e32 v17, s40, v17
	v_and_b32_e32 v19, v19, v17
	v_lshlrev_b32_e32 v17, 29, v18
	v_cmp_gt_i64_e64 s[40:41], 0, v[16:17]
	v_not_b32_e32 v17, v17
	v_ashrrev_i32_e32 v17, 31, v17
	v_and_b32_e32 v66, v66, v67
	v_xor_b32_e32 v67, s41, v17
	v_xor_b32_e32 v17, s40, v17
	v_and_b32_e32 v19, v19, v17
	v_lshlrev_b32_e32 v17, 28, v18
	v_cmp_gt_i64_e64 s[40:41], 0, v[16:17]
	v_not_b32_e32 v17, v17
	v_ashrrev_i32_e32 v17, 31, v17
	v_and_b32_e32 v66, v66, v67
	;; [unrolled: 8-line block ×5, first 2 shown]
	v_xor_b32_e32 v67, s41, v17
	v_xor_b32_e32 v17, s40, v17
	v_and_b32_e32 v66, v66, v67
	v_and_b32_e32 v67, v19, v17
	v_lshlrev_b32_e32 v17, 24, v18
	v_cmp_gt_i64_e64 s[40:41], 0, v[16:17]
	v_not_b32_e32 v17, v17
	v_ashrrev_i32_e32 v17, 31, v17
	v_xor_b32_e32 v18, s41, v17
	v_xor_b32_e32 v17, s40, v17
	; wave barrier
	ds_read_b32 v46, v65 offset:8
	v_and_b32_e32 v19, v66, v18
	v_and_b32_e32 v18, v67, v17
	v_mbcnt_lo_u32_b32 v17, v18, 0
	v_mbcnt_hi_u32_b32 v66, v19, v17
	v_cmp_eq_u32_e64 s[40:41], 0, v66
	v_cmp_ne_u64_e64 s[42:43], 0, v[18:19]
	s_and_b64 s[42:43], s[42:43], s[40:41]
	; wave barrier
	s_and_saveexec_b64 s[40:41], s[42:43]
	s_cbranch_execz .LBB162_113
; %bb.112:
	v_bcnt_u32_b32 v17, v18, 0
	v_bcnt_u32_b32 v17, v19, v17
	s_waitcnt lgkmcnt(0)
	v_add_u32_e32 v17, v46, v17
	ds_write_b32 v65, v17 offset:8
.LBB162_113:
	s_or_b64 exec, exec, s[40:41]
	v_and_b32_sdwa v18, v27, s49 dst_sel:DWORD dst_unused:UNUSED_PAD src0_sel:BYTE_1 src1_sel:DWORD
	v_lshlrev_b32_e32 v17, 1, v18
	v_add_lshl_u32 v68, v17, v22, 2
	v_and_b32_e32 v17, 1, v18
	v_add_co_u32_e64 v19, s[40:41], -1, v17
	v_addc_co_u32_e64 v69, s[40:41], 0, -1, s[40:41]
	v_cmp_ne_u32_e64 s[40:41], 0, v17
	v_xor_b32_e32 v17, s41, v69
	v_and_b32_e32 v69, exec_hi, v17
	v_lshlrev_b32_e32 v17, 30, v18
	v_xor_b32_e32 v19, s40, v19
	v_cmp_gt_i64_e64 s[40:41], 0, v[16:17]
	v_not_b32_e32 v17, v17
	v_ashrrev_i32_e32 v17, 31, v17
	v_and_b32_e32 v19, exec_lo, v19
	v_xor_b32_e32 v70, s41, v17
	v_xor_b32_e32 v17, s40, v17
	v_and_b32_e32 v19, v19, v17
	v_lshlrev_b32_e32 v17, 29, v18
	v_cmp_gt_i64_e64 s[40:41], 0, v[16:17]
	v_not_b32_e32 v17, v17
	v_ashrrev_i32_e32 v17, 31, v17
	v_and_b32_e32 v69, v69, v70
	v_xor_b32_e32 v70, s41, v17
	v_xor_b32_e32 v17, s40, v17
	v_and_b32_e32 v19, v19, v17
	v_lshlrev_b32_e32 v17, 28, v18
	v_cmp_gt_i64_e64 s[40:41], 0, v[16:17]
	v_not_b32_e32 v17, v17
	v_ashrrev_i32_e32 v17, 31, v17
	v_and_b32_e32 v69, v69, v70
	;; [unrolled: 8-line block ×5, first 2 shown]
	v_xor_b32_e32 v70, s41, v17
	v_xor_b32_e32 v17, s40, v17
	v_and_b32_e32 v19, v19, v17
	v_lshlrev_b32_e32 v17, 24, v18
	v_cmp_gt_i64_e64 s[40:41], 0, v[16:17]
	v_not_b32_e32 v16, v17
	v_ashrrev_i32_e32 v16, 31, v16
	v_xor_b32_e32 v17, s41, v16
	v_xor_b32_e32 v16, s40, v16
	; wave barrier
	ds_read_b32 v67, v68 offset:8
	v_and_b32_e32 v69, v69, v70
	v_and_b32_e32 v16, v19, v16
	;; [unrolled: 1-line block ×3, first 2 shown]
	v_mbcnt_lo_u32_b32 v18, v16, 0
	v_mbcnt_hi_u32_b32 v69, v17, v18
	v_cmp_eq_u32_e64 s[40:41], 0, v69
	v_cmp_ne_u64_e64 s[42:43], 0, v[16:17]
	s_and_b64 s[42:43], s[42:43], s[40:41]
	; wave barrier
	s_and_saveexec_b64 s[40:41], s[42:43]
	s_cbranch_execz .LBB162_115
; %bb.114:
	v_bcnt_u32_b32 v16, v16, 0
	v_bcnt_u32_b32 v16, v17, v16
	s_waitcnt lgkmcnt(0)
	v_add_u32_e32 v16, v67, v16
	ds_write_b32 v68, v16 offset:8
.LBB162_115:
	s_or_b64 exec, exec, s[40:41]
	v_and_b32_sdwa v18, v26, s49 dst_sel:DWORD dst_unused:UNUSED_PAD src0_sel:BYTE_1 src1_sel:DWORD
	v_and_b32_e32 v17, 1, v18
	v_add_co_u32_e64 v19, s[40:41], -1, v17
	v_addc_co_u32_e64 v72, s[40:41], 0, -1, s[40:41]
	v_cmp_ne_u32_e64 s[40:41], 0, v17
	v_lshlrev_b32_e32 v16, 1, v18
	v_xor_b32_e32 v17, s41, v72
	v_add_lshl_u32 v71, v16, v22, 2
	v_mov_b32_e32 v16, 0
	v_and_b32_e32 v72, exec_hi, v17
	v_lshlrev_b32_e32 v17, 30, v18
	v_xor_b32_e32 v19, s40, v19
	v_cmp_gt_i64_e64 s[40:41], 0, v[16:17]
	v_not_b32_e32 v17, v17
	v_ashrrev_i32_e32 v17, 31, v17
	v_and_b32_e32 v19, exec_lo, v19
	v_xor_b32_e32 v73, s41, v17
	v_xor_b32_e32 v17, s40, v17
	v_and_b32_e32 v19, v19, v17
	v_lshlrev_b32_e32 v17, 29, v18
	v_cmp_gt_i64_e64 s[40:41], 0, v[16:17]
	v_not_b32_e32 v17, v17
	v_ashrrev_i32_e32 v17, 31, v17
	v_and_b32_e32 v72, v72, v73
	v_xor_b32_e32 v73, s41, v17
	v_xor_b32_e32 v17, s40, v17
	v_and_b32_e32 v19, v19, v17
	v_lshlrev_b32_e32 v17, 28, v18
	v_cmp_gt_i64_e64 s[40:41], 0, v[16:17]
	v_not_b32_e32 v17, v17
	v_ashrrev_i32_e32 v17, 31, v17
	v_and_b32_e32 v72, v72, v73
	v_xor_b32_e32 v73, s41, v17
	v_xor_b32_e32 v17, s40, v17
	v_and_b32_e32 v19, v19, v17
	v_lshlrev_b32_e32 v17, 27, v18
	v_cmp_gt_i64_e64 s[40:41], 0, v[16:17]
	v_not_b32_e32 v17, v17
	v_ashrrev_i32_e32 v17, 31, v17
	v_and_b32_e32 v72, v72, v73
	v_xor_b32_e32 v73, s41, v17
	v_xor_b32_e32 v17, s40, v17
	v_and_b32_e32 v19, v19, v17
	v_lshlrev_b32_e32 v17, 26, v18
	v_cmp_gt_i64_e64 s[40:41], 0, v[16:17]
	v_not_b32_e32 v17, v17
	v_ashrrev_i32_e32 v17, 31, v17
	v_and_b32_e32 v72, v72, v73
	v_xor_b32_e32 v73, s41, v17
	v_xor_b32_e32 v17, s40, v17
	v_and_b32_e32 v19, v19, v17
	v_lshlrev_b32_e32 v17, 25, v18
	v_cmp_gt_i64_e64 s[40:41], 0, v[16:17]
	v_not_b32_e32 v17, v17
	v_ashrrev_i32_e32 v17, 31, v17
	v_and_b32_e32 v72, v72, v73
	v_xor_b32_e32 v73, s41, v17
	v_xor_b32_e32 v17, s40, v17
	v_and_b32_e32 v72, v72, v73
	v_and_b32_e32 v73, v19, v17
	v_lshlrev_b32_e32 v17, 24, v18
	v_cmp_gt_i64_e64 s[40:41], 0, v[16:17]
	v_not_b32_e32 v17, v17
	v_ashrrev_i32_e32 v17, 31, v17
	v_xor_b32_e32 v18, s41, v17
	v_xor_b32_e32 v17, s40, v17
	; wave barrier
	ds_read_b32 v70, v71 offset:8
	v_and_b32_e32 v19, v72, v18
	v_and_b32_e32 v18, v73, v17
	v_mbcnt_lo_u32_b32 v17, v18, 0
	v_mbcnt_hi_u32_b32 v72, v19, v17
	v_cmp_eq_u32_e64 s[40:41], 0, v72
	v_cmp_ne_u64_e64 s[42:43], 0, v[18:19]
	s_and_b64 s[42:43], s[42:43], s[40:41]
	; wave barrier
	s_and_saveexec_b64 s[40:41], s[42:43]
	s_cbranch_execz .LBB162_117
; %bb.116:
	v_bcnt_u32_b32 v17, v18, 0
	v_bcnt_u32_b32 v17, v19, v17
	s_waitcnt lgkmcnt(0)
	v_add_u32_e32 v17, v70, v17
	ds_write_b32 v71, v17 offset:8
.LBB162_117:
	s_or_b64 exec, exec, s[40:41]
	v_and_b32_sdwa v18, v25, s49 dst_sel:DWORD dst_unused:UNUSED_PAD src0_sel:BYTE_1 src1_sel:DWORD
	v_lshlrev_b32_e32 v17, 1, v18
	v_add_lshl_u32 v74, v17, v22, 2
	v_and_b32_e32 v17, 1, v18
	v_add_co_u32_e64 v19, s[40:41], -1, v17
	v_addc_co_u32_e64 v75, s[40:41], 0, -1, s[40:41]
	v_cmp_ne_u32_e64 s[40:41], 0, v17
	v_xor_b32_e32 v17, s41, v75
	v_and_b32_e32 v75, exec_hi, v17
	v_lshlrev_b32_e32 v17, 30, v18
	v_xor_b32_e32 v19, s40, v19
	v_cmp_gt_i64_e64 s[40:41], 0, v[16:17]
	v_not_b32_e32 v17, v17
	v_ashrrev_i32_e32 v17, 31, v17
	v_and_b32_e32 v19, exec_lo, v19
	v_xor_b32_e32 v76, s41, v17
	v_xor_b32_e32 v17, s40, v17
	v_and_b32_e32 v19, v19, v17
	v_lshlrev_b32_e32 v17, 29, v18
	v_cmp_gt_i64_e64 s[40:41], 0, v[16:17]
	v_not_b32_e32 v17, v17
	v_ashrrev_i32_e32 v17, 31, v17
	v_and_b32_e32 v75, v75, v76
	v_xor_b32_e32 v76, s41, v17
	v_xor_b32_e32 v17, s40, v17
	v_and_b32_e32 v19, v19, v17
	v_lshlrev_b32_e32 v17, 28, v18
	v_cmp_gt_i64_e64 s[40:41], 0, v[16:17]
	v_not_b32_e32 v17, v17
	v_ashrrev_i32_e32 v17, 31, v17
	v_and_b32_e32 v75, v75, v76
	;; [unrolled: 8-line block ×5, first 2 shown]
	v_xor_b32_e32 v76, s41, v17
	v_xor_b32_e32 v17, s40, v17
	v_and_b32_e32 v19, v19, v17
	v_lshlrev_b32_e32 v17, 24, v18
	v_cmp_gt_i64_e64 s[40:41], 0, v[16:17]
	v_not_b32_e32 v16, v17
	v_ashrrev_i32_e32 v16, 31, v16
	v_xor_b32_e32 v17, s41, v16
	v_xor_b32_e32 v16, s40, v16
	; wave barrier
	ds_read_b32 v73, v74 offset:8
	v_and_b32_e32 v75, v75, v76
	v_and_b32_e32 v16, v19, v16
	;; [unrolled: 1-line block ×3, first 2 shown]
	v_mbcnt_lo_u32_b32 v18, v16, 0
	v_mbcnt_hi_u32_b32 v75, v17, v18
	v_cmp_eq_u32_e64 s[40:41], 0, v75
	v_cmp_ne_u64_e64 s[42:43], 0, v[16:17]
	s_and_b64 s[42:43], s[42:43], s[40:41]
	; wave barrier
	s_and_saveexec_b64 s[40:41], s[42:43]
	s_cbranch_execz .LBB162_119
; %bb.118:
	v_bcnt_u32_b32 v16, v16, 0
	v_bcnt_u32_b32 v16, v17, v16
	s_waitcnt lgkmcnt(0)
	v_add_u32_e32 v16, v73, v16
	ds_write_b32 v74, v16 offset:8
.LBB162_119:
	s_or_b64 exec, exec, s[40:41]
	v_and_b32_sdwa v18, v20, s49 dst_sel:DWORD dst_unused:UNUSED_PAD src0_sel:BYTE_1 src1_sel:DWORD
	v_and_b32_e32 v17, 1, v18
	v_add_co_u32_e64 v19, s[40:41], -1, v17
	v_addc_co_u32_e64 v77, s[40:41], 0, -1, s[40:41]
	v_cmp_ne_u32_e64 s[40:41], 0, v17
	v_lshlrev_b32_e32 v16, 1, v18
	v_xor_b32_e32 v17, s41, v77
	v_add_lshl_u32 v76, v16, v22, 2
	v_mov_b32_e32 v16, 0
	v_and_b32_e32 v77, exec_hi, v17
	v_lshlrev_b32_e32 v17, 30, v18
	v_xor_b32_e32 v19, s40, v19
	v_cmp_gt_i64_e64 s[40:41], 0, v[16:17]
	v_not_b32_e32 v17, v17
	v_ashrrev_i32_e32 v17, 31, v17
	v_and_b32_e32 v19, exec_lo, v19
	v_xor_b32_e32 v78, s41, v17
	v_xor_b32_e32 v17, s40, v17
	v_and_b32_e32 v19, v19, v17
	v_lshlrev_b32_e32 v17, 29, v18
	v_cmp_gt_i64_e64 s[40:41], 0, v[16:17]
	v_not_b32_e32 v17, v17
	v_ashrrev_i32_e32 v17, 31, v17
	v_and_b32_e32 v77, v77, v78
	v_xor_b32_e32 v78, s41, v17
	v_xor_b32_e32 v17, s40, v17
	v_and_b32_e32 v19, v19, v17
	v_lshlrev_b32_e32 v17, 28, v18
	v_cmp_gt_i64_e64 s[40:41], 0, v[16:17]
	v_not_b32_e32 v17, v17
	v_ashrrev_i32_e32 v17, 31, v17
	v_and_b32_e32 v77, v77, v78
	;; [unrolled: 8-line block ×5, first 2 shown]
	v_xor_b32_e32 v78, s41, v17
	v_xor_b32_e32 v17, s40, v17
	v_and_b32_e32 v19, v19, v17
	v_lshlrev_b32_e32 v17, 24, v18
	v_cmp_gt_i64_e64 s[40:41], 0, v[16:17]
	v_not_b32_e32 v16, v17
	v_ashrrev_i32_e32 v16, 31, v16
	v_xor_b32_e32 v17, s41, v16
	v_xor_b32_e32 v16, s40, v16
	; wave barrier
	ds_read_b32 v22, v76 offset:8
	v_and_b32_e32 v77, v77, v78
	v_and_b32_e32 v16, v19, v16
	;; [unrolled: 1-line block ×3, first 2 shown]
	v_mbcnt_lo_u32_b32 v18, v16, 0
	v_mbcnt_hi_u32_b32 v77, v17, v18
	v_cmp_eq_u32_e64 s[40:41], 0, v77
	v_cmp_ne_u64_e64 s[42:43], 0, v[16:17]
	s_and_b64 s[42:43], s[42:43], s[40:41]
	; wave barrier
	s_and_saveexec_b64 s[40:41], s[42:43]
	s_cbranch_execz .LBB162_121
; %bb.120:
	v_bcnt_u32_b32 v16, v16, 0
	v_bcnt_u32_b32 v16, v17, v16
	s_waitcnt lgkmcnt(0)
	v_add_u32_e32 v16, v22, v16
	ds_write_b32 v76, v16 offset:8
.LBB162_121:
	s_or_b64 exec, exec, s[40:41]
	; wave barrier
	s_waitcnt lgkmcnt(0)
	s_barrier
	ds_read2_b32 v[18:19], v64 offset0:2 offset1:3
	ds_read2_b32 v[16:17], v23 offset0:2 offset1:3
	s_waitcnt lgkmcnt(1)
	v_add_u32_e32 v78, v19, v18
	s_waitcnt lgkmcnt(0)
	v_add3_u32 v17, v78, v16, v17
	s_nop 1
	v_mov_b32_dpp v78, v17 row_shr:1 row_mask:0xf bank_mask:0xf
	v_cndmask_b32_e64 v78, v78, 0, s[20:21]
	v_add_u32_e32 v17, v78, v17
	s_nop 1
	v_mov_b32_dpp v78, v17 row_shr:2 row_mask:0xf bank_mask:0xf
	v_cndmask_b32_e64 v78, 0, v78, s[22:23]
	v_add_u32_e32 v17, v17, v78
	;; [unrolled: 4-line block ×4, first 2 shown]
	s_nop 1
	v_mov_b32_dpp v78, v17 row_bcast:15 row_mask:0xf bank_mask:0xf
	v_cndmask_b32_e64 v78, v78, 0, vcc
	v_add_u32_e32 v17, v17, v78
	s_nop 1
	v_mov_b32_dpp v78, v17 row_bcast:31 row_mask:0xf bank_mask:0xf
	v_cndmask_b32_e64 v78, 0, v78, s[34:35]
	v_add_u32_e32 v17, v17, v78
	s_and_saveexec_b64 s[20:21], s[16:17]
	s_cbranch_execz .LBB162_123
; %bb.122:
	ds_write_b32 v24, v17
.LBB162_123:
	s_or_b64 exec, exec, s[20:21]
	s_waitcnt lgkmcnt(0)
	s_barrier
	s_and_saveexec_b64 s[16:17], s[24:25]
	s_cbranch_execz .LBB162_125
; %bb.124:
	ds_read_b32 v24, v21
	s_waitcnt lgkmcnt(0)
	s_nop 0
	v_mov_b32_dpp v78, v24 row_shr:1 row_mask:0xf bank_mask:0xf
	v_cndmask_b32_e64 v78, v78, 0, s[18:19]
	v_add_u32_e32 v24, v78, v24
	ds_write_b32 v21, v24
.LBB162_125:
	s_or_b64 exec, exec, s[16:17]
	v_mov_b32_e32 v21, 0
	s_waitcnt lgkmcnt(0)
	s_barrier
	s_and_saveexec_b64 s[16:17], s[30:31]
	s_cbranch_execz .LBB162_127
; %bb.126:
	ds_read_b32 v21, v33
.LBB162_127:
	s_or_b64 exec, exec, s[16:17]
	s_waitcnt lgkmcnt(0)
	v_add_u32_e32 v17, v21, v17
	ds_bpermute_b32 v17, v34, v17
	v_lshlrev_b32_e32 v34, 3, v62
	s_waitcnt lgkmcnt(0)
	v_cndmask_b32_e64 v17, v17, v21, s[36:37]
	v_cndmask_b32_e64 v17, v17, 0, s[38:39]
	v_add_u32_e32 v18, v17, v18
	v_add_u32_e32 v19, v18, v19
	;; [unrolled: 1-line block ×3, first 2 shown]
	ds_write2_b32 v64, v17, v18 offset0:2 offset1:3
	ds_write2_b32 v23, v19, v16 offset0:2 offset1:3
	s_waitcnt lgkmcnt(0)
	s_barrier
	ds_read_b32 v16, v76 offset:8
	ds_read_b32 v17, v74 offset:8
	;; [unrolled: 1-line block ×4, first 2 shown]
	s_waitcnt lgkmcnt(3)
	v_add3_u32 v16, v77, v22, v16
	ds_read_b32 v21, v65 offset:8
	ds_read_b32 v22, v40 offset:8
	;; [unrolled: 1-line block ×4, first 2 shown]
	s_waitcnt lgkmcnt(0)
	s_barrier
	v_add3_u32 v22, v41, v39, v22
	v_add3_u32 v23, v38, v36, v23
	v_add_u32_e32 v24, v24, v35
	v_lshlrev_b32_e32 v32, 1, v24
	ds_write_b16 v32, v31
	v_lshlrev_b32_e32 v31, 1, v23
	v_add3_u32 v21, v66, v46, v21
	ds_write_b16 v31, v30
	v_lshlrev_b32_e32 v30, 1, v22
	v_add3_u32 v19, v69, v67, v19
	;; [unrolled: 3-line block ×4, first 2 shown]
	ds_write_b16 v28, v27
	v_lshlrev_b32_e32 v27, 1, v18
	ds_write_b16 v27, v26
	v_lshlrev_b32_e32 v26, 1, v17
	;; [unrolled: 2-line block ×4, first 2 shown]
	v_lshlrev_b32_e32 v24, 3, v24
	v_lshlrev_b32_e32 v23, 3, v23
	;; [unrolled: 1-line block ×7, first 2 shown]
	s_waitcnt lgkmcnt(0)
	s_barrier
	v_lshlrev_b32_e32 v21, 3, v21
	ds_read_b128 v[16:19], v20
	s_waitcnt lgkmcnt(0)
	s_barrier
	ds_write_b64 v24, v[12:13]
	ds_write_b64 v23, v[14:15]
	;; [unrolled: 1-line block ×8, first 2 shown]
	s_waitcnt lgkmcnt(0)
	s_barrier
	ds_read2_b64 v[22:25], v34 offset1:1
	ds_read2_b64 v[26:29], v34 offset0:2 offset1:3
	ds_read2_b64 v[30:33], v34 offset0:4 offset1:5
	;; [unrolled: 1-line block ×3, first 2 shown]
	v_xor_b32_e32 v38, 0x7fff7fff, v16
	v_xor_b32_e32 v39, 0x7fff7fff, v17
	;; [unrolled: 1-line block ×4, first 2 shown]
.LBB162_128:
	s_waitcnt lgkmcnt(0)
	s_barrier
	ds_write_b128 v54, v[38:41]
	s_waitcnt lgkmcnt(0)
	s_barrier
	ds_read_u16 v8, v43 offset:256
	ds_read_u16 v7, v48 offset:512
	;; [unrolled: 1-line block ×7, first 2 shown]
	v_mov_b32_e32 v43, 0
	v_lshlrev_b64 v[0:1], 1, v[42:43]
	v_mov_b32_e32 v9, s44
	v_add_co_u32_e32 v0, vcc, s33, v0
	v_addc_co_u32_e32 v1, vcc, v9, v1, vcc
	s_and_saveexec_b64 s[16:17], s[0:1]
	s_cbranch_execnz .LBB162_147
; %bb.129:
	s_or_b64 exec, exec, s[16:17]
	s_and_saveexec_b64 s[16:17], s[2:3]
	s_cbranch_execnz .LBB162_148
.LBB162_130:
	s_or_b64 exec, exec, s[16:17]
	s_and_saveexec_b64 s[16:17], s[4:5]
	s_cbranch_execnz .LBB162_149
.LBB162_131:
	s_or_b64 exec, exec, s[16:17]
	s_and_saveexec_b64 s[16:17], s[6:7]
	s_cbranch_execnz .LBB162_150
.LBB162_132:
	s_or_b64 exec, exec, s[16:17]
	s_and_saveexec_b64 s[16:17], s[8:9]
	s_cbranch_execnz .LBB162_151
.LBB162_133:
	s_or_b64 exec, exec, s[16:17]
	s_and_saveexec_b64 s[16:17], s[10:11]
	s_cbranch_execnz .LBB162_152
.LBB162_134:
	s_or_b64 exec, exec, s[16:17]
	s_and_saveexec_b64 s[16:17], s[12:13]
	s_cbranch_execnz .LBB162_153
.LBB162_135:
	s_or_b64 exec, exec, s[16:17]
	s_and_saveexec_b64 s[16:17], s[14:15]
	s_cbranch_execz .LBB162_137
.LBB162_136:
	s_mul_i32 s18, s46, 0x380
	s_mov_b32 s19, 0
	s_lshl_b64 s[18:19], s[18:19], 1
	s_waitcnt lgkmcnt(1)
	v_mov_b32_e32 v3, s19
	v_add_co_u32_e32 v0, vcc, s18, v0
	v_addc_co_u32_e32 v1, vcc, v1, v3, vcc
	s_waitcnt lgkmcnt(0)
	global_store_short v[0:1], v2, off
.LBB162_137:
	s_or_b64 exec, exec, s[16:17]
	s_waitcnt lgkmcnt(0)
	s_barrier
	ds_write2_b64 v63, v[22:23], v[24:25] offset1:1
	ds_write2_b64 v63, v[26:27], v[28:29] offset0:2 offset1:3
	ds_write2_b64 v63, v[30:31], v[32:33] offset0:4 offset1:5
	;; [unrolled: 1-line block ×3, first 2 shown]
	s_waitcnt lgkmcnt(0)
	s_barrier
	ds_read_b64 v[14:15], v45 offset:1024
	ds_read_b64 v[12:13], v56 offset:2048
	;; [unrolled: 1-line block ×7, first 2 shown]
	v_mov_b32_e32 v45, 0
	v_lshlrev_b64 v[2:3], 3, v[44:45]
	v_mov_b32_e32 v16, s47
	v_add_co_u32_e32 v2, vcc, s45, v2
	v_addc_co_u32_e32 v3, vcc, v16, v3, vcc
	s_and_saveexec_b64 s[16:17], s[0:1]
	s_cbranch_execnz .LBB162_154
; %bb.138:
	s_or_b64 exec, exec, s[16:17]
	s_and_saveexec_b64 s[0:1], s[2:3]
	s_cbranch_execnz .LBB162_155
.LBB162_139:
	s_or_b64 exec, exec, s[0:1]
	s_and_saveexec_b64 s[0:1], s[4:5]
	s_cbranch_execnz .LBB162_156
.LBB162_140:
	s_or_b64 exec, exec, s[0:1]
	s_and_saveexec_b64 s[0:1], s[6:7]
	s_cbranch_execnz .LBB162_157
.LBB162_141:
	s_or_b64 exec, exec, s[0:1]
	s_and_saveexec_b64 s[0:1], s[8:9]
	s_cbranch_execnz .LBB162_158
.LBB162_142:
	s_or_b64 exec, exec, s[0:1]
	s_and_saveexec_b64 s[0:1], s[10:11]
	s_cbranch_execnz .LBB162_159
.LBB162_143:
	s_or_b64 exec, exec, s[0:1]
	s_and_saveexec_b64 s[0:1], s[12:13]
	s_cbranch_execnz .LBB162_160
.LBB162_144:
	s_or_b64 exec, exec, s[0:1]
	s_and_saveexec_b64 s[0:1], s[14:15]
	s_cbranch_execz .LBB162_146
.LBB162_145:
	s_mul_i32 s0, s48, 0x380
	s_mov_b32 s1, 0
	s_lshl_b64 s[0:1], s[0:1], 3
	s_waitcnt lgkmcnt(1)
	v_mov_b32_e32 v4, s1
	v_add_co_u32_e32 v2, vcc, s0, v2
	v_addc_co_u32_e32 v3, vcc, v3, v4, vcc
	s_waitcnt lgkmcnt(0)
	global_store_dwordx2 v[2:3], v[0:1], off
.LBB162_146:
	s_endpgm
.LBB162_147:
	ds_read_u16 v9, v47
	s_waitcnt lgkmcnt(0)
	global_store_short v[0:1], v9, off
	s_or_b64 exec, exec, s[16:17]
	s_and_saveexec_b64 s[16:17], s[2:3]
	s_cbranch_execz .LBB162_130
.LBB162_148:
	s_lshl_b32 s18, s46, 7
	s_mov_b32 s19, 0
	s_lshl_b64 s[18:19], s[18:19], 1
	v_mov_b32_e32 v9, s19
	v_add_co_u32_e32 v10, vcc, s18, v0
	v_addc_co_u32_e32 v11, vcc, v1, v9, vcc
	s_waitcnt lgkmcnt(6)
	global_store_short v[10:11], v8, off
	s_or_b64 exec, exec, s[16:17]
	s_and_saveexec_b64 s[16:17], s[4:5]
	s_cbranch_execz .LBB162_131
.LBB162_149:
	s_lshl_b32 s18, s46, 8
	s_mov_b32 s19, 0
	s_lshl_b64 s[18:19], s[18:19], 1
	v_mov_b32_e32 v9, s19
	s_waitcnt lgkmcnt(6)
	v_add_co_u32_e32 v8, vcc, s18, v0
	v_addc_co_u32_e32 v9, vcc, v1, v9, vcc
	s_waitcnt lgkmcnt(5)
	global_store_short v[8:9], v7, off
	s_or_b64 exec, exec, s[16:17]
	s_and_saveexec_b64 s[16:17], s[6:7]
	s_cbranch_execz .LBB162_132
.LBB162_150:
	s_mul_i32 s18, s46, 0x180
	s_mov_b32 s19, 0
	s_lshl_b64 s[18:19], s[18:19], 1
	s_waitcnt lgkmcnt(5)
	v_mov_b32_e32 v7, s19
	v_add_co_u32_e32 v8, vcc, s18, v0
	v_addc_co_u32_e32 v9, vcc, v1, v7, vcc
	s_waitcnt lgkmcnt(4)
	global_store_short v[8:9], v6, off
	s_or_b64 exec, exec, s[16:17]
	s_and_saveexec_b64 s[16:17], s[8:9]
	s_cbranch_execz .LBB162_133
.LBB162_151:
	s_lshl_b32 s18, s46, 9
	s_mov_b32 s19, 0
	s_lshl_b64 s[18:19], s[18:19], 1
	s_waitcnt lgkmcnt(5)
	v_mov_b32_e32 v7, s19
	s_waitcnt lgkmcnt(4)
	v_add_co_u32_e32 v6, vcc, s18, v0
	v_addc_co_u32_e32 v7, vcc, v1, v7, vcc
	s_waitcnt lgkmcnt(3)
	global_store_short v[6:7], v5, off
	s_or_b64 exec, exec, s[16:17]
	s_and_saveexec_b64 s[16:17], s[10:11]
	s_cbranch_execz .LBB162_134
.LBB162_152:
	s_mul_i32 s18, s46, 0x280
	s_mov_b32 s19, 0
	s_lshl_b64 s[18:19], s[18:19], 1
	s_waitcnt lgkmcnt(3)
	v_mov_b32_e32 v5, s19
	v_add_co_u32_e32 v6, vcc, s18, v0
	v_addc_co_u32_e32 v7, vcc, v1, v5, vcc
	s_waitcnt lgkmcnt(2)
	global_store_short v[6:7], v4, off
	s_or_b64 exec, exec, s[16:17]
	s_and_saveexec_b64 s[16:17], s[12:13]
	s_cbranch_execz .LBB162_135
.LBB162_153:
	s_mul_i32 s18, s46, 0x300
	s_mov_b32 s19, 0
	s_lshl_b64 s[18:19], s[18:19], 1
	s_waitcnt lgkmcnt(3)
	v_mov_b32_e32 v5, s19
	s_waitcnt lgkmcnt(2)
	v_add_co_u32_e32 v4, vcc, s18, v0
	v_addc_co_u32_e32 v5, vcc, v1, v5, vcc
	s_waitcnt lgkmcnt(1)
	global_store_short v[4:5], v3, off
	s_or_b64 exec, exec, s[16:17]
	s_and_saveexec_b64 s[16:17], s[14:15]
	s_cbranch_execnz .LBB162_136
	s_branch .LBB162_137
.LBB162_154:
	ds_read_b64 v[16:17], v55
	s_waitcnt lgkmcnt(0)
	global_store_dwordx2 v[2:3], v[16:17], off
	s_or_b64 exec, exec, s[16:17]
	s_and_saveexec_b64 s[0:1], s[2:3]
	s_cbranch_execz .LBB162_139
.LBB162_155:
	s_lshl_b32 s2, s48, 7
	s_mov_b32 s3, 0
	s_lshl_b64 s[2:3], s[2:3], 3
	v_mov_b32_e32 v17, s3
	v_add_co_u32_e32 v16, vcc, s2, v2
	v_addc_co_u32_e32 v17, vcc, v3, v17, vcc
	s_waitcnt lgkmcnt(6)
	global_store_dwordx2 v[16:17], v[14:15], off
	s_or_b64 exec, exec, s[0:1]
	s_and_saveexec_b64 s[0:1], s[4:5]
	s_cbranch_execz .LBB162_140
.LBB162_156:
	s_lshl_b32 s2, s48, 8
	s_mov_b32 s3, 0
	s_lshl_b64 s[2:3], s[2:3], 3
	s_waitcnt lgkmcnt(6)
	v_mov_b32_e32 v15, s3
	v_add_co_u32_e32 v14, vcc, s2, v2
	v_addc_co_u32_e32 v15, vcc, v3, v15, vcc
	s_waitcnt lgkmcnt(5)
	global_store_dwordx2 v[14:15], v[12:13], off
	s_or_b64 exec, exec, s[0:1]
	s_and_saveexec_b64 s[0:1], s[6:7]
	s_cbranch_execz .LBB162_141
.LBB162_157:
	s_mul_i32 s2, s48, 0x180
	s_mov_b32 s3, 0
	s_lshl_b64 s[2:3], s[2:3], 3
	s_waitcnt lgkmcnt(5)
	v_mov_b32_e32 v13, s3
	v_add_co_u32_e32 v12, vcc, s2, v2
	v_addc_co_u32_e32 v13, vcc, v3, v13, vcc
	s_waitcnt lgkmcnt(4)
	global_store_dwordx2 v[12:13], v[10:11], off
	s_or_b64 exec, exec, s[0:1]
	s_and_saveexec_b64 s[0:1], s[8:9]
	s_cbranch_execz .LBB162_142
.LBB162_158:
	s_lshl_b32 s2, s48, 9
	s_mov_b32 s3, 0
	s_lshl_b64 s[2:3], s[2:3], 3
	s_waitcnt lgkmcnt(4)
	v_mov_b32_e32 v11, s3
	v_add_co_u32_e32 v10, vcc, s2, v2
	v_addc_co_u32_e32 v11, vcc, v3, v11, vcc
	s_waitcnt lgkmcnt(3)
	global_store_dwordx2 v[10:11], v[8:9], off
	s_or_b64 exec, exec, s[0:1]
	s_and_saveexec_b64 s[0:1], s[10:11]
	s_cbranch_execz .LBB162_143
.LBB162_159:
	s_mul_i32 s2, s48, 0x280
	s_mov_b32 s3, 0
	s_lshl_b64 s[2:3], s[2:3], 3
	s_waitcnt lgkmcnt(3)
	v_mov_b32_e32 v9, s3
	v_add_co_u32_e32 v8, vcc, s2, v2
	v_addc_co_u32_e32 v9, vcc, v3, v9, vcc
	s_waitcnt lgkmcnt(2)
	global_store_dwordx2 v[8:9], v[6:7], off
	s_or_b64 exec, exec, s[0:1]
	s_and_saveexec_b64 s[0:1], s[12:13]
	s_cbranch_execz .LBB162_144
.LBB162_160:
	s_mul_i32 s2, s48, 0x300
	s_mov_b32 s3, 0
	s_lshl_b64 s[2:3], s[2:3], 3
	s_waitcnt lgkmcnt(2)
	v_mov_b32_e32 v7, s3
	v_add_co_u32_e32 v6, vcc, s2, v2
	v_addc_co_u32_e32 v7, vcc, v3, v7, vcc
	s_waitcnt lgkmcnt(1)
	global_store_dwordx2 v[6:7], v[4:5], off
	s_or_b64 exec, exec, s[0:1]
	s_and_saveexec_b64 s[0:1], s[14:15]
	s_cbranch_execnz .LBB162_145
	s_branch .LBB162_146
	.section	.rodata,"a",@progbits
	.p2align	6, 0x0
	.amdhsa_kernel _ZN2at6native18radixSortKVInPlaceILin2ELin1ELi128ELi8EsljEEvNS_4cuda6detail10TensorInfoIT3_T5_EES6_S6_S6_NS4_IT4_S6_EES6_b
		.amdhsa_group_segment_fixed_size 8448
		.amdhsa_private_segment_fixed_size 0
		.amdhsa_kernarg_size 712
		.amdhsa_user_sgpr_count 6
		.amdhsa_user_sgpr_private_segment_buffer 1
		.amdhsa_user_sgpr_dispatch_ptr 0
		.amdhsa_user_sgpr_queue_ptr 0
		.amdhsa_user_sgpr_kernarg_segment_ptr 1
		.amdhsa_user_sgpr_dispatch_id 0
		.amdhsa_user_sgpr_flat_scratch_init 0
		.amdhsa_user_sgpr_kernarg_preload_length 0
		.amdhsa_user_sgpr_kernarg_preload_offset 0
		.amdhsa_user_sgpr_private_segment_size 0
		.amdhsa_uses_dynamic_stack 0
		.amdhsa_system_sgpr_private_segment_wavefront_offset 0
		.amdhsa_system_sgpr_workgroup_id_x 1
		.amdhsa_system_sgpr_workgroup_id_y 1
		.amdhsa_system_sgpr_workgroup_id_z 1
		.amdhsa_system_sgpr_workgroup_info 0
		.amdhsa_system_vgpr_workitem_id 2
		.amdhsa_next_free_vgpr 113
		.amdhsa_next_free_sgpr 52
		.amdhsa_accum_offset 116
		.amdhsa_reserve_vcc 1
		.amdhsa_reserve_flat_scratch 0
		.amdhsa_float_round_mode_32 0
		.amdhsa_float_round_mode_16_64 0
		.amdhsa_float_denorm_mode_32 3
		.amdhsa_float_denorm_mode_16_64 3
		.amdhsa_dx10_clamp 1
		.amdhsa_ieee_mode 1
		.amdhsa_fp16_overflow 0
		.amdhsa_tg_split 0
		.amdhsa_exception_fp_ieee_invalid_op 0
		.amdhsa_exception_fp_denorm_src 0
		.amdhsa_exception_fp_ieee_div_zero 0
		.amdhsa_exception_fp_ieee_overflow 0
		.amdhsa_exception_fp_ieee_underflow 0
		.amdhsa_exception_fp_ieee_inexact 0
		.amdhsa_exception_int_div_zero 0
	.end_amdhsa_kernel
	.section	.text._ZN2at6native18radixSortKVInPlaceILin2ELin1ELi128ELi8EsljEEvNS_4cuda6detail10TensorInfoIT3_T5_EES6_S6_S6_NS4_IT4_S6_EES6_b,"axG",@progbits,_ZN2at6native18radixSortKVInPlaceILin2ELin1ELi128ELi8EsljEEvNS_4cuda6detail10TensorInfoIT3_T5_EES6_S6_S6_NS4_IT4_S6_EES6_b,comdat
.Lfunc_end162:
	.size	_ZN2at6native18radixSortKVInPlaceILin2ELin1ELi128ELi8EsljEEvNS_4cuda6detail10TensorInfoIT3_T5_EES6_S6_S6_NS4_IT4_S6_EES6_b, .Lfunc_end162-_ZN2at6native18radixSortKVInPlaceILin2ELin1ELi128ELi8EsljEEvNS_4cuda6detail10TensorInfoIT3_T5_EES6_S6_S6_NS4_IT4_S6_EES6_b
                                        ; -- End function
	.section	.AMDGPU.csdata,"",@progbits
; Kernel info:
; codeLenInByte = 20372
; NumSgprs: 56
; NumVgprs: 113
; NumAgprs: 0
; TotalNumVgprs: 113
; ScratchSize: 0
; MemoryBound: 0
; FloatMode: 240
; IeeeMode: 1
; LDSByteSize: 8448 bytes/workgroup (compile time only)
; SGPRBlocks: 6
; VGPRBlocks: 14
; NumSGPRsForWavesPerEU: 56
; NumVGPRsForWavesPerEU: 113
; AccumOffset: 116
; Occupancy: 4
; WaveLimiterHint : 1
; COMPUTE_PGM_RSRC2:SCRATCH_EN: 0
; COMPUTE_PGM_RSRC2:USER_SGPR: 6
; COMPUTE_PGM_RSRC2:TRAP_HANDLER: 0
; COMPUTE_PGM_RSRC2:TGID_X_EN: 1
; COMPUTE_PGM_RSRC2:TGID_Y_EN: 1
; COMPUTE_PGM_RSRC2:TGID_Z_EN: 1
; COMPUTE_PGM_RSRC2:TIDIG_COMP_CNT: 2
; COMPUTE_PGM_RSRC3_GFX90A:ACCUM_OFFSET: 28
; COMPUTE_PGM_RSRC3_GFX90A:TG_SPLIT: 0
	.section	.text._ZN2at6native18radixSortKVInPlaceILin2ELin1ELi32ELi4EsljEEvNS_4cuda6detail10TensorInfoIT3_T5_EES6_S6_S6_NS4_IT4_S6_EES6_b,"axG",@progbits,_ZN2at6native18radixSortKVInPlaceILin2ELin1ELi32ELi4EsljEEvNS_4cuda6detail10TensorInfoIT3_T5_EES6_S6_S6_NS4_IT4_S6_EES6_b,comdat
	.protected	_ZN2at6native18radixSortKVInPlaceILin2ELin1ELi32ELi4EsljEEvNS_4cuda6detail10TensorInfoIT3_T5_EES6_S6_S6_NS4_IT4_S6_EES6_b ; -- Begin function _ZN2at6native18radixSortKVInPlaceILin2ELin1ELi32ELi4EsljEEvNS_4cuda6detail10TensorInfoIT3_T5_EES6_S6_S6_NS4_IT4_S6_EES6_b
	.globl	_ZN2at6native18radixSortKVInPlaceILin2ELin1ELi32ELi4EsljEEvNS_4cuda6detail10TensorInfoIT3_T5_EES6_S6_S6_NS4_IT4_S6_EES6_b
	.p2align	8
	.type	_ZN2at6native18radixSortKVInPlaceILin2ELin1ELi32ELi4EsljEEvNS_4cuda6detail10TensorInfoIT3_T5_EES6_S6_S6_NS4_IT4_S6_EES6_b,@function
_ZN2at6native18radixSortKVInPlaceILin2ELin1ELi32ELi4EsljEEvNS_4cuda6detail10TensorInfoIT3_T5_EES6_S6_S6_NS4_IT4_S6_EES6_b: ; @_ZN2at6native18radixSortKVInPlaceILin2ELin1ELi32ELi4EsljEEvNS_4cuda6detail10TensorInfoIT3_T5_EES6_S6_S6_NS4_IT4_S6_EES6_b
; %bb.0:
	s_load_dwordx2 s[0:1], s[4:5], 0x1c8
	s_load_dwordx4 s[24:27], s[4:5], 0xd8
	s_waitcnt lgkmcnt(0)
	s_mul_i32 s1, s1, s8
	s_add_i32 s1, s1, s7
	s_mul_i32 s8, s1, s0
	s_add_i32 s8, s8, s6
	s_cmp_ge_u32 s8, s24
	s_cbranch_scc1 .LBB163_60
; %bb.1:
	s_load_dword s2, s[4:5], 0x1b8
	s_load_dwordx2 s[0:1], s[4:5], 0x0
	s_add_u32 s6, s4, 0xe8
	s_addc_u32 s7, s5, 0
	s_mov_b32 s11, 0
	s_waitcnt lgkmcnt(0)
	s_cmp_lt_i32 s2, 2
	s_mov_b32 s10, s8
	s_cbranch_scc1 .LBB163_4
; %bb.2:
	s_add_i32 s10, s2, -1
	s_add_i32 s9, s2, 1
	s_lshl_b64 s[2:3], s[10:11], 2
	s_add_u32 s2, s2, s6
	s_addc_u32 s3, s3, s7
	s_add_u32 s2, s2, 8
	s_addc_u32 s3, s3, 0
	s_mov_b32 s10, s8
.LBB163_3:                              ; =>This Inner Loop Header: Depth=1
	s_load_dword s12, s[2:3], 0x0
	s_load_dword s14, s[2:3], 0x64
	s_mov_b32 s13, s10
	s_waitcnt lgkmcnt(0)
	v_cvt_f32_u32_e32 v1, s12
	s_sub_i32 s10, 0, s12
	v_rcp_iflag_f32_e32 v1, v1
	v_mul_f32_e32 v1, 0x4f7ffffe, v1
	v_cvt_u32_f32_e32 v1, v1
	v_readfirstlane_b32 s15, v1
	s_mul_i32 s10, s10, s15
	s_mul_hi_u32 s10, s15, s10
	s_add_i32 s15, s15, s10
	s_mul_hi_u32 s10, s13, s15
	s_mul_i32 s15, s10, s12
	s_sub_i32 s15, s13, s15
	s_add_i32 s16, s10, 1
	s_sub_i32 s17, s15, s12
	s_cmp_ge_u32 s15, s12
	s_cselect_b32 s10, s16, s10
	s_cselect_b32 s15, s17, s15
	s_add_i32 s16, s10, 1
	s_cmp_ge_u32 s15, s12
	s_cselect_b32 s10, s16, s10
	s_mul_i32 s12, s10, s12
	s_sub_i32 s12, s13, s12
	s_mul_i32 s12, s14, s12
	s_add_i32 s9, s9, -1
	s_add_i32 s11, s12, s11
	s_add_u32 s2, s2, -4
	s_addc_u32 s3, s3, -1
	s_cmp_gt_u32 s9, 2
	s_cbranch_scc1 .LBB163_3
.LBB163_4:
	s_load_dword s2, s[4:5], 0x6c
	s_load_dwordx2 s[28:29], s[4:5], 0x1c0
	s_mov_b32 s12, 0x8000
	s_mov_b32 s3, 0
	v_mul_lo_u32 v18, v0, s26
	s_waitcnt lgkmcnt(0)
	s_mul_i32 s2, s2, s8
	s_bitcmp1_b32 s29, 0
	s_cselect_b64 s[8:9], -1, 0
	s_and_b64 s[4:5], s[8:9], exec
	s_cselect_b32 s4, s12, 0x7fff
	s_lshl_b64 s[2:3], s[2:3], 1
	s_add_u32 s27, s0, s2
	s_pack_ll_b32_b16 s2, s4, s4
	s_addc_u32 s29, s1, s3
	s_mov_b32 s3, s2
	v_cmp_gt_u32_e64 s[0:1], s25, v0
	v_pk_mov_b32 v[2:3], s[2:3], s[2:3] op_sel:[0,1]
	v_mov_b32_e32 v4, s4
	s_and_saveexec_b64 s[4:5], s[0:1]
	s_cbranch_execz .LBB163_6
; %bb.5:
	v_mov_b32_e32 v19, 0
	v_lshlrev_b64 v[2:3], 1, v[18:19]
	v_mov_b32_e32 v1, s29
	v_add_co_u32_e32 v2, vcc, s27, v2
	v_addc_co_u32_e32 v3, vcc, v1, v3, vcc
	global_load_ushort v4, v[2:3], off
	s_mov_b32 s3, 0xffff
	v_mov_b32_e32 v1, s2
	v_mov_b32_e32 v3, s2
	s_waitcnt vmcnt(0)
	v_bfi_b32 v2, s3, v4, v1
.LBB163_6:
	s_or_b64 exec, exec, s[4:5]
	v_or_b32_e32 v1, 32, v0
	v_cmp_gt_u32_e64 s[2:3], s25, v1
	s_and_saveexec_b64 s[4:5], s[2:3]
	s_cbranch_execz .LBB163_8
; %bb.7:
	v_mul_lo_u32 v6, v1, s26
	v_mov_b32_e32 v7, 0
	v_lshlrev_b64 v[6:7], 1, v[6:7]
	v_mov_b32_e32 v5, s29
	v_add_co_u32_e32 v6, vcc, s27, v6
	v_addc_co_u32_e32 v7, vcc, v5, v7, vcc
	global_load_ushort v5, v[6:7], off
	s_mov_b32 s12, 0x5040100
	s_waitcnt vmcnt(0)
	v_perm_b32 v2, v5, v2, s12
.LBB163_8:
	s_or_b64 exec, exec, s[4:5]
	s_load_dwordx2 s[12:13], s[6:7], 0x0
	v_or_b32_e32 v11, 64, v0
	v_cmp_gt_u32_e64 s[4:5], s25, v11
	s_and_saveexec_b64 s[14:15], s[4:5]
	s_cbranch_execz .LBB163_10
; %bb.9:
	v_mul_lo_u32 v6, v11, s26
	v_mov_b32_e32 v7, 0
	v_lshlrev_b64 v[6:7], 1, v[6:7]
	v_mov_b32_e32 v5, s29
	v_add_co_u32_e32 v6, vcc, s27, v6
	v_addc_co_u32_e32 v7, vcc, v5, v7, vcc
	global_load_ushort v5, v[6:7], off
	s_mov_b32 s16, 0xffff
	s_waitcnt vmcnt(0)
	v_bfi_b32 v3, s16, v5, v3
.LBB163_10:
	s_or_b64 exec, exec, s[14:15]
	s_load_dword s16, s[6:7], 0x6c
	v_or_b32_e32 v12, 0x60, v0
	v_cmp_gt_u32_e64 s[6:7], s25, v12
	s_and_saveexec_b64 s[14:15], s[6:7]
	s_cbranch_execz .LBB163_12
; %bb.11:
	v_mul_lo_u32 v6, v12, s26
	v_mov_b32_e32 v7, 0
	v_lshlrev_b64 v[6:7], 1, v[6:7]
	v_mov_b32_e32 v5, s29
	v_add_co_u32_e32 v6, vcc, s27, v6
	v_addc_co_u32_e32 v7, vcc, v5, v7, vcc
	global_load_ushort v5, v[6:7], off
	s_mov_b32 s17, 0x5040100
	s_waitcnt vmcnt(0)
	v_perm_b32 v3, v5, v3, s17
.LBB163_12:
	s_or_b64 exec, exec, s[14:15]
	v_lshlrev_b32_e32 v34, 1, v0
	v_lshrrev_b32_e32 v14, 5, v11
	ds_write_b16 v34, v4
	ds_write_b16_d16_hi v34, v2 offset:64
	v_and_b32_e32 v2, 2, v14
	v_lshrrev_b32_e32 v13, 5, v12
	v_add_lshl_u32 v19, v2, v0, 1
	v_and_b32_e32 v2, 2, v13
	v_lshlrev_b32_e32 v10, 2, v0
	v_lshrrev_b32_e32 v15, 3, v0
	v_add_lshl_u32 v35, v2, v0, 1
	v_and_or_b32 v2, v15, 2, v10
	v_lshlrev_b32_e32 v36, 1, v2
	s_waitcnt lgkmcnt(0)
	s_mul_i32 s10, s16, s10
	ds_write_b16 v19, v3 offset:128
	ds_write_b16_d16_hi v35, v3 offset:192
	s_waitcnt lgkmcnt(0)
	; wave barrier
	s_waitcnt lgkmcnt(0)
	ds_read_b64 v[22:23], v36
	s_add_i32 s16, s10, s11
	s_mov_b32 s17, 0
	s_lshl_b64 s[10:11], s[16:17], 3
	s_mov_b32 s16, s17
	s_add_u32 s33, s12, s10
	s_mov_b32 s18, s17
	s_mov_b32 s19, s17
	;; [unrolled: 1-line block ×6, first 2 shown]
	v_pk_mov_b32 v[2:3], s[16:17], s[16:17] op_sel:[0,1]
	s_addc_u32 s38, s13, s11
	v_pk_mov_b32 v[4:5], s[18:19], s[18:19] op_sel:[0,1]
	v_pk_mov_b32 v[6:7], s[20:21], s[20:21] op_sel:[0,1]
	;; [unrolled: 1-line block ×3, first 2 shown]
	v_pk_mov_b32 v[2:3], 0, 0
	v_mul_lo_u32 v20, v0, s28
	s_waitcnt lgkmcnt(0)
	; wave barrier
	s_waitcnt lgkmcnt(0)
	s_and_saveexec_b64 s[10:11], s[0:1]
	s_cbranch_execnz .LBB163_33
; %bb.13:
	s_or_b64 exec, exec, s[10:11]
	s_and_saveexec_b64 s[10:11], s[2:3]
	s_cbranch_execnz .LBB163_34
.LBB163_14:
	s_or_b64 exec, exec, s[10:11]
	s_and_saveexec_b64 s[10:11], s[4:5]
	s_cbranch_execz .LBB163_16
.LBB163_15:
	v_mul_lo_u32 v6, v11, s28
	v_mov_b32_e32 v7, 0
	v_lshlrev_b64 v[6:7], 3, v[6:7]
	v_mov_b32_e32 v11, s38
	v_add_co_u32_e32 v6, vcc, s33, v6
	v_addc_co_u32_e32 v7, vcc, v11, v7, vcc
	global_load_dwordx2 v[6:7], v[6:7], off
.LBB163_16:
	s_or_b64 exec, exec, s[10:11]
	s_xor_b64 s[24:25], s[8:9], -1
	v_lshrrev_b32_e32 v11, 5, v1
	s_and_saveexec_b64 s[8:9], s[6:7]
	s_cbranch_execz .LBB163_18
; %bb.17:
	v_mul_lo_u32 v8, v12, s28
	v_mov_b32_e32 v9, 0
	v_lshlrev_b64 v[8:9], 3, v[8:9]
	v_mov_b32_e32 v12, s38
	v_add_co_u32_e32 v8, vcc, s33, v8
	v_addc_co_u32_e32 v9, vcc, v12, v9, vcc
	global_load_dwordx2 v[8:9], v[8:9], off
.LBB163_18:
	s_or_b64 exec, exec, s[8:9]
	v_add_lshl_u32 v21, v11, v0, 3
	v_mbcnt_lo_u32_b32 v11, -1, 0
	v_mbcnt_hi_u32_b32 v11, -1, v11
	v_lshlrev_b32_e32 v37, 3, v0
	v_add_lshl_u32 v38, v14, v0, 3
	v_add_lshl_u32 v39, v13, v0, 3
	;; [unrolled: 1-line block ×3, first 2 shown]
	s_getpc_b64 s[8:9]
	s_add_u32 s8, s8, _ZN7rocprim17ROCPRIM_400000_NS16block_radix_sortIsLj32ELj4ElLj1ELj1ELj0ELNS0_26block_radix_rank_algorithmE1ELNS0_18block_padding_hintE2ELNS0_4arch9wavefront6targetE1EE19radix_bits_per_passE@rel32@lo+4
	s_addc_u32 s9, s9, _ZN7rocprim17ROCPRIM_400000_NS16block_radix_sortIsLj32ELj4ElLj1ELj1ELj0ELNS0_26block_radix_rank_algorithmE1ELNS0_18block_padding_hintE2ELNS0_4arch9wavefront6targetE1EE19radix_bits_per_passE@rel32@hi+12
	v_and_b32_e32 v12, 15, v11
	s_waitcnt vmcnt(0)
	ds_write_b64 v37, v[2:3]
	ds_write_b64 v21, v[4:5] offset:256
	ds_write_b64 v38, v[6:7] offset:512
	;; [unrolled: 1-line block ×3, first 2 shown]
	s_waitcnt lgkmcnt(0)
	; wave barrier
	s_waitcnt lgkmcnt(0)
	ds_read2_b64 v[2:5], v40 offset1:1
	ds_read2_b64 v[6:9], v40 offset0:2 offset1:3
	s_load_dword s39, s[8:9], 0x0
	v_cmp_eq_u32_e64 s[10:11], 0, v12
	v_cmp_lt_u32_e64 s[12:13], 1, v12
	v_cmp_lt_u32_e64 s[14:15], 3, v12
	;; [unrolled: 1-line block ×3, first 2 shown]
	v_and_b32_e32 v12, 16, v11
	v_cmp_eq_u32_e64 s[18:19], 0, v12
	v_add_u32_e32 v12, -1, v11
	v_and_b32_e32 v13, 0x60, v11
	v_cmp_lt_i32_e32 vcc, v12, v13
	s_movk_i32 s8, 0x100
	v_cndmask_b32_e32 v12, v12, v11, vcc
	v_cmp_gt_u32_e64 s[8:9], s8, v0
	v_lshlrev_b32_e32 v43, 5, v0
	s_mov_b32 s40, 0
	v_cmp_eq_u32_e64 s[20:21], 31, v0
	v_lshlrev_b32_e32 v44, 2, v12
	v_cmp_eq_u32_e64 s[22:23], 0, v11
	v_lshlrev_b32_e32 v42, 1, v10
	v_lshlrev_b32_e32 v41, 3, v10
	s_and_b64 vcc, exec, s[24:25]
	v_add_u32_e64 v45, 7, 2
	s_waitcnt lgkmcnt(0)
	; wave barrier
	s_waitcnt lgkmcnt(0)
	s_cbranch_vccz .LBB163_35
; %bb.19:
	v_xor_b32_e32 v32, 0x80008000, v22
	v_xor_b32_e32 v33, 0x80008000, v23
	v_and_b32_e32 v46, 14, v45
	v_mov_b32_e32 v47, 0
	s_movk_i32 s41, 0xe0
	v_pk_mov_b32 v[10:11], v[2:3], v[2:3] op_sel:[0,1]
	v_pk_mov_b32 v[12:13], v[4:5], v[4:5] op_sel:[0,1]
	v_pk_mov_b32 v[14:15], v[6:7], v[6:7] op_sel:[0,1]
	v_pk_mov_b32 v[16:17], v[8:9], v[8:9] op_sel:[0,1]
	s_branch .LBB163_21
.LBB163_20:                             ;   in Loop: Header=BB163_21 Depth=1
	v_lshlrev_b32_e32 v10, 1, v51
	s_waitcnt lgkmcnt(0)
	; wave barrier
	ds_write_b16 v10, v32
	v_lshlrev_b32_e32 v10, 1, v52
	ds_write_b16 v10, v48
	v_lshlrev_b32_e32 v10, 1, v53
	;; [unrolled: 2-line block ×4, first 2 shown]
	s_waitcnt lgkmcnt(0)
	; wave barrier
	s_waitcnt lgkmcnt(0)
	ds_read_b64 v[32:33], v42
	s_waitcnt lgkmcnt(0)
	; wave barrier
	s_waitcnt lgkmcnt(0)
	ds_write_b64 v10, v[30:31]
	v_lshlrev_b32_e32 v10, 3, v52
	ds_write_b64 v10, v[28:29]
	v_lshlrev_b32_e32 v10, 3, v53
	;; [unrolled: 2-line block ×3, first 2 shown]
	ds_write_b64 v10, v[24:25]
	s_waitcnt lgkmcnt(0)
	; wave barrier
	s_waitcnt lgkmcnt(0)
	ds_read2_b64 v[10:13], v41 offset1:1
	ds_read2_b64 v[14:17], v41 offset0:2 offset1:3
	s_add_i32 s40, s40, 4
	s_waitcnt lgkmcnt(0)
	; wave barrier
	s_waitcnt lgkmcnt(0)
	s_cbranch_execz .LBB163_32
.LBB163_21:                             ; =>This Loop Header: Depth=1
                                        ;     Child Loop BB163_24 Depth 2
	v_pk_mov_b32 v[24:25], v[16:17], v[16:17] op_sel:[0,1]
	v_pk_mov_b32 v[26:27], v[14:15], v[14:15] op_sel:[0,1]
	;; [unrolled: 1-line block ×4, first 2 shown]
	s_and_saveexec_b64 s[24:25], s[8:9]
	s_cbranch_execz .LBB163_28
; %bb.22:                               ;   in Loop: Header=BB163_21 Depth=1
	s_mov_b32 s42, 0
	s_mov_b64 s[30:31], 0
	v_pk_mov_b32 v[10:11], v[0:1], v[0:1] op_sel:[0,1]
	s_branch .LBB163_24
.LBB163_23:                             ;   in Loop: Header=BB163_24 Depth=2
	s_or_b64 exec, exec, s[36:37]
	s_add_i32 s42, s42, 2
	v_cmp_eq_u32_e32 vcc, s42, v46
	v_add_u32_e32 v11, 64, v11
	s_or_b64 s[30:31], vcc, s[30:31]
	v_add_u32_e32 v10, 64, v10
	s_andn2_b64 exec, exec, s[30:31]
	s_cbranch_execz .LBB163_28
.LBB163_24:                             ;   Parent Loop BB163_21 Depth=1
                                        ; =>  This Inner Loop Header: Depth=2
	s_or_b32 s34, s42, 1
	v_cmp_le_u32_e64 s[34:35], s34, 7
	v_cmp_le_u32_e64 s[44:45], s42, 7
	s_and_saveexec_b64 s[36:37], s[44:45]
	s_cbranch_execz .LBB163_26
; %bb.25:                               ;   in Loop: Header=BB163_24 Depth=2
	v_lshlrev_b32_e32 v12, 2, v10
	ds_write_b32 v12, v47
.LBB163_26:                             ;   in Loop: Header=BB163_24 Depth=2
	s_or_b64 exec, exec, s[36:37]
	s_and_saveexec_b64 s[36:37], s[34:35]
	s_cbranch_execz .LBB163_23
; %bb.27:                               ;   in Loop: Header=BB163_24 Depth=2
	v_lshlrev_b32_e32 v12, 2, v11
	ds_write_b32 v12, v47
	s_branch .LBB163_23
.LBB163_28:                             ;   in Loop: Header=BB163_21 Depth=1
	s_or_b64 exec, exec, s[24:25]
	s_sub_i32 s24, 16, s40
	s_min_u32 s24, s39, s24
	s_lshl_b32 s24, -1, s24
	s_not_b32 s24, s24
	v_lshrrev_b32_sdwa v10, s40, v32 dst_sel:DWORD dst_unused:UNUSED_PAD src0_sel:DWORD src1_sel:WORD_0
	v_and_b32_e32 v10, s24, v10
	v_lshrrev_b32_e32 v11, 3, v10
	v_lshlrev_b32_e32 v10, 5, v10
	v_and_or_b32 v10, v10, s41, v0
	v_lshlrev_b32_e32 v10, 1, v10
	v_add_lshl_u32 v52, v10, v11, 1
	ds_read_u16 v51, v52
	v_lshrrev_b32_e32 v48, 16, v32
	v_lshrrev_b32_e32 v10, s40, v48
	v_and_b32_e32 v10, s24, v10
	v_lshrrev_b32_e32 v49, 16, v33
	s_waitcnt lgkmcnt(0)
	v_add_u16_e32 v11, 1, v51
	ds_write_b16 v52, v11
	v_lshrrev_b32_e32 v11, 3, v10
	v_lshlrev_b32_e32 v10, 5, v10
	v_and_or_b32 v10, v10, s41, v0
	v_lshlrev_b32_e32 v10, 1, v10
	v_add_lshl_u32 v54, v10, v11, 1
	ds_read_u16 v53, v54
	s_waitcnt lgkmcnt(0)
	v_add_u16_e32 v10, 1, v53
	ds_write_b16 v54, v10
	v_lshrrev_b32_sdwa v10, s40, v33 dst_sel:DWORD dst_unused:UNUSED_PAD src0_sel:DWORD src1_sel:WORD_0
	v_and_b32_e32 v10, s24, v10
	v_lshrrev_b32_e32 v11, 3, v10
	v_lshlrev_b32_e32 v10, 5, v10
	v_and_or_b32 v10, v10, s41, v0
	v_lshlrev_b32_e32 v10, 1, v10
	v_add_lshl_u32 v55, v10, v11, 1
	ds_read_u16 v56, v55
	s_waitcnt lgkmcnt(0)
	v_add_u16_e32 v10, 1, v56
	ds_write_b16 v55, v10
	v_lshrrev_b32_e32 v10, s40, v49
	v_and_b32_e32 v10, s24, v10
	v_lshrrev_b32_e32 v11, 3, v10
	v_lshlrev_b32_e32 v10, 5, v10
	v_and_or_b32 v10, v10, s41, v0
	v_lshlrev_b32_e32 v10, 1, v10
	v_add_lshl_u32 v58, v10, v11, 1
	ds_read_u16 v57, v58
	s_waitcnt lgkmcnt(0)
	v_add_u16_e32 v10, 1, v57
	ds_write_b16 v58, v10
	s_waitcnt lgkmcnt(0)
	; wave barrier
	s_waitcnt lgkmcnt(0)
	ds_read2_b32 v[16:17], v43 offset1:1
	ds_read2_b32 v[14:15], v43 offset0:2 offset1:3
	ds_read2_b32 v[10:11], v43 offset0:4 offset1:5
	;; [unrolled: 1-line block ×3, first 2 shown]
	s_waitcnt lgkmcnt(3)
	v_add_u32_e32 v50, v17, v16
	s_waitcnt lgkmcnt(2)
	v_add3_u32 v50, v50, v14, v15
	s_waitcnt lgkmcnt(1)
	v_add3_u32 v50, v50, v10, v11
	;; [unrolled: 2-line block ×3, first 2 shown]
	s_nop 1
	v_mov_b32_dpp v50, v13 row_shr:1 row_mask:0xf bank_mask:0xf
	v_cndmask_b32_e64 v50, v50, 0, s[10:11]
	v_add_u32_e32 v13, v50, v13
	s_nop 1
	v_mov_b32_dpp v50, v13 row_shr:2 row_mask:0xf bank_mask:0xf
	v_cndmask_b32_e64 v50, 0, v50, s[12:13]
	v_add_u32_e32 v13, v13, v50
	;; [unrolled: 4-line block ×4, first 2 shown]
	s_nop 1
	v_mov_b32_dpp v50, v13 row_bcast:15 row_mask:0xf bank_mask:0xf
	v_cndmask_b32_e64 v50, v50, 0, s[18:19]
	v_add_u32_e32 v13, v13, v50
	s_and_saveexec_b64 s[24:25], s[20:21]
	s_cbranch_execz .LBB163_30
; %bb.29:                               ;   in Loop: Header=BB163_21 Depth=1
	ds_write_b32 v47, v13 offset:1024
.LBB163_30:                             ;   in Loop: Header=BB163_21 Depth=1
	s_or_b64 exec, exec, s[24:25]
	ds_bpermute_b32 v13, v44, v13
	s_waitcnt lgkmcnt(0)
	; wave barrier
	s_waitcnt lgkmcnt(0)
	ds_read_b32 v59, v47 offset:1024
	v_mov_b32_e32 v50, v32
	v_cndmask_b32_e64 v13, v13, 0, s[22:23]
	s_cmp_gt_u32 s40, 11
	s_waitcnt lgkmcnt(0)
	v_lshl_add_u32 v13, v59, 16, v13
	v_add_u32_e32 v16, v13, v16
	v_add_u32_e32 v17, v16, v17
	;; [unrolled: 1-line block ×7, first 2 shown]
	ds_write2_b32 v43, v13, v16 offset1:1
	ds_write2_b32 v43, v17, v14 offset0:2 offset1:3
	ds_write2_b32 v43, v15, v10 offset0:4 offset1:5
	;; [unrolled: 1-line block ×3, first 2 shown]
	s_waitcnt lgkmcnt(0)
	; wave barrier
	s_waitcnt lgkmcnt(0)
	ds_read_u16 v10, v52
	ds_read_u16 v11, v54
	;; [unrolled: 1-line block ×4, first 2 shown]
	v_mov_b32_e32 v55, v33
	s_waitcnt lgkmcnt(3)
	v_add_u32_sdwa v51, v10, v51 dst_sel:DWORD dst_unused:UNUSED_PAD src0_sel:DWORD src1_sel:WORD_0
	s_waitcnt lgkmcnt(2)
	v_add_u32_sdwa v52, v11, v53 dst_sel:DWORD dst_unused:UNUSED_PAD src0_sel:DWORD src1_sel:WORD_0
	s_waitcnt lgkmcnt(1)
	v_add_u32_sdwa v53, v12, v56 dst_sel:DWORD dst_unused:UNUSED_PAD src0_sel:DWORD src1_sel:WORD_0
	s_waitcnt lgkmcnt(0)
	v_add_u32_sdwa v54, v13, v57 dst_sel:DWORD dst_unused:UNUSED_PAD src0_sel:DWORD src1_sel:WORD_0
	s_cbranch_scc0 .LBB163_20
; %bb.31:
                                        ; implicit-def: $vgpr33
                                        ; implicit-def: $vgpr16_vgpr17
                                        ; implicit-def: $vgpr12_vgpr13
                                        ; implicit-def: $sgpr40
.LBB163_32:
	v_lshlrev_b32_e32 v10, 1, v51
	s_waitcnt lgkmcnt(0)
	; wave barrier
	ds_write_b16 v10, v50
	v_lshlrev_b32_e32 v10, 1, v52
	ds_write_b16 v10, v48
	v_lshlrev_b32_e32 v10, 1, v53
	;; [unrolled: 2-line block ×4, first 2 shown]
	v_lshlrev_b32_e32 v11, 3, v52
	v_lshlrev_b32_e32 v12, 3, v53
	;; [unrolled: 1-line block ×3, first 2 shown]
	s_waitcnt lgkmcnt(0)
	; wave barrier
	s_waitcnt lgkmcnt(0)
	ds_read_b64 v[32:33], v42
	s_waitcnt lgkmcnt(0)
	; wave barrier
	s_waitcnt lgkmcnt(0)
	ds_write_b64 v10, v[30:31]
	ds_write_b64 v11, v[28:29]
	;; [unrolled: 1-line block ×4, first 2 shown]
	s_waitcnt lgkmcnt(0)
	; wave barrier
	s_waitcnt lgkmcnt(0)
	ds_read2_b64 v[10:13], v41 offset1:1
	ds_read2_b64 v[14:17], v41 offset0:2 offset1:3
	v_xor_b32_e32 v24, 0x80008000, v32
	v_xor_b32_e32 v25, 0x80008000, v33
	s_branch .LBB163_50
.LBB163_33:
	v_mov_b32_e32 v21, 0
	v_lshlrev_b64 v[2:3], 3, v[20:21]
	v_mov_b32_e32 v4, s38
	v_add_co_u32_e32 v2, vcc, s33, v2
	v_addc_co_u32_e32 v3, vcc, v4, v3, vcc
	global_load_dwordx2 v[2:3], v[2:3], off
	v_mov_b32_e32 v4, v21
	v_mov_b32_e32 v5, v21
	;; [unrolled: 1-line block ×6, first 2 shown]
	s_or_b64 exec, exec, s[10:11]
	s_and_saveexec_b64 s[10:11], s[2:3]
	s_cbranch_execz .LBB163_14
.LBB163_34:
	v_mul_lo_u32 v4, v1, s28
	v_mov_b32_e32 v5, 0
	v_lshlrev_b64 v[4:5], 3, v[4:5]
	v_mov_b32_e32 v16, s38
	v_add_co_u32_e32 v4, vcc, s33, v4
	v_addc_co_u32_e32 v5, vcc, v16, v5, vcc
	global_load_dwordx2 v[4:5], v[4:5], off
	s_or_b64 exec, exec, s[10:11]
	s_and_saveexec_b64 s[10:11], s[4:5]
	s_cbranch_execnz .LBB163_15
	s_branch .LBB163_16
.LBB163_35:
                                        ; implicit-def: $vgpr25
                                        ; implicit-def: $vgpr16_vgpr17
                                        ; implicit-def: $vgpr12_vgpr13
	s_cbranch_execz .LBB163_50
; %bb.36:
	v_xor_b32_e32 v22, 0x7fff7fff, v22
	v_xor_b32_e32 v23, 0x7fff7fff, v23
	v_and_b32_e32 v24, 14, v45
	s_mov_b32 s41, 0
	v_mov_b32_e32 v25, 0
	s_movk_i32 s40, 0xe0
	s_branch .LBB163_38
.LBB163_37:                             ;   in Loop: Header=BB163_38 Depth=1
	v_lshlrev_b32_e32 v2, 1, v29
	s_waitcnt lgkmcnt(0)
	; wave barrier
	ds_write_b16 v2, v22
	v_lshlrev_b32_e32 v2, 1, v30
	ds_write_b16 v2, v26
	v_lshlrev_b32_e32 v2, 1, v31
	ds_write_b16 v2, v23
	v_lshlrev_b32_e32 v2, 1, v32
	ds_write_b16 v2, v27
	v_lshlrev_b32_e32 v2, 3, v29
	s_waitcnt lgkmcnt(0)
	; wave barrier
	s_waitcnt lgkmcnt(0)
	ds_read_b64 v[22:23], v42
	s_waitcnt lgkmcnt(0)
	; wave barrier
	s_waitcnt lgkmcnt(0)
	ds_write_b64 v2, v[16:17]
	v_lshlrev_b32_e32 v2, 3, v30
	ds_write_b64 v2, v[14:15]
	v_lshlrev_b32_e32 v2, 3, v31
	;; [unrolled: 2-line block ×3, first 2 shown]
	ds_write_b64 v2, v[10:11]
	s_waitcnt lgkmcnt(0)
	; wave barrier
	s_waitcnt lgkmcnt(0)
	ds_read2_b64 v[2:5], v41 offset1:1
	ds_read2_b64 v[6:9], v41 offset0:2 offset1:3
	s_add_i32 s41, s41, 4
	s_waitcnt lgkmcnt(0)
	; wave barrier
	s_waitcnt lgkmcnt(0)
	s_cbranch_execz .LBB163_49
.LBB163_38:                             ; =>This Loop Header: Depth=1
                                        ;     Child Loop BB163_41 Depth 2
	s_waitcnt lgkmcnt(1)
	v_pk_mov_b32 v[10:11], v[8:9], v[8:9] op_sel:[0,1]
	v_pk_mov_b32 v[12:13], v[6:7], v[6:7] op_sel:[0,1]
	s_waitcnt lgkmcnt(0)
	v_pk_mov_b32 v[14:15], v[4:5], v[4:5] op_sel:[0,1]
	v_pk_mov_b32 v[16:17], v[2:3], v[2:3] op_sel:[0,1]
	s_and_saveexec_b64 s[24:25], s[8:9]
	s_cbranch_execz .LBB163_45
; %bb.39:                               ;   in Loop: Header=BB163_38 Depth=1
	s_mov_b32 s42, 0
	s_mov_b64 s[30:31], 0
	v_pk_mov_b32 v[2:3], v[0:1], v[0:1] op_sel:[0,1]
	s_branch .LBB163_41
.LBB163_40:                             ;   in Loop: Header=BB163_41 Depth=2
	s_or_b64 exec, exec, s[36:37]
	s_add_i32 s42, s42, 2
	v_cmp_eq_u32_e32 vcc, s42, v24
	v_add_u32_e32 v3, 64, v3
	s_or_b64 s[30:31], vcc, s[30:31]
	v_add_u32_e32 v2, 64, v2
	s_andn2_b64 exec, exec, s[30:31]
	s_cbranch_execz .LBB163_45
.LBB163_41:                             ;   Parent Loop BB163_38 Depth=1
                                        ; =>  This Inner Loop Header: Depth=2
	s_or_b32 s34, s42, 1
	v_cmp_le_u32_e64 s[34:35], s34, 7
	v_cmp_le_u32_e64 s[44:45], s42, 7
	s_and_saveexec_b64 s[36:37], s[44:45]
	s_cbranch_execz .LBB163_43
; %bb.42:                               ;   in Loop: Header=BB163_41 Depth=2
	v_lshlrev_b32_e32 v4, 2, v2
	ds_write_b32 v4, v25
.LBB163_43:                             ;   in Loop: Header=BB163_41 Depth=2
	s_or_b64 exec, exec, s[36:37]
	s_and_saveexec_b64 s[36:37], s[34:35]
	s_cbranch_execz .LBB163_40
; %bb.44:                               ;   in Loop: Header=BB163_41 Depth=2
	v_lshlrev_b32_e32 v4, 2, v3
	ds_write_b32 v4, v25
	s_branch .LBB163_40
.LBB163_45:                             ;   in Loop: Header=BB163_38 Depth=1
	s_or_b64 exec, exec, s[24:25]
	s_sub_i32 s24, 16, s41
	s_min_u32 s24, s39, s24
	s_lshl_b32 s24, -1, s24
	s_not_b32 s24, s24
	v_lshrrev_b32_sdwa v2, s41, v22 dst_sel:DWORD dst_unused:UNUSED_PAD src0_sel:DWORD src1_sel:WORD_0
	v_and_b32_e32 v2, s24, v2
	v_lshrrev_b32_e32 v3, 3, v2
	v_lshlrev_b32_e32 v2, 5, v2
	v_and_or_b32 v2, v2, s40, v0
	v_lshlrev_b32_e32 v2, 1, v2
	v_add_lshl_u32 v30, v2, v3, 1
	ds_read_u16 v29, v30
	v_lshrrev_b32_e32 v26, 16, v22
	v_lshrrev_b32_e32 v2, s41, v26
	v_and_b32_e32 v2, s24, v2
	v_lshrrev_b32_e32 v27, 16, v23
	s_waitcnt lgkmcnt(0)
	v_add_u16_e32 v3, 1, v29
	ds_write_b16 v30, v3
	v_lshrrev_b32_e32 v3, 3, v2
	v_lshlrev_b32_e32 v2, 5, v2
	v_and_or_b32 v2, v2, s40, v0
	v_lshlrev_b32_e32 v2, 1, v2
	v_add_lshl_u32 v32, v2, v3, 1
	ds_read_u16 v31, v32
	s_waitcnt lgkmcnt(0)
	v_add_u16_e32 v2, 1, v31
	ds_write_b16 v32, v2
	v_lshrrev_b32_sdwa v2, s41, v23 dst_sel:DWORD dst_unused:UNUSED_PAD src0_sel:DWORD src1_sel:WORD_0
	v_and_b32_e32 v2, s24, v2
	v_lshrrev_b32_e32 v3, 3, v2
	v_lshlrev_b32_e32 v2, 5, v2
	v_and_or_b32 v2, v2, s40, v0
	v_lshlrev_b32_e32 v2, 1, v2
	v_add_lshl_u32 v33, v2, v3, 1
	ds_read_u16 v45, v33
	s_waitcnt lgkmcnt(0)
	v_add_u16_e32 v2, 1, v45
	ds_write_b16 v33, v2
	v_lshrrev_b32_e32 v2, s41, v27
	v_and_b32_e32 v2, s24, v2
	v_lshrrev_b32_e32 v3, 3, v2
	v_lshlrev_b32_e32 v2, 5, v2
	v_and_or_b32 v2, v2, s40, v0
	v_lshlrev_b32_e32 v2, 1, v2
	v_add_lshl_u32 v47, v2, v3, 1
	ds_read_u16 v46, v47
	s_waitcnt lgkmcnt(0)
	v_add_u16_e32 v2, 1, v46
	ds_write_b16 v47, v2
	s_waitcnt lgkmcnt(0)
	; wave barrier
	s_waitcnt lgkmcnt(0)
	ds_read2_b32 v[8:9], v43 offset1:1
	ds_read2_b32 v[6:7], v43 offset0:2 offset1:3
	ds_read2_b32 v[2:3], v43 offset0:4 offset1:5
	ds_read2_b32 v[4:5], v43 offset0:6 offset1:7
	s_waitcnt lgkmcnt(3)
	v_add_u32_e32 v28, v9, v8
	s_waitcnt lgkmcnt(2)
	v_add3_u32 v28, v28, v6, v7
	s_waitcnt lgkmcnt(1)
	v_add3_u32 v28, v28, v2, v3
	;; [unrolled: 2-line block ×3, first 2 shown]
	s_nop 1
	v_mov_b32_dpp v28, v5 row_shr:1 row_mask:0xf bank_mask:0xf
	v_cndmask_b32_e64 v28, v28, 0, s[10:11]
	v_add_u32_e32 v5, v28, v5
	s_nop 1
	v_mov_b32_dpp v28, v5 row_shr:2 row_mask:0xf bank_mask:0xf
	v_cndmask_b32_e64 v28, 0, v28, s[12:13]
	v_add_u32_e32 v5, v5, v28
	;; [unrolled: 4-line block ×4, first 2 shown]
	s_nop 1
	v_mov_b32_dpp v28, v5 row_bcast:15 row_mask:0xf bank_mask:0xf
	v_cndmask_b32_e64 v28, v28, 0, s[18:19]
	v_add_u32_e32 v5, v5, v28
	s_and_saveexec_b64 s[24:25], s[20:21]
	s_cbranch_execz .LBB163_47
; %bb.46:                               ;   in Loop: Header=BB163_38 Depth=1
	ds_write_b32 v25, v5 offset:1024
.LBB163_47:                             ;   in Loop: Header=BB163_38 Depth=1
	s_or_b64 exec, exec, s[24:25]
	ds_bpermute_b32 v5, v44, v5
	s_waitcnt lgkmcnt(0)
	; wave barrier
	s_waitcnt lgkmcnt(0)
	ds_read_b32 v48, v25 offset:1024
	v_mov_b32_e32 v28, v22
	v_cndmask_b32_e64 v5, v5, 0, s[22:23]
	s_cmp_gt_u32 s41, 11
	s_waitcnt lgkmcnt(0)
	v_lshl_add_u32 v5, v48, 16, v5
	v_add_u32_e32 v8, v5, v8
	v_add_u32_e32 v9, v8, v9
	;; [unrolled: 1-line block ×7, first 2 shown]
	ds_write2_b32 v43, v5, v8 offset1:1
	ds_write2_b32 v43, v9, v6 offset0:2 offset1:3
	ds_write2_b32 v43, v7, v2 offset0:4 offset1:5
	;; [unrolled: 1-line block ×3, first 2 shown]
	s_waitcnt lgkmcnt(0)
	; wave barrier
	s_waitcnt lgkmcnt(0)
	ds_read_u16 v2, v30
	ds_read_u16 v3, v32
	;; [unrolled: 1-line block ×4, first 2 shown]
	v_mov_b32_e32 v33, v23
	s_waitcnt lgkmcnt(3)
	v_add_u32_sdwa v29, v2, v29 dst_sel:DWORD dst_unused:UNUSED_PAD src0_sel:DWORD src1_sel:WORD_0
	s_waitcnt lgkmcnt(2)
	v_add_u32_sdwa v30, v3, v31 dst_sel:DWORD dst_unused:UNUSED_PAD src0_sel:DWORD src1_sel:WORD_0
	;; [unrolled: 2-line block ×4, first 2 shown]
	s_cbranch_scc0 .LBB163_37
; %bb.48:
                                        ; implicit-def: $vgpr23
                                        ; implicit-def: $vgpr8_vgpr9
                                        ; implicit-def: $vgpr4_vgpr5
                                        ; implicit-def: $sgpr41
.LBB163_49:
	v_lshlrev_b32_e32 v0, 1, v29
	s_waitcnt lgkmcnt(0)
	; wave barrier
	ds_write_b16 v0, v28
	v_lshlrev_b32_e32 v0, 1, v30
	ds_write_b16 v0, v26
	v_lshlrev_b32_e32 v0, 1, v31
	;; [unrolled: 2-line block ×3, first 2 shown]
	v_lshlrev_b32_e32 v2, 3, v29
	ds_write_b16 v0, v27
	s_waitcnt lgkmcnt(0)
	; wave barrier
	s_waitcnt lgkmcnt(0)
	v_lshlrev_b32_e32 v3, 3, v30
	v_lshlrev_b32_e32 v4, 3, v31
	;; [unrolled: 1-line block ×3, first 2 shown]
	ds_read_b64 v[0:1], v42
	s_waitcnt lgkmcnt(0)
	; wave barrier
	s_waitcnt lgkmcnt(0)
	ds_write_b64 v2, v[16:17]
	ds_write_b64 v3, v[14:15]
	;; [unrolled: 1-line block ×4, first 2 shown]
	s_waitcnt lgkmcnt(0)
	; wave barrier
	s_waitcnt lgkmcnt(0)
	ds_read2_b64 v[10:13], v41 offset1:1
	ds_read2_b64 v[14:17], v41 offset0:2 offset1:3
	v_xor_b32_e32 v24, 0x7fff7fff, v0
	v_xor_b32_e32 v25, 0x7fff7fff, v1
.LBB163_50:
	s_waitcnt lgkmcnt(0)
	; wave barrier
	s_waitcnt lgkmcnt(0)
	ds_write_b64 v36, v[24:25]
	s_waitcnt lgkmcnt(0)
	; wave barrier
	s_waitcnt lgkmcnt(0)
	ds_read_u16 v4, v34 offset:64
	ds_read_u16 v3, v19 offset:128
	;; [unrolled: 1-line block ×3, first 2 shown]
	v_mov_b32_e32 v19, 0
	v_lshlrev_b64 v[0:1], 1, v[18:19]
	v_mov_b32_e32 v5, s29
	v_add_co_u32_e32 v0, vcc, s27, v0
	v_addc_co_u32_e32 v1, vcc, v5, v1, vcc
	s_and_saveexec_b64 s[8:9], s[0:1]
	s_cbranch_execnz .LBB163_61
; %bb.51:
	s_or_b64 exec, exec, s[8:9]
	s_and_saveexec_b64 s[8:9], s[2:3]
	s_cbranch_execnz .LBB163_62
.LBB163_52:
	s_or_b64 exec, exec, s[8:9]
	s_and_saveexec_b64 s[8:9], s[4:5]
	s_cbranch_execnz .LBB163_63
.LBB163_53:
	s_or_b64 exec, exec, s[8:9]
	s_and_saveexec_b64 s[8:9], s[6:7]
	s_cbranch_execz .LBB163_55
.LBB163_54:
	s_mul_i32 s10, s26, 0x60
	s_mov_b32 s11, 0
	s_lshl_b64 s[10:11], s[10:11], 1
	s_waitcnt lgkmcnt(1)
	v_mov_b32_e32 v3, s11
	v_add_co_u32_e32 v0, vcc, s10, v0
	v_addc_co_u32_e32 v1, vcc, v1, v3, vcc
	s_waitcnt lgkmcnt(0)
	global_store_short v[0:1], v2, off
.LBB163_55:
	s_or_b64 exec, exec, s[8:9]
	s_waitcnt lgkmcnt(0)
	; wave barrier
	s_waitcnt lgkmcnt(0)
	ds_write2_b64 v40, v[10:11], v[12:13] offset1:1
	ds_write2_b64 v40, v[14:15], v[16:17] offset0:2 offset1:3
	s_waitcnt lgkmcnt(0)
	; wave barrier
	s_waitcnt lgkmcnt(0)
	ds_read_b64 v[6:7], v21 offset:256
	ds_read_b64 v[4:5], v38 offset:512
	;; [unrolled: 1-line block ×3, first 2 shown]
	v_mov_b32_e32 v21, 0
	v_lshlrev_b64 v[2:3], 3, v[20:21]
	v_mov_b32_e32 v8, s38
	v_add_co_u32_e32 v2, vcc, s33, v2
	v_addc_co_u32_e32 v3, vcc, v8, v3, vcc
	s_and_saveexec_b64 s[8:9], s[0:1]
	s_cbranch_execnz .LBB163_64
; %bb.56:
	s_or_b64 exec, exec, s[8:9]
	s_and_saveexec_b64 s[0:1], s[2:3]
	s_cbranch_execnz .LBB163_65
.LBB163_57:
	s_or_b64 exec, exec, s[0:1]
	s_and_saveexec_b64 s[0:1], s[4:5]
	s_cbranch_execnz .LBB163_66
.LBB163_58:
	s_or_b64 exec, exec, s[0:1]
	s_and_saveexec_b64 s[0:1], s[6:7]
	s_cbranch_execz .LBB163_60
.LBB163_59:
	s_mul_i32 s0, s28, 0x60
	s_mov_b32 s1, 0
	s_lshl_b64 s[0:1], s[0:1], 3
	s_waitcnt lgkmcnt(1)
	v_mov_b32_e32 v4, s1
	v_add_co_u32_e32 v2, vcc, s0, v2
	v_addc_co_u32_e32 v3, vcc, v3, v4, vcc
	s_waitcnt lgkmcnt(0)
	global_store_dwordx2 v[2:3], v[0:1], off
.LBB163_60:
	s_endpgm
.LBB163_61:
	ds_read_u16 v5, v34
	s_waitcnt lgkmcnt(0)
	global_store_short v[0:1], v5, off
	s_or_b64 exec, exec, s[8:9]
	s_and_saveexec_b64 s[8:9], s[2:3]
	s_cbranch_execz .LBB163_52
.LBB163_62:
	s_lshl_b32 s10, s26, 5
	s_mov_b32 s11, 0
	s_lshl_b64 s[10:11], s[10:11], 1
	v_mov_b32_e32 v5, s11
	v_add_co_u32_e32 v6, vcc, s10, v0
	v_addc_co_u32_e32 v7, vcc, v1, v5, vcc
	s_waitcnt lgkmcnt(2)
	global_store_short v[6:7], v4, off
	s_or_b64 exec, exec, s[8:9]
	s_and_saveexec_b64 s[8:9], s[4:5]
	s_cbranch_execz .LBB163_53
.LBB163_63:
	s_lshl_b32 s10, s26, 6
	s_mov_b32 s11, 0
	s_lshl_b64 s[10:11], s[10:11], 1
	v_mov_b32_e32 v5, s11
	s_waitcnt lgkmcnt(2)
	v_add_co_u32_e32 v4, vcc, s10, v0
	v_addc_co_u32_e32 v5, vcc, v1, v5, vcc
	s_waitcnt lgkmcnt(1)
	global_store_short v[4:5], v3, off
	s_or_b64 exec, exec, s[8:9]
	s_and_saveexec_b64 s[8:9], s[6:7]
	s_cbranch_execnz .LBB163_54
	s_branch .LBB163_55
.LBB163_64:
	ds_read_b64 v[8:9], v37
	s_waitcnt lgkmcnt(0)
	global_store_dwordx2 v[2:3], v[8:9], off
	s_or_b64 exec, exec, s[8:9]
	s_and_saveexec_b64 s[0:1], s[2:3]
	s_cbranch_execz .LBB163_57
.LBB163_65:
	s_lshl_b32 s2, s28, 5
	s_mov_b32 s3, 0
	s_lshl_b64 s[2:3], s[2:3], 3
	v_mov_b32_e32 v9, s3
	v_add_co_u32_e32 v8, vcc, s2, v2
	v_addc_co_u32_e32 v9, vcc, v3, v9, vcc
	s_waitcnt lgkmcnt(2)
	global_store_dwordx2 v[8:9], v[6:7], off
	s_or_b64 exec, exec, s[0:1]
	s_and_saveexec_b64 s[0:1], s[4:5]
	s_cbranch_execz .LBB163_58
.LBB163_66:
	s_lshl_b32 s2, s28, 6
	s_mov_b32 s3, 0
	s_lshl_b64 s[2:3], s[2:3], 3
	s_waitcnt lgkmcnt(2)
	v_mov_b32_e32 v7, s3
	v_add_co_u32_e32 v6, vcc, s2, v2
	v_addc_co_u32_e32 v7, vcc, v3, v7, vcc
	s_waitcnt lgkmcnt(1)
	global_store_dwordx2 v[6:7], v[4:5], off
	s_or_b64 exec, exec, s[0:1]
	s_and_saveexec_b64 s[0:1], s[6:7]
	s_cbranch_execnz .LBB163_59
	s_branch .LBB163_60
	.section	.rodata,"a",@progbits
	.p2align	6, 0x0
	.amdhsa_kernel _ZN2at6native18radixSortKVInPlaceILin2ELin1ELi32ELi4EsljEEvNS_4cuda6detail10TensorInfoIT3_T5_EES6_S6_S6_NS4_IT4_S6_EES6_b
		.amdhsa_group_segment_fixed_size 1056
		.amdhsa_private_segment_fixed_size 0
		.amdhsa_kernarg_size 712
		.amdhsa_user_sgpr_count 6
		.amdhsa_user_sgpr_private_segment_buffer 1
		.amdhsa_user_sgpr_dispatch_ptr 0
		.amdhsa_user_sgpr_queue_ptr 0
		.amdhsa_user_sgpr_kernarg_segment_ptr 1
		.amdhsa_user_sgpr_dispatch_id 0
		.amdhsa_user_sgpr_flat_scratch_init 0
		.amdhsa_user_sgpr_kernarg_preload_length 0
		.amdhsa_user_sgpr_kernarg_preload_offset 0
		.amdhsa_user_sgpr_private_segment_size 0
		.amdhsa_uses_dynamic_stack 0
		.amdhsa_system_sgpr_private_segment_wavefront_offset 0
		.amdhsa_system_sgpr_workgroup_id_x 1
		.amdhsa_system_sgpr_workgroup_id_y 1
		.amdhsa_system_sgpr_workgroup_id_z 1
		.amdhsa_system_sgpr_workgroup_info 0
		.amdhsa_system_vgpr_workitem_id 0
		.amdhsa_next_free_vgpr 60
		.amdhsa_next_free_sgpr 46
		.amdhsa_accum_offset 60
		.amdhsa_reserve_vcc 1
		.amdhsa_reserve_flat_scratch 0
		.amdhsa_float_round_mode_32 0
		.amdhsa_float_round_mode_16_64 0
		.amdhsa_float_denorm_mode_32 3
		.amdhsa_float_denorm_mode_16_64 3
		.amdhsa_dx10_clamp 1
		.amdhsa_ieee_mode 1
		.amdhsa_fp16_overflow 0
		.amdhsa_tg_split 0
		.amdhsa_exception_fp_ieee_invalid_op 0
		.amdhsa_exception_fp_denorm_src 0
		.amdhsa_exception_fp_ieee_div_zero 0
		.amdhsa_exception_fp_ieee_overflow 0
		.amdhsa_exception_fp_ieee_underflow 0
		.amdhsa_exception_fp_ieee_inexact 0
		.amdhsa_exception_int_div_zero 0
	.end_amdhsa_kernel
	.section	.text._ZN2at6native18radixSortKVInPlaceILin2ELin1ELi32ELi4EsljEEvNS_4cuda6detail10TensorInfoIT3_T5_EES6_S6_S6_NS4_IT4_S6_EES6_b,"axG",@progbits,_ZN2at6native18radixSortKVInPlaceILin2ELin1ELi32ELi4EsljEEvNS_4cuda6detail10TensorInfoIT3_T5_EES6_S6_S6_NS4_IT4_S6_EES6_b,comdat
.Lfunc_end163:
	.size	_ZN2at6native18radixSortKVInPlaceILin2ELin1ELi32ELi4EsljEEvNS_4cuda6detail10TensorInfoIT3_T5_EES6_S6_S6_NS4_IT4_S6_EES6_b, .Lfunc_end163-_ZN2at6native18radixSortKVInPlaceILin2ELin1ELi32ELi4EsljEEvNS_4cuda6detail10TensorInfoIT3_T5_EES6_S6_S6_NS4_IT4_S6_EES6_b
                                        ; -- End function
	.section	.AMDGPU.csdata,"",@progbits
; Kernel info:
; codeLenInByte = 4588
; NumSgprs: 50
; NumVgprs: 60
; NumAgprs: 0
; TotalNumVgprs: 60
; ScratchSize: 0
; MemoryBound: 0
; FloatMode: 240
; IeeeMode: 1
; LDSByteSize: 1056 bytes/workgroup (compile time only)
; SGPRBlocks: 6
; VGPRBlocks: 7
; NumSGPRsForWavesPerEU: 50
; NumVGPRsForWavesPerEU: 60
; AccumOffset: 60
; Occupancy: 8
; WaveLimiterHint : 1
; COMPUTE_PGM_RSRC2:SCRATCH_EN: 0
; COMPUTE_PGM_RSRC2:USER_SGPR: 6
; COMPUTE_PGM_RSRC2:TRAP_HANDLER: 0
; COMPUTE_PGM_RSRC2:TGID_X_EN: 1
; COMPUTE_PGM_RSRC2:TGID_Y_EN: 1
; COMPUTE_PGM_RSRC2:TGID_Z_EN: 1
; COMPUTE_PGM_RSRC2:TIDIG_COMP_CNT: 0
; COMPUTE_PGM_RSRC3_GFX90A:ACCUM_OFFSET: 14
; COMPUTE_PGM_RSRC3_GFX90A:TG_SPLIT: 0
	.section	.text._ZN2at6native18radixSortKVInPlaceILin2ELin1ELi16ELi2EsljEEvNS_4cuda6detail10TensorInfoIT3_T5_EES6_S6_S6_NS4_IT4_S6_EES6_b,"axG",@progbits,_ZN2at6native18radixSortKVInPlaceILin2ELin1ELi16ELi2EsljEEvNS_4cuda6detail10TensorInfoIT3_T5_EES6_S6_S6_NS4_IT4_S6_EES6_b,comdat
	.protected	_ZN2at6native18radixSortKVInPlaceILin2ELin1ELi16ELi2EsljEEvNS_4cuda6detail10TensorInfoIT3_T5_EES6_S6_S6_NS4_IT4_S6_EES6_b ; -- Begin function _ZN2at6native18radixSortKVInPlaceILin2ELin1ELi16ELi2EsljEEvNS_4cuda6detail10TensorInfoIT3_T5_EES6_S6_S6_NS4_IT4_S6_EES6_b
	.globl	_ZN2at6native18radixSortKVInPlaceILin2ELin1ELi16ELi2EsljEEvNS_4cuda6detail10TensorInfoIT3_T5_EES6_S6_S6_NS4_IT4_S6_EES6_b
	.p2align	8
	.type	_ZN2at6native18radixSortKVInPlaceILin2ELin1ELi16ELi2EsljEEvNS_4cuda6detail10TensorInfoIT3_T5_EES6_S6_S6_NS4_IT4_S6_EES6_b,@function
_ZN2at6native18radixSortKVInPlaceILin2ELin1ELi16ELi2EsljEEvNS_4cuda6detail10TensorInfoIT3_T5_EES6_S6_S6_NS4_IT4_S6_EES6_b: ; @_ZN2at6native18radixSortKVInPlaceILin2ELin1ELi16ELi2EsljEEvNS_4cuda6detail10TensorInfoIT3_T5_EES6_S6_S6_NS4_IT4_S6_EES6_b
; %bb.0:
	s_load_dwordx2 s[0:1], s[4:5], 0x1c8
	s_load_dwordx4 s[16:19], s[4:5], 0xd8
	s_waitcnt lgkmcnt(0)
	s_mul_i32 s1, s1, s8
	s_add_i32 s1, s1, s7
	s_mul_i32 s10, s1, s0
	s_add_i32 s10, s10, s6
	s_cmp_ge_u32 s10, s16
	s_cbranch_scc1 .LBB164_50
; %bb.1:
	s_load_dword s8, s[4:5], 0x1b8
	s_load_dwordx2 s[0:1], s[4:5], 0x0
	s_add_u32 s2, s4, 0xe8
	s_addc_u32 s3, s5, 0
	s_mov_b32 s7, 0
	s_waitcnt lgkmcnt(0)
	s_cmp_lt_i32 s8, 2
	s_mov_b32 s6, s10
	s_cbranch_scc1 .LBB164_4
; %bb.2:
	s_add_i32 s6, s8, -1
	s_add_i32 s11, s8, 1
	s_lshl_b64 s[8:9], s[6:7], 2
	s_add_u32 s6, s8, s2
	s_addc_u32 s9, s9, s3
	s_add_u32 s8, s6, 8
	s_addc_u32 s9, s9, 0
	s_mov_b32 s6, s10
.LBB164_3:                              ; =>This Inner Loop Header: Depth=1
	s_load_dword s12, s[8:9], 0x0
	s_load_dword s14, s[8:9], 0x64
	s_mov_b32 s13, s6
	s_waitcnt lgkmcnt(0)
	v_cvt_f32_u32_e32 v1, s12
	s_sub_i32 s6, 0, s12
	v_rcp_iflag_f32_e32 v1, v1
	v_mul_f32_e32 v1, 0x4f7ffffe, v1
	v_cvt_u32_f32_e32 v1, v1
	v_readfirstlane_b32 s15, v1
	s_mul_i32 s6, s6, s15
	s_mul_hi_u32 s6, s15, s6
	s_add_i32 s15, s15, s6
	s_mul_hi_u32 s6, s13, s15
	s_mul_i32 s15, s6, s12
	s_sub_i32 s15, s13, s15
	s_add_i32 s16, s6, 1
	s_sub_i32 s19, s15, s12
	s_cmp_ge_u32 s15, s12
	s_cselect_b32 s6, s16, s6
	s_cselect_b32 s15, s19, s15
	s_add_i32 s16, s6, 1
	s_cmp_ge_u32 s15, s12
	s_cselect_b32 s6, s16, s6
	s_mul_i32 s12, s6, s12
	s_sub_i32 s12, s13, s12
	s_mul_i32 s12, s14, s12
	s_add_i32 s11, s11, -1
	s_add_i32 s7, s12, s7
	s_add_u32 s8, s8, -4
	s_addc_u32 s9, s9, -1
	s_cmp_gt_u32 s11, 2
	s_cbranch_scc1 .LBB164_3
.LBB164_4:
	s_load_dword s8, s[4:5], 0x6c
	s_load_dwordx2 s[20:21], s[4:5], 0x1c0
	s_mov_b32 s14, 0x8000
	s_mov_b32 s11, 0
	v_mul_lo_u32 v10, v0, s18
	s_waitcnt lgkmcnt(0)
	s_mul_i32 s10, s8, s10
	s_bitcmp1_b32 s21, 0
	s_load_dwordx2 s[8:9], s[2:3], 0x0
	s_cselect_b64 s[4:5], -1, 0
	s_and_b64 s[12:13], s[4:5], exec
	s_cselect_b32 s13, s14, 0x7fff
	s_lshl_b64 s[10:11], s[10:11], 1
	s_add_u32 s19, s0, s10
	s_pack_ll_b32_b16 s12, s13, s13
	s_addc_u32 s21, s1, s11
	v_cmp_gt_u32_e64 s[0:1], s17, v0
	v_mov_b32_e32 v3, s12
	v_mov_b32_e32 v2, s13
	s_and_saveexec_b64 s[10:11], s[0:1]
	s_cbranch_execz .LBB164_6
; %bb.5:
	v_mov_b32_e32 v11, 0
	v_lshlrev_b64 v[2:3], 1, v[10:11]
	v_mov_b32_e32 v1, s21
	v_add_co_u32_e32 v2, vcc, s19, v2
	v_addc_co_u32_e32 v3, vcc, v1, v3, vcc
	global_load_ushort v2, v[2:3], off
	s_mov_b32 s13, 0xffff
	v_mov_b32_e32 v1, s12
	s_waitcnt vmcnt(0)
	v_bfi_b32 v3, s13, v2, v1
.LBB164_6:
	s_or_b64 exec, exec, s[10:11]
	s_load_dword s12, s[2:3], 0x6c
	v_or_b32_e32 v1, 16, v0
	v_cmp_gt_u32_e64 s[2:3], s17, v1
	s_and_saveexec_b64 s[10:11], s[2:3]
	s_cbranch_execz .LBB164_8
; %bb.7:
	v_mul_lo_u32 v4, v1, s18
	v_mov_b32_e32 v5, 0
	v_lshlrev_b64 v[4:5], 1, v[4:5]
	v_mov_b32_e32 v6, s21
	v_add_co_u32_e32 v4, vcc, s19, v4
	v_addc_co_u32_e32 v5, vcc, v6, v5, vcc
	global_load_ushort v4, v[4:5], off
	s_mov_b32 s13, 0x5040100
	s_waitcnt vmcnt(0)
	v_perm_b32 v3, v4, v3, s13
.LBB164_8:
	s_or_b64 exec, exec, s[10:11]
	v_lshlrev_b32_e32 v22, 1, v0
	v_lshlrev_b32_e32 v11, 2, v0
	s_waitcnt lgkmcnt(0)
	s_mul_i32 s6, s12, s6
	ds_write_b16 v22, v2
	ds_write_b16_d16_hi v22, v3 offset:32
	s_waitcnt lgkmcnt(0)
	; wave barrier
	s_waitcnt lgkmcnt(0)
	ds_read_b32 v27, v11
	s_add_i32 s12, s6, s7
	s_mov_b32 s13, 0
	s_lshl_b64 s[6:7], s[12:13], 3
	s_mov_b32 s12, s13
	s_add_u32 s30, s8, s6
	s_mov_b32 s14, s13
	s_mov_b32 s15, s13
	v_pk_mov_b32 v[2:3], s[12:13], s[12:13] op_sel:[0,1]
	s_addc_u32 s31, s9, s7
	v_pk_mov_b32 v[4:5], s[14:15], s[14:15] op_sel:[0,1]
	v_pk_mov_b32 v[2:3], 0, 0
	v_mul_lo_u32 v12, v0, s20
	s_waitcnt lgkmcnt(0)
	; wave barrier
	s_waitcnt lgkmcnt(0)
	s_and_saveexec_b64 s[6:7], s[0:1]
	s_cbranch_execz .LBB164_10
; %bb.9:
	v_mov_b32_e32 v13, 0
	v_lshlrev_b64 v[2:3], 3, v[12:13]
	v_mov_b32_e32 v4, s31
	v_add_co_u32_e32 v2, vcc, s30, v2
	v_addc_co_u32_e32 v3, vcc, v4, v3, vcc
	global_load_dwordx2 v[2:3], v[2:3], off
	v_mov_b32_e32 v4, v13
	v_mov_b32_e32 v5, v13
.LBB164_10:
	s_or_b64 exec, exec, s[6:7]
	s_xor_b64 s[22:23], s[4:5], -1
	s_and_saveexec_b64 s[4:5], s[2:3]
	s_cbranch_execz .LBB164_12
; %bb.11:
	v_mul_lo_u32 v4, v1, s20
	v_mov_b32_e32 v5, 0
	v_lshlrev_b64 v[4:5], 3, v[4:5]
	v_mov_b32_e32 v6, s31
	v_add_co_u32_e32 v4, vcc, s30, v4
	v_addc_co_u32_e32 v5, vcc, v6, v5, vcc
	global_load_dwordx2 v[4:5], v[4:5], off
.LBB164_12:
	s_or_b64 exec, exec, s[4:5]
	v_mbcnt_lo_u32_b32 v6, -1, 0
	v_lshlrev_b32_e32 v23, 3, v0
	v_lshlrev_b32_e32 v13, 3, v22
	s_getpc_b64 s[4:5]
	s_add_u32 s4, s4, _ZN7rocprim17ROCPRIM_400000_NS16block_radix_sortIsLj16ELj2ElLj1ELj1ELj0ELNS0_26block_radix_rank_algorithmE1ELNS0_18block_padding_hintE2ELNS0_4arch9wavefront6targetE1EE19radix_bits_per_passE@rel32@lo+4
	s_addc_u32 s5, s5, _ZN7rocprim17ROCPRIM_400000_NS16block_radix_sortIsLj16ELj2ElLj1ELj1ELj0ELNS0_26block_radix_rank_algorithmE1ELNS0_18block_padding_hintE2ELNS0_4arch9wavefront6targetE1EE19radix_bits_per_passE@rel32@hi+12
	v_mbcnt_hi_u32_b32 v6, -1, v6
	s_waitcnt vmcnt(0)
	ds_write2_b64 v23, v[2:3], v[4:5] offset1:16
	s_waitcnt lgkmcnt(0)
	; wave barrier
	s_waitcnt lgkmcnt(0)
	ds_read2_b64 v[2:5], v13 offset1:1
	s_load_dword s33, s[4:5], 0x0
	v_and_b32_e32 v7, 15, v6
	v_cmp_eq_u32_e64 s[6:7], 0, v7
	v_cmp_lt_u32_e64 s[8:9], 1, v7
	v_cmp_lt_u32_e64 s[10:11], 3, v7
	;; [unrolled: 1-line block ×3, first 2 shown]
	v_add_u32_e32 v7, -1, v6
	v_and_b32_e32 v8, 0x70, v6
	v_cmp_lt_i32_e32 vcc, v7, v8
	s_movk_i32 s4, 0x80
	v_cndmask_b32_e32 v7, v7, v6, vcc
	v_cmp_gt_u32_e64 s[4:5], s4, v0
	v_lshlrev_b32_e32 v24, 5, v0
	s_mov_b32 s34, 0
	v_cmp_eq_u32_e64 s[14:15], 15, v0
	s_movk_i32 s35, 0x70
	v_lshlrev_b32_e32 v26, 2, v7
	v_cmp_eq_u32_e64 s[16:17], 0, v6
	v_lshlrev_b32_e32 v25, 1, v22
	s_and_b64 vcc, exec, s[22:23]
	v_add_u32_e64 v28, 7, 2
	s_waitcnt lgkmcnt(0)
	; wave barrier
	s_waitcnt lgkmcnt(0)
	s_cbranch_vccz .LBB164_27
; %bb.13:
	v_xor_b32_e32 v31, 0x80008000, v27
	v_and_b32_e32 v29, 14, v28
	v_mov_b32_e32 v30, 0
	v_pk_mov_b32 v[6:7], v[2:3], v[2:3] op_sel:[0,1]
	v_pk_mov_b32 v[8:9], v[4:5], v[4:5] op_sel:[0,1]
	s_branch .LBB164_15
.LBB164_14:                             ;   in Loop: Header=BB164_15 Depth=1
	v_lshlrev_b32_e32 v6, 1, v18
	s_waitcnt lgkmcnt(0)
	; wave barrier
	ds_write_b16 v6, v31
	v_lshlrev_b32_e32 v6, 1, v19
	ds_write_b16 v6, v32
	v_lshlrev_b32_e32 v6, 3, v18
	s_waitcnt lgkmcnt(0)
	; wave barrier
	s_waitcnt lgkmcnt(0)
	ds_read_b32 v31, v25
	s_waitcnt lgkmcnt(0)
	; wave barrier
	s_waitcnt lgkmcnt(0)
	ds_write_b64 v6, v[16:17]
	v_lshlrev_b32_e32 v6, 3, v19
	ds_write_b64 v6, v[14:15]
	s_waitcnt lgkmcnt(0)
	; wave barrier
	s_waitcnt lgkmcnt(0)
	ds_read2_b64 v[6:9], v13 offset1:1
	s_add_i32 s34, s34, 4
	s_waitcnt lgkmcnt(0)
	; wave barrier
	s_waitcnt lgkmcnt(0)
	s_cbranch_execz .LBB164_26
.LBB164_15:                             ; =>This Loop Header: Depth=1
                                        ;     Child Loop BB164_18 Depth 2
	v_pk_mov_b32 v[14:15], v[8:9], v[8:9] op_sel:[0,1]
	v_pk_mov_b32 v[16:17], v[6:7], v[6:7] op_sel:[0,1]
	s_and_saveexec_b64 s[22:23], s[4:5]
	s_cbranch_execz .LBB164_22
; %bb.16:                               ;   in Loop: Header=BB164_15 Depth=1
	s_mov_b32 s36, 0
	s_mov_b64 s[24:25], 0
	v_pk_mov_b32 v[6:7], v[0:1], v[0:1] op_sel:[0,1]
	s_branch .LBB164_18
.LBB164_17:                             ;   in Loop: Header=BB164_18 Depth=2
	s_or_b64 exec, exec, s[28:29]
	s_add_i32 s36, s36, 2
	v_cmp_eq_u32_e32 vcc, s36, v29
	v_add_u32_e32 v7, 32, v7
	s_or_b64 s[24:25], vcc, s[24:25]
	v_add_u32_e32 v6, 32, v6
	s_andn2_b64 exec, exec, s[24:25]
	s_cbranch_execz .LBB164_22
.LBB164_18:                             ;   Parent Loop BB164_15 Depth=1
                                        ; =>  This Inner Loop Header: Depth=2
	s_or_b32 s26, s36, 1
	v_cmp_le_u32_e64 s[26:27], s26, 7
	v_cmp_le_u32_e64 s[38:39], s36, 7
	s_and_saveexec_b64 s[28:29], s[38:39]
	s_cbranch_execz .LBB164_20
; %bb.19:                               ;   in Loop: Header=BB164_18 Depth=2
	v_lshlrev_b32_e32 v8, 2, v6
	ds_write_b32 v8, v30
.LBB164_20:                             ;   in Loop: Header=BB164_18 Depth=2
	s_or_b64 exec, exec, s[28:29]
	s_and_saveexec_b64 s[28:29], s[26:27]
	s_cbranch_execz .LBB164_17
; %bb.21:                               ;   in Loop: Header=BB164_18 Depth=2
	v_lshlrev_b32_e32 v8, 2, v7
	ds_write_b32 v8, v30
	s_branch .LBB164_17
.LBB164_22:                             ;   in Loop: Header=BB164_15 Depth=1
	s_or_b64 exec, exec, s[22:23]
	s_sub_i32 s22, 16, s34
	s_min_u32 s22, s33, s22
	s_lshl_b32 s22, -1, s22
	s_not_b32 s22, s22
	v_lshrrev_b32_sdwa v6, s34, v31 dst_sel:DWORD dst_unused:UNUSED_PAD src0_sel:DWORD src1_sel:WORD_0
	v_and_b32_e32 v6, s22, v6
	v_lshrrev_b32_e32 v7, 3, v6
	v_lshlrev_b32_e32 v6, 4, v6
	v_and_or_b32 v6, v6, s35, v0
	v_lshlrev_b32_e32 v6, 1, v6
	v_add_lshl_u32 v34, v6, v7, 1
	ds_read_u16 v33, v34
	v_lshrrev_b32_e32 v32, 16, v31
	v_lshrrev_b32_e32 v6, s34, v32
	v_and_b32_e32 v6, s22, v6
	s_waitcnt lgkmcnt(0)
	v_add_u16_e32 v7, 1, v33
	ds_write_b16 v34, v7
	v_lshrrev_b32_e32 v7, 3, v6
	v_lshlrev_b32_e32 v6, 4, v6
	v_and_or_b32 v6, v6, s35, v0
	v_lshlrev_b32_e32 v6, 1, v6
	v_add_lshl_u32 v36, v6, v7, 1
	ds_read_u16 v35, v36
	s_waitcnt lgkmcnt(0)
	v_add_u16_e32 v6, 1, v35
	ds_write_b16 v36, v6
	s_waitcnt lgkmcnt(0)
	; wave barrier
	s_waitcnt lgkmcnt(0)
	ds_read2_b32 v[20:21], v24 offset1:1
	ds_read2_b32 v[18:19], v24 offset0:2 offset1:3
	ds_read2_b32 v[6:7], v24 offset0:4 offset1:5
	;; [unrolled: 1-line block ×3, first 2 shown]
	s_waitcnt lgkmcnt(3)
	v_add_u32_e32 v37, v21, v20
	s_waitcnt lgkmcnt(2)
	v_add3_u32 v37, v37, v18, v19
	s_waitcnt lgkmcnt(1)
	v_add3_u32 v37, v37, v6, v7
	;; [unrolled: 2-line block ×3, first 2 shown]
	s_nop 1
	v_mov_b32_dpp v37, v9 row_shr:1 row_mask:0xf bank_mask:0xf
	v_cndmask_b32_e64 v37, v37, 0, s[6:7]
	v_add_u32_e32 v9, v37, v9
	s_nop 1
	v_mov_b32_dpp v37, v9 row_shr:2 row_mask:0xf bank_mask:0xf
	v_cndmask_b32_e64 v37, 0, v37, s[8:9]
	v_add_u32_e32 v9, v9, v37
	;; [unrolled: 4-line block ×4, first 2 shown]
	s_and_saveexec_b64 s[22:23], s[14:15]
	s_cbranch_execz .LBB164_24
; %bb.23:                               ;   in Loop: Header=BB164_15 Depth=1
	ds_write_b32 v30, v9 offset:512
.LBB164_24:                             ;   in Loop: Header=BB164_15 Depth=1
	s_or_b64 exec, exec, s[22:23]
	ds_bpermute_b32 v9, v26, v9
	s_waitcnt lgkmcnt(0)
	; wave barrier
	s_waitcnt lgkmcnt(0)
	ds_read_b32 v37, v30 offset:512
	s_cmp_gt_u32 s34, 11
	v_cndmask_b32_e64 v9, v9, 0, s[16:17]
	s_waitcnt lgkmcnt(0)
	v_lshl_add_u32 v9, v37, 16, v9
	v_add_u32_e32 v20, v9, v20
	v_add_u32_e32 v21, v20, v21
	ds_write2_b32 v24, v9, v20 offset1:1
	v_add_u32_e32 v9, v21, v18
	v_add_u32_e32 v18, v9, v19
	;; [unrolled: 1-line block ×5, first 2 shown]
	ds_write2_b32 v24, v21, v9 offset0:2 offset1:3
	ds_write2_b32 v24, v18, v6 offset0:4 offset1:5
	;; [unrolled: 1-line block ×3, first 2 shown]
	s_waitcnt lgkmcnt(0)
	; wave barrier
	s_waitcnt lgkmcnt(0)
	ds_read_u16 v6, v34
	ds_read_u16 v7, v36
	v_mov_b32_e32 v20, v31
	s_waitcnt lgkmcnt(1)
	v_add_u32_sdwa v18, v6, v33 dst_sel:DWORD dst_unused:UNUSED_PAD src0_sel:DWORD src1_sel:WORD_0
	s_waitcnt lgkmcnt(0)
	v_add_u32_sdwa v19, v7, v35 dst_sel:DWORD dst_unused:UNUSED_PAD src0_sel:DWORD src1_sel:WORD_0
	s_cbranch_scc0 .LBB164_14
; %bb.25:
                                        ; implicit-def: $vgpr8_vgpr9
                                        ; implicit-def: $sgpr34
                                        ; implicit-def: $vgpr31
.LBB164_26:
	v_lshlrev_b32_e32 v6, 1, v18
	s_waitcnt lgkmcnt(0)
	; wave barrier
	ds_write_b16 v6, v20
	v_lshlrev_b32_e32 v6, 1, v19
	ds_write_b16 v6, v32
	s_waitcnt lgkmcnt(0)
	; wave barrier
	s_waitcnt lgkmcnt(0)
	v_lshlrev_b32_e32 v6, 3, v18
	v_lshlrev_b32_e32 v7, 3, v19
	ds_read_b32 v18, v25
	s_waitcnt lgkmcnt(0)
	; wave barrier
	s_waitcnt lgkmcnt(0)
	ds_write_b64 v6, v[16:17]
	ds_write_b64 v7, v[14:15]
	s_waitcnt lgkmcnt(0)
	; wave barrier
	s_waitcnt lgkmcnt(0)
	ds_read2_b64 v[6:9], v13 offset1:1
	v_xor_b32_e32 v14, 0x80008000, v18
	s_branch .LBB164_42
.LBB164_27:
                                        ; implicit-def: $vgpr8_vgpr9
                                        ; implicit-def: $vgpr14
	s_cbranch_execz .LBB164_42
; %bb.28:
	v_xor_b32_e32 v20, 0x7fff7fff, v27
	v_and_b32_e32 v18, 14, v28
	s_mov_b32 s35, 0
	v_mov_b32_e32 v19, 0
	s_movk_i32 s34, 0x70
	s_branch .LBB164_30
.LBB164_29:                             ;   in Loop: Header=BB164_30 Depth=1
	v_lshlrev_b32_e32 v2, 1, v14
	s_waitcnt lgkmcnt(0)
	; wave barrier
	ds_write_b16 v2, v20
	v_lshlrev_b32_e32 v2, 1, v15
	ds_write_b16 v2, v21
	v_lshlrev_b32_e32 v2, 3, v14
	s_waitcnt lgkmcnt(0)
	; wave barrier
	s_waitcnt lgkmcnt(0)
	ds_read_b32 v20, v25
	s_waitcnt lgkmcnt(0)
	; wave barrier
	s_waitcnt lgkmcnt(0)
	ds_write_b64 v2, v[8:9]
	v_lshlrev_b32_e32 v2, 3, v15
	ds_write_b64 v2, v[6:7]
	s_waitcnt lgkmcnt(0)
	; wave barrier
	s_waitcnt lgkmcnt(0)
	ds_read2_b64 v[2:5], v13 offset1:1
	s_add_i32 s35, s35, 4
	s_waitcnt lgkmcnt(0)
	; wave barrier
	s_waitcnt lgkmcnt(0)
	s_cbranch_execz .LBB164_41
.LBB164_30:                             ; =>This Loop Header: Depth=1
                                        ;     Child Loop BB164_33 Depth 2
	s_waitcnt lgkmcnt(0)
	v_pk_mov_b32 v[6:7], v[4:5], v[4:5] op_sel:[0,1]
	v_pk_mov_b32 v[8:9], v[2:3], v[2:3] op_sel:[0,1]
	s_and_saveexec_b64 s[22:23], s[4:5]
	s_cbranch_execz .LBB164_37
; %bb.31:                               ;   in Loop: Header=BB164_30 Depth=1
	s_mov_b32 s36, 0
	s_mov_b64 s[24:25], 0
	v_pk_mov_b32 v[2:3], v[0:1], v[0:1] op_sel:[0,1]
	s_branch .LBB164_33
.LBB164_32:                             ;   in Loop: Header=BB164_33 Depth=2
	s_or_b64 exec, exec, s[28:29]
	s_add_i32 s36, s36, 2
	v_cmp_eq_u32_e32 vcc, s36, v18
	v_add_u32_e32 v3, 32, v3
	s_or_b64 s[24:25], vcc, s[24:25]
	v_add_u32_e32 v2, 32, v2
	s_andn2_b64 exec, exec, s[24:25]
	s_cbranch_execz .LBB164_37
.LBB164_33:                             ;   Parent Loop BB164_30 Depth=1
                                        ; =>  This Inner Loop Header: Depth=2
	s_or_b32 s26, s36, 1
	v_cmp_le_u32_e64 s[26:27], s26, 7
	v_cmp_le_u32_e64 s[38:39], s36, 7
	s_and_saveexec_b64 s[28:29], s[38:39]
	s_cbranch_execz .LBB164_35
; %bb.34:                               ;   in Loop: Header=BB164_33 Depth=2
	v_lshlrev_b32_e32 v4, 2, v2
	ds_write_b32 v4, v19
.LBB164_35:                             ;   in Loop: Header=BB164_33 Depth=2
	s_or_b64 exec, exec, s[28:29]
	s_and_saveexec_b64 s[28:29], s[26:27]
	s_cbranch_execz .LBB164_32
; %bb.36:                               ;   in Loop: Header=BB164_33 Depth=2
	v_lshlrev_b32_e32 v4, 2, v3
	ds_write_b32 v4, v19
	s_branch .LBB164_32
.LBB164_37:                             ;   in Loop: Header=BB164_30 Depth=1
	s_or_b64 exec, exec, s[22:23]
	s_sub_i32 s22, 16, s35
	s_min_u32 s22, s33, s22
	s_lshl_b32 s22, -1, s22
	s_not_b32 s22, s22
	v_lshrrev_b32_sdwa v2, s35, v20 dst_sel:DWORD dst_unused:UNUSED_PAD src0_sel:DWORD src1_sel:WORD_0
	v_and_b32_e32 v2, s22, v2
	v_lshrrev_b32_e32 v3, 3, v2
	v_lshlrev_b32_e32 v2, 4, v2
	v_and_or_b32 v2, v2, s34, v0
	v_lshlrev_b32_e32 v2, 1, v2
	v_add_lshl_u32 v28, v2, v3, 1
	ds_read_u16 v27, v28
	v_lshrrev_b32_e32 v21, 16, v20
	v_lshrrev_b32_e32 v2, s35, v21
	v_and_b32_e32 v2, s22, v2
	s_waitcnt lgkmcnt(0)
	v_add_u16_e32 v3, 1, v27
	ds_write_b16 v28, v3
	v_lshrrev_b32_e32 v3, 3, v2
	v_lshlrev_b32_e32 v2, 4, v2
	v_and_or_b32 v2, v2, s34, v0
	v_lshlrev_b32_e32 v2, 1, v2
	v_add_lshl_u32 v30, v2, v3, 1
	ds_read_u16 v29, v30
	s_waitcnt lgkmcnt(0)
	v_add_u16_e32 v2, 1, v29
	ds_write_b16 v30, v2
	s_waitcnt lgkmcnt(0)
	; wave barrier
	s_waitcnt lgkmcnt(0)
	ds_read2_b32 v[16:17], v24 offset1:1
	ds_read2_b32 v[14:15], v24 offset0:2 offset1:3
	ds_read2_b32 v[2:3], v24 offset0:4 offset1:5
	;; [unrolled: 1-line block ×3, first 2 shown]
	s_waitcnt lgkmcnt(3)
	v_add_u32_e32 v31, v17, v16
	s_waitcnt lgkmcnt(2)
	v_add3_u32 v31, v31, v14, v15
	s_waitcnt lgkmcnt(1)
	v_add3_u32 v31, v31, v2, v3
	;; [unrolled: 2-line block ×3, first 2 shown]
	s_nop 1
	v_mov_b32_dpp v31, v5 row_shr:1 row_mask:0xf bank_mask:0xf
	v_cndmask_b32_e64 v31, v31, 0, s[6:7]
	v_add_u32_e32 v5, v31, v5
	s_nop 1
	v_mov_b32_dpp v31, v5 row_shr:2 row_mask:0xf bank_mask:0xf
	v_cndmask_b32_e64 v31, 0, v31, s[8:9]
	v_add_u32_e32 v5, v5, v31
	;; [unrolled: 4-line block ×4, first 2 shown]
	s_and_saveexec_b64 s[22:23], s[14:15]
	s_cbranch_execz .LBB164_39
; %bb.38:                               ;   in Loop: Header=BB164_30 Depth=1
	ds_write_b32 v19, v5 offset:512
.LBB164_39:                             ;   in Loop: Header=BB164_30 Depth=1
	s_or_b64 exec, exec, s[22:23]
	ds_bpermute_b32 v5, v26, v5
	s_waitcnt lgkmcnt(0)
	; wave barrier
	s_waitcnt lgkmcnt(0)
	ds_read_b32 v31, v19 offset:512
	s_cmp_gt_u32 s35, 11
	v_cndmask_b32_e64 v5, v5, 0, s[16:17]
	s_waitcnt lgkmcnt(0)
	v_lshl_add_u32 v5, v31, 16, v5
	v_add_u32_e32 v16, v5, v16
	v_add_u32_e32 v17, v16, v17
	ds_write2_b32 v24, v5, v16 offset1:1
	v_add_u32_e32 v5, v17, v14
	v_add_u32_e32 v14, v5, v15
	;; [unrolled: 1-line block ×5, first 2 shown]
	ds_write2_b32 v24, v17, v5 offset0:2 offset1:3
	ds_write2_b32 v24, v14, v2 offset0:4 offset1:5
	ds_write2_b32 v24, v3, v4 offset0:6 offset1:7
	s_waitcnt lgkmcnt(0)
	; wave barrier
	s_waitcnt lgkmcnt(0)
	ds_read_u16 v2, v28
	ds_read_u16 v3, v30
	v_mov_b32_e32 v16, v20
	s_waitcnt lgkmcnt(1)
	v_add_u32_sdwa v14, v2, v27 dst_sel:DWORD dst_unused:UNUSED_PAD src0_sel:DWORD src1_sel:WORD_0
	s_waitcnt lgkmcnt(0)
	v_add_u32_sdwa v15, v3, v29 dst_sel:DWORD dst_unused:UNUSED_PAD src0_sel:DWORD src1_sel:WORD_0
	s_cbranch_scc0 .LBB164_29
; %bb.40:
                                        ; implicit-def: $vgpr4_vgpr5
                                        ; implicit-def: $sgpr35
                                        ; implicit-def: $vgpr20
.LBB164_41:
	v_lshlrev_b32_e32 v0, 1, v14
	s_waitcnt lgkmcnt(0)
	; wave barrier
	ds_write_b16 v0, v16
	v_lshlrev_b32_e32 v0, 1, v15
	ds_write_b16 v0, v21
	s_waitcnt lgkmcnt(0)
	; wave barrier
	s_waitcnt lgkmcnt(0)
	v_lshlrev_b32_e32 v0, 3, v14
	ds_read_b32 v2, v25
	v_lshlrev_b32_e32 v1, 3, v15
	s_waitcnt lgkmcnt(0)
	; wave barrier
	s_waitcnt lgkmcnt(0)
	ds_write_b64 v0, v[8:9]
	ds_write_b64 v1, v[6:7]
	s_waitcnt lgkmcnt(0)
	; wave barrier
	s_waitcnt lgkmcnt(0)
	ds_read2_b64 v[6:9], v13 offset1:1
	v_xor_b32_e32 v14, 0x7fff7fff, v2
.LBB164_42:
	s_waitcnt lgkmcnt(0)
	; wave barrier
	s_waitcnt lgkmcnt(0)
	ds_write_b32 v11, v14
	s_waitcnt lgkmcnt(0)
	; wave barrier
	s_waitcnt lgkmcnt(0)
	ds_read_u16 v2, v22 offset:32
	v_mov_b32_e32 v11, 0
	v_lshlrev_b64 v[0:1], 1, v[10:11]
	v_mov_b32_e32 v3, s21
	v_add_co_u32_e32 v0, vcc, s19, v0
	v_addc_co_u32_e32 v1, vcc, v3, v1, vcc
	s_and_saveexec_b64 s[4:5], s[0:1]
	s_cbranch_execz .LBB164_44
; %bb.43:
	ds_read_u16 v3, v22
	s_waitcnt lgkmcnt(0)
	global_store_short v[0:1], v3, off
.LBB164_44:
	s_or_b64 exec, exec, s[4:5]
	s_and_saveexec_b64 s[4:5], s[2:3]
	s_cbranch_execz .LBB164_46
; %bb.45:
	s_lshl_b32 s6, s18, 4
	s_mov_b32 s7, 0
	s_lshl_b64 s[6:7], s[6:7], 1
	v_mov_b32_e32 v3, s7
	v_add_co_u32_e32 v0, vcc, s6, v0
	v_addc_co_u32_e32 v1, vcc, v1, v3, vcc
	s_waitcnt lgkmcnt(0)
	global_store_short v[0:1], v2, off
.LBB164_46:
	s_or_b64 exec, exec, s[4:5]
	s_waitcnt lgkmcnt(0)
	; wave barrier
	s_waitcnt lgkmcnt(0)
	ds_write2_b64 v13, v[6:7], v[8:9] offset1:1
	s_waitcnt lgkmcnt(0)
	; wave barrier
	s_waitcnt lgkmcnt(0)
	ds_read_b64 v[0:1], v23 offset:128
	v_mov_b32_e32 v13, 0
	v_lshlrev_b64 v[2:3], 3, v[12:13]
	v_mov_b32_e32 v4, s31
	v_add_co_u32_e32 v2, vcc, s30, v2
	v_addc_co_u32_e32 v3, vcc, v4, v3, vcc
	s_and_saveexec_b64 s[4:5], s[0:1]
	s_cbranch_execz .LBB164_48
; %bb.47:
	ds_read_b64 v[4:5], v23
	s_waitcnt lgkmcnt(0)
	global_store_dwordx2 v[2:3], v[4:5], off
.LBB164_48:
	s_or_b64 exec, exec, s[4:5]
	s_and_saveexec_b64 s[0:1], s[2:3]
	s_cbranch_execz .LBB164_50
; %bb.49:
	s_lshl_b32 s0, s20, 4
	s_mov_b32 s1, 0
	s_lshl_b64 s[0:1], s[0:1], 3
	v_mov_b32_e32 v4, s1
	v_add_co_u32_e32 v2, vcc, s0, v2
	v_addc_co_u32_e32 v3, vcc, v3, v4, vcc
	s_waitcnt lgkmcnt(0)
	global_store_dwordx2 v[2:3], v[0:1], off
.LBB164_50:
	s_endpgm
	.section	.rodata,"a",@progbits
	.p2align	6, 0x0
	.amdhsa_kernel _ZN2at6native18radixSortKVInPlaceILin2ELin1ELi16ELi2EsljEEvNS_4cuda6detail10TensorInfoIT3_T5_EES6_S6_S6_NS4_IT4_S6_EES6_b
		.amdhsa_group_segment_fixed_size 528
		.amdhsa_private_segment_fixed_size 0
		.amdhsa_kernarg_size 712
		.amdhsa_user_sgpr_count 6
		.amdhsa_user_sgpr_private_segment_buffer 1
		.amdhsa_user_sgpr_dispatch_ptr 0
		.amdhsa_user_sgpr_queue_ptr 0
		.amdhsa_user_sgpr_kernarg_segment_ptr 1
		.amdhsa_user_sgpr_dispatch_id 0
		.amdhsa_user_sgpr_flat_scratch_init 0
		.amdhsa_user_sgpr_kernarg_preload_length 0
		.amdhsa_user_sgpr_kernarg_preload_offset 0
		.amdhsa_user_sgpr_private_segment_size 0
		.amdhsa_uses_dynamic_stack 0
		.amdhsa_system_sgpr_private_segment_wavefront_offset 0
		.amdhsa_system_sgpr_workgroup_id_x 1
		.amdhsa_system_sgpr_workgroup_id_y 1
		.amdhsa_system_sgpr_workgroup_id_z 1
		.amdhsa_system_sgpr_workgroup_info 0
		.amdhsa_system_vgpr_workitem_id 0
		.amdhsa_next_free_vgpr 38
		.amdhsa_next_free_sgpr 40
		.amdhsa_accum_offset 40
		.amdhsa_reserve_vcc 1
		.amdhsa_reserve_flat_scratch 0
		.amdhsa_float_round_mode_32 0
		.amdhsa_float_round_mode_16_64 0
		.amdhsa_float_denorm_mode_32 3
		.amdhsa_float_denorm_mode_16_64 3
		.amdhsa_dx10_clamp 1
		.amdhsa_ieee_mode 1
		.amdhsa_fp16_overflow 0
		.amdhsa_tg_split 0
		.amdhsa_exception_fp_ieee_invalid_op 0
		.amdhsa_exception_fp_denorm_src 0
		.amdhsa_exception_fp_ieee_div_zero 0
		.amdhsa_exception_fp_ieee_overflow 0
		.amdhsa_exception_fp_ieee_underflow 0
		.amdhsa_exception_fp_ieee_inexact 0
		.amdhsa_exception_int_div_zero 0
	.end_amdhsa_kernel
	.section	.text._ZN2at6native18radixSortKVInPlaceILin2ELin1ELi16ELi2EsljEEvNS_4cuda6detail10TensorInfoIT3_T5_EES6_S6_S6_NS4_IT4_S6_EES6_b,"axG",@progbits,_ZN2at6native18radixSortKVInPlaceILin2ELin1ELi16ELi2EsljEEvNS_4cuda6detail10TensorInfoIT3_T5_EES6_S6_S6_NS4_IT4_S6_EES6_b,comdat
.Lfunc_end164:
	.size	_ZN2at6native18radixSortKVInPlaceILin2ELin1ELi16ELi2EsljEEvNS_4cuda6detail10TensorInfoIT3_T5_EES6_S6_S6_NS4_IT4_S6_EES6_b, .Lfunc_end164-_ZN2at6native18radixSortKVInPlaceILin2ELin1ELi16ELi2EsljEEvNS_4cuda6detail10TensorInfoIT3_T5_EES6_S6_S6_NS4_IT4_S6_EES6_b
                                        ; -- End function
	.section	.AMDGPU.csdata,"",@progbits
; Kernel info:
; codeLenInByte = 3044
; NumSgprs: 44
; NumVgprs: 38
; NumAgprs: 0
; TotalNumVgprs: 38
; ScratchSize: 0
; MemoryBound: 0
; FloatMode: 240
; IeeeMode: 1
; LDSByteSize: 528 bytes/workgroup (compile time only)
; SGPRBlocks: 5
; VGPRBlocks: 4
; NumSGPRsForWavesPerEU: 44
; NumVGPRsForWavesPerEU: 38
; AccumOffset: 40
; Occupancy: 8
; WaveLimiterHint : 1
; COMPUTE_PGM_RSRC2:SCRATCH_EN: 0
; COMPUTE_PGM_RSRC2:USER_SGPR: 6
; COMPUTE_PGM_RSRC2:TRAP_HANDLER: 0
; COMPUTE_PGM_RSRC2:TGID_X_EN: 1
; COMPUTE_PGM_RSRC2:TGID_Y_EN: 1
; COMPUTE_PGM_RSRC2:TGID_Z_EN: 1
; COMPUTE_PGM_RSRC2:TIDIG_COMP_CNT: 0
; COMPUTE_PGM_RSRC3_GFX90A:ACCUM_OFFSET: 9
; COMPUTE_PGM_RSRC3_GFX90A:TG_SPLIT: 0
	.section	.text._ZN2at6native18radixSortKVInPlaceILi2ELin1ELi512ELi8EsljEEvNS_4cuda6detail10TensorInfoIT3_T5_EES6_S6_S6_NS4_IT4_S6_EES6_b,"axG",@progbits,_ZN2at6native18radixSortKVInPlaceILi2ELin1ELi512ELi8EsljEEvNS_4cuda6detail10TensorInfoIT3_T5_EES6_S6_S6_NS4_IT4_S6_EES6_b,comdat
	.protected	_ZN2at6native18radixSortKVInPlaceILi2ELin1ELi512ELi8EsljEEvNS_4cuda6detail10TensorInfoIT3_T5_EES6_S6_S6_NS4_IT4_S6_EES6_b ; -- Begin function _ZN2at6native18radixSortKVInPlaceILi2ELin1ELi512ELi8EsljEEvNS_4cuda6detail10TensorInfoIT3_T5_EES6_S6_S6_NS4_IT4_S6_EES6_b
	.globl	_ZN2at6native18radixSortKVInPlaceILi2ELin1ELi512ELi8EsljEEvNS_4cuda6detail10TensorInfoIT3_T5_EES6_S6_S6_NS4_IT4_S6_EES6_b
	.p2align	8
	.type	_ZN2at6native18radixSortKVInPlaceILi2ELin1ELi512ELi8EsljEEvNS_4cuda6detail10TensorInfoIT3_T5_EES6_S6_S6_NS4_IT4_S6_EES6_b,@function
_ZN2at6native18radixSortKVInPlaceILi2ELin1ELi512ELi8EsljEEvNS_4cuda6detail10TensorInfoIT3_T5_EES6_S6_S6_NS4_IT4_S6_EES6_b: ; @_ZN2at6native18radixSortKVInPlaceILi2ELin1ELi512ELi8EsljEEvNS_4cuda6detail10TensorInfoIT3_T5_EES6_S6_S6_NS4_IT4_S6_EES6_b
; %bb.0:
	s_load_dwordx2 s[0:1], s[4:5], 0x1c8
	s_load_dwordx4 s[48:51], s[4:5], 0xd8
	s_add_u32 s54, s4, 0x1c8
	s_addc_u32 s55, s5, 0
	s_waitcnt lgkmcnt(0)
	s_mul_i32 s1, s1, s8
	s_add_i32 s1, s1, s7
	s_mul_i32 s8, s1, s0
	s_add_i32 s8, s8, s6
	s_cmp_ge_u32 s8, s48
	s_cbranch_scc1 .LBB165_146
; %bb.1:
	s_load_dword s9, s[4:5], 0xc
	s_load_dwordx2 s[0:1], s[4:5], 0x6c
	s_load_dword s6, s[4:5], 0x1b8
	s_add_u32 s14, s4, 0xe8
	s_load_dwordx2 s[2:3], s[4:5], 0x0
	s_waitcnt lgkmcnt(0)
	v_cvt_f32_u32_e32 v1, s9
	s_addc_u32 s15, s5, 0
	s_sub_i32 s7, 0, s9
	s_mov_b32 s17, 0
	v_rcp_iflag_f32_e32 v1, v1
	s_mov_b32 s16, s8
	v_mul_f32_e32 v1, 0x4f7ffffe, v1
	v_cvt_u32_f32_e32 v1, v1
	v_readfirstlane_b32 s10, v1
	s_mul_i32 s7, s7, s10
	s_mul_hi_u32 s7, s10, s7
	s_add_i32 s10, s10, s7
	s_mul_hi_u32 s10, s8, s10
	s_cmp_lt_i32 s6, 2
	s_cbranch_scc1 .LBB165_4
; %bb.2:
	s_add_i32 s16, s6, -1
	s_add_i32 s11, s6, 1
	s_lshl_b64 s[6:7], s[16:17], 2
	s_add_u32 s6, s6, s14
	s_addc_u32 s7, s7, s15
	s_add_u32 s6, s6, 8
	s_addc_u32 s7, s7, 0
	s_mov_b32 s16, s8
.LBB165_3:                              ; =>This Inner Loop Header: Depth=1
	s_load_dword s12, s[6:7], 0x0
	s_load_dword s18, s[6:7], 0x64
	s_mov_b32 s13, s16
	s_waitcnt lgkmcnt(0)
	v_cvt_f32_u32_e32 v1, s12
	s_sub_i32 s16, 0, s12
	v_rcp_iflag_f32_e32 v1, v1
	v_mul_f32_e32 v1, 0x4f7ffffe, v1
	v_cvt_u32_f32_e32 v1, v1
	v_readfirstlane_b32 s19, v1
	s_mul_i32 s16, s16, s19
	s_mul_hi_u32 s16, s19, s16
	s_add_i32 s19, s19, s16
	s_mul_hi_u32 s16, s13, s19
	s_mul_i32 s19, s16, s12
	s_sub_i32 s19, s13, s19
	s_add_i32 s20, s16, 1
	s_sub_i32 s21, s19, s12
	s_cmp_ge_u32 s19, s12
	s_cselect_b32 s16, s20, s16
	s_cselect_b32 s19, s21, s19
	s_add_i32 s20, s16, 1
	s_cmp_ge_u32 s19, s12
	s_cselect_b32 s16, s20, s16
	s_mul_i32 s12, s16, s12
	s_sub_i32 s12, s13, s12
	s_mul_i32 s12, s18, s12
	s_add_i32 s11, s11, -1
	s_add_i32 s17, s12, s17
	s_add_u32 s6, s6, -4
	s_addc_u32 s7, s7, -1
	s_cmp_gt_u32 s11, 2
	s_cbranch_scc1 .LBB165_3
.LBB165_4:
	s_mul_i32 s6, s10, s9
	s_sub_i32 s6, s8, s6
	s_add_i32 s7, s10, 1
	s_sub_i32 s11, s6, s9
	s_cmp_ge_u32 s6, s9
	s_cselect_b32 s7, s7, s10
	s_cselect_b32 s6, s11, s6
	s_add_i32 s10, s7, 1
	s_cmp_ge_u32 s6, s9
	s_cselect_b32 s6, s10, s7
	s_load_dwordx2 s[52:53], s[4:5], 0x1c0
	s_mul_i32 s7, s6, s9
	s_sub_i32 s4, s8, s7
	s_mul_i32 s4, s4, s1
	s_mul_i32 s0, s6, s0
	s_add_i32 s0, s0, s4
	s_waitcnt lgkmcnt(0)
	s_bitcmp1_b32 s53, 0
	s_cselect_b64 s[34:35], -1, 0
	s_mov_b32 s1, 0x8000
	s_and_b64 s[4:5], s[34:35], exec
	s_cselect_b32 s8, s1, 0x7fff
	s_mov_b32 s1, 0
	s_pack_ll_b32_b16 s4, s8, s8
	s_lshl_b64 s[0:1], s[0:1], 1
	s_mov_b32 s5, s4
	s_add_u32 s33, s2, s0
	v_and_b32_e32 v46, 0x3ff, v0
	s_mov_b32 s6, s4
	s_mov_b32 s7, s4
	v_pk_mov_b32 v[2:3], s[4:5], s[4:5] op_sel:[0,1]
	s_addc_u32 s48, s3, s1
	v_cmp_gt_u32_e64 s[0:1], s49, v46
	v_pk_mov_b32 v[4:5], s[6:7], s[6:7] op_sel:[0,1]
	v_mov_b32_e32 v6, s8
	v_mul_lo_u32 v42, v46, s50
	s_and_saveexec_b64 s[2:3], s[0:1]
	s_cbranch_execz .LBB165_6
; %bb.5:
	v_mov_b32_e32 v43, 0
	v_lshlrev_b64 v[2:3], 1, v[42:43]
	v_mov_b32_e32 v1, s48
	v_add_co_u32_e32 v2, vcc, s33, v2
	v_addc_co_u32_e32 v3, vcc, v1, v3, vcc
	global_load_ushort v6, v[2:3], off
	s_mov_b32 s5, 0xffff
	v_mov_b32_e32 v1, s4
	v_mov_b32_e32 v3, s4
	;; [unrolled: 1-line block ×4, first 2 shown]
	s_waitcnt vmcnt(0)
	v_bfi_b32 v2, s5, v6, v1
.LBB165_6:
	s_or_b64 exec, exec, s[2:3]
	v_add_u32_e32 v1, 0x200, v46
	v_cmp_gt_u32_e64 s[2:3], s49, v1
	s_and_saveexec_b64 s[4:5], s[2:3]
	s_cbranch_execz .LBB165_8
; %bb.7:
	v_mul_lo_u32 v8, v1, s50
	v_mov_b32_e32 v9, 0
	v_lshlrev_b64 v[8:9], 1, v[8:9]
	v_mov_b32_e32 v7, s48
	v_add_co_u32_e32 v8, vcc, s33, v8
	v_addc_co_u32_e32 v9, vcc, v7, v9, vcc
	global_load_ushort v7, v[8:9], off
	s_mov_b32 s6, 0x5040100
	s_waitcnt vmcnt(0)
	v_perm_b32 v2, v7, v2, s6
.LBB165_8:
	s_or_b64 exec, exec, s[4:5]
	v_or_b32_e32 v22, 0x400, v46
	v_cmp_gt_u32_e64 s[4:5], s49, v22
	s_and_saveexec_b64 s[6:7], s[4:5]
	s_cbranch_execz .LBB165_10
; %bb.9:
	v_mul_lo_u32 v8, v22, s50
	v_mov_b32_e32 v9, 0
	v_lshlrev_b64 v[8:9], 1, v[8:9]
	v_mov_b32_e32 v7, s48
	v_add_co_u32_e32 v8, vcc, s33, v8
	v_addc_co_u32_e32 v9, vcc, v7, v9, vcc
	global_load_ushort v7, v[8:9], off
	s_mov_b32 s8, 0xffff
	s_waitcnt vmcnt(0)
	v_bfi_b32 v3, s8, v7, v3
.LBB165_10:
	s_or_b64 exec, exec, s[6:7]
	v_add_u32_e32 v23, 0x600, v46
	v_cmp_gt_u32_e64 s[6:7], s49, v23
	s_and_saveexec_b64 s[8:9], s[6:7]
	s_cbranch_execz .LBB165_12
; %bb.11:
	v_mul_lo_u32 v8, v23, s50
	v_mov_b32_e32 v9, 0
	v_lshlrev_b64 v[8:9], 1, v[8:9]
	v_mov_b32_e32 v7, s48
	v_add_co_u32_e32 v8, vcc, s33, v8
	v_addc_co_u32_e32 v9, vcc, v7, v9, vcc
	global_load_ushort v7, v[8:9], off
	s_mov_b32 s10, 0x5040100
	s_waitcnt vmcnt(0)
	v_perm_b32 v3, v7, v3, s10
.LBB165_12:
	s_or_b64 exec, exec, s[8:9]
	v_or_b32_e32 v24, 0x800, v46
	v_cmp_gt_u32_e64 s[8:9], s49, v24
	s_and_saveexec_b64 s[10:11], s[8:9]
	s_cbranch_execz .LBB165_14
; %bb.13:
	v_mul_lo_u32 v8, v24, s50
	v_mov_b32_e32 v9, 0
	v_lshlrev_b64 v[8:9], 1, v[8:9]
	v_mov_b32_e32 v7, s48
	v_add_co_u32_e32 v8, vcc, s33, v8
	v_addc_co_u32_e32 v9, vcc, v7, v9, vcc
	global_load_ushort v7, v[8:9], off
	s_mov_b32 s12, 0xffff
	s_waitcnt vmcnt(0)
	v_bfi_b32 v4, s12, v7, v4
.LBB165_14:
	s_or_b64 exec, exec, s[10:11]
	v_add_u32_e32 v25, 0xa00, v46
	v_cmp_gt_u32_e64 s[10:11], s49, v25
	s_and_saveexec_b64 s[12:13], s[10:11]
	s_cbranch_execz .LBB165_16
; %bb.15:
	v_mul_lo_u32 v8, v25, s50
	v_mov_b32_e32 v9, 0
	v_lshlrev_b64 v[8:9], 1, v[8:9]
	v_mov_b32_e32 v7, s48
	v_add_co_u32_e32 v8, vcc, s33, v8
	v_addc_co_u32_e32 v9, vcc, v7, v9, vcc
	global_load_ushort v7, v[8:9], off
	s_mov_b32 s18, 0x5040100
	s_waitcnt vmcnt(0)
	v_perm_b32 v4, v7, v4, s18
.LBB165_16:
	s_or_b64 exec, exec, s[12:13]
	s_load_dwordx2 s[18:19], s[14:15], 0x0
	v_or_b32_e32 v26, 0xc00, v46
	v_cmp_gt_u32_e64 s[12:13], s49, v26
	s_and_saveexec_b64 s[20:21], s[12:13]
	s_cbranch_execz .LBB165_18
; %bb.17:
	v_mul_lo_u32 v8, v26, s50
	v_mov_b32_e32 v9, 0
	v_lshlrev_b64 v[8:9], 1, v[8:9]
	v_mov_b32_e32 v7, s48
	v_add_co_u32_e32 v8, vcc, s33, v8
	v_addc_co_u32_e32 v9, vcc, v7, v9, vcc
	global_load_ushort v7, v[8:9], off
	s_mov_b32 s22, 0xffff
	s_waitcnt vmcnt(0)
	v_bfi_b32 v5, s22, v7, v5
.LBB165_18:
	s_or_b64 exec, exec, s[20:21]
	s_load_dword s22, s[14:15], 0x6c
	v_add_u32_e32 v27, 0xe00, v46
	v_cmp_gt_u32_e64 s[14:15], s49, v27
	s_and_saveexec_b64 s[20:21], s[14:15]
	s_cbranch_execz .LBB165_20
; %bb.19:
	v_mul_lo_u32 v8, v27, s50
	v_mov_b32_e32 v9, 0
	v_lshlrev_b64 v[8:9], 1, v[8:9]
	v_mov_b32_e32 v7, s48
	v_add_co_u32_e32 v8, vcc, s33, v8
	v_addc_co_u32_e32 v9, vcc, v7, v9, vcc
	global_load_ushort v7, v[8:9], off
	s_mov_b32 s23, 0x5040100
	s_waitcnt vmcnt(0)
	v_perm_b32 v5, v7, v5, s23
.LBB165_20:
	s_or_b64 exec, exec, s[20:21]
	v_lshrrev_b32_e32 v36, 5, v46
	v_and_b32_e32 v7, 30, v36
	v_add_lshl_u32 v47, v7, v46, 1
	v_lshrrev_b32_e32 v35, 5, v1
	ds_write_b16 v47, v6
	v_and_b32_e32 v6, 62, v35
	v_add_lshl_u32 v43, v6, v46, 1
	v_lshrrev_b32_e32 v34, 5, v22
	ds_write_b16_d16_hi v43, v2 offset:1024
	v_and_b32_e32 v2, 62, v34
	v_lshrrev_b32_e32 v33, 5, v23
	v_add_lshl_u32 v48, v2, v46, 1
	v_and_b32_e32 v2, 0x7e, v33
	v_lshrrev_b32_e32 v32, 5, v24
	v_add_lshl_u32 v49, v2, v46, 1
	;; [unrolled: 3-line block ×6, first 2 shown]
	v_lshlrev_b32_e32 v62, 3, v46
	v_and_b32_e32 v2, 0xfe, v30
	s_waitcnt lgkmcnt(0)
	s_mul_i32 s16, s22, s16
	v_add_lshl_u32 v54, v2, v62, 1
	s_add_i32 s16, s16, s17
	s_mov_b32 s17, 0
	ds_write_b16 v48, v3 offset:2048
	ds_write_b16_d16_hi v49, v3 offset:3072
	ds_write_b16 v50, v4 offset:4096
	ds_write_b16_d16_hi v51, v4 offset:5120
	ds_write_b16 v52, v5 offset:6144
	ds_write_b16_d16_hi v53, v5 offset:7168
	s_waitcnt lgkmcnt(0)
	s_barrier
	ds_read_b128 v[18:21], v54
	s_lshl_b64 s[20:21], s[16:17], 3
	s_add_u32 s49, s18, s20
	s_mov_b32 s16, s17
	s_addc_u32 s51, s19, s21
	s_mov_b32 s18, s17
	s_mov_b32 s19, s17
	s_mov_b32 s20, s17
	s_mov_b32 s21, s17
	s_mov_b32 s22, s17
	s_mov_b32 s23, s17
	s_mov_b32 s24, s17
	s_mov_b32 s25, s17
	s_mov_b32 s26, s17
	s_mov_b32 s27, s17
	s_mov_b32 s28, s17
	s_mov_b32 s29, s17
	s_mov_b32 s30, s17
	s_mov_b32 s31, s17
	v_pk_mov_b32 v[2:3], s[16:17], s[16:17] op_sel:[0,1]
	v_pk_mov_b32 v[4:5], s[18:19], s[18:19] op_sel:[0,1]
	;; [unrolled: 1-line block ×8, first 2 shown]
	v_pk_mov_b32 v[2:3], 0, 0
	v_mul_lo_u32 v44, v46, s52
	s_waitcnt lgkmcnt(0)
	s_barrier
	s_and_saveexec_b64 s[16:17], s[0:1]
	s_cbranch_execnz .LBB165_75
; %bb.21:
	s_or_b64 exec, exec, s[16:17]
	s_and_saveexec_b64 s[16:17], s[2:3]
	s_cbranch_execnz .LBB165_76
.LBB165_22:
	s_or_b64 exec, exec, s[16:17]
	s_and_saveexec_b64 s[16:17], s[4:5]
	s_cbranch_execnz .LBB165_77
.LBB165_23:
	s_or_b64 exec, exec, s[16:17]
	s_and_saveexec_b64 s[16:17], s[6:7]
	s_cbranch_execnz .LBB165_78
.LBB165_24:
	s_or_b64 exec, exec, s[16:17]
	s_and_saveexec_b64 s[16:17], s[8:9]
	s_cbranch_execnz .LBB165_79
.LBB165_25:
	s_or_b64 exec, exec, s[16:17]
	s_and_saveexec_b64 s[16:17], s[10:11]
	s_cbranch_execnz .LBB165_80
.LBB165_26:
	s_or_b64 exec, exec, s[16:17]
	s_and_saveexec_b64 s[16:17], s[12:13]
	s_cbranch_execnz .LBB165_81
.LBB165_27:
	s_or_b64 exec, exec, s[16:17]
	s_xor_b64 s[16:17], s[34:35], -1
	s_and_saveexec_b64 s[18:19], s[14:15]
	s_cbranch_execz .LBB165_29
.LBB165_28:
	v_mul_lo_u32 v16, v27, s52
	v_mov_b32_e32 v17, 0
	v_lshlrev_b64 v[16:17], 3, v[16:17]
	v_mov_b32_e32 v1, s51
	v_add_co_u32_e32 v16, vcc, s49, v16
	v_addc_co_u32_e32 v17, vcc, v1, v17, vcc
	global_load_dwordx2 v[16:17], v[16:17], off
.LBB165_29:
	s_or_b64 exec, exec, s[18:19]
	v_add_lshl_u32 v55, v36, v46, 3
	v_add_lshl_u32 v45, v35, v46, 3
	;; [unrolled: 1-line block ×9, first 2 shown]
	s_waitcnt vmcnt(0)
	ds_write_b64 v55, v[2:3]
	ds_write_b64 v45, v[4:5] offset:4096
	ds_write_b64 v56, v[6:7] offset:8192
	;; [unrolled: 1-line block ×7, first 2 shown]
	s_waitcnt lgkmcnt(0)
	s_barrier
	ds_read2_b64 v[14:17], v63 offset1:1
	ds_read2_b64 v[10:13], v63 offset0:2 offset1:3
	ds_read2_b64 v[6:9], v63 offset0:4 offset1:5
	;; [unrolled: 1-line block ×3, first 2 shown]
	v_mbcnt_lo_u32_b32 v1, -1, 0
	v_mbcnt_hi_u32_b32 v65, -1, v1
	v_and_b32_e32 v67, 0x3c0, v46
	v_add_u32_e32 v1, v65, v67
	v_and_b32_e32 v66, 0x1e00, v62
	v_lshlrev_b32_e32 v22, 3, v1
	v_lshlrev_b32_e32 v73, 4, v1
	v_or_b32_e32 v1, v65, v66
	v_lshlrev_b32_e32 v72, 1, v1
	s_and_b64 vcc, exec, s[16:17]
	v_bfe_u32 v68, v0, 10, 10
	v_bfe_u32 v69, v0, 20, 10
	v_lshlrev_b32_e32 v71, 3, v22
	v_lshlrev_b32_e32 v70, 3, v1
	;; [unrolled: 1-line block ×3, first 2 shown]
	s_waitcnt lgkmcnt(0)
	s_barrier
	s_cbranch_vccz .LBB165_82
; %bb.30:
	s_movk_i32 s16, 0x8000
	v_xor_b32_e32 v0, 0xffff8000, v18
	v_xor_b32_sdwa v1, v18, s16 dst_sel:DWORD dst_unused:UNUSED_PAD src0_sel:WORD_1 src1_sel:DWORD
	v_xor_b32_e32 v22, 0xffff8000, v19
	v_xor_b32_sdwa v23, v19, s16 dst_sel:DWORD dst_unused:UNUSED_PAD src0_sel:WORD_1 src1_sel:DWORD
	;; [unrolled: 2-line block ×4, first 2 shown]
	s_mov_b32 s16, 0x5040100
	v_perm_b32 v25, v27, v25, s16
	v_perm_b32 v24, v26, v24, s16
	;; [unrolled: 1-line block ×4, first 2 shown]
	ds_write_b128 v73, v[22:25]
	; wave barrier
	ds_read_u16 v84, v72
	ds_read_u16 v83, v72 offset:128
	ds_read_u16 v82, v72 offset:256
	;; [unrolled: 1-line block ×7, first 2 shown]
	s_waitcnt lgkmcnt(0)
	s_barrier
	ds_write2_b64 v71, v[14:15], v[16:17] offset1:1
	ds_write2_b64 v71, v[10:11], v[12:13] offset0:2 offset1:3
	ds_write2_b64 v71, v[6:7], v[8:9] offset0:4 offset1:5
	;; [unrolled: 1-line block ×3, first 2 shown]
	; wave barrier
	ds_read2st64_b64 v[34:37], v70 offset1:1
	ds_read2st64_b64 v[30:33], v70 offset0:2 offset1:3
	ds_read2st64_b64 v[26:29], v70 offset0:4 offset1:5
	;; [unrolled: 1-line block ×3, first 2 shown]
	s_waitcnt lgkmcnt(0)
	s_barrier
	s_load_dword s18, s[54:55], 0xc
	s_getpc_b64 s[16:17]
	s_add_u32 s16, s16, _ZN7rocprim17ROCPRIM_400000_NS16block_radix_sortIsLj512ELj8ElLj1ELj1ELj0ELNS0_26block_radix_rank_algorithmE1ELNS0_18block_padding_hintE2ELNS0_4arch9wavefront6targetE1EE19radix_bits_per_passE@rel32@lo+4
	s_addc_u32 s17, s17, _ZN7rocprim17ROCPRIM_400000_NS16block_radix_sortIsLj512ELj8ElLj1ELj1ELj0ELNS0_26block_radix_rank_algorithmE1ELNS0_18block_padding_hintE2ELNS0_4arch9wavefront6targetE1EE19radix_bits_per_passE@rel32@hi+12
	s_load_dword s44, s[16:17], 0x0
	s_waitcnt lgkmcnt(0)
	s_lshr_b32 s16, s18, 16
	s_and_b32 s17, s18, 0xffff
	v_mad_u32_u24 v0, v69, s16, v68
	v_mad_u64_u32 v[0:1], s[16:17], v0, s17, v[46:47]
	s_min_u32 s16, s44, 16
	s_lshl_b32 s16, -1, s16
	s_not_b32 s18, s16
	v_and_b32_sdwa v38, s18, v84 dst_sel:DWORD dst_unused:UNUSED_PAD src0_sel:DWORD src1_sel:WORD_0
	v_lshrrev_b32_e32 v74, 6, v0
	v_lshlrev_b32_e32 v1, 3, v38
	v_add_lshl_u32 v87, v74, v1, 2
	v_and_b32_e32 v1, 1, v38
	v_add_co_u32_e32 v39, vcc, -1, v1
	v_addc_co_u32_e64 v40, s[16:17], 0, -1, vcc
	v_cmp_ne_u32_e32 vcc, 0, v1
	v_xor_b32_e32 v1, vcc_hi, v40
	v_mov_b32_e32 v0, 0
	v_and_b32_e32 v40, exec_hi, v1
	v_lshlrev_b32_e32 v1, 30, v38
	v_xor_b32_e32 v39, vcc_lo, v39
	v_cmp_gt_i64_e32 vcc, 0, v[0:1]
	v_not_b32_e32 v1, v1
	v_ashrrev_i32_e32 v1, 31, v1
	v_and_b32_e32 v39, exec_lo, v39
	v_xor_b32_e32 v41, vcc_hi, v1
	v_xor_b32_e32 v1, vcc_lo, v1
	v_and_b32_e32 v39, v39, v1
	v_lshlrev_b32_e32 v1, 29, v38
	v_cmp_gt_i64_e32 vcc, 0, v[0:1]
	v_not_b32_e32 v1, v1
	v_ashrrev_i32_e32 v1, 31, v1
	v_and_b32_e32 v40, v40, v41
	v_xor_b32_e32 v41, vcc_hi, v1
	v_xor_b32_e32 v1, vcc_lo, v1
	v_and_b32_e32 v39, v39, v1
	v_lshlrev_b32_e32 v1, 28, v38
	v_cmp_gt_i64_e32 vcc, 0, v[0:1]
	v_not_b32_e32 v1, v1
	v_ashrrev_i32_e32 v1, 31, v1
	v_and_b32_e32 v40, v40, v41
	;; [unrolled: 8-line block ×5, first 2 shown]
	v_xor_b32_e32 v41, vcc_hi, v1
	v_xor_b32_e32 v1, vcc_lo, v1
	v_and_b32_e32 v40, v40, v41
	v_and_b32_e32 v41, v39, v1
	v_lshlrev_b32_e32 v1, 24, v38
	v_cmp_gt_i64_e32 vcc, 0, v[0:1]
	v_not_b32_e32 v1, v1
	v_ashrrev_i32_e32 v1, 31, v1
	v_xor_b32_e32 v38, vcc_hi, v1
	v_xor_b32_e32 v1, vcc_lo, v1
	v_and_b32_e32 v39, v40, v38
	v_and_b32_e32 v38, v41, v1
	v_mbcnt_lo_u32_b32 v1, v38, 0
	v_mbcnt_hi_u32_b32 v88, v39, v1
	v_cmp_eq_u32_e32 vcc, 0, v88
	v_cmp_ne_u64_e64 s[16:17], 0, v[38:39]
	s_and_b64 s[20:21], s[16:17], vcc
	ds_write2_b32 v64, v0, v0 offset0:8 offset1:9
	ds_write2_b32 v64, v0, v0 offset0:10 offset1:11
	s_waitcnt lgkmcnt(0)
	s_barrier
	s_waitcnt lgkmcnt(0)
	; wave barrier
	s_and_saveexec_b64 s[16:17], s[20:21]
	s_cbranch_execz .LBB165_32
; %bb.31:
	v_bcnt_u32_b32 v1, v38, 0
	v_bcnt_u32_b32 v1, v39, v1
	ds_write_b32 v87, v1 offset:32
.LBB165_32:
	s_or_b64 exec, exec, s[16:17]
	v_and_b32_sdwa v38, s18, v83 dst_sel:DWORD dst_unused:UNUSED_PAD src0_sel:DWORD src1_sel:WORD_0
	v_lshlrev_b32_e32 v1, 3, v38
	v_add_lshl_u32 v90, v74, v1, 2
	v_and_b32_e32 v1, 1, v38
	v_add_co_u32_e32 v39, vcc, -1, v1
	v_addc_co_u32_e64 v40, s[16:17], 0, -1, vcc
	v_cmp_ne_u32_e32 vcc, 0, v1
	v_xor_b32_e32 v1, vcc_hi, v40
	v_and_b32_e32 v40, exec_hi, v1
	v_lshlrev_b32_e32 v1, 30, v38
	v_xor_b32_e32 v39, vcc_lo, v39
	v_cmp_gt_i64_e32 vcc, 0, v[0:1]
	v_not_b32_e32 v1, v1
	v_ashrrev_i32_e32 v1, 31, v1
	v_and_b32_e32 v39, exec_lo, v39
	v_xor_b32_e32 v41, vcc_hi, v1
	v_xor_b32_e32 v1, vcc_lo, v1
	v_and_b32_e32 v39, v39, v1
	v_lshlrev_b32_e32 v1, 29, v38
	v_cmp_gt_i64_e32 vcc, 0, v[0:1]
	v_not_b32_e32 v1, v1
	v_ashrrev_i32_e32 v1, 31, v1
	v_and_b32_e32 v40, v40, v41
	v_xor_b32_e32 v41, vcc_hi, v1
	v_xor_b32_e32 v1, vcc_lo, v1
	v_and_b32_e32 v39, v39, v1
	v_lshlrev_b32_e32 v1, 28, v38
	v_cmp_gt_i64_e32 vcc, 0, v[0:1]
	v_not_b32_e32 v1, v1
	v_ashrrev_i32_e32 v1, 31, v1
	v_and_b32_e32 v40, v40, v41
	;; [unrolled: 8-line block ×5, first 2 shown]
	v_xor_b32_e32 v41, vcc_hi, v1
	v_xor_b32_e32 v1, vcc_lo, v1
	v_and_b32_e32 v39, v39, v1
	v_lshlrev_b32_e32 v1, 24, v38
	v_cmp_gt_i64_e32 vcc, 0, v[0:1]
	v_not_b32_e32 v0, v1
	v_ashrrev_i32_e32 v0, 31, v0
	v_xor_b32_e32 v1, vcc_hi, v0
	v_xor_b32_e32 v0, vcc_lo, v0
	; wave barrier
	ds_read_b32 v89, v90 offset:32
	v_and_b32_e32 v40, v40, v41
	v_and_b32_e32 v0, v39, v0
	;; [unrolled: 1-line block ×3, first 2 shown]
	v_mbcnt_lo_u32_b32 v38, v0, 0
	v_mbcnt_hi_u32_b32 v91, v1, v38
	v_cmp_eq_u32_e32 vcc, 0, v91
	v_cmp_ne_u64_e64 s[16:17], 0, v[0:1]
	s_and_b64 s[20:21], s[16:17], vcc
	; wave barrier
	s_and_saveexec_b64 s[16:17], s[20:21]
	s_cbranch_execz .LBB165_34
; %bb.33:
	v_bcnt_u32_b32 v0, v0, 0
	v_bcnt_u32_b32 v0, v1, v0
	s_waitcnt lgkmcnt(0)
	v_add_u32_e32 v0, v89, v0
	ds_write_b32 v90, v0 offset:32
.LBB165_34:
	s_or_b64 exec, exec, s[16:17]
	v_and_b32_sdwa v38, s18, v82 dst_sel:DWORD dst_unused:UNUSED_PAD src0_sel:DWORD src1_sel:WORD_0
	v_and_b32_e32 v1, 1, v38
	v_add_co_u32_e32 v39, vcc, -1, v1
	v_addc_co_u32_e64 v40, s[16:17], 0, -1, vcc
	v_cmp_ne_u32_e32 vcc, 0, v1
	v_lshlrev_b32_e32 v0, 3, v38
	v_xor_b32_e32 v1, vcc_hi, v40
	v_add_lshl_u32 v93, v74, v0, 2
	v_mov_b32_e32 v0, 0
	v_and_b32_e32 v40, exec_hi, v1
	v_lshlrev_b32_e32 v1, 30, v38
	v_xor_b32_e32 v39, vcc_lo, v39
	v_cmp_gt_i64_e32 vcc, 0, v[0:1]
	v_not_b32_e32 v1, v1
	v_ashrrev_i32_e32 v1, 31, v1
	v_and_b32_e32 v39, exec_lo, v39
	v_xor_b32_e32 v41, vcc_hi, v1
	v_xor_b32_e32 v1, vcc_lo, v1
	v_and_b32_e32 v39, v39, v1
	v_lshlrev_b32_e32 v1, 29, v38
	v_cmp_gt_i64_e32 vcc, 0, v[0:1]
	v_not_b32_e32 v1, v1
	v_ashrrev_i32_e32 v1, 31, v1
	v_and_b32_e32 v40, v40, v41
	v_xor_b32_e32 v41, vcc_hi, v1
	v_xor_b32_e32 v1, vcc_lo, v1
	v_and_b32_e32 v39, v39, v1
	v_lshlrev_b32_e32 v1, 28, v38
	v_cmp_gt_i64_e32 vcc, 0, v[0:1]
	v_not_b32_e32 v1, v1
	v_ashrrev_i32_e32 v1, 31, v1
	v_and_b32_e32 v40, v40, v41
	;; [unrolled: 8-line block ×5, first 2 shown]
	v_xor_b32_e32 v41, vcc_hi, v1
	v_xor_b32_e32 v1, vcc_lo, v1
	v_and_b32_e32 v40, v40, v41
	v_and_b32_e32 v41, v39, v1
	v_lshlrev_b32_e32 v1, 24, v38
	v_cmp_gt_i64_e32 vcc, 0, v[0:1]
	v_not_b32_e32 v1, v1
	v_ashrrev_i32_e32 v1, 31, v1
	v_xor_b32_e32 v38, vcc_hi, v1
	v_xor_b32_e32 v1, vcc_lo, v1
	; wave barrier
	ds_read_b32 v92, v93 offset:32
	v_and_b32_e32 v39, v40, v38
	v_and_b32_e32 v38, v41, v1
	v_mbcnt_lo_u32_b32 v1, v38, 0
	v_mbcnt_hi_u32_b32 v94, v39, v1
	v_cmp_eq_u32_e32 vcc, 0, v94
	v_cmp_ne_u64_e64 s[16:17], 0, v[38:39]
	s_and_b64 s[20:21], s[16:17], vcc
	; wave barrier
	s_and_saveexec_b64 s[16:17], s[20:21]
	s_cbranch_execz .LBB165_36
; %bb.35:
	v_bcnt_u32_b32 v1, v38, 0
	v_bcnt_u32_b32 v1, v39, v1
	s_waitcnt lgkmcnt(0)
	v_add_u32_e32 v1, v92, v1
	ds_write_b32 v93, v1 offset:32
.LBB165_36:
	s_or_b64 exec, exec, s[16:17]
	v_and_b32_sdwa v38, s18, v81 dst_sel:DWORD dst_unused:UNUSED_PAD src0_sel:DWORD src1_sel:WORD_0
	v_lshlrev_b32_e32 v1, 3, v38
	v_add_lshl_u32 v96, v74, v1, 2
	v_and_b32_e32 v1, 1, v38
	v_add_co_u32_e32 v39, vcc, -1, v1
	v_addc_co_u32_e64 v40, s[16:17], 0, -1, vcc
	v_cmp_ne_u32_e32 vcc, 0, v1
	v_xor_b32_e32 v1, vcc_hi, v40
	v_and_b32_e32 v40, exec_hi, v1
	v_lshlrev_b32_e32 v1, 30, v38
	v_xor_b32_e32 v39, vcc_lo, v39
	v_cmp_gt_i64_e32 vcc, 0, v[0:1]
	v_not_b32_e32 v1, v1
	v_ashrrev_i32_e32 v1, 31, v1
	v_and_b32_e32 v39, exec_lo, v39
	v_xor_b32_e32 v41, vcc_hi, v1
	v_xor_b32_e32 v1, vcc_lo, v1
	v_and_b32_e32 v39, v39, v1
	v_lshlrev_b32_e32 v1, 29, v38
	v_cmp_gt_i64_e32 vcc, 0, v[0:1]
	v_not_b32_e32 v1, v1
	v_ashrrev_i32_e32 v1, 31, v1
	v_and_b32_e32 v40, v40, v41
	v_xor_b32_e32 v41, vcc_hi, v1
	v_xor_b32_e32 v1, vcc_lo, v1
	v_and_b32_e32 v39, v39, v1
	v_lshlrev_b32_e32 v1, 28, v38
	v_cmp_gt_i64_e32 vcc, 0, v[0:1]
	v_not_b32_e32 v1, v1
	v_ashrrev_i32_e32 v1, 31, v1
	v_and_b32_e32 v40, v40, v41
	;; [unrolled: 8-line block ×5, first 2 shown]
	v_xor_b32_e32 v41, vcc_hi, v1
	v_xor_b32_e32 v1, vcc_lo, v1
	v_and_b32_e32 v39, v39, v1
	v_lshlrev_b32_e32 v1, 24, v38
	v_cmp_gt_i64_e32 vcc, 0, v[0:1]
	v_not_b32_e32 v0, v1
	v_ashrrev_i32_e32 v0, 31, v0
	v_xor_b32_e32 v1, vcc_hi, v0
	v_xor_b32_e32 v0, vcc_lo, v0
	; wave barrier
	ds_read_b32 v95, v96 offset:32
	v_and_b32_e32 v40, v40, v41
	v_and_b32_e32 v0, v39, v0
	;; [unrolled: 1-line block ×3, first 2 shown]
	v_mbcnt_lo_u32_b32 v38, v0, 0
	v_mbcnt_hi_u32_b32 v97, v1, v38
	v_cmp_eq_u32_e32 vcc, 0, v97
	v_cmp_ne_u64_e64 s[16:17], 0, v[0:1]
	s_and_b64 s[20:21], s[16:17], vcc
	; wave barrier
	s_and_saveexec_b64 s[16:17], s[20:21]
	s_cbranch_execz .LBB165_38
; %bb.37:
	v_bcnt_u32_b32 v0, v0, 0
	v_bcnt_u32_b32 v0, v1, v0
	s_waitcnt lgkmcnt(0)
	v_add_u32_e32 v0, v95, v0
	ds_write_b32 v96, v0 offset:32
.LBB165_38:
	s_or_b64 exec, exec, s[16:17]
	v_and_b32_sdwa v38, s18, v80 dst_sel:DWORD dst_unused:UNUSED_PAD src0_sel:DWORD src1_sel:WORD_0
	v_and_b32_e32 v1, 1, v38
	v_add_co_u32_e32 v39, vcc, -1, v1
	v_addc_co_u32_e64 v40, s[16:17], 0, -1, vcc
	v_cmp_ne_u32_e32 vcc, 0, v1
	v_lshlrev_b32_e32 v0, 3, v38
	v_xor_b32_e32 v1, vcc_hi, v40
	v_add_lshl_u32 v99, v74, v0, 2
	v_mov_b32_e32 v0, 0
	v_and_b32_e32 v40, exec_hi, v1
	v_lshlrev_b32_e32 v1, 30, v38
	v_xor_b32_e32 v39, vcc_lo, v39
	v_cmp_gt_i64_e32 vcc, 0, v[0:1]
	v_not_b32_e32 v1, v1
	v_ashrrev_i32_e32 v1, 31, v1
	v_and_b32_e32 v39, exec_lo, v39
	v_xor_b32_e32 v41, vcc_hi, v1
	v_xor_b32_e32 v1, vcc_lo, v1
	v_and_b32_e32 v39, v39, v1
	v_lshlrev_b32_e32 v1, 29, v38
	v_cmp_gt_i64_e32 vcc, 0, v[0:1]
	v_not_b32_e32 v1, v1
	v_ashrrev_i32_e32 v1, 31, v1
	v_and_b32_e32 v40, v40, v41
	v_xor_b32_e32 v41, vcc_hi, v1
	v_xor_b32_e32 v1, vcc_lo, v1
	v_and_b32_e32 v39, v39, v1
	v_lshlrev_b32_e32 v1, 28, v38
	v_cmp_gt_i64_e32 vcc, 0, v[0:1]
	v_not_b32_e32 v1, v1
	v_ashrrev_i32_e32 v1, 31, v1
	v_and_b32_e32 v40, v40, v41
	;; [unrolled: 8-line block ×5, first 2 shown]
	v_xor_b32_e32 v41, vcc_hi, v1
	v_xor_b32_e32 v1, vcc_lo, v1
	v_and_b32_e32 v40, v40, v41
	v_and_b32_e32 v41, v39, v1
	v_lshlrev_b32_e32 v1, 24, v38
	v_cmp_gt_i64_e32 vcc, 0, v[0:1]
	v_not_b32_e32 v1, v1
	v_ashrrev_i32_e32 v1, 31, v1
	v_xor_b32_e32 v38, vcc_hi, v1
	v_xor_b32_e32 v1, vcc_lo, v1
	; wave barrier
	ds_read_b32 v98, v99 offset:32
	v_and_b32_e32 v39, v40, v38
	v_and_b32_e32 v38, v41, v1
	v_mbcnt_lo_u32_b32 v1, v38, 0
	v_mbcnt_hi_u32_b32 v100, v39, v1
	v_cmp_eq_u32_e32 vcc, 0, v100
	v_cmp_ne_u64_e64 s[16:17], 0, v[38:39]
	s_and_b64 s[20:21], s[16:17], vcc
	; wave barrier
	s_and_saveexec_b64 s[16:17], s[20:21]
	s_cbranch_execz .LBB165_40
; %bb.39:
	v_bcnt_u32_b32 v1, v38, 0
	v_bcnt_u32_b32 v1, v39, v1
	s_waitcnt lgkmcnt(0)
	v_add_u32_e32 v1, v98, v1
	ds_write_b32 v99, v1 offset:32
.LBB165_40:
	s_or_b64 exec, exec, s[16:17]
	v_and_b32_sdwa v38, s18, v79 dst_sel:DWORD dst_unused:UNUSED_PAD src0_sel:DWORD src1_sel:WORD_0
	v_lshlrev_b32_e32 v1, 3, v38
	v_add_lshl_u32 v102, v74, v1, 2
	v_and_b32_e32 v1, 1, v38
	v_add_co_u32_e32 v39, vcc, -1, v1
	v_addc_co_u32_e64 v40, s[16:17], 0, -1, vcc
	v_cmp_ne_u32_e32 vcc, 0, v1
	v_xor_b32_e32 v1, vcc_hi, v40
	v_and_b32_e32 v40, exec_hi, v1
	v_lshlrev_b32_e32 v1, 30, v38
	v_xor_b32_e32 v39, vcc_lo, v39
	v_cmp_gt_i64_e32 vcc, 0, v[0:1]
	v_not_b32_e32 v1, v1
	v_ashrrev_i32_e32 v1, 31, v1
	v_and_b32_e32 v39, exec_lo, v39
	v_xor_b32_e32 v41, vcc_hi, v1
	v_xor_b32_e32 v1, vcc_lo, v1
	v_and_b32_e32 v39, v39, v1
	v_lshlrev_b32_e32 v1, 29, v38
	v_cmp_gt_i64_e32 vcc, 0, v[0:1]
	v_not_b32_e32 v1, v1
	v_ashrrev_i32_e32 v1, 31, v1
	v_and_b32_e32 v40, v40, v41
	v_xor_b32_e32 v41, vcc_hi, v1
	v_xor_b32_e32 v1, vcc_lo, v1
	v_and_b32_e32 v39, v39, v1
	v_lshlrev_b32_e32 v1, 28, v38
	v_cmp_gt_i64_e32 vcc, 0, v[0:1]
	v_not_b32_e32 v1, v1
	v_ashrrev_i32_e32 v1, 31, v1
	v_and_b32_e32 v40, v40, v41
	;; [unrolled: 8-line block ×5, first 2 shown]
	v_xor_b32_e32 v41, vcc_hi, v1
	v_xor_b32_e32 v1, vcc_lo, v1
	v_and_b32_e32 v39, v39, v1
	v_lshlrev_b32_e32 v1, 24, v38
	v_cmp_gt_i64_e32 vcc, 0, v[0:1]
	v_not_b32_e32 v0, v1
	v_ashrrev_i32_e32 v0, 31, v0
	v_xor_b32_e32 v1, vcc_hi, v0
	v_xor_b32_e32 v0, vcc_lo, v0
	; wave barrier
	ds_read_b32 v101, v102 offset:32
	v_and_b32_e32 v40, v40, v41
	v_and_b32_e32 v0, v39, v0
	;; [unrolled: 1-line block ×3, first 2 shown]
	v_mbcnt_lo_u32_b32 v38, v0, 0
	v_mbcnt_hi_u32_b32 v103, v1, v38
	v_cmp_eq_u32_e32 vcc, 0, v103
	v_cmp_ne_u64_e64 s[16:17], 0, v[0:1]
	s_and_b64 s[20:21], s[16:17], vcc
	; wave barrier
	s_and_saveexec_b64 s[16:17], s[20:21]
	s_cbranch_execz .LBB165_42
; %bb.41:
	v_bcnt_u32_b32 v0, v0, 0
	v_bcnt_u32_b32 v0, v1, v0
	s_waitcnt lgkmcnt(0)
	v_add_u32_e32 v0, v101, v0
	ds_write_b32 v102, v0 offset:32
.LBB165_42:
	s_or_b64 exec, exec, s[16:17]
	v_and_b32_sdwa v38, s18, v78 dst_sel:DWORD dst_unused:UNUSED_PAD src0_sel:DWORD src1_sel:WORD_0
	v_and_b32_e32 v1, 1, v38
	v_add_co_u32_e32 v39, vcc, -1, v1
	v_addc_co_u32_e64 v40, s[16:17], 0, -1, vcc
	v_cmp_ne_u32_e32 vcc, 0, v1
	v_lshlrev_b32_e32 v0, 3, v38
	v_xor_b32_e32 v1, vcc_hi, v40
	v_add_lshl_u32 v105, v74, v0, 2
	v_mov_b32_e32 v0, 0
	v_and_b32_e32 v40, exec_hi, v1
	v_lshlrev_b32_e32 v1, 30, v38
	v_xor_b32_e32 v39, vcc_lo, v39
	v_cmp_gt_i64_e32 vcc, 0, v[0:1]
	v_not_b32_e32 v1, v1
	v_ashrrev_i32_e32 v1, 31, v1
	v_and_b32_e32 v39, exec_lo, v39
	v_xor_b32_e32 v41, vcc_hi, v1
	v_xor_b32_e32 v1, vcc_lo, v1
	v_and_b32_e32 v39, v39, v1
	v_lshlrev_b32_e32 v1, 29, v38
	v_cmp_gt_i64_e32 vcc, 0, v[0:1]
	v_not_b32_e32 v1, v1
	v_ashrrev_i32_e32 v1, 31, v1
	v_and_b32_e32 v40, v40, v41
	v_xor_b32_e32 v41, vcc_hi, v1
	v_xor_b32_e32 v1, vcc_lo, v1
	v_and_b32_e32 v39, v39, v1
	v_lshlrev_b32_e32 v1, 28, v38
	v_cmp_gt_i64_e32 vcc, 0, v[0:1]
	v_not_b32_e32 v1, v1
	v_ashrrev_i32_e32 v1, 31, v1
	v_and_b32_e32 v40, v40, v41
	;; [unrolled: 8-line block ×5, first 2 shown]
	v_xor_b32_e32 v41, vcc_hi, v1
	v_xor_b32_e32 v1, vcc_lo, v1
	v_and_b32_e32 v40, v40, v41
	v_and_b32_e32 v41, v39, v1
	v_lshlrev_b32_e32 v1, 24, v38
	v_cmp_gt_i64_e32 vcc, 0, v[0:1]
	v_not_b32_e32 v1, v1
	v_ashrrev_i32_e32 v1, 31, v1
	v_xor_b32_e32 v38, vcc_hi, v1
	v_xor_b32_e32 v1, vcc_lo, v1
	; wave barrier
	ds_read_b32 v104, v105 offset:32
	v_and_b32_e32 v39, v40, v38
	v_and_b32_e32 v38, v41, v1
	v_mbcnt_lo_u32_b32 v1, v38, 0
	v_mbcnt_hi_u32_b32 v106, v39, v1
	v_cmp_eq_u32_e32 vcc, 0, v106
	v_cmp_ne_u64_e64 s[16:17], 0, v[38:39]
	s_and_b64 s[20:21], s[16:17], vcc
	; wave barrier
	s_and_saveexec_b64 s[16:17], s[20:21]
	s_cbranch_execz .LBB165_44
; %bb.43:
	v_bcnt_u32_b32 v1, v38, 0
	v_bcnt_u32_b32 v1, v39, v1
	s_waitcnt lgkmcnt(0)
	v_add_u32_e32 v1, v104, v1
	ds_write_b32 v105, v1 offset:32
.LBB165_44:
	s_or_b64 exec, exec, s[16:17]
	v_and_b32_sdwa v38, s18, v77 dst_sel:DWORD dst_unused:UNUSED_PAD src0_sel:DWORD src1_sel:WORD_0
	v_lshlrev_b32_e32 v1, 3, v38
	v_add_lshl_u32 v108, v74, v1, 2
	v_and_b32_e32 v1, 1, v38
	v_add_co_u32_e32 v39, vcc, -1, v1
	v_addc_co_u32_e64 v40, s[16:17], 0, -1, vcc
	v_cmp_ne_u32_e32 vcc, 0, v1
	v_xor_b32_e32 v1, vcc_hi, v40
	v_and_b32_e32 v40, exec_hi, v1
	v_lshlrev_b32_e32 v1, 30, v38
	v_xor_b32_e32 v39, vcc_lo, v39
	v_cmp_gt_i64_e32 vcc, 0, v[0:1]
	v_not_b32_e32 v1, v1
	v_ashrrev_i32_e32 v1, 31, v1
	v_and_b32_e32 v39, exec_lo, v39
	v_xor_b32_e32 v41, vcc_hi, v1
	v_xor_b32_e32 v1, vcc_lo, v1
	v_and_b32_e32 v39, v39, v1
	v_lshlrev_b32_e32 v1, 29, v38
	v_cmp_gt_i64_e32 vcc, 0, v[0:1]
	v_not_b32_e32 v1, v1
	v_ashrrev_i32_e32 v1, 31, v1
	v_and_b32_e32 v40, v40, v41
	v_xor_b32_e32 v41, vcc_hi, v1
	v_xor_b32_e32 v1, vcc_lo, v1
	v_and_b32_e32 v39, v39, v1
	v_lshlrev_b32_e32 v1, 28, v38
	v_cmp_gt_i64_e32 vcc, 0, v[0:1]
	v_not_b32_e32 v1, v1
	v_ashrrev_i32_e32 v1, 31, v1
	v_and_b32_e32 v40, v40, v41
	;; [unrolled: 8-line block ×5, first 2 shown]
	v_xor_b32_e32 v41, vcc_hi, v1
	v_xor_b32_e32 v1, vcc_lo, v1
	v_and_b32_e32 v39, v39, v1
	v_lshlrev_b32_e32 v1, 24, v38
	v_cmp_gt_i64_e32 vcc, 0, v[0:1]
	v_not_b32_e32 v0, v1
	v_ashrrev_i32_e32 v0, 31, v0
	v_xor_b32_e32 v1, vcc_hi, v0
	v_xor_b32_e32 v0, vcc_lo, v0
	; wave barrier
	ds_read_b32 v107, v108 offset:32
	v_and_b32_e32 v40, v40, v41
	v_and_b32_e32 v0, v39, v0
	v_and_b32_e32 v1, v40, v1
	v_mbcnt_lo_u32_b32 v38, v0, 0
	v_mbcnt_hi_u32_b32 v109, v1, v38
	v_cmp_eq_u32_e32 vcc, 0, v109
	v_cmp_ne_u64_e64 s[16:17], 0, v[0:1]
	v_add_u32_e32 v75, 32, v64
	v_lshrrev_b32_e32 v76, 6, v46
	v_min_u32_e32 v85, 0x1c0, v67
	s_and_b64 s[18:19], s[16:17], vcc
	; wave barrier
	s_and_saveexec_b64 s[16:17], s[18:19]
	s_cbranch_execz .LBB165_46
; %bb.45:
	v_bcnt_u32_b32 v0, v0, 0
	v_bcnt_u32_b32 v0, v1, v0
	s_waitcnt lgkmcnt(0)
	v_add_u32_e32 v0, v107, v0
	ds_write_b32 v108, v0 offset:32
.LBB165_46:
	s_or_b64 exec, exec, s[16:17]
	; wave barrier
	s_waitcnt lgkmcnt(0)
	s_barrier
	ds_read2_b32 v[38:39], v64 offset0:8 offset1:9
	ds_read2_b32 v[40:41], v75 offset0:2 offset1:3
	v_and_b32_e32 v1, 16, v65
	v_cmp_eq_u32_e32 vcc, 0, v1
	v_or_b32_e32 v1, 63, v85
	v_cmp_eq_u32_e64 s[16:17], v1, v46
	s_waitcnt lgkmcnt(1)
	v_add_u32_e32 v1, v39, v38
	v_and_b32_e32 v0, 15, v65
	s_waitcnt lgkmcnt(0)
	v_add3_u32 v1, v1, v40, v41
	v_cmp_eq_u32_e64 s[24:25], 0, v0
	v_cmp_lt_u32_e64 s[26:27], 1, v0
	v_mov_b32_dpp v41, v1 row_shr:1 row_mask:0xf bank_mask:0xf
	v_cndmask_b32_e64 v41, v41, 0, s[24:25]
	v_add_u32_e32 v1, v41, v1
	v_cmp_lt_u32_e64 s[30:31], 3, v0
	v_cmp_lt_u32_e64 s[34:35], 7, v0
	v_mov_b32_dpp v41, v1 row_shr:2 row_mask:0xf bank_mask:0xf
	v_cndmask_b32_e64 v41, 0, v41, s[26:27]
	v_add_u32_e32 v1, v1, v41
	v_bfe_i32 v86, v65, 4, 1
	v_cmp_lt_u32_e64 s[36:37], 31, v65
	v_mov_b32_dpp v41, v1 row_shr:4 row_mask:0xf bank_mask:0xf
	v_cndmask_b32_e64 v41, 0, v41, s[30:31]
	v_add_u32_e32 v1, v1, v41
	v_lshlrev_b32_e32 v76, 2, v76
	s_nop 0
	v_mov_b32_dpp v41, v1 row_shr:8 row_mask:0xf bank_mask:0xf
	v_cndmask_b32_e64 v0, 0, v41, s[34:35]
	v_add_u32_e32 v0, v1, v0
	s_nop 1
	v_mov_b32_dpp v1, v0 row_bcast:15 row_mask:0xf bank_mask:0xf
	v_and_b32_e32 v1, v86, v1
	v_add_u32_e32 v0, v0, v1
	s_nop 1
	v_mov_b32_dpp v1, v0 row_bcast:31 row_mask:0xf bank_mask:0xf
	v_cndmask_b32_e64 v1, 0, v1, s[36:37]
	v_add_u32_e32 v1, v0, v1
	s_and_saveexec_b64 s[18:19], s[16:17]
	s_cbranch_execz .LBB165_48
; %bb.47:
	ds_write_b32 v76, v1
.LBB165_48:
	s_or_b64 exec, exec, s[18:19]
	v_and_b32_e32 v0, 7, v65
	v_cmp_gt_u32_e64 s[28:29], 8, v46
	v_lshlrev_b32_e32 v41, 2, v46
	v_cmp_eq_u32_e64 s[22:23], 0, v0
	v_cmp_lt_u32_e64 s[20:21], 1, v0
	v_cmp_lt_u32_e64 s[18:19], 3, v0
	s_waitcnt lgkmcnt(0)
	s_barrier
	s_and_saveexec_b64 s[38:39], s[28:29]
	s_cbranch_execz .LBB165_50
; %bb.49:
	ds_read_b32 v0, v41
	s_waitcnt lgkmcnt(0)
	s_nop 0
	v_mov_b32_dpp v85, v0 row_shr:1 row_mask:0xf bank_mask:0xf
	v_cndmask_b32_e64 v85, v85, 0, s[22:23]
	v_add_u32_e32 v0, v85, v0
	s_nop 1
	v_mov_b32_dpp v85, v0 row_shr:2 row_mask:0xf bank_mask:0xf
	v_cndmask_b32_e64 v85, 0, v85, s[20:21]
	v_add_u32_e32 v0, v0, v85
	;; [unrolled: 4-line block ×3, first 2 shown]
	ds_write_b32 v41, v0
.LBB165_50:
	s_or_b64 exec, exec, s[38:39]
	v_cmp_lt_u32_e64 s[38:39], 63, v46
	v_add_u32_e32 v85, -4, v76
	v_mov_b32_e32 v0, 0
	v_mov_b32_e32 v110, 0
	s_waitcnt lgkmcnt(0)
	s_barrier
	s_and_saveexec_b64 s[40:41], s[38:39]
	s_cbranch_execz .LBB165_52
; %bb.51:
	ds_read_b32 v110, v85
.LBB165_52:
	s_or_b64 exec, exec, s[40:41]
	v_add_u32_e32 v86, -1, v65
	v_and_b32_e32 v111, 64, v65
	v_cmp_lt_i32_e64 s[40:41], v86, v111
	v_cndmask_b32_e64 v86, v86, v65, s[40:41]
	v_lshlrev_b32_e32 v86, 2, v86
	s_waitcnt lgkmcnt(0)
	v_add_u32_e32 v1, v110, v1
	ds_bpermute_b32 v1, v86, v1
	v_cmp_eq_u32_e64 s[40:41], 0, v65
	v_cmp_eq_u32_e64 s[42:43], 0, v46
	v_and_or_b32 v111, v65, 63, v66
	v_lshlrev_b32_e32 v112, 1, v111
	s_waitcnt lgkmcnt(0)
	v_cndmask_b32_e64 v1, v1, v110, s[40:41]
	v_cndmask_b32_e64 v1, v1, 0, s[42:43]
	v_add_u32_e32 v38, v1, v38
	v_add_u32_e32 v39, v38, v39
	;; [unrolled: 1-line block ×3, first 2 shown]
	ds_write2_b32 v64, v1, v38 offset0:8 offset1:9
	ds_write2_b32 v75, v39, v40 offset0:2 offset1:3
	s_waitcnt lgkmcnt(0)
	s_barrier
	ds_read_b32 v1, v87 offset:32
	ds_read_b32 v38, v90 offset:32
	;; [unrolled: 1-line block ×8, first 2 shown]
	s_waitcnt lgkmcnt(7)
	v_add_u32_e32 v1, v1, v88
	s_waitcnt lgkmcnt(6)
	v_add3_u32 v38, v91, v89, v38
	s_waitcnt lgkmcnt(4)
	v_add3_u32 v88, v97, v95, v40
	v_lshlrev_b32_e32 v40, 1, v1
	v_add3_u32 v39, v94, v92, v39
	s_waitcnt lgkmcnt(0)
	s_barrier
	ds_write_b16 v40, v84
	v_lshlrev_b32_e32 v40, 1, v38
	ds_write_b16 v40, v83
	v_lshlrev_b32_e32 v40, 1, v39
	v_add3_u32 v87, v100, v98, v87
	ds_write_b16 v40, v82
	v_lshlrev_b32_e32 v40, 1, v88
	v_add3_u32 v89, v103, v101, v90
	;; [unrolled: 3-line block ×4, first 2 shown]
	ds_write_b16 v40, v79
	v_lshlrev_b32_e32 v40, 1, v90
	ds_write_b16 v40, v78
	v_lshlrev_b32_e32 v40, 1, v91
	v_lshlrev_b32_e32 v1, 3, v1
	ds_write_b16 v40, v77
	s_waitcnt lgkmcnt(0)
	s_barrier
	ds_read_u16 v83, v112
	ds_read_u16 v82, v112 offset:128
	ds_read_u16 v81, v112 offset:256
	;; [unrolled: 1-line block ×7, first 2 shown]
	s_waitcnt lgkmcnt(0)
	s_barrier
	ds_write_b64 v1, v[34:35]
	v_lshlrev_b32_e32 v1, 3, v38
	ds_write_b64 v1, v[36:37]
	v_lshlrev_b32_e32 v1, 3, v39
	;; [unrolled: 2-line block ×4, first 2 shown]
	s_min_u32 s44, s44, 8
	ds_write_b64 v1, v[26:27]
	v_lshlrev_b32_e32 v1, 3, v89
	s_lshl_b32 s44, -1, s44
	ds_write_b64 v1, v[28:29]
	v_lshlrev_b32_e32 v1, 3, v90
	s_not_b32 s53, s44
	ds_write_b64 v1, v[22:23]
	v_lshlrev_b32_e32 v1, 3, v91
	v_and_b32_sdwa v38, v83, s53 dst_sel:DWORD dst_unused:UNUSED_PAD src0_sel:BYTE_1 src1_sel:DWORD
	ds_write_b64 v1, v[24:25]
	v_lshlrev_b32_e32 v1, 3, v38
	v_add_lshl_u32 v84, v1, v74, 2
	v_and_b32_e32 v1, 1, v38
	v_add_co_u32_e64 v39, s[44:45], -1, v1
	v_addc_co_u32_e64 v87, s[44:45], 0, -1, s[44:45]
	v_cmp_ne_u32_e64 s[44:45], 0, v1
	v_xor_b32_e32 v1, s45, v87
	v_and_b32_e32 v87, exec_hi, v1
	v_lshlrev_b32_e32 v1, 30, v38
	v_xor_b32_e32 v39, s44, v39
	v_cmp_gt_i64_e64 s[44:45], 0, v[0:1]
	v_not_b32_e32 v1, v1
	v_ashrrev_i32_e32 v1, 31, v1
	v_and_b32_e32 v39, exec_lo, v39
	v_xor_b32_e32 v88, s45, v1
	v_xor_b32_e32 v1, s44, v1
	v_and_b32_e32 v39, v39, v1
	v_lshlrev_b32_e32 v1, 29, v38
	v_cmp_gt_i64_e64 s[44:45], 0, v[0:1]
	v_not_b32_e32 v1, v1
	v_ashrrev_i32_e32 v1, 31, v1
	v_and_b32_e32 v87, v87, v88
	v_xor_b32_e32 v88, s45, v1
	v_xor_b32_e32 v1, s44, v1
	v_and_b32_e32 v39, v39, v1
	v_lshlrev_b32_e32 v1, 28, v38
	v_cmp_gt_i64_e64 s[44:45], 0, v[0:1]
	v_not_b32_e32 v1, v1
	v_ashrrev_i32_e32 v1, 31, v1
	v_and_b32_e32 v87, v87, v88
	;; [unrolled: 8-line block ×5, first 2 shown]
	v_xor_b32_e32 v88, s45, v1
	v_xor_b32_e32 v1, s44, v1
	v_lshlrev_b32_e32 v111, 3, v111
	v_and_b32_e32 v39, v39, v1
	v_lshlrev_b32_e32 v1, 24, v38
	s_waitcnt lgkmcnt(0)
	s_barrier
	ds_read2st64_b64 v[34:37], v111 offset1:1
	ds_read2st64_b64 v[30:33], v111 offset0:2 offset1:3
	ds_read2st64_b64 v[26:29], v111 offset0:4 offset1:5
	;; [unrolled: 1-line block ×3, first 2 shown]
	s_waitcnt lgkmcnt(0)
	s_barrier
	ds_write2_b32 v64, v0, v0 offset0:8 offset1:9
	ds_write2_b32 v75, v0, v0 offset0:2 offset1:3
	v_cmp_gt_i64_e64 s[44:45], 0, v[0:1]
	v_not_b32_e32 v0, v1
	v_ashrrev_i32_e32 v0, 31, v0
	v_xor_b32_e32 v1, s45, v0
	v_xor_b32_e32 v0, s44, v0
	v_and_b32_e32 v87, v87, v88
	v_and_b32_e32 v0, v39, v0
	;; [unrolled: 1-line block ×3, first 2 shown]
	v_mbcnt_lo_u32_b32 v38, v0, 0
	v_mbcnt_hi_u32_b32 v87, v1, v38
	v_cmp_eq_u32_e64 s[44:45], 0, v87
	v_cmp_ne_u64_e64 s[46:47], 0, v[0:1]
	s_and_b64 s[46:47], s[46:47], s[44:45]
	s_waitcnt lgkmcnt(0)
	s_barrier
	s_waitcnt lgkmcnt(0)
	; wave barrier
	s_and_saveexec_b64 s[44:45], s[46:47]
	s_cbranch_execz .LBB165_54
; %bb.53:
	v_bcnt_u32_b32 v0, v0, 0
	v_bcnt_u32_b32 v0, v1, v0
	ds_write_b32 v84, v0 offset:32
.LBB165_54:
	s_or_b64 exec, exec, s[44:45]
	v_and_b32_sdwa v38, v82, s53 dst_sel:DWORD dst_unused:UNUSED_PAD src0_sel:BYTE_1 src1_sel:DWORD
	v_and_b32_e32 v1, 1, v38
	v_add_co_u32_e64 v39, s[44:45], -1, v1
	v_addc_co_u32_e64 v90, s[44:45], 0, -1, s[44:45]
	v_cmp_ne_u32_e64 s[44:45], 0, v1
	v_lshlrev_b32_e32 v0, 3, v38
	v_xor_b32_e32 v1, s45, v90
	v_add_lshl_u32 v89, v0, v74, 2
	v_mov_b32_e32 v0, 0
	v_and_b32_e32 v90, exec_hi, v1
	v_lshlrev_b32_e32 v1, 30, v38
	v_xor_b32_e32 v39, s44, v39
	v_cmp_gt_i64_e64 s[44:45], 0, v[0:1]
	v_not_b32_e32 v1, v1
	v_ashrrev_i32_e32 v1, 31, v1
	v_and_b32_e32 v39, exec_lo, v39
	v_xor_b32_e32 v91, s45, v1
	v_xor_b32_e32 v1, s44, v1
	v_and_b32_e32 v39, v39, v1
	v_lshlrev_b32_e32 v1, 29, v38
	v_cmp_gt_i64_e64 s[44:45], 0, v[0:1]
	v_not_b32_e32 v1, v1
	v_ashrrev_i32_e32 v1, 31, v1
	v_and_b32_e32 v90, v90, v91
	v_xor_b32_e32 v91, s45, v1
	v_xor_b32_e32 v1, s44, v1
	v_and_b32_e32 v39, v39, v1
	v_lshlrev_b32_e32 v1, 28, v38
	v_cmp_gt_i64_e64 s[44:45], 0, v[0:1]
	v_not_b32_e32 v1, v1
	v_ashrrev_i32_e32 v1, 31, v1
	v_and_b32_e32 v90, v90, v91
	;; [unrolled: 8-line block ×5, first 2 shown]
	v_xor_b32_e32 v91, s45, v1
	v_xor_b32_e32 v1, s44, v1
	v_and_b32_e32 v90, v90, v91
	v_and_b32_e32 v91, v39, v1
	v_lshlrev_b32_e32 v1, 24, v38
	v_cmp_gt_i64_e64 s[44:45], 0, v[0:1]
	v_not_b32_e32 v1, v1
	v_ashrrev_i32_e32 v1, 31, v1
	v_xor_b32_e32 v38, s45, v1
	v_xor_b32_e32 v1, s44, v1
	; wave barrier
	ds_read_b32 v88, v89 offset:32
	v_and_b32_e32 v39, v90, v38
	v_and_b32_e32 v38, v91, v1
	v_mbcnt_lo_u32_b32 v1, v38, 0
	v_mbcnt_hi_u32_b32 v90, v39, v1
	v_cmp_eq_u32_e64 s[44:45], 0, v90
	v_cmp_ne_u64_e64 s[46:47], 0, v[38:39]
	s_and_b64 s[46:47], s[46:47], s[44:45]
	; wave barrier
	s_and_saveexec_b64 s[44:45], s[46:47]
	s_cbranch_execz .LBB165_56
; %bb.55:
	v_bcnt_u32_b32 v1, v38, 0
	v_bcnt_u32_b32 v1, v39, v1
	s_waitcnt lgkmcnt(0)
	v_add_u32_e32 v1, v88, v1
	ds_write_b32 v89, v1 offset:32
.LBB165_56:
	s_or_b64 exec, exec, s[44:45]
	v_and_b32_sdwa v38, v81, s53 dst_sel:DWORD dst_unused:UNUSED_PAD src0_sel:BYTE_1 src1_sel:DWORD
	v_lshlrev_b32_e32 v1, 3, v38
	v_add_lshl_u32 v92, v1, v74, 2
	v_and_b32_e32 v1, 1, v38
	v_add_co_u32_e64 v39, s[44:45], -1, v1
	v_addc_co_u32_e64 v93, s[44:45], 0, -1, s[44:45]
	v_cmp_ne_u32_e64 s[44:45], 0, v1
	v_xor_b32_e32 v1, s45, v93
	v_and_b32_e32 v93, exec_hi, v1
	v_lshlrev_b32_e32 v1, 30, v38
	v_xor_b32_e32 v39, s44, v39
	v_cmp_gt_i64_e64 s[44:45], 0, v[0:1]
	v_not_b32_e32 v1, v1
	v_ashrrev_i32_e32 v1, 31, v1
	v_and_b32_e32 v39, exec_lo, v39
	v_xor_b32_e32 v94, s45, v1
	v_xor_b32_e32 v1, s44, v1
	v_and_b32_e32 v39, v39, v1
	v_lshlrev_b32_e32 v1, 29, v38
	v_cmp_gt_i64_e64 s[44:45], 0, v[0:1]
	v_not_b32_e32 v1, v1
	v_ashrrev_i32_e32 v1, 31, v1
	v_and_b32_e32 v93, v93, v94
	v_xor_b32_e32 v94, s45, v1
	v_xor_b32_e32 v1, s44, v1
	v_and_b32_e32 v39, v39, v1
	v_lshlrev_b32_e32 v1, 28, v38
	v_cmp_gt_i64_e64 s[44:45], 0, v[0:1]
	v_not_b32_e32 v1, v1
	v_ashrrev_i32_e32 v1, 31, v1
	v_and_b32_e32 v93, v93, v94
	;; [unrolled: 8-line block ×5, first 2 shown]
	v_xor_b32_e32 v94, s45, v1
	v_xor_b32_e32 v1, s44, v1
	v_and_b32_e32 v39, v39, v1
	v_lshlrev_b32_e32 v1, 24, v38
	v_cmp_gt_i64_e64 s[44:45], 0, v[0:1]
	v_not_b32_e32 v0, v1
	v_ashrrev_i32_e32 v0, 31, v0
	v_xor_b32_e32 v1, s45, v0
	v_xor_b32_e32 v0, s44, v0
	; wave barrier
	ds_read_b32 v91, v92 offset:32
	v_and_b32_e32 v93, v93, v94
	v_and_b32_e32 v0, v39, v0
	;; [unrolled: 1-line block ×3, first 2 shown]
	v_mbcnt_lo_u32_b32 v38, v0, 0
	v_mbcnt_hi_u32_b32 v93, v1, v38
	v_cmp_eq_u32_e64 s[44:45], 0, v93
	v_cmp_ne_u64_e64 s[46:47], 0, v[0:1]
	s_and_b64 s[46:47], s[46:47], s[44:45]
	; wave barrier
	s_and_saveexec_b64 s[44:45], s[46:47]
	s_cbranch_execz .LBB165_58
; %bb.57:
	v_bcnt_u32_b32 v0, v0, 0
	v_bcnt_u32_b32 v0, v1, v0
	s_waitcnt lgkmcnt(0)
	v_add_u32_e32 v0, v91, v0
	ds_write_b32 v92, v0 offset:32
.LBB165_58:
	s_or_b64 exec, exec, s[44:45]
	v_and_b32_sdwa v38, v80, s53 dst_sel:DWORD dst_unused:UNUSED_PAD src0_sel:BYTE_1 src1_sel:DWORD
	v_and_b32_e32 v1, 1, v38
	v_add_co_u32_e64 v39, s[44:45], -1, v1
	v_addc_co_u32_e64 v96, s[44:45], 0, -1, s[44:45]
	v_cmp_ne_u32_e64 s[44:45], 0, v1
	v_lshlrev_b32_e32 v0, 3, v38
	v_xor_b32_e32 v1, s45, v96
	v_add_lshl_u32 v95, v0, v74, 2
	v_mov_b32_e32 v0, 0
	v_and_b32_e32 v96, exec_hi, v1
	v_lshlrev_b32_e32 v1, 30, v38
	v_xor_b32_e32 v39, s44, v39
	v_cmp_gt_i64_e64 s[44:45], 0, v[0:1]
	v_not_b32_e32 v1, v1
	v_ashrrev_i32_e32 v1, 31, v1
	v_and_b32_e32 v39, exec_lo, v39
	v_xor_b32_e32 v97, s45, v1
	v_xor_b32_e32 v1, s44, v1
	v_and_b32_e32 v39, v39, v1
	v_lshlrev_b32_e32 v1, 29, v38
	v_cmp_gt_i64_e64 s[44:45], 0, v[0:1]
	v_not_b32_e32 v1, v1
	v_ashrrev_i32_e32 v1, 31, v1
	v_and_b32_e32 v96, v96, v97
	v_xor_b32_e32 v97, s45, v1
	v_xor_b32_e32 v1, s44, v1
	v_and_b32_e32 v39, v39, v1
	v_lshlrev_b32_e32 v1, 28, v38
	v_cmp_gt_i64_e64 s[44:45], 0, v[0:1]
	v_not_b32_e32 v1, v1
	v_ashrrev_i32_e32 v1, 31, v1
	v_and_b32_e32 v96, v96, v97
	;; [unrolled: 8-line block ×5, first 2 shown]
	v_xor_b32_e32 v97, s45, v1
	v_xor_b32_e32 v1, s44, v1
	v_and_b32_e32 v96, v96, v97
	v_and_b32_e32 v97, v39, v1
	v_lshlrev_b32_e32 v1, 24, v38
	v_cmp_gt_i64_e64 s[44:45], 0, v[0:1]
	v_not_b32_e32 v1, v1
	v_ashrrev_i32_e32 v1, 31, v1
	v_xor_b32_e32 v38, s45, v1
	v_xor_b32_e32 v1, s44, v1
	; wave barrier
	ds_read_b32 v94, v95 offset:32
	v_and_b32_e32 v39, v96, v38
	v_and_b32_e32 v38, v97, v1
	v_mbcnt_lo_u32_b32 v1, v38, 0
	v_mbcnt_hi_u32_b32 v96, v39, v1
	v_cmp_eq_u32_e64 s[44:45], 0, v96
	v_cmp_ne_u64_e64 s[46:47], 0, v[38:39]
	s_and_b64 s[46:47], s[46:47], s[44:45]
	; wave barrier
	s_and_saveexec_b64 s[44:45], s[46:47]
	s_cbranch_execz .LBB165_60
; %bb.59:
	v_bcnt_u32_b32 v1, v38, 0
	v_bcnt_u32_b32 v1, v39, v1
	s_waitcnt lgkmcnt(0)
	v_add_u32_e32 v1, v94, v1
	ds_write_b32 v95, v1 offset:32
.LBB165_60:
	s_or_b64 exec, exec, s[44:45]
	v_and_b32_sdwa v38, v79, s53 dst_sel:DWORD dst_unused:UNUSED_PAD src0_sel:BYTE_1 src1_sel:DWORD
	v_lshlrev_b32_e32 v1, 3, v38
	v_add_lshl_u32 v98, v1, v74, 2
	v_and_b32_e32 v1, 1, v38
	v_add_co_u32_e64 v39, s[44:45], -1, v1
	v_addc_co_u32_e64 v99, s[44:45], 0, -1, s[44:45]
	v_cmp_ne_u32_e64 s[44:45], 0, v1
	v_xor_b32_e32 v1, s45, v99
	v_and_b32_e32 v99, exec_hi, v1
	v_lshlrev_b32_e32 v1, 30, v38
	v_xor_b32_e32 v39, s44, v39
	v_cmp_gt_i64_e64 s[44:45], 0, v[0:1]
	v_not_b32_e32 v1, v1
	v_ashrrev_i32_e32 v1, 31, v1
	v_and_b32_e32 v39, exec_lo, v39
	v_xor_b32_e32 v100, s45, v1
	v_xor_b32_e32 v1, s44, v1
	v_and_b32_e32 v39, v39, v1
	v_lshlrev_b32_e32 v1, 29, v38
	v_cmp_gt_i64_e64 s[44:45], 0, v[0:1]
	v_not_b32_e32 v1, v1
	v_ashrrev_i32_e32 v1, 31, v1
	v_and_b32_e32 v99, v99, v100
	v_xor_b32_e32 v100, s45, v1
	v_xor_b32_e32 v1, s44, v1
	v_and_b32_e32 v39, v39, v1
	v_lshlrev_b32_e32 v1, 28, v38
	v_cmp_gt_i64_e64 s[44:45], 0, v[0:1]
	v_not_b32_e32 v1, v1
	v_ashrrev_i32_e32 v1, 31, v1
	v_and_b32_e32 v99, v99, v100
	;; [unrolled: 8-line block ×5, first 2 shown]
	v_xor_b32_e32 v100, s45, v1
	v_xor_b32_e32 v1, s44, v1
	v_and_b32_e32 v39, v39, v1
	v_lshlrev_b32_e32 v1, 24, v38
	v_cmp_gt_i64_e64 s[44:45], 0, v[0:1]
	v_not_b32_e32 v0, v1
	v_ashrrev_i32_e32 v0, 31, v0
	v_xor_b32_e32 v1, s45, v0
	v_xor_b32_e32 v0, s44, v0
	; wave barrier
	ds_read_b32 v97, v98 offset:32
	v_and_b32_e32 v99, v99, v100
	v_and_b32_e32 v0, v39, v0
	;; [unrolled: 1-line block ×3, first 2 shown]
	v_mbcnt_lo_u32_b32 v38, v0, 0
	v_mbcnt_hi_u32_b32 v99, v1, v38
	v_cmp_eq_u32_e64 s[44:45], 0, v99
	v_cmp_ne_u64_e64 s[46:47], 0, v[0:1]
	s_and_b64 s[46:47], s[46:47], s[44:45]
	; wave barrier
	s_and_saveexec_b64 s[44:45], s[46:47]
	s_cbranch_execz .LBB165_62
; %bb.61:
	v_bcnt_u32_b32 v0, v0, 0
	v_bcnt_u32_b32 v0, v1, v0
	s_waitcnt lgkmcnt(0)
	v_add_u32_e32 v0, v97, v0
	ds_write_b32 v98, v0 offset:32
.LBB165_62:
	s_or_b64 exec, exec, s[44:45]
	v_and_b32_sdwa v38, v78, s53 dst_sel:DWORD dst_unused:UNUSED_PAD src0_sel:BYTE_1 src1_sel:DWORD
	v_and_b32_e32 v1, 1, v38
	v_add_co_u32_e64 v39, s[44:45], -1, v1
	v_addc_co_u32_e64 v102, s[44:45], 0, -1, s[44:45]
	v_cmp_ne_u32_e64 s[44:45], 0, v1
	v_lshlrev_b32_e32 v0, 3, v38
	v_xor_b32_e32 v1, s45, v102
	v_add_lshl_u32 v101, v0, v74, 2
	v_mov_b32_e32 v0, 0
	v_and_b32_e32 v102, exec_hi, v1
	v_lshlrev_b32_e32 v1, 30, v38
	v_xor_b32_e32 v39, s44, v39
	v_cmp_gt_i64_e64 s[44:45], 0, v[0:1]
	v_not_b32_e32 v1, v1
	v_ashrrev_i32_e32 v1, 31, v1
	v_and_b32_e32 v39, exec_lo, v39
	v_xor_b32_e32 v103, s45, v1
	v_xor_b32_e32 v1, s44, v1
	v_and_b32_e32 v39, v39, v1
	v_lshlrev_b32_e32 v1, 29, v38
	v_cmp_gt_i64_e64 s[44:45], 0, v[0:1]
	v_not_b32_e32 v1, v1
	v_ashrrev_i32_e32 v1, 31, v1
	v_and_b32_e32 v102, v102, v103
	v_xor_b32_e32 v103, s45, v1
	v_xor_b32_e32 v1, s44, v1
	v_and_b32_e32 v39, v39, v1
	v_lshlrev_b32_e32 v1, 28, v38
	v_cmp_gt_i64_e64 s[44:45], 0, v[0:1]
	v_not_b32_e32 v1, v1
	v_ashrrev_i32_e32 v1, 31, v1
	v_and_b32_e32 v102, v102, v103
	;; [unrolled: 8-line block ×5, first 2 shown]
	v_xor_b32_e32 v103, s45, v1
	v_xor_b32_e32 v1, s44, v1
	v_and_b32_e32 v102, v102, v103
	v_and_b32_e32 v103, v39, v1
	v_lshlrev_b32_e32 v1, 24, v38
	v_cmp_gt_i64_e64 s[44:45], 0, v[0:1]
	v_not_b32_e32 v1, v1
	v_ashrrev_i32_e32 v1, 31, v1
	v_xor_b32_e32 v38, s45, v1
	v_xor_b32_e32 v1, s44, v1
	; wave barrier
	ds_read_b32 v100, v101 offset:32
	v_and_b32_e32 v39, v102, v38
	v_and_b32_e32 v38, v103, v1
	v_mbcnt_lo_u32_b32 v1, v38, 0
	v_mbcnt_hi_u32_b32 v102, v39, v1
	v_cmp_eq_u32_e64 s[44:45], 0, v102
	v_cmp_ne_u64_e64 s[46:47], 0, v[38:39]
	s_and_b64 s[46:47], s[46:47], s[44:45]
	; wave barrier
	s_and_saveexec_b64 s[44:45], s[46:47]
	s_cbranch_execz .LBB165_64
; %bb.63:
	v_bcnt_u32_b32 v1, v38, 0
	v_bcnt_u32_b32 v1, v39, v1
	s_waitcnt lgkmcnt(0)
	v_add_u32_e32 v1, v100, v1
	ds_write_b32 v101, v1 offset:32
.LBB165_64:
	s_or_b64 exec, exec, s[44:45]
	v_and_b32_sdwa v38, v77, s53 dst_sel:DWORD dst_unused:UNUSED_PAD src0_sel:BYTE_1 src1_sel:DWORD
	v_lshlrev_b32_e32 v1, 3, v38
	v_add_lshl_u32 v104, v1, v74, 2
	v_and_b32_e32 v1, 1, v38
	v_add_co_u32_e64 v39, s[44:45], -1, v1
	v_addc_co_u32_e64 v105, s[44:45], 0, -1, s[44:45]
	v_cmp_ne_u32_e64 s[44:45], 0, v1
	v_xor_b32_e32 v1, s45, v105
	v_and_b32_e32 v105, exec_hi, v1
	v_lshlrev_b32_e32 v1, 30, v38
	v_xor_b32_e32 v39, s44, v39
	v_cmp_gt_i64_e64 s[44:45], 0, v[0:1]
	v_not_b32_e32 v1, v1
	v_ashrrev_i32_e32 v1, 31, v1
	v_and_b32_e32 v39, exec_lo, v39
	v_xor_b32_e32 v106, s45, v1
	v_xor_b32_e32 v1, s44, v1
	v_and_b32_e32 v39, v39, v1
	v_lshlrev_b32_e32 v1, 29, v38
	v_cmp_gt_i64_e64 s[44:45], 0, v[0:1]
	v_not_b32_e32 v1, v1
	v_ashrrev_i32_e32 v1, 31, v1
	v_and_b32_e32 v105, v105, v106
	v_xor_b32_e32 v106, s45, v1
	v_xor_b32_e32 v1, s44, v1
	v_and_b32_e32 v39, v39, v1
	v_lshlrev_b32_e32 v1, 28, v38
	v_cmp_gt_i64_e64 s[44:45], 0, v[0:1]
	v_not_b32_e32 v1, v1
	v_ashrrev_i32_e32 v1, 31, v1
	v_and_b32_e32 v105, v105, v106
	;; [unrolled: 8-line block ×5, first 2 shown]
	v_xor_b32_e32 v106, s45, v1
	v_xor_b32_e32 v1, s44, v1
	v_and_b32_e32 v39, v39, v1
	v_lshlrev_b32_e32 v1, 24, v38
	v_cmp_gt_i64_e64 s[44:45], 0, v[0:1]
	v_not_b32_e32 v0, v1
	v_ashrrev_i32_e32 v0, 31, v0
	v_xor_b32_e32 v1, s45, v0
	v_xor_b32_e32 v0, s44, v0
	; wave barrier
	ds_read_b32 v103, v104 offset:32
	v_and_b32_e32 v105, v105, v106
	v_and_b32_e32 v0, v39, v0
	;; [unrolled: 1-line block ×3, first 2 shown]
	v_mbcnt_lo_u32_b32 v38, v0, 0
	v_mbcnt_hi_u32_b32 v105, v1, v38
	v_cmp_eq_u32_e64 s[44:45], 0, v105
	v_cmp_ne_u64_e64 s[46:47], 0, v[0:1]
	s_and_b64 s[46:47], s[46:47], s[44:45]
	; wave barrier
	s_and_saveexec_b64 s[44:45], s[46:47]
	s_cbranch_execz .LBB165_66
; %bb.65:
	v_bcnt_u32_b32 v0, v0, 0
	v_bcnt_u32_b32 v0, v1, v0
	s_waitcnt lgkmcnt(0)
	v_add_u32_e32 v0, v103, v0
	ds_write_b32 v104, v0 offset:32
.LBB165_66:
	s_or_b64 exec, exec, s[44:45]
	v_and_b32_sdwa v38, v40, s53 dst_sel:DWORD dst_unused:UNUSED_PAD src0_sel:BYTE_1 src1_sel:DWORD
	v_and_b32_e32 v1, 1, v38
	v_add_co_u32_e64 v39, s[44:45], -1, v1
	v_addc_co_u32_e64 v107, s[44:45], 0, -1, s[44:45]
	v_cmp_ne_u32_e64 s[44:45], 0, v1
	v_lshlrev_b32_e32 v0, 3, v38
	v_xor_b32_e32 v1, s45, v107
	v_add_lshl_u32 v106, v0, v74, 2
	v_mov_b32_e32 v0, 0
	v_and_b32_e32 v107, exec_hi, v1
	v_lshlrev_b32_e32 v1, 30, v38
	v_xor_b32_e32 v39, s44, v39
	v_cmp_gt_i64_e64 s[44:45], 0, v[0:1]
	v_not_b32_e32 v1, v1
	v_ashrrev_i32_e32 v1, 31, v1
	v_and_b32_e32 v39, exec_lo, v39
	v_xor_b32_e32 v108, s45, v1
	v_xor_b32_e32 v1, s44, v1
	v_and_b32_e32 v39, v39, v1
	v_lshlrev_b32_e32 v1, 29, v38
	v_cmp_gt_i64_e64 s[44:45], 0, v[0:1]
	v_not_b32_e32 v1, v1
	v_ashrrev_i32_e32 v1, 31, v1
	v_and_b32_e32 v107, v107, v108
	v_xor_b32_e32 v108, s45, v1
	v_xor_b32_e32 v1, s44, v1
	v_and_b32_e32 v39, v39, v1
	v_lshlrev_b32_e32 v1, 28, v38
	v_cmp_gt_i64_e64 s[44:45], 0, v[0:1]
	v_not_b32_e32 v1, v1
	v_ashrrev_i32_e32 v1, 31, v1
	v_and_b32_e32 v107, v107, v108
	;; [unrolled: 8-line block ×5, first 2 shown]
	v_xor_b32_e32 v108, s45, v1
	v_xor_b32_e32 v1, s44, v1
	v_and_b32_e32 v39, v39, v1
	v_lshlrev_b32_e32 v1, 24, v38
	v_cmp_gt_i64_e64 s[44:45], 0, v[0:1]
	v_not_b32_e32 v0, v1
	v_ashrrev_i32_e32 v0, 31, v0
	v_xor_b32_e32 v1, s45, v0
	v_xor_b32_e32 v0, s44, v0
	; wave barrier
	ds_read_b32 v74, v106 offset:32
	v_and_b32_e32 v107, v107, v108
	v_and_b32_e32 v0, v39, v0
	;; [unrolled: 1-line block ×3, first 2 shown]
	v_mbcnt_lo_u32_b32 v38, v0, 0
	v_mbcnt_hi_u32_b32 v107, v1, v38
	v_cmp_eq_u32_e64 s[44:45], 0, v107
	v_cmp_ne_u64_e64 s[46:47], 0, v[0:1]
	s_and_b64 s[46:47], s[46:47], s[44:45]
	; wave barrier
	s_and_saveexec_b64 s[44:45], s[46:47]
	s_cbranch_execz .LBB165_68
; %bb.67:
	v_bcnt_u32_b32 v0, v0, 0
	v_bcnt_u32_b32 v0, v1, v0
	s_waitcnt lgkmcnt(0)
	v_add_u32_e32 v0, v74, v0
	ds_write_b32 v106, v0 offset:32
.LBB165_68:
	s_or_b64 exec, exec, s[44:45]
	; wave barrier
	s_waitcnt lgkmcnt(0)
	s_barrier
	ds_read2_b32 v[38:39], v64 offset0:8 offset1:9
	ds_read2_b32 v[0:1], v75 offset0:2 offset1:3
	s_waitcnt lgkmcnt(1)
	v_add_u32_e32 v108, v39, v38
	s_waitcnt lgkmcnt(0)
	v_add3_u32 v1, v108, v0, v1
	s_nop 1
	v_mov_b32_dpp v108, v1 row_shr:1 row_mask:0xf bank_mask:0xf
	v_cndmask_b32_e64 v108, v108, 0, s[24:25]
	v_add_u32_e32 v1, v108, v1
	s_nop 1
	v_mov_b32_dpp v108, v1 row_shr:2 row_mask:0xf bank_mask:0xf
	v_cndmask_b32_e64 v108, 0, v108, s[26:27]
	v_add_u32_e32 v1, v1, v108
	;; [unrolled: 4-line block ×4, first 2 shown]
	s_nop 1
	v_mov_b32_dpp v108, v1 row_bcast:15 row_mask:0xf bank_mask:0xf
	v_cndmask_b32_e64 v108, v108, 0, vcc
	v_add_u32_e32 v1, v1, v108
	s_nop 1
	v_mov_b32_dpp v108, v1 row_bcast:31 row_mask:0xf bank_mask:0xf
	v_cndmask_b32_e64 v108, 0, v108, s[36:37]
	v_add_u32_e32 v1, v1, v108
	s_and_saveexec_b64 s[24:25], s[16:17]
	s_cbranch_execz .LBB165_70
; %bb.69:
	ds_write_b32 v76, v1
.LBB165_70:
	s_or_b64 exec, exec, s[24:25]
	s_waitcnt lgkmcnt(0)
	s_barrier
	s_and_saveexec_b64 s[16:17], s[28:29]
	s_cbranch_execz .LBB165_72
; %bb.71:
	ds_read_b32 v76, v41
	s_waitcnt lgkmcnt(0)
	s_nop 0
	v_mov_b32_dpp v108, v76 row_shr:1 row_mask:0xf bank_mask:0xf
	v_cndmask_b32_e64 v108, v108, 0, s[22:23]
	v_add_u32_e32 v76, v108, v76
	s_nop 1
	v_mov_b32_dpp v108, v76 row_shr:2 row_mask:0xf bank_mask:0xf
	v_cndmask_b32_e64 v108, 0, v108, s[20:21]
	v_add_u32_e32 v76, v76, v108
	;; [unrolled: 4-line block ×3, first 2 shown]
	ds_write_b32 v41, v76
.LBB165_72:
	s_or_b64 exec, exec, s[16:17]
	v_mov_b32_e32 v41, 0
	s_waitcnt lgkmcnt(0)
	s_barrier
	s_and_saveexec_b64 s[16:17], s[38:39]
	s_cbranch_execz .LBB165_74
; %bb.73:
	ds_read_b32 v41, v85
.LBB165_74:
	s_or_b64 exec, exec, s[16:17]
	s_waitcnt lgkmcnt(0)
	v_add_u32_e32 v1, v41, v1
	ds_bpermute_b32 v1, v86, v1
	s_waitcnt lgkmcnt(0)
	v_cndmask_b32_e64 v1, v1, v41, s[40:41]
	v_cndmask_b32_e64 v1, v1, 0, s[42:43]
	v_add_u32_e32 v38, v1, v38
	v_add_u32_e32 v39, v38, v39
	v_add_u32_e32 v0, v39, v0
	ds_write2_b32 v64, v1, v38 offset0:8 offset1:9
	ds_write2_b32 v75, v39, v0 offset0:2 offset1:3
	s_waitcnt lgkmcnt(0)
	s_barrier
	ds_read_b32 v0, v106 offset:32
	ds_read_b32 v1, v104 offset:32
	;; [unrolled: 1-line block ×4, first 2 shown]
	s_waitcnt lgkmcnt(3)
	v_add3_u32 v0, v107, v74, v0
	s_waitcnt lgkmcnt(2)
	v_add3_u32 v1, v105, v103, v1
	;; [unrolled: 2-line block ×3, first 2 shown]
	ds_read_b32 v38, v95 offset:32
	ds_read_b32 v41, v92 offset:32
	;; [unrolled: 1-line block ×4, first 2 shown]
	s_waitcnt lgkmcnt(0)
	s_barrier
	v_add3_u32 v41, v93, v91, v41
	v_add3_u32 v75, v90, v88, v75
	v_add_u32_e32 v76, v76, v87
	v_lshlrev_b32_e32 v84, 1, v76
	ds_write_b16 v84, v83
	v_lshlrev_b32_e32 v83, 1, v75
	v_add3_u32 v38, v96, v94, v38
	ds_write_b16 v83, v82
	v_lshlrev_b32_e32 v82, 1, v41
	v_add3_u32 v39, v99, v97, v39
	ds_write_b16 v82, v81
	v_lshlrev_b32_e32 v81, 1, v38
	ds_write_b16 v81, v80
	v_lshlrev_b32_e32 v80, 1, v39
	;; [unrolled: 2-line block ×6, first 2 shown]
	v_lshlrev_b32_e32 v76, 3, v76
	v_lshlrev_b32_e32 v80, 3, v62
	s_waitcnt lgkmcnt(0)
	s_barrier
	v_lshlrev_b32_e32 v75, 3, v75
	v_lshlrev_b32_e32 v77, 3, v41
	;; [unrolled: 1-line block ×4, first 2 shown]
	ds_read_b128 v[38:41], v40
	v_lshlrev_b32_e32 v74, 3, v74
	v_lshlrev_b32_e32 v1, 3, v1
	;; [unrolled: 1-line block ×3, first 2 shown]
	s_waitcnt lgkmcnt(0)
	s_barrier
	ds_write_b64 v76, v[34:35]
	ds_write_b64 v75, v[36:37]
	;; [unrolled: 1-line block ×8, first 2 shown]
	s_waitcnt lgkmcnt(0)
	s_barrier
	ds_read2_b64 v[22:25], v80 offset1:1
	ds_read2_b64 v[26:29], v80 offset0:2 offset1:3
	ds_read2_b64 v[30:33], v80 offset0:4 offset1:5
	;; [unrolled: 1-line block ×3, first 2 shown]
	v_xor_b32_e32 v38, 0x80008000, v38
	v_xor_b32_e32 v39, 0x80008000, v39
	;; [unrolled: 1-line block ×4, first 2 shown]
	s_branch .LBB165_128
.LBB165_75:
	v_mov_b32_e32 v45, 0
	v_lshlrev_b64 v[2:3], 3, v[44:45]
	v_mov_b32_e32 v4, s51
	v_add_co_u32_e32 v2, vcc, s49, v2
	v_addc_co_u32_e32 v3, vcc, v4, v3, vcc
	global_load_dwordx2 v[2:3], v[2:3], off
	v_mov_b32_e32 v4, v45
	v_mov_b32_e32 v5, v45
	;; [unrolled: 1-line block ×14, first 2 shown]
	s_or_b64 exec, exec, s[16:17]
	s_and_saveexec_b64 s[16:17], s[2:3]
	s_cbranch_execz .LBB165_22
.LBB165_76:
	v_mul_lo_u32 v4, v1, s52
	v_mov_b32_e32 v5, 0
	v_lshlrev_b64 v[4:5], 3, v[4:5]
	v_mov_b32_e32 v1, s51
	v_add_co_u32_e32 v4, vcc, s49, v4
	v_addc_co_u32_e32 v5, vcc, v1, v5, vcc
	global_load_dwordx2 v[4:5], v[4:5], off
	s_or_b64 exec, exec, s[16:17]
	s_and_saveexec_b64 s[16:17], s[4:5]
	s_cbranch_execz .LBB165_23
.LBB165_77:
	v_mul_lo_u32 v6, v22, s52
	v_mov_b32_e32 v7, 0
	v_lshlrev_b64 v[6:7], 3, v[6:7]
	v_mov_b32_e32 v1, s51
	v_add_co_u32_e32 v6, vcc, s49, v6
	v_addc_co_u32_e32 v7, vcc, v1, v7, vcc
	global_load_dwordx2 v[6:7], v[6:7], off
	s_or_b64 exec, exec, s[16:17]
	s_and_saveexec_b64 s[16:17], s[6:7]
	s_cbranch_execz .LBB165_24
.LBB165_78:
	v_mul_lo_u32 v8, v23, s52
	v_mov_b32_e32 v9, 0
	v_lshlrev_b64 v[8:9], 3, v[8:9]
	v_mov_b32_e32 v1, s51
	v_add_co_u32_e32 v8, vcc, s49, v8
	v_addc_co_u32_e32 v9, vcc, v1, v9, vcc
	global_load_dwordx2 v[8:9], v[8:9], off
	s_or_b64 exec, exec, s[16:17]
	s_and_saveexec_b64 s[16:17], s[8:9]
	s_cbranch_execz .LBB165_25
.LBB165_79:
	v_mul_lo_u32 v10, v24, s52
	v_mov_b32_e32 v11, 0
	v_lshlrev_b64 v[10:11], 3, v[10:11]
	v_mov_b32_e32 v1, s51
	v_add_co_u32_e32 v10, vcc, s49, v10
	v_addc_co_u32_e32 v11, vcc, v1, v11, vcc
	global_load_dwordx2 v[10:11], v[10:11], off
	s_or_b64 exec, exec, s[16:17]
	s_and_saveexec_b64 s[16:17], s[10:11]
	s_cbranch_execz .LBB165_26
.LBB165_80:
	v_mul_lo_u32 v12, v25, s52
	v_mov_b32_e32 v13, 0
	v_lshlrev_b64 v[12:13], 3, v[12:13]
	v_mov_b32_e32 v1, s51
	v_add_co_u32_e32 v12, vcc, s49, v12
	v_addc_co_u32_e32 v13, vcc, v1, v13, vcc
	global_load_dwordx2 v[12:13], v[12:13], off
	s_or_b64 exec, exec, s[16:17]
	s_and_saveexec_b64 s[16:17], s[12:13]
	s_cbranch_execz .LBB165_27
.LBB165_81:
	v_mul_lo_u32 v14, v26, s52
	v_mov_b32_e32 v15, 0
	v_lshlrev_b64 v[14:15], 3, v[14:15]
	v_mov_b32_e32 v1, s51
	v_add_co_u32_e32 v14, vcc, s49, v14
	v_addc_co_u32_e32 v15, vcc, v1, v15, vcc
	global_load_dwordx2 v[14:15], v[14:15], off
	s_or_b64 exec, exec, s[16:17]
	s_xor_b64 s[16:17], s[34:35], -1
	s_and_saveexec_b64 s[18:19], s[14:15]
	s_cbranch_execnz .LBB165_28
	s_branch .LBB165_29
.LBB165_82:
                                        ; implicit-def: $vgpr41
                                        ; implicit-def: $vgpr36_vgpr37
                                        ; implicit-def: $vgpr32_vgpr33
                                        ; implicit-def: $vgpr28_vgpr29
                                        ; implicit-def: $vgpr24_vgpr25
	s_cbranch_execz .LBB165_128
; %bb.83:
	s_movk_i32 s16, 0x7fff
	v_xor_b32_e32 v0, 0x7fff, v18
	v_xor_b32_sdwa v1, v18, s16 dst_sel:DWORD dst_unused:UNUSED_PAD src0_sel:WORD_1 src1_sel:DWORD
	v_xor_b32_e32 v18, 0x7fff, v19
	v_xor_b32_sdwa v19, v19, s16 dst_sel:DWORD dst_unused:UNUSED_PAD src0_sel:WORD_1 src1_sel:DWORD
	s_waitcnt lgkmcnt(3)
	v_xor_b32_e32 v22, 0x7fff, v20
	v_xor_b32_sdwa v20, v20, s16 dst_sel:DWORD dst_unused:UNUSED_PAD src0_sel:WORD_1 src1_sel:DWORD
	v_xor_b32_e32 v23, 0x7fff, v21
	v_xor_b32_sdwa v21, v21, s16 dst_sel:DWORD dst_unused:UNUSED_PAD src0_sel:WORD_1 src1_sel:DWORD
	s_mov_b32 s16, 0x5040100
	v_perm_b32 v21, v21, v23, s16
	v_perm_b32 v20, v20, v22, s16
	;; [unrolled: 1-line block ×4, first 2 shown]
	ds_write_b128 v73, v[18:21]
	; wave barrier
	s_waitcnt lgkmcnt(2)
	ds_read_u16 v32, v72
	ds_read_u16 v31, v72 offset:128
	ds_read_u16 v30, v72 offset:256
	ds_read_u16 v29, v72 offset:384
	ds_read_u16 v28, v72 offset:512
	ds_read_u16 v27, v72 offset:640
	ds_read_u16 v26, v72 offset:768
	ds_read_u16 v25, v72 offset:896
	s_waitcnt lgkmcnt(0)
	s_barrier
	ds_write2_b64 v71, v[14:15], v[16:17] offset1:1
	ds_write2_b64 v71, v[10:11], v[12:13] offset0:2 offset1:3
	ds_write2_b64 v71, v[6:7], v[8:9] offset0:4 offset1:5
	;; [unrolled: 1-line block ×3, first 2 shown]
	; wave barrier
	ds_read2st64_b64 v[12:15], v70 offset1:1
	ds_read2st64_b64 v[8:11], v70 offset0:2 offset1:3
	ds_read2st64_b64 v[4:7], v70 offset0:4 offset1:5
	;; [unrolled: 1-line block ×3, first 2 shown]
	s_waitcnt lgkmcnt(0)
	s_barrier
	s_load_dword s18, s[54:55], 0xc
	s_getpc_b64 s[16:17]
	s_add_u32 s16, s16, _ZN7rocprim17ROCPRIM_400000_NS16block_radix_sortIsLj512ELj8ElLj1ELj1ELj0ELNS0_26block_radix_rank_algorithmE1ELNS0_18block_padding_hintE2ELNS0_4arch9wavefront6targetE1EE19radix_bits_per_passE@rel32@lo+4
	s_addc_u32 s17, s17, _ZN7rocprim17ROCPRIM_400000_NS16block_radix_sortIsLj512ELj8ElLj1ELj1ELj0ELNS0_26block_radix_rank_algorithmE1ELNS0_18block_padding_hintE2ELNS0_4arch9wavefront6targetE1EE19radix_bits_per_passE@rel32@hi+12
	s_load_dword s44, s[16:17], 0x0
	s_waitcnt lgkmcnt(0)
	s_lshr_b32 s16, s18, 16
	s_and_b32 s17, s18, 0xffff
	v_mad_u32_u24 v16, v69, s16, v68
	v_mad_u64_u32 v[16:17], s[16:17], v16, s17, v[46:47]
	s_min_u32 s16, s44, 16
	s_lshl_b32 s16, -1, s16
	s_not_b32 s18, s16
	v_and_b32_sdwa v18, s18, v32 dst_sel:DWORD dst_unused:UNUSED_PAD src0_sel:DWORD src1_sel:WORD_0
	v_lshrrev_b32_e32 v22, 6, v16
	v_lshlrev_b32_e32 v17, 3, v18
	v_add_lshl_u32 v35, v22, v17, 2
	v_and_b32_e32 v17, 1, v18
	v_add_co_u32_e32 v19, vcc, -1, v17
	v_addc_co_u32_e64 v20, s[16:17], 0, -1, vcc
	v_cmp_ne_u32_e32 vcc, 0, v17
	v_xor_b32_e32 v17, vcc_hi, v20
	v_mov_b32_e32 v16, 0
	v_and_b32_e32 v20, exec_hi, v17
	v_lshlrev_b32_e32 v17, 30, v18
	v_xor_b32_e32 v19, vcc_lo, v19
	v_cmp_gt_i64_e32 vcc, 0, v[16:17]
	v_not_b32_e32 v17, v17
	v_ashrrev_i32_e32 v17, 31, v17
	v_and_b32_e32 v19, exec_lo, v19
	v_xor_b32_e32 v21, vcc_hi, v17
	v_xor_b32_e32 v17, vcc_lo, v17
	v_and_b32_e32 v19, v19, v17
	v_lshlrev_b32_e32 v17, 29, v18
	v_cmp_gt_i64_e32 vcc, 0, v[16:17]
	v_not_b32_e32 v17, v17
	v_ashrrev_i32_e32 v17, 31, v17
	v_and_b32_e32 v20, v20, v21
	v_xor_b32_e32 v21, vcc_hi, v17
	v_xor_b32_e32 v17, vcc_lo, v17
	v_and_b32_e32 v19, v19, v17
	v_lshlrev_b32_e32 v17, 28, v18
	v_cmp_gt_i64_e32 vcc, 0, v[16:17]
	v_not_b32_e32 v17, v17
	v_ashrrev_i32_e32 v17, 31, v17
	v_and_b32_e32 v20, v20, v21
	;; [unrolled: 8-line block ×5, first 2 shown]
	v_xor_b32_e32 v21, vcc_hi, v17
	v_xor_b32_e32 v17, vcc_lo, v17
	v_and_b32_e32 v20, v20, v21
	v_and_b32_e32 v21, v19, v17
	v_lshlrev_b32_e32 v17, 24, v18
	v_cmp_gt_i64_e32 vcc, 0, v[16:17]
	v_not_b32_e32 v17, v17
	v_ashrrev_i32_e32 v17, 31, v17
	v_xor_b32_e32 v18, vcc_hi, v17
	v_xor_b32_e32 v17, vcc_lo, v17
	v_and_b32_e32 v19, v20, v18
	v_and_b32_e32 v18, v21, v17
	v_mbcnt_lo_u32_b32 v17, v18, 0
	v_mbcnt_hi_u32_b32 v36, v19, v17
	v_cmp_eq_u32_e32 vcc, 0, v36
	v_cmp_ne_u64_e64 s[16:17], 0, v[18:19]
	s_and_b64 s[20:21], s[16:17], vcc
	ds_write2_b32 v64, v16, v16 offset0:8 offset1:9
	ds_write2_b32 v64, v16, v16 offset0:10 offset1:11
	s_waitcnt lgkmcnt(0)
	s_barrier
	s_waitcnt lgkmcnt(0)
	; wave barrier
	s_and_saveexec_b64 s[16:17], s[20:21]
	s_cbranch_execz .LBB165_85
; %bb.84:
	v_bcnt_u32_b32 v17, v18, 0
	v_bcnt_u32_b32 v17, v19, v17
	ds_write_b32 v35, v17 offset:32
.LBB165_85:
	s_or_b64 exec, exec, s[16:17]
	v_and_b32_sdwa v18, s18, v31 dst_sel:DWORD dst_unused:UNUSED_PAD src0_sel:DWORD src1_sel:WORD_0
	v_lshlrev_b32_e32 v17, 3, v18
	v_add_lshl_u32 v38, v22, v17, 2
	v_and_b32_e32 v17, 1, v18
	v_add_co_u32_e32 v19, vcc, -1, v17
	v_addc_co_u32_e64 v20, s[16:17], 0, -1, vcc
	v_cmp_ne_u32_e32 vcc, 0, v17
	v_xor_b32_e32 v17, vcc_hi, v20
	v_and_b32_e32 v20, exec_hi, v17
	v_lshlrev_b32_e32 v17, 30, v18
	v_xor_b32_e32 v19, vcc_lo, v19
	v_cmp_gt_i64_e32 vcc, 0, v[16:17]
	v_not_b32_e32 v17, v17
	v_ashrrev_i32_e32 v17, 31, v17
	v_and_b32_e32 v19, exec_lo, v19
	v_xor_b32_e32 v21, vcc_hi, v17
	v_xor_b32_e32 v17, vcc_lo, v17
	v_and_b32_e32 v19, v19, v17
	v_lshlrev_b32_e32 v17, 29, v18
	v_cmp_gt_i64_e32 vcc, 0, v[16:17]
	v_not_b32_e32 v17, v17
	v_ashrrev_i32_e32 v17, 31, v17
	v_and_b32_e32 v20, v20, v21
	v_xor_b32_e32 v21, vcc_hi, v17
	v_xor_b32_e32 v17, vcc_lo, v17
	v_and_b32_e32 v19, v19, v17
	v_lshlrev_b32_e32 v17, 28, v18
	v_cmp_gt_i64_e32 vcc, 0, v[16:17]
	v_not_b32_e32 v17, v17
	v_ashrrev_i32_e32 v17, 31, v17
	v_and_b32_e32 v20, v20, v21
	;; [unrolled: 8-line block ×5, first 2 shown]
	v_xor_b32_e32 v21, vcc_hi, v17
	v_xor_b32_e32 v17, vcc_lo, v17
	v_and_b32_e32 v19, v19, v17
	v_lshlrev_b32_e32 v17, 24, v18
	v_cmp_gt_i64_e32 vcc, 0, v[16:17]
	v_not_b32_e32 v16, v17
	v_ashrrev_i32_e32 v16, 31, v16
	v_xor_b32_e32 v17, vcc_hi, v16
	v_xor_b32_e32 v16, vcc_lo, v16
	; wave barrier
	ds_read_b32 v37, v38 offset:32
	v_and_b32_e32 v20, v20, v21
	v_and_b32_e32 v16, v19, v16
	;; [unrolled: 1-line block ×3, first 2 shown]
	v_mbcnt_lo_u32_b32 v18, v16, 0
	v_mbcnt_hi_u32_b32 v39, v17, v18
	v_cmp_eq_u32_e32 vcc, 0, v39
	v_cmp_ne_u64_e64 s[16:17], 0, v[16:17]
	s_and_b64 s[20:21], s[16:17], vcc
	; wave barrier
	s_and_saveexec_b64 s[16:17], s[20:21]
	s_cbranch_execz .LBB165_87
; %bb.86:
	v_bcnt_u32_b32 v16, v16, 0
	v_bcnt_u32_b32 v16, v17, v16
	s_waitcnt lgkmcnt(0)
	v_add_u32_e32 v16, v37, v16
	ds_write_b32 v38, v16 offset:32
.LBB165_87:
	s_or_b64 exec, exec, s[16:17]
	v_and_b32_sdwa v18, s18, v30 dst_sel:DWORD dst_unused:UNUSED_PAD src0_sel:DWORD src1_sel:WORD_0
	v_and_b32_e32 v17, 1, v18
	v_add_co_u32_e32 v19, vcc, -1, v17
	v_addc_co_u32_e64 v20, s[16:17], 0, -1, vcc
	v_cmp_ne_u32_e32 vcc, 0, v17
	v_lshlrev_b32_e32 v16, 3, v18
	v_xor_b32_e32 v17, vcc_hi, v20
	v_add_lshl_u32 v41, v22, v16, 2
	v_mov_b32_e32 v16, 0
	v_and_b32_e32 v20, exec_hi, v17
	v_lshlrev_b32_e32 v17, 30, v18
	v_xor_b32_e32 v19, vcc_lo, v19
	v_cmp_gt_i64_e32 vcc, 0, v[16:17]
	v_not_b32_e32 v17, v17
	v_ashrrev_i32_e32 v17, 31, v17
	v_and_b32_e32 v19, exec_lo, v19
	v_xor_b32_e32 v21, vcc_hi, v17
	v_xor_b32_e32 v17, vcc_lo, v17
	v_and_b32_e32 v19, v19, v17
	v_lshlrev_b32_e32 v17, 29, v18
	v_cmp_gt_i64_e32 vcc, 0, v[16:17]
	v_not_b32_e32 v17, v17
	v_ashrrev_i32_e32 v17, 31, v17
	v_and_b32_e32 v20, v20, v21
	v_xor_b32_e32 v21, vcc_hi, v17
	v_xor_b32_e32 v17, vcc_lo, v17
	v_and_b32_e32 v19, v19, v17
	v_lshlrev_b32_e32 v17, 28, v18
	v_cmp_gt_i64_e32 vcc, 0, v[16:17]
	v_not_b32_e32 v17, v17
	v_ashrrev_i32_e32 v17, 31, v17
	v_and_b32_e32 v20, v20, v21
	;; [unrolled: 8-line block ×5, first 2 shown]
	v_xor_b32_e32 v21, vcc_hi, v17
	v_xor_b32_e32 v17, vcc_lo, v17
	v_and_b32_e32 v20, v20, v21
	v_and_b32_e32 v21, v19, v17
	v_lshlrev_b32_e32 v17, 24, v18
	v_cmp_gt_i64_e32 vcc, 0, v[16:17]
	v_not_b32_e32 v17, v17
	v_ashrrev_i32_e32 v17, 31, v17
	v_xor_b32_e32 v18, vcc_hi, v17
	v_xor_b32_e32 v17, vcc_lo, v17
	; wave barrier
	ds_read_b32 v40, v41 offset:32
	v_and_b32_e32 v19, v20, v18
	v_and_b32_e32 v18, v21, v17
	v_mbcnt_lo_u32_b32 v17, v18, 0
	v_mbcnt_hi_u32_b32 v68, v19, v17
	v_cmp_eq_u32_e32 vcc, 0, v68
	v_cmp_ne_u64_e64 s[16:17], 0, v[18:19]
	s_and_b64 s[20:21], s[16:17], vcc
	; wave barrier
	s_and_saveexec_b64 s[16:17], s[20:21]
	s_cbranch_execz .LBB165_89
; %bb.88:
	v_bcnt_u32_b32 v17, v18, 0
	v_bcnt_u32_b32 v17, v19, v17
	s_waitcnt lgkmcnt(0)
	v_add_u32_e32 v17, v40, v17
	ds_write_b32 v41, v17 offset:32
.LBB165_89:
	s_or_b64 exec, exec, s[16:17]
	v_and_b32_sdwa v18, s18, v29 dst_sel:DWORD dst_unused:UNUSED_PAD src0_sel:DWORD src1_sel:WORD_0
	v_lshlrev_b32_e32 v17, 3, v18
	v_add_lshl_u32 v70, v22, v17, 2
	v_and_b32_e32 v17, 1, v18
	v_add_co_u32_e32 v19, vcc, -1, v17
	v_addc_co_u32_e64 v20, s[16:17], 0, -1, vcc
	v_cmp_ne_u32_e32 vcc, 0, v17
	v_xor_b32_e32 v17, vcc_hi, v20
	v_and_b32_e32 v20, exec_hi, v17
	v_lshlrev_b32_e32 v17, 30, v18
	v_xor_b32_e32 v19, vcc_lo, v19
	v_cmp_gt_i64_e32 vcc, 0, v[16:17]
	v_not_b32_e32 v17, v17
	v_ashrrev_i32_e32 v17, 31, v17
	v_and_b32_e32 v19, exec_lo, v19
	v_xor_b32_e32 v21, vcc_hi, v17
	v_xor_b32_e32 v17, vcc_lo, v17
	v_and_b32_e32 v19, v19, v17
	v_lshlrev_b32_e32 v17, 29, v18
	v_cmp_gt_i64_e32 vcc, 0, v[16:17]
	v_not_b32_e32 v17, v17
	v_ashrrev_i32_e32 v17, 31, v17
	v_and_b32_e32 v20, v20, v21
	v_xor_b32_e32 v21, vcc_hi, v17
	v_xor_b32_e32 v17, vcc_lo, v17
	v_and_b32_e32 v19, v19, v17
	v_lshlrev_b32_e32 v17, 28, v18
	v_cmp_gt_i64_e32 vcc, 0, v[16:17]
	v_not_b32_e32 v17, v17
	v_ashrrev_i32_e32 v17, 31, v17
	v_and_b32_e32 v20, v20, v21
	;; [unrolled: 8-line block ×5, first 2 shown]
	v_xor_b32_e32 v21, vcc_hi, v17
	v_xor_b32_e32 v17, vcc_lo, v17
	v_and_b32_e32 v19, v19, v17
	v_lshlrev_b32_e32 v17, 24, v18
	v_cmp_gt_i64_e32 vcc, 0, v[16:17]
	v_not_b32_e32 v16, v17
	v_ashrrev_i32_e32 v16, 31, v16
	v_xor_b32_e32 v17, vcc_hi, v16
	v_xor_b32_e32 v16, vcc_lo, v16
	; wave barrier
	ds_read_b32 v69, v70 offset:32
	v_and_b32_e32 v20, v20, v21
	v_and_b32_e32 v16, v19, v16
	;; [unrolled: 1-line block ×3, first 2 shown]
	v_mbcnt_lo_u32_b32 v18, v16, 0
	v_mbcnt_hi_u32_b32 v71, v17, v18
	v_cmp_eq_u32_e32 vcc, 0, v71
	v_cmp_ne_u64_e64 s[16:17], 0, v[16:17]
	s_and_b64 s[20:21], s[16:17], vcc
	; wave barrier
	s_and_saveexec_b64 s[16:17], s[20:21]
	s_cbranch_execz .LBB165_91
; %bb.90:
	v_bcnt_u32_b32 v16, v16, 0
	v_bcnt_u32_b32 v16, v17, v16
	s_waitcnt lgkmcnt(0)
	v_add_u32_e32 v16, v69, v16
	ds_write_b32 v70, v16 offset:32
.LBB165_91:
	s_or_b64 exec, exec, s[16:17]
	v_and_b32_sdwa v18, s18, v28 dst_sel:DWORD dst_unused:UNUSED_PAD src0_sel:DWORD src1_sel:WORD_0
	v_and_b32_e32 v17, 1, v18
	v_add_co_u32_e32 v19, vcc, -1, v17
	v_addc_co_u32_e64 v20, s[16:17], 0, -1, vcc
	v_cmp_ne_u32_e32 vcc, 0, v17
	v_lshlrev_b32_e32 v16, 3, v18
	v_xor_b32_e32 v17, vcc_hi, v20
	v_add_lshl_u32 v73, v22, v16, 2
	v_mov_b32_e32 v16, 0
	v_and_b32_e32 v20, exec_hi, v17
	v_lshlrev_b32_e32 v17, 30, v18
	v_xor_b32_e32 v19, vcc_lo, v19
	v_cmp_gt_i64_e32 vcc, 0, v[16:17]
	v_not_b32_e32 v17, v17
	v_ashrrev_i32_e32 v17, 31, v17
	v_and_b32_e32 v19, exec_lo, v19
	v_xor_b32_e32 v21, vcc_hi, v17
	v_xor_b32_e32 v17, vcc_lo, v17
	v_and_b32_e32 v19, v19, v17
	v_lshlrev_b32_e32 v17, 29, v18
	v_cmp_gt_i64_e32 vcc, 0, v[16:17]
	v_not_b32_e32 v17, v17
	v_ashrrev_i32_e32 v17, 31, v17
	v_and_b32_e32 v20, v20, v21
	v_xor_b32_e32 v21, vcc_hi, v17
	v_xor_b32_e32 v17, vcc_lo, v17
	v_and_b32_e32 v19, v19, v17
	v_lshlrev_b32_e32 v17, 28, v18
	v_cmp_gt_i64_e32 vcc, 0, v[16:17]
	v_not_b32_e32 v17, v17
	v_ashrrev_i32_e32 v17, 31, v17
	v_and_b32_e32 v20, v20, v21
	;; [unrolled: 8-line block ×5, first 2 shown]
	v_xor_b32_e32 v21, vcc_hi, v17
	v_xor_b32_e32 v17, vcc_lo, v17
	v_and_b32_e32 v20, v20, v21
	v_and_b32_e32 v21, v19, v17
	v_lshlrev_b32_e32 v17, 24, v18
	v_cmp_gt_i64_e32 vcc, 0, v[16:17]
	v_not_b32_e32 v17, v17
	v_ashrrev_i32_e32 v17, 31, v17
	v_xor_b32_e32 v18, vcc_hi, v17
	v_xor_b32_e32 v17, vcc_lo, v17
	; wave barrier
	ds_read_b32 v72, v73 offset:32
	v_and_b32_e32 v19, v20, v18
	v_and_b32_e32 v18, v21, v17
	v_mbcnt_lo_u32_b32 v17, v18, 0
	v_mbcnt_hi_u32_b32 v74, v19, v17
	v_cmp_eq_u32_e32 vcc, 0, v74
	v_cmp_ne_u64_e64 s[16:17], 0, v[18:19]
	s_and_b64 s[20:21], s[16:17], vcc
	; wave barrier
	s_and_saveexec_b64 s[16:17], s[20:21]
	s_cbranch_execz .LBB165_93
; %bb.92:
	v_bcnt_u32_b32 v17, v18, 0
	v_bcnt_u32_b32 v17, v19, v17
	s_waitcnt lgkmcnt(0)
	v_add_u32_e32 v17, v72, v17
	ds_write_b32 v73, v17 offset:32
.LBB165_93:
	s_or_b64 exec, exec, s[16:17]
	v_and_b32_sdwa v18, s18, v27 dst_sel:DWORD dst_unused:UNUSED_PAD src0_sel:DWORD src1_sel:WORD_0
	v_lshlrev_b32_e32 v17, 3, v18
	v_add_lshl_u32 v76, v22, v17, 2
	v_and_b32_e32 v17, 1, v18
	v_add_co_u32_e32 v19, vcc, -1, v17
	v_addc_co_u32_e64 v20, s[16:17], 0, -1, vcc
	v_cmp_ne_u32_e32 vcc, 0, v17
	v_xor_b32_e32 v17, vcc_hi, v20
	v_and_b32_e32 v20, exec_hi, v17
	v_lshlrev_b32_e32 v17, 30, v18
	v_xor_b32_e32 v19, vcc_lo, v19
	v_cmp_gt_i64_e32 vcc, 0, v[16:17]
	v_not_b32_e32 v17, v17
	v_ashrrev_i32_e32 v17, 31, v17
	v_and_b32_e32 v19, exec_lo, v19
	v_xor_b32_e32 v21, vcc_hi, v17
	v_xor_b32_e32 v17, vcc_lo, v17
	v_and_b32_e32 v19, v19, v17
	v_lshlrev_b32_e32 v17, 29, v18
	v_cmp_gt_i64_e32 vcc, 0, v[16:17]
	v_not_b32_e32 v17, v17
	v_ashrrev_i32_e32 v17, 31, v17
	v_and_b32_e32 v20, v20, v21
	v_xor_b32_e32 v21, vcc_hi, v17
	v_xor_b32_e32 v17, vcc_lo, v17
	v_and_b32_e32 v19, v19, v17
	v_lshlrev_b32_e32 v17, 28, v18
	v_cmp_gt_i64_e32 vcc, 0, v[16:17]
	v_not_b32_e32 v17, v17
	v_ashrrev_i32_e32 v17, 31, v17
	v_and_b32_e32 v20, v20, v21
	;; [unrolled: 8-line block ×5, first 2 shown]
	v_xor_b32_e32 v21, vcc_hi, v17
	v_xor_b32_e32 v17, vcc_lo, v17
	v_and_b32_e32 v19, v19, v17
	v_lshlrev_b32_e32 v17, 24, v18
	v_cmp_gt_i64_e32 vcc, 0, v[16:17]
	v_not_b32_e32 v16, v17
	v_ashrrev_i32_e32 v16, 31, v16
	v_xor_b32_e32 v17, vcc_hi, v16
	v_xor_b32_e32 v16, vcc_lo, v16
	; wave barrier
	ds_read_b32 v75, v76 offset:32
	v_and_b32_e32 v20, v20, v21
	v_and_b32_e32 v16, v19, v16
	;; [unrolled: 1-line block ×3, first 2 shown]
	v_mbcnt_lo_u32_b32 v18, v16, 0
	v_mbcnt_hi_u32_b32 v77, v17, v18
	v_cmp_eq_u32_e32 vcc, 0, v77
	v_cmp_ne_u64_e64 s[16:17], 0, v[16:17]
	s_and_b64 s[20:21], s[16:17], vcc
	; wave barrier
	s_and_saveexec_b64 s[16:17], s[20:21]
	s_cbranch_execz .LBB165_95
; %bb.94:
	v_bcnt_u32_b32 v16, v16, 0
	v_bcnt_u32_b32 v16, v17, v16
	s_waitcnt lgkmcnt(0)
	v_add_u32_e32 v16, v75, v16
	ds_write_b32 v76, v16 offset:32
.LBB165_95:
	s_or_b64 exec, exec, s[16:17]
	v_and_b32_sdwa v18, s18, v26 dst_sel:DWORD dst_unused:UNUSED_PAD src0_sel:DWORD src1_sel:WORD_0
	v_and_b32_e32 v17, 1, v18
	v_add_co_u32_e32 v19, vcc, -1, v17
	v_addc_co_u32_e64 v20, s[16:17], 0, -1, vcc
	v_cmp_ne_u32_e32 vcc, 0, v17
	v_lshlrev_b32_e32 v16, 3, v18
	v_xor_b32_e32 v17, vcc_hi, v20
	v_add_lshl_u32 v79, v22, v16, 2
	v_mov_b32_e32 v16, 0
	v_and_b32_e32 v20, exec_hi, v17
	v_lshlrev_b32_e32 v17, 30, v18
	v_xor_b32_e32 v19, vcc_lo, v19
	v_cmp_gt_i64_e32 vcc, 0, v[16:17]
	v_not_b32_e32 v17, v17
	v_ashrrev_i32_e32 v17, 31, v17
	v_and_b32_e32 v19, exec_lo, v19
	v_xor_b32_e32 v21, vcc_hi, v17
	v_xor_b32_e32 v17, vcc_lo, v17
	v_and_b32_e32 v19, v19, v17
	v_lshlrev_b32_e32 v17, 29, v18
	v_cmp_gt_i64_e32 vcc, 0, v[16:17]
	v_not_b32_e32 v17, v17
	v_ashrrev_i32_e32 v17, 31, v17
	v_and_b32_e32 v20, v20, v21
	v_xor_b32_e32 v21, vcc_hi, v17
	v_xor_b32_e32 v17, vcc_lo, v17
	v_and_b32_e32 v19, v19, v17
	v_lshlrev_b32_e32 v17, 28, v18
	v_cmp_gt_i64_e32 vcc, 0, v[16:17]
	v_not_b32_e32 v17, v17
	v_ashrrev_i32_e32 v17, 31, v17
	v_and_b32_e32 v20, v20, v21
	;; [unrolled: 8-line block ×5, first 2 shown]
	v_xor_b32_e32 v21, vcc_hi, v17
	v_xor_b32_e32 v17, vcc_lo, v17
	v_and_b32_e32 v20, v20, v21
	v_and_b32_e32 v21, v19, v17
	v_lshlrev_b32_e32 v17, 24, v18
	v_cmp_gt_i64_e32 vcc, 0, v[16:17]
	v_not_b32_e32 v17, v17
	v_ashrrev_i32_e32 v17, 31, v17
	v_xor_b32_e32 v18, vcc_hi, v17
	v_xor_b32_e32 v17, vcc_lo, v17
	; wave barrier
	ds_read_b32 v78, v79 offset:32
	v_and_b32_e32 v19, v20, v18
	v_and_b32_e32 v18, v21, v17
	v_mbcnt_lo_u32_b32 v17, v18, 0
	v_mbcnt_hi_u32_b32 v80, v19, v17
	v_cmp_eq_u32_e32 vcc, 0, v80
	v_cmp_ne_u64_e64 s[16:17], 0, v[18:19]
	s_and_b64 s[20:21], s[16:17], vcc
	; wave barrier
	s_and_saveexec_b64 s[16:17], s[20:21]
	s_cbranch_execz .LBB165_97
; %bb.96:
	v_bcnt_u32_b32 v17, v18, 0
	v_bcnt_u32_b32 v17, v19, v17
	s_waitcnt lgkmcnt(0)
	v_add_u32_e32 v17, v78, v17
	ds_write_b32 v79, v17 offset:32
.LBB165_97:
	s_or_b64 exec, exec, s[16:17]
	v_and_b32_sdwa v18, s18, v25 dst_sel:DWORD dst_unused:UNUSED_PAD src0_sel:DWORD src1_sel:WORD_0
	v_lshlrev_b32_e32 v17, 3, v18
	v_add_lshl_u32 v81, v22, v17, 2
	v_and_b32_e32 v17, 1, v18
	v_add_co_u32_e32 v19, vcc, -1, v17
	v_addc_co_u32_e64 v20, s[16:17], 0, -1, vcc
	v_cmp_ne_u32_e32 vcc, 0, v17
	v_xor_b32_e32 v17, vcc_hi, v20
	v_and_b32_e32 v20, exec_hi, v17
	v_lshlrev_b32_e32 v17, 30, v18
	v_xor_b32_e32 v19, vcc_lo, v19
	v_cmp_gt_i64_e32 vcc, 0, v[16:17]
	v_not_b32_e32 v17, v17
	v_ashrrev_i32_e32 v17, 31, v17
	v_and_b32_e32 v19, exec_lo, v19
	v_xor_b32_e32 v21, vcc_hi, v17
	v_xor_b32_e32 v17, vcc_lo, v17
	v_and_b32_e32 v19, v19, v17
	v_lshlrev_b32_e32 v17, 29, v18
	v_cmp_gt_i64_e32 vcc, 0, v[16:17]
	v_not_b32_e32 v17, v17
	v_ashrrev_i32_e32 v17, 31, v17
	v_and_b32_e32 v20, v20, v21
	v_xor_b32_e32 v21, vcc_hi, v17
	v_xor_b32_e32 v17, vcc_lo, v17
	v_and_b32_e32 v19, v19, v17
	v_lshlrev_b32_e32 v17, 28, v18
	v_cmp_gt_i64_e32 vcc, 0, v[16:17]
	v_not_b32_e32 v17, v17
	v_ashrrev_i32_e32 v17, 31, v17
	v_and_b32_e32 v20, v20, v21
	;; [unrolled: 8-line block ×5, first 2 shown]
	v_xor_b32_e32 v21, vcc_hi, v17
	v_xor_b32_e32 v17, vcc_lo, v17
	v_and_b32_e32 v19, v19, v17
	v_lshlrev_b32_e32 v17, 24, v18
	v_cmp_gt_i64_e32 vcc, 0, v[16:17]
	v_not_b32_e32 v16, v17
	v_ashrrev_i32_e32 v16, 31, v16
	v_xor_b32_e32 v17, vcc_hi, v16
	v_xor_b32_e32 v16, vcc_lo, v16
	v_min_u32_e32 v33, 0x1c0, v67
	; wave barrier
	ds_read_b32 v67, v81 offset:32
	v_and_b32_e32 v20, v20, v21
	v_and_b32_e32 v16, v19, v16
	;; [unrolled: 1-line block ×3, first 2 shown]
	v_mbcnt_lo_u32_b32 v18, v16, 0
	v_mbcnt_hi_u32_b32 v82, v17, v18
	v_cmp_eq_u32_e32 vcc, 0, v82
	v_cmp_ne_u64_e64 s[16:17], 0, v[16:17]
	v_add_u32_e32 v23, 32, v64
	v_lshrrev_b32_e32 v24, 6, v46
	s_and_b64 s[18:19], s[16:17], vcc
	; wave barrier
	s_and_saveexec_b64 s[16:17], s[18:19]
	s_cbranch_execz .LBB165_99
; %bb.98:
	v_bcnt_u32_b32 v16, v16, 0
	v_bcnt_u32_b32 v16, v17, v16
	s_waitcnt lgkmcnt(0)
	v_add_u32_e32 v16, v67, v16
	ds_write_b32 v81, v16 offset:32
.LBB165_99:
	s_or_b64 exec, exec, s[16:17]
	; wave barrier
	s_waitcnt lgkmcnt(0)
	s_barrier
	ds_read2_b32 v[18:19], v64 offset0:8 offset1:9
	ds_read2_b32 v[20:21], v23 offset0:2 offset1:3
	v_and_b32_e32 v17, 16, v65
	v_cmp_eq_u32_e32 vcc, 0, v17
	v_or_b32_e32 v17, 63, v33
	v_cmp_eq_u32_e64 s[16:17], v17, v46
	s_waitcnt lgkmcnt(1)
	v_add_u32_e32 v17, v19, v18
	v_and_b32_e32 v16, 15, v65
	s_waitcnt lgkmcnt(0)
	v_add3_u32 v17, v17, v20, v21
	v_cmp_eq_u32_e64 s[24:25], 0, v16
	v_cmp_lt_u32_e64 s[26:27], 1, v16
	v_mov_b32_dpp v21, v17 row_shr:1 row_mask:0xf bank_mask:0xf
	v_cndmask_b32_e64 v21, v21, 0, s[24:25]
	v_add_u32_e32 v17, v21, v17
	v_cmp_lt_u32_e64 s[30:31], 3, v16
	v_cmp_lt_u32_e64 s[34:35], 7, v16
	v_mov_b32_dpp v21, v17 row_shr:2 row_mask:0xf bank_mask:0xf
	v_cndmask_b32_e64 v21, 0, v21, s[26:27]
	v_add_u32_e32 v17, v17, v21
	v_bfe_i32 v34, v65, 4, 1
	v_cmp_lt_u32_e64 s[36:37], 31, v65
	v_mov_b32_dpp v21, v17 row_shr:4 row_mask:0xf bank_mask:0xf
	v_cndmask_b32_e64 v21, 0, v21, s[30:31]
	v_add_u32_e32 v17, v17, v21
	v_lshlrev_b32_e32 v24, 2, v24
	s_nop 0
	v_mov_b32_dpp v21, v17 row_shr:8 row_mask:0xf bank_mask:0xf
	v_cndmask_b32_e64 v16, 0, v21, s[34:35]
	v_add_u32_e32 v16, v17, v16
	s_nop 1
	v_mov_b32_dpp v17, v16 row_bcast:15 row_mask:0xf bank_mask:0xf
	v_and_b32_e32 v17, v34, v17
	v_add_u32_e32 v16, v16, v17
	s_nop 1
	v_mov_b32_dpp v17, v16 row_bcast:31 row_mask:0xf bank_mask:0xf
	v_cndmask_b32_e64 v17, 0, v17, s[36:37]
	v_add_u32_e32 v17, v16, v17
	s_and_saveexec_b64 s[18:19], s[16:17]
	s_cbranch_execz .LBB165_101
; %bb.100:
	ds_write_b32 v24, v17
.LBB165_101:
	s_or_b64 exec, exec, s[18:19]
	v_and_b32_e32 v16, 7, v65
	v_cmp_gt_u32_e64 s[28:29], 8, v46
	v_lshlrev_b32_e32 v21, 2, v46
	v_cmp_eq_u32_e64 s[22:23], 0, v16
	v_cmp_lt_u32_e64 s[20:21], 1, v16
	v_cmp_lt_u32_e64 s[18:19], 3, v16
	s_waitcnt lgkmcnt(0)
	s_barrier
	s_and_saveexec_b64 s[38:39], s[28:29]
	s_cbranch_execz .LBB165_103
; %bb.102:
	ds_read_b32 v16, v21
	s_waitcnt lgkmcnt(0)
	s_nop 0
	v_mov_b32_dpp v33, v16 row_shr:1 row_mask:0xf bank_mask:0xf
	v_cndmask_b32_e64 v33, v33, 0, s[22:23]
	v_add_u32_e32 v16, v33, v16
	s_nop 1
	v_mov_b32_dpp v33, v16 row_shr:2 row_mask:0xf bank_mask:0xf
	v_cndmask_b32_e64 v33, 0, v33, s[20:21]
	v_add_u32_e32 v16, v16, v33
	;; [unrolled: 4-line block ×3, first 2 shown]
	ds_write_b32 v21, v16
.LBB165_103:
	s_or_b64 exec, exec, s[38:39]
	v_cmp_lt_u32_e64 s[38:39], 63, v46
	v_add_u32_e32 v33, -4, v24
	v_mov_b32_e32 v16, 0
	v_mov_b32_e32 v83, 0
	s_waitcnt lgkmcnt(0)
	s_barrier
	s_and_saveexec_b64 s[40:41], s[38:39]
	s_cbranch_execz .LBB165_105
; %bb.104:
	ds_read_b32 v83, v33
.LBB165_105:
	s_or_b64 exec, exec, s[40:41]
	v_add_u32_e32 v34, -1, v65
	v_and_b32_e32 v84, 64, v65
	v_cmp_lt_i32_e64 s[40:41], v34, v84
	v_cndmask_b32_e64 v34, v34, v65, s[40:41]
	v_lshlrev_b32_e32 v34, 2, v34
	s_waitcnt lgkmcnt(0)
	v_add_u32_e32 v17, v83, v17
	ds_bpermute_b32 v17, v34, v17
	v_cmp_eq_u32_e64 s[40:41], 0, v65
	v_cmp_eq_u32_e64 s[42:43], 0, v46
	s_min_u32 s44, s44, 8
	v_and_or_b32 v66, v65, 63, v66
	s_waitcnt lgkmcnt(0)
	v_cndmask_b32_e64 v17, v17, v83, s[40:41]
	v_cndmask_b32_e64 v17, v17, 0, s[42:43]
	v_add_u32_e32 v18, v17, v18
	v_add_u32_e32 v19, v18, v19
	;; [unrolled: 1-line block ×3, first 2 shown]
	ds_write2_b32 v64, v17, v18 offset0:8 offset1:9
	ds_write2_b32 v23, v19, v20 offset0:2 offset1:3
	s_waitcnt lgkmcnt(0)
	s_barrier
	ds_read_b32 v17, v35 offset:32
	ds_read_b32 v18, v38 offset:32
	;; [unrolled: 1-line block ×8, first 2 shown]
	s_waitcnt lgkmcnt(7)
	v_add_u32_e32 v17, v17, v36
	s_waitcnt lgkmcnt(6)
	v_add3_u32 v18, v39, v37, v18
	s_waitcnt lgkmcnt(4)
	v_add3_u32 v36, v71, v69, v20
	v_lshlrev_b32_e32 v20, 1, v17
	v_add3_u32 v19, v68, v40, v19
	s_waitcnt lgkmcnt(0)
	s_barrier
	ds_write_b16 v20, v32
	v_lshlrev_b32_e32 v20, 1, v18
	ds_write_b16 v20, v31
	v_lshlrev_b32_e32 v20, 1, v19
	v_add3_u32 v35, v74, v72, v35
	ds_write_b16 v20, v30
	v_lshlrev_b32_e32 v20, 1, v36
	v_add3_u32 v37, v77, v75, v38
	;; [unrolled: 3-line block ×4, first 2 shown]
	ds_write_b16 v20, v27
	v_lshlrev_b32_e32 v20, 1, v38
	s_lshl_b32 s44, -1, s44
	v_lshlrev_b32_e32 v84, 1, v66
	ds_write_b16 v20, v26
	v_lshlrev_b32_e32 v20, 1, v39
	v_lshlrev_b32_e32 v17, 3, v17
	s_not_b32 s53, s44
	ds_write_b16 v20, v25
	s_waitcnt lgkmcnt(0)
	s_barrier
	ds_read_u16 v31, v84
	ds_read_u16 v30, v84 offset:128
	ds_read_u16 v29, v84 offset:256
	ds_read_u16 v28, v84 offset:384
	ds_read_u16 v27, v84 offset:512
	ds_read_u16 v26, v84 offset:640
	ds_read_u16 v25, v84 offset:768
	ds_read_u16 v20, v84 offset:896
	s_waitcnt lgkmcnt(0)
	s_barrier
	ds_write_b64 v17, v[12:13]
	v_lshlrev_b32_e32 v12, 3, v18
	v_and_b32_sdwa v18, v31, s53 dst_sel:DWORD dst_unused:UNUSED_PAD src0_sel:BYTE_1 src1_sel:DWORD
	v_lshlrev_b32_e32 v17, 3, v18
	ds_write_b64 v12, v[14:15]
	v_lshlrev_b32_e32 v12, 3, v19
	v_add_lshl_u32 v32, v17, v22, 2
	v_and_b32_e32 v17, 1, v18
	ds_write_b64 v12, v[8:9]
	v_lshlrev_b32_e32 v8, 3, v36
	v_add_co_u32_e64 v19, s[44:45], -1, v17
	ds_write_b64 v8, v[10:11]
	v_lshlrev_b32_e32 v8, 3, v35
	v_addc_co_u32_e64 v35, s[44:45], 0, -1, s[44:45]
	v_cmp_ne_u32_e64 s[44:45], 0, v17
	v_xor_b32_e32 v17, s45, v35
	v_and_b32_e32 v35, exec_hi, v17
	v_lshlrev_b32_e32 v17, 30, v18
	v_xor_b32_e32 v19, s44, v19
	v_cmp_gt_i64_e64 s[44:45], 0, v[16:17]
	v_not_b32_e32 v17, v17
	v_ashrrev_i32_e32 v17, 31, v17
	v_and_b32_e32 v19, exec_lo, v19
	v_xor_b32_e32 v36, s45, v17
	v_xor_b32_e32 v17, s44, v17
	v_and_b32_e32 v19, v19, v17
	v_lshlrev_b32_e32 v17, 29, v18
	v_cmp_gt_i64_e64 s[44:45], 0, v[16:17]
	v_not_b32_e32 v17, v17
	v_ashrrev_i32_e32 v17, 31, v17
	v_and_b32_e32 v35, v35, v36
	v_xor_b32_e32 v36, s45, v17
	v_xor_b32_e32 v17, s44, v17
	v_and_b32_e32 v19, v19, v17
	v_lshlrev_b32_e32 v17, 28, v18
	v_cmp_gt_i64_e64 s[44:45], 0, v[16:17]
	v_not_b32_e32 v17, v17
	v_ashrrev_i32_e32 v17, 31, v17
	v_and_b32_e32 v35, v35, v36
	;; [unrolled: 8-line block ×4, first 2 shown]
	v_xor_b32_e32 v36, s45, v17
	v_xor_b32_e32 v17, s44, v17
	v_and_b32_e32 v19, v19, v17
	v_lshlrev_b32_e32 v17, 25, v18
	v_cmp_gt_i64_e64 s[44:45], 0, v[16:17]
	v_not_b32_e32 v17, v17
	ds_write_b64 v8, v[4:5]
	v_lshlrev_b32_e32 v4, 3, v37
	v_ashrrev_i32_e32 v17, 31, v17
	ds_write_b64 v4, v[6:7]
	v_lshlrev_b32_e32 v4, 3, v38
	v_and_b32_e32 v35, v35, v36
	v_xor_b32_e32 v36, s45, v17
	v_xor_b32_e32 v17, s44, v17
	v_lshlrev_b32_e32 v66, 3, v66
	ds_write_b64 v4, v[0:1]
	v_lshlrev_b32_e32 v0, 3, v39
	v_and_b32_e32 v19, v19, v17
	v_lshlrev_b32_e32 v17, 24, v18
	ds_write_b64 v0, v[2:3]
	s_waitcnt lgkmcnt(0)
	s_barrier
	ds_read2st64_b64 v[12:15], v66 offset1:1
	ds_read2st64_b64 v[8:11], v66 offset0:2 offset1:3
	ds_read2st64_b64 v[4:7], v66 offset0:4 offset1:5
	;; [unrolled: 1-line block ×3, first 2 shown]
	s_waitcnt lgkmcnt(0)
	s_barrier
	ds_write2_b32 v64, v16, v16 offset0:8 offset1:9
	ds_write2_b32 v23, v16, v16 offset0:2 offset1:3
	v_cmp_gt_i64_e64 s[44:45], 0, v[16:17]
	v_not_b32_e32 v16, v17
	v_ashrrev_i32_e32 v16, 31, v16
	v_xor_b32_e32 v17, s45, v16
	v_xor_b32_e32 v16, s44, v16
	v_and_b32_e32 v35, v35, v36
	v_and_b32_e32 v16, v19, v16
	;; [unrolled: 1-line block ×3, first 2 shown]
	v_mbcnt_lo_u32_b32 v18, v16, 0
	v_mbcnt_hi_u32_b32 v35, v17, v18
	v_cmp_eq_u32_e64 s[44:45], 0, v35
	v_cmp_ne_u64_e64 s[46:47], 0, v[16:17]
	s_and_b64 s[46:47], s[46:47], s[44:45]
	s_waitcnt lgkmcnt(0)
	s_barrier
	s_waitcnt lgkmcnt(0)
	; wave barrier
	s_and_saveexec_b64 s[44:45], s[46:47]
	s_cbranch_execz .LBB165_107
; %bb.106:
	v_bcnt_u32_b32 v16, v16, 0
	v_bcnt_u32_b32 v16, v17, v16
	ds_write_b32 v32, v16 offset:32
.LBB165_107:
	s_or_b64 exec, exec, s[44:45]
	v_and_b32_sdwa v18, v30, s53 dst_sel:DWORD dst_unused:UNUSED_PAD src0_sel:BYTE_1 src1_sel:DWORD
	v_and_b32_e32 v17, 1, v18
	v_add_co_u32_e64 v19, s[44:45], -1, v17
	v_addc_co_u32_e64 v38, s[44:45], 0, -1, s[44:45]
	v_cmp_ne_u32_e64 s[44:45], 0, v17
	v_lshlrev_b32_e32 v16, 3, v18
	v_xor_b32_e32 v17, s45, v38
	v_add_lshl_u32 v37, v16, v22, 2
	v_mov_b32_e32 v16, 0
	v_and_b32_e32 v38, exec_hi, v17
	v_lshlrev_b32_e32 v17, 30, v18
	v_xor_b32_e32 v19, s44, v19
	v_cmp_gt_i64_e64 s[44:45], 0, v[16:17]
	v_not_b32_e32 v17, v17
	v_ashrrev_i32_e32 v17, 31, v17
	v_and_b32_e32 v19, exec_lo, v19
	v_xor_b32_e32 v39, s45, v17
	v_xor_b32_e32 v17, s44, v17
	v_and_b32_e32 v19, v19, v17
	v_lshlrev_b32_e32 v17, 29, v18
	v_cmp_gt_i64_e64 s[44:45], 0, v[16:17]
	v_not_b32_e32 v17, v17
	v_ashrrev_i32_e32 v17, 31, v17
	v_and_b32_e32 v38, v38, v39
	v_xor_b32_e32 v39, s45, v17
	v_xor_b32_e32 v17, s44, v17
	v_and_b32_e32 v19, v19, v17
	v_lshlrev_b32_e32 v17, 28, v18
	v_cmp_gt_i64_e64 s[44:45], 0, v[16:17]
	v_not_b32_e32 v17, v17
	v_ashrrev_i32_e32 v17, 31, v17
	v_and_b32_e32 v38, v38, v39
	v_xor_b32_e32 v39, s45, v17
	v_xor_b32_e32 v17, s44, v17
	v_and_b32_e32 v19, v19, v17
	v_lshlrev_b32_e32 v17, 27, v18
	v_cmp_gt_i64_e64 s[44:45], 0, v[16:17]
	v_not_b32_e32 v17, v17
	v_ashrrev_i32_e32 v17, 31, v17
	v_and_b32_e32 v38, v38, v39
	v_xor_b32_e32 v39, s45, v17
	v_xor_b32_e32 v17, s44, v17
	v_and_b32_e32 v19, v19, v17
	v_lshlrev_b32_e32 v17, 26, v18
	v_cmp_gt_i64_e64 s[44:45], 0, v[16:17]
	v_not_b32_e32 v17, v17
	v_ashrrev_i32_e32 v17, 31, v17
	v_and_b32_e32 v38, v38, v39
	v_xor_b32_e32 v39, s45, v17
	v_xor_b32_e32 v17, s44, v17
	v_and_b32_e32 v19, v19, v17
	v_lshlrev_b32_e32 v17, 25, v18
	v_cmp_gt_i64_e64 s[44:45], 0, v[16:17]
	v_not_b32_e32 v17, v17
	v_ashrrev_i32_e32 v17, 31, v17
	v_and_b32_e32 v38, v38, v39
	v_xor_b32_e32 v39, s45, v17
	v_xor_b32_e32 v17, s44, v17
	v_and_b32_e32 v38, v38, v39
	v_and_b32_e32 v39, v19, v17
	v_lshlrev_b32_e32 v17, 24, v18
	v_cmp_gt_i64_e64 s[44:45], 0, v[16:17]
	v_not_b32_e32 v17, v17
	v_ashrrev_i32_e32 v17, 31, v17
	v_xor_b32_e32 v18, s45, v17
	v_xor_b32_e32 v17, s44, v17
	; wave barrier
	ds_read_b32 v36, v37 offset:32
	v_and_b32_e32 v19, v38, v18
	v_and_b32_e32 v18, v39, v17
	v_mbcnt_lo_u32_b32 v17, v18, 0
	v_mbcnt_hi_u32_b32 v38, v19, v17
	v_cmp_eq_u32_e64 s[44:45], 0, v38
	v_cmp_ne_u64_e64 s[46:47], 0, v[18:19]
	s_and_b64 s[46:47], s[46:47], s[44:45]
	; wave barrier
	s_and_saveexec_b64 s[44:45], s[46:47]
	s_cbranch_execz .LBB165_109
; %bb.108:
	v_bcnt_u32_b32 v17, v18, 0
	v_bcnt_u32_b32 v17, v19, v17
	s_waitcnt lgkmcnt(0)
	v_add_u32_e32 v17, v36, v17
	ds_write_b32 v37, v17 offset:32
.LBB165_109:
	s_or_b64 exec, exec, s[44:45]
	v_and_b32_sdwa v18, v29, s53 dst_sel:DWORD dst_unused:UNUSED_PAD src0_sel:BYTE_1 src1_sel:DWORD
	v_lshlrev_b32_e32 v17, 3, v18
	v_add_lshl_u32 v40, v17, v22, 2
	v_and_b32_e32 v17, 1, v18
	v_add_co_u32_e64 v19, s[44:45], -1, v17
	v_addc_co_u32_e64 v41, s[44:45], 0, -1, s[44:45]
	v_cmp_ne_u32_e64 s[44:45], 0, v17
	v_xor_b32_e32 v17, s45, v41
	v_and_b32_e32 v41, exec_hi, v17
	v_lshlrev_b32_e32 v17, 30, v18
	v_xor_b32_e32 v19, s44, v19
	v_cmp_gt_i64_e64 s[44:45], 0, v[16:17]
	v_not_b32_e32 v17, v17
	v_ashrrev_i32_e32 v17, 31, v17
	v_and_b32_e32 v19, exec_lo, v19
	v_xor_b32_e32 v46, s45, v17
	v_xor_b32_e32 v17, s44, v17
	v_and_b32_e32 v19, v19, v17
	v_lshlrev_b32_e32 v17, 29, v18
	v_cmp_gt_i64_e64 s[44:45], 0, v[16:17]
	v_not_b32_e32 v17, v17
	v_ashrrev_i32_e32 v17, 31, v17
	v_and_b32_e32 v41, v41, v46
	v_xor_b32_e32 v46, s45, v17
	v_xor_b32_e32 v17, s44, v17
	v_and_b32_e32 v19, v19, v17
	v_lshlrev_b32_e32 v17, 28, v18
	v_cmp_gt_i64_e64 s[44:45], 0, v[16:17]
	v_not_b32_e32 v17, v17
	v_ashrrev_i32_e32 v17, 31, v17
	v_and_b32_e32 v41, v41, v46
	;; [unrolled: 8-line block ×5, first 2 shown]
	v_xor_b32_e32 v46, s45, v17
	v_xor_b32_e32 v17, s44, v17
	v_and_b32_e32 v19, v19, v17
	v_lshlrev_b32_e32 v17, 24, v18
	v_cmp_gt_i64_e64 s[44:45], 0, v[16:17]
	v_not_b32_e32 v16, v17
	v_ashrrev_i32_e32 v16, 31, v16
	v_xor_b32_e32 v17, s45, v16
	v_xor_b32_e32 v16, s44, v16
	; wave barrier
	ds_read_b32 v39, v40 offset:32
	v_and_b32_e32 v41, v41, v46
	v_and_b32_e32 v16, v19, v16
	;; [unrolled: 1-line block ×3, first 2 shown]
	v_mbcnt_lo_u32_b32 v18, v16, 0
	v_mbcnt_hi_u32_b32 v41, v17, v18
	v_cmp_eq_u32_e64 s[44:45], 0, v41
	v_cmp_ne_u64_e64 s[46:47], 0, v[16:17]
	s_and_b64 s[46:47], s[46:47], s[44:45]
	; wave barrier
	s_and_saveexec_b64 s[44:45], s[46:47]
	s_cbranch_execz .LBB165_111
; %bb.110:
	v_bcnt_u32_b32 v16, v16, 0
	v_bcnt_u32_b32 v16, v17, v16
	s_waitcnt lgkmcnt(0)
	v_add_u32_e32 v16, v39, v16
	ds_write_b32 v40, v16 offset:32
.LBB165_111:
	s_or_b64 exec, exec, s[44:45]
	v_and_b32_sdwa v18, v28, s53 dst_sel:DWORD dst_unused:UNUSED_PAD src0_sel:BYTE_1 src1_sel:DWORD
	v_and_b32_e32 v17, 1, v18
	v_add_co_u32_e64 v19, s[44:45], -1, v17
	v_addc_co_u32_e64 v66, s[44:45], 0, -1, s[44:45]
	v_cmp_ne_u32_e64 s[44:45], 0, v17
	v_lshlrev_b32_e32 v16, 3, v18
	v_xor_b32_e32 v17, s45, v66
	v_add_lshl_u32 v65, v16, v22, 2
	v_mov_b32_e32 v16, 0
	v_and_b32_e32 v66, exec_hi, v17
	v_lshlrev_b32_e32 v17, 30, v18
	v_xor_b32_e32 v19, s44, v19
	v_cmp_gt_i64_e64 s[44:45], 0, v[16:17]
	v_not_b32_e32 v17, v17
	v_ashrrev_i32_e32 v17, 31, v17
	v_and_b32_e32 v19, exec_lo, v19
	v_xor_b32_e32 v67, s45, v17
	v_xor_b32_e32 v17, s44, v17
	v_and_b32_e32 v19, v19, v17
	v_lshlrev_b32_e32 v17, 29, v18
	v_cmp_gt_i64_e64 s[44:45], 0, v[16:17]
	v_not_b32_e32 v17, v17
	v_ashrrev_i32_e32 v17, 31, v17
	v_and_b32_e32 v66, v66, v67
	v_xor_b32_e32 v67, s45, v17
	v_xor_b32_e32 v17, s44, v17
	v_and_b32_e32 v19, v19, v17
	v_lshlrev_b32_e32 v17, 28, v18
	v_cmp_gt_i64_e64 s[44:45], 0, v[16:17]
	v_not_b32_e32 v17, v17
	v_ashrrev_i32_e32 v17, 31, v17
	v_and_b32_e32 v66, v66, v67
	;; [unrolled: 8-line block ×5, first 2 shown]
	v_xor_b32_e32 v67, s45, v17
	v_xor_b32_e32 v17, s44, v17
	v_and_b32_e32 v66, v66, v67
	v_and_b32_e32 v67, v19, v17
	v_lshlrev_b32_e32 v17, 24, v18
	v_cmp_gt_i64_e64 s[44:45], 0, v[16:17]
	v_not_b32_e32 v17, v17
	v_ashrrev_i32_e32 v17, 31, v17
	v_xor_b32_e32 v18, s45, v17
	v_xor_b32_e32 v17, s44, v17
	; wave barrier
	ds_read_b32 v46, v65 offset:32
	v_and_b32_e32 v19, v66, v18
	v_and_b32_e32 v18, v67, v17
	v_mbcnt_lo_u32_b32 v17, v18, 0
	v_mbcnt_hi_u32_b32 v66, v19, v17
	v_cmp_eq_u32_e64 s[44:45], 0, v66
	v_cmp_ne_u64_e64 s[46:47], 0, v[18:19]
	s_and_b64 s[46:47], s[46:47], s[44:45]
	; wave barrier
	s_and_saveexec_b64 s[44:45], s[46:47]
	s_cbranch_execz .LBB165_113
; %bb.112:
	v_bcnt_u32_b32 v17, v18, 0
	v_bcnt_u32_b32 v17, v19, v17
	s_waitcnt lgkmcnt(0)
	v_add_u32_e32 v17, v46, v17
	ds_write_b32 v65, v17 offset:32
.LBB165_113:
	s_or_b64 exec, exec, s[44:45]
	v_and_b32_sdwa v18, v27, s53 dst_sel:DWORD dst_unused:UNUSED_PAD src0_sel:BYTE_1 src1_sel:DWORD
	v_lshlrev_b32_e32 v17, 3, v18
	v_add_lshl_u32 v68, v17, v22, 2
	v_and_b32_e32 v17, 1, v18
	v_add_co_u32_e64 v19, s[44:45], -1, v17
	v_addc_co_u32_e64 v69, s[44:45], 0, -1, s[44:45]
	v_cmp_ne_u32_e64 s[44:45], 0, v17
	v_xor_b32_e32 v17, s45, v69
	v_and_b32_e32 v69, exec_hi, v17
	v_lshlrev_b32_e32 v17, 30, v18
	v_xor_b32_e32 v19, s44, v19
	v_cmp_gt_i64_e64 s[44:45], 0, v[16:17]
	v_not_b32_e32 v17, v17
	v_ashrrev_i32_e32 v17, 31, v17
	v_and_b32_e32 v19, exec_lo, v19
	v_xor_b32_e32 v70, s45, v17
	v_xor_b32_e32 v17, s44, v17
	v_and_b32_e32 v19, v19, v17
	v_lshlrev_b32_e32 v17, 29, v18
	v_cmp_gt_i64_e64 s[44:45], 0, v[16:17]
	v_not_b32_e32 v17, v17
	v_ashrrev_i32_e32 v17, 31, v17
	v_and_b32_e32 v69, v69, v70
	v_xor_b32_e32 v70, s45, v17
	v_xor_b32_e32 v17, s44, v17
	v_and_b32_e32 v19, v19, v17
	v_lshlrev_b32_e32 v17, 28, v18
	v_cmp_gt_i64_e64 s[44:45], 0, v[16:17]
	v_not_b32_e32 v17, v17
	v_ashrrev_i32_e32 v17, 31, v17
	v_and_b32_e32 v69, v69, v70
	v_xor_b32_e32 v70, s45, v17
	v_xor_b32_e32 v17, s44, v17
	v_and_b32_e32 v19, v19, v17
	v_lshlrev_b32_e32 v17, 27, v18
	v_cmp_gt_i64_e64 s[44:45], 0, v[16:17]
	v_not_b32_e32 v17, v17
	v_ashrrev_i32_e32 v17, 31, v17
	v_and_b32_e32 v69, v69, v70
	v_xor_b32_e32 v70, s45, v17
	v_xor_b32_e32 v17, s44, v17
	v_and_b32_e32 v19, v19, v17
	v_lshlrev_b32_e32 v17, 26, v18
	v_cmp_gt_i64_e64 s[44:45], 0, v[16:17]
	v_not_b32_e32 v17, v17
	v_ashrrev_i32_e32 v17, 31, v17
	v_and_b32_e32 v69, v69, v70
	v_xor_b32_e32 v70, s45, v17
	v_xor_b32_e32 v17, s44, v17
	v_and_b32_e32 v19, v19, v17
	v_lshlrev_b32_e32 v17, 25, v18
	v_cmp_gt_i64_e64 s[44:45], 0, v[16:17]
	v_not_b32_e32 v17, v17
	v_ashrrev_i32_e32 v17, 31, v17
	v_and_b32_e32 v69, v69, v70
	v_xor_b32_e32 v70, s45, v17
	v_xor_b32_e32 v17, s44, v17
	v_and_b32_e32 v19, v19, v17
	v_lshlrev_b32_e32 v17, 24, v18
	v_cmp_gt_i64_e64 s[44:45], 0, v[16:17]
	v_not_b32_e32 v16, v17
	v_ashrrev_i32_e32 v16, 31, v16
	v_xor_b32_e32 v17, s45, v16
	v_xor_b32_e32 v16, s44, v16
	; wave barrier
	ds_read_b32 v67, v68 offset:32
	v_and_b32_e32 v69, v69, v70
	v_and_b32_e32 v16, v19, v16
	;; [unrolled: 1-line block ×3, first 2 shown]
	v_mbcnt_lo_u32_b32 v18, v16, 0
	v_mbcnt_hi_u32_b32 v69, v17, v18
	v_cmp_eq_u32_e64 s[44:45], 0, v69
	v_cmp_ne_u64_e64 s[46:47], 0, v[16:17]
	s_and_b64 s[46:47], s[46:47], s[44:45]
	; wave barrier
	s_and_saveexec_b64 s[44:45], s[46:47]
	s_cbranch_execz .LBB165_115
; %bb.114:
	v_bcnt_u32_b32 v16, v16, 0
	v_bcnt_u32_b32 v16, v17, v16
	s_waitcnt lgkmcnt(0)
	v_add_u32_e32 v16, v67, v16
	ds_write_b32 v68, v16 offset:32
.LBB165_115:
	s_or_b64 exec, exec, s[44:45]
	v_and_b32_sdwa v18, v26, s53 dst_sel:DWORD dst_unused:UNUSED_PAD src0_sel:BYTE_1 src1_sel:DWORD
	v_and_b32_e32 v17, 1, v18
	v_add_co_u32_e64 v19, s[44:45], -1, v17
	v_addc_co_u32_e64 v72, s[44:45], 0, -1, s[44:45]
	v_cmp_ne_u32_e64 s[44:45], 0, v17
	v_lshlrev_b32_e32 v16, 3, v18
	v_xor_b32_e32 v17, s45, v72
	v_add_lshl_u32 v71, v16, v22, 2
	v_mov_b32_e32 v16, 0
	v_and_b32_e32 v72, exec_hi, v17
	v_lshlrev_b32_e32 v17, 30, v18
	v_xor_b32_e32 v19, s44, v19
	v_cmp_gt_i64_e64 s[44:45], 0, v[16:17]
	v_not_b32_e32 v17, v17
	v_ashrrev_i32_e32 v17, 31, v17
	v_and_b32_e32 v19, exec_lo, v19
	v_xor_b32_e32 v73, s45, v17
	v_xor_b32_e32 v17, s44, v17
	v_and_b32_e32 v19, v19, v17
	v_lshlrev_b32_e32 v17, 29, v18
	v_cmp_gt_i64_e64 s[44:45], 0, v[16:17]
	v_not_b32_e32 v17, v17
	v_ashrrev_i32_e32 v17, 31, v17
	v_and_b32_e32 v72, v72, v73
	v_xor_b32_e32 v73, s45, v17
	v_xor_b32_e32 v17, s44, v17
	v_and_b32_e32 v19, v19, v17
	v_lshlrev_b32_e32 v17, 28, v18
	v_cmp_gt_i64_e64 s[44:45], 0, v[16:17]
	v_not_b32_e32 v17, v17
	v_ashrrev_i32_e32 v17, 31, v17
	v_and_b32_e32 v72, v72, v73
	;; [unrolled: 8-line block ×5, first 2 shown]
	v_xor_b32_e32 v73, s45, v17
	v_xor_b32_e32 v17, s44, v17
	v_and_b32_e32 v72, v72, v73
	v_and_b32_e32 v73, v19, v17
	v_lshlrev_b32_e32 v17, 24, v18
	v_cmp_gt_i64_e64 s[44:45], 0, v[16:17]
	v_not_b32_e32 v17, v17
	v_ashrrev_i32_e32 v17, 31, v17
	v_xor_b32_e32 v18, s45, v17
	v_xor_b32_e32 v17, s44, v17
	; wave barrier
	ds_read_b32 v70, v71 offset:32
	v_and_b32_e32 v19, v72, v18
	v_and_b32_e32 v18, v73, v17
	v_mbcnt_lo_u32_b32 v17, v18, 0
	v_mbcnt_hi_u32_b32 v72, v19, v17
	v_cmp_eq_u32_e64 s[44:45], 0, v72
	v_cmp_ne_u64_e64 s[46:47], 0, v[18:19]
	s_and_b64 s[46:47], s[46:47], s[44:45]
	; wave barrier
	s_and_saveexec_b64 s[44:45], s[46:47]
	s_cbranch_execz .LBB165_117
; %bb.116:
	v_bcnt_u32_b32 v17, v18, 0
	v_bcnt_u32_b32 v17, v19, v17
	s_waitcnt lgkmcnt(0)
	v_add_u32_e32 v17, v70, v17
	ds_write_b32 v71, v17 offset:32
.LBB165_117:
	s_or_b64 exec, exec, s[44:45]
	v_and_b32_sdwa v18, v25, s53 dst_sel:DWORD dst_unused:UNUSED_PAD src0_sel:BYTE_1 src1_sel:DWORD
	v_lshlrev_b32_e32 v17, 3, v18
	v_add_lshl_u32 v74, v17, v22, 2
	v_and_b32_e32 v17, 1, v18
	v_add_co_u32_e64 v19, s[44:45], -1, v17
	v_addc_co_u32_e64 v75, s[44:45], 0, -1, s[44:45]
	v_cmp_ne_u32_e64 s[44:45], 0, v17
	v_xor_b32_e32 v17, s45, v75
	v_and_b32_e32 v75, exec_hi, v17
	v_lshlrev_b32_e32 v17, 30, v18
	v_xor_b32_e32 v19, s44, v19
	v_cmp_gt_i64_e64 s[44:45], 0, v[16:17]
	v_not_b32_e32 v17, v17
	v_ashrrev_i32_e32 v17, 31, v17
	v_and_b32_e32 v19, exec_lo, v19
	v_xor_b32_e32 v76, s45, v17
	v_xor_b32_e32 v17, s44, v17
	v_and_b32_e32 v19, v19, v17
	v_lshlrev_b32_e32 v17, 29, v18
	v_cmp_gt_i64_e64 s[44:45], 0, v[16:17]
	v_not_b32_e32 v17, v17
	v_ashrrev_i32_e32 v17, 31, v17
	v_and_b32_e32 v75, v75, v76
	v_xor_b32_e32 v76, s45, v17
	v_xor_b32_e32 v17, s44, v17
	v_and_b32_e32 v19, v19, v17
	v_lshlrev_b32_e32 v17, 28, v18
	v_cmp_gt_i64_e64 s[44:45], 0, v[16:17]
	v_not_b32_e32 v17, v17
	v_ashrrev_i32_e32 v17, 31, v17
	v_and_b32_e32 v75, v75, v76
	;; [unrolled: 8-line block ×5, first 2 shown]
	v_xor_b32_e32 v76, s45, v17
	v_xor_b32_e32 v17, s44, v17
	v_and_b32_e32 v19, v19, v17
	v_lshlrev_b32_e32 v17, 24, v18
	v_cmp_gt_i64_e64 s[44:45], 0, v[16:17]
	v_not_b32_e32 v16, v17
	v_ashrrev_i32_e32 v16, 31, v16
	v_xor_b32_e32 v17, s45, v16
	v_xor_b32_e32 v16, s44, v16
	; wave barrier
	ds_read_b32 v73, v74 offset:32
	v_and_b32_e32 v75, v75, v76
	v_and_b32_e32 v16, v19, v16
	;; [unrolled: 1-line block ×3, first 2 shown]
	v_mbcnt_lo_u32_b32 v18, v16, 0
	v_mbcnt_hi_u32_b32 v75, v17, v18
	v_cmp_eq_u32_e64 s[44:45], 0, v75
	v_cmp_ne_u64_e64 s[46:47], 0, v[16:17]
	s_and_b64 s[46:47], s[46:47], s[44:45]
	; wave barrier
	s_and_saveexec_b64 s[44:45], s[46:47]
	s_cbranch_execz .LBB165_119
; %bb.118:
	v_bcnt_u32_b32 v16, v16, 0
	v_bcnt_u32_b32 v16, v17, v16
	s_waitcnt lgkmcnt(0)
	v_add_u32_e32 v16, v73, v16
	ds_write_b32 v74, v16 offset:32
.LBB165_119:
	s_or_b64 exec, exec, s[44:45]
	v_and_b32_sdwa v18, v20, s53 dst_sel:DWORD dst_unused:UNUSED_PAD src0_sel:BYTE_1 src1_sel:DWORD
	v_and_b32_e32 v17, 1, v18
	v_add_co_u32_e64 v19, s[44:45], -1, v17
	v_addc_co_u32_e64 v77, s[44:45], 0, -1, s[44:45]
	v_cmp_ne_u32_e64 s[44:45], 0, v17
	v_lshlrev_b32_e32 v16, 3, v18
	v_xor_b32_e32 v17, s45, v77
	v_add_lshl_u32 v76, v16, v22, 2
	v_mov_b32_e32 v16, 0
	v_and_b32_e32 v77, exec_hi, v17
	v_lshlrev_b32_e32 v17, 30, v18
	v_xor_b32_e32 v19, s44, v19
	v_cmp_gt_i64_e64 s[44:45], 0, v[16:17]
	v_not_b32_e32 v17, v17
	v_ashrrev_i32_e32 v17, 31, v17
	v_and_b32_e32 v19, exec_lo, v19
	v_xor_b32_e32 v78, s45, v17
	v_xor_b32_e32 v17, s44, v17
	v_and_b32_e32 v19, v19, v17
	v_lshlrev_b32_e32 v17, 29, v18
	v_cmp_gt_i64_e64 s[44:45], 0, v[16:17]
	v_not_b32_e32 v17, v17
	v_ashrrev_i32_e32 v17, 31, v17
	v_and_b32_e32 v77, v77, v78
	v_xor_b32_e32 v78, s45, v17
	v_xor_b32_e32 v17, s44, v17
	v_and_b32_e32 v19, v19, v17
	v_lshlrev_b32_e32 v17, 28, v18
	v_cmp_gt_i64_e64 s[44:45], 0, v[16:17]
	v_not_b32_e32 v17, v17
	v_ashrrev_i32_e32 v17, 31, v17
	v_and_b32_e32 v77, v77, v78
	;; [unrolled: 8-line block ×5, first 2 shown]
	v_xor_b32_e32 v78, s45, v17
	v_xor_b32_e32 v17, s44, v17
	v_and_b32_e32 v19, v19, v17
	v_lshlrev_b32_e32 v17, 24, v18
	v_cmp_gt_i64_e64 s[44:45], 0, v[16:17]
	v_not_b32_e32 v16, v17
	v_ashrrev_i32_e32 v16, 31, v16
	v_xor_b32_e32 v17, s45, v16
	v_xor_b32_e32 v16, s44, v16
	; wave barrier
	ds_read_b32 v22, v76 offset:32
	v_and_b32_e32 v77, v77, v78
	v_and_b32_e32 v16, v19, v16
	;; [unrolled: 1-line block ×3, first 2 shown]
	v_mbcnt_lo_u32_b32 v18, v16, 0
	v_mbcnt_hi_u32_b32 v77, v17, v18
	v_cmp_eq_u32_e64 s[44:45], 0, v77
	v_cmp_ne_u64_e64 s[46:47], 0, v[16:17]
	s_and_b64 s[46:47], s[46:47], s[44:45]
	; wave barrier
	s_and_saveexec_b64 s[44:45], s[46:47]
	s_cbranch_execz .LBB165_121
; %bb.120:
	v_bcnt_u32_b32 v16, v16, 0
	v_bcnt_u32_b32 v16, v17, v16
	s_waitcnt lgkmcnt(0)
	v_add_u32_e32 v16, v22, v16
	ds_write_b32 v76, v16 offset:32
.LBB165_121:
	s_or_b64 exec, exec, s[44:45]
	; wave barrier
	s_waitcnt lgkmcnt(0)
	s_barrier
	ds_read2_b32 v[18:19], v64 offset0:8 offset1:9
	ds_read2_b32 v[16:17], v23 offset0:2 offset1:3
	s_waitcnt lgkmcnt(1)
	v_add_u32_e32 v78, v19, v18
	s_waitcnt lgkmcnt(0)
	v_add3_u32 v17, v78, v16, v17
	s_nop 1
	v_mov_b32_dpp v78, v17 row_shr:1 row_mask:0xf bank_mask:0xf
	v_cndmask_b32_e64 v78, v78, 0, s[24:25]
	v_add_u32_e32 v17, v78, v17
	s_nop 1
	v_mov_b32_dpp v78, v17 row_shr:2 row_mask:0xf bank_mask:0xf
	v_cndmask_b32_e64 v78, 0, v78, s[26:27]
	v_add_u32_e32 v17, v17, v78
	;; [unrolled: 4-line block ×4, first 2 shown]
	s_nop 1
	v_mov_b32_dpp v78, v17 row_bcast:15 row_mask:0xf bank_mask:0xf
	v_cndmask_b32_e64 v78, v78, 0, vcc
	v_add_u32_e32 v17, v17, v78
	s_nop 1
	v_mov_b32_dpp v78, v17 row_bcast:31 row_mask:0xf bank_mask:0xf
	v_cndmask_b32_e64 v78, 0, v78, s[36:37]
	v_add_u32_e32 v17, v17, v78
	s_and_saveexec_b64 s[24:25], s[16:17]
	s_cbranch_execz .LBB165_123
; %bb.122:
	ds_write_b32 v24, v17
.LBB165_123:
	s_or_b64 exec, exec, s[24:25]
	s_waitcnt lgkmcnt(0)
	s_barrier
	s_and_saveexec_b64 s[16:17], s[28:29]
	s_cbranch_execz .LBB165_125
; %bb.124:
	ds_read_b32 v24, v21
	s_waitcnt lgkmcnt(0)
	s_nop 0
	v_mov_b32_dpp v78, v24 row_shr:1 row_mask:0xf bank_mask:0xf
	v_cndmask_b32_e64 v78, v78, 0, s[22:23]
	v_add_u32_e32 v24, v78, v24
	s_nop 1
	v_mov_b32_dpp v78, v24 row_shr:2 row_mask:0xf bank_mask:0xf
	v_cndmask_b32_e64 v78, 0, v78, s[20:21]
	v_add_u32_e32 v24, v24, v78
	;; [unrolled: 4-line block ×3, first 2 shown]
	ds_write_b32 v21, v24
.LBB165_125:
	s_or_b64 exec, exec, s[16:17]
	v_mov_b32_e32 v21, 0
	s_waitcnt lgkmcnt(0)
	s_barrier
	s_and_saveexec_b64 s[16:17], s[38:39]
	s_cbranch_execz .LBB165_127
; %bb.126:
	ds_read_b32 v21, v33
.LBB165_127:
	s_or_b64 exec, exec, s[16:17]
	s_waitcnt lgkmcnt(0)
	v_add_u32_e32 v17, v21, v17
	ds_bpermute_b32 v17, v34, v17
	v_lshlrev_b32_e32 v34, 3, v62
	s_waitcnt lgkmcnt(0)
	v_cndmask_b32_e64 v17, v17, v21, s[40:41]
	v_cndmask_b32_e64 v17, v17, 0, s[42:43]
	v_add_u32_e32 v18, v17, v18
	v_add_u32_e32 v19, v18, v19
	;; [unrolled: 1-line block ×3, first 2 shown]
	ds_write2_b32 v64, v17, v18 offset0:8 offset1:9
	ds_write2_b32 v23, v19, v16 offset0:2 offset1:3
	s_waitcnt lgkmcnt(0)
	s_barrier
	ds_read_b32 v16, v76 offset:32
	ds_read_b32 v17, v74 offset:32
	;; [unrolled: 1-line block ×4, first 2 shown]
	s_waitcnt lgkmcnt(3)
	v_add3_u32 v16, v77, v22, v16
	ds_read_b32 v21, v65 offset:32
	ds_read_b32 v22, v40 offset:32
	;; [unrolled: 1-line block ×4, first 2 shown]
	s_waitcnt lgkmcnt(0)
	s_barrier
	v_add3_u32 v22, v41, v39, v22
	v_add3_u32 v23, v38, v36, v23
	v_add_u32_e32 v24, v24, v35
	v_lshlrev_b32_e32 v32, 1, v24
	ds_write_b16 v32, v31
	v_lshlrev_b32_e32 v31, 1, v23
	v_add3_u32 v21, v66, v46, v21
	ds_write_b16 v31, v30
	v_lshlrev_b32_e32 v30, 1, v22
	v_add3_u32 v19, v69, v67, v19
	;; [unrolled: 3-line block ×4, first 2 shown]
	ds_write_b16 v28, v27
	v_lshlrev_b32_e32 v27, 1, v18
	ds_write_b16 v27, v26
	v_lshlrev_b32_e32 v26, 1, v17
	;; [unrolled: 2-line block ×4, first 2 shown]
	v_lshlrev_b32_e32 v24, 3, v24
	v_lshlrev_b32_e32 v23, 3, v23
	;; [unrolled: 1-line block ×7, first 2 shown]
	s_waitcnt lgkmcnt(0)
	s_barrier
	v_lshlrev_b32_e32 v21, 3, v21
	ds_read_b128 v[16:19], v20
	s_waitcnt lgkmcnt(0)
	s_barrier
	ds_write_b64 v24, v[12:13]
	ds_write_b64 v23, v[14:15]
	;; [unrolled: 1-line block ×8, first 2 shown]
	s_waitcnt lgkmcnt(0)
	s_barrier
	ds_read2_b64 v[22:25], v34 offset1:1
	ds_read2_b64 v[26:29], v34 offset0:2 offset1:3
	ds_read2_b64 v[30:33], v34 offset0:4 offset1:5
	;; [unrolled: 1-line block ×3, first 2 shown]
	v_xor_b32_e32 v38, 0x7fff7fff, v16
	v_xor_b32_e32 v39, 0x7fff7fff, v17
	;; [unrolled: 1-line block ×4, first 2 shown]
.LBB165_128:
	s_waitcnt lgkmcnt(0)
	s_barrier
	ds_write_b128 v54, v[38:41]
	s_waitcnt lgkmcnt(0)
	s_barrier
	ds_read_u16 v8, v43 offset:1024
	ds_read_u16 v7, v48 offset:2048
	;; [unrolled: 1-line block ×7, first 2 shown]
	v_mov_b32_e32 v43, 0
	v_lshlrev_b64 v[0:1], 1, v[42:43]
	v_mov_b32_e32 v9, s48
	v_add_co_u32_e32 v0, vcc, s33, v0
	v_addc_co_u32_e32 v1, vcc, v9, v1, vcc
	s_and_saveexec_b64 s[16:17], s[0:1]
	s_cbranch_execnz .LBB165_147
; %bb.129:
	s_or_b64 exec, exec, s[16:17]
	s_and_saveexec_b64 s[16:17], s[2:3]
	s_cbranch_execnz .LBB165_148
.LBB165_130:
	s_or_b64 exec, exec, s[16:17]
	s_and_saveexec_b64 s[16:17], s[4:5]
	s_cbranch_execnz .LBB165_149
.LBB165_131:
	s_or_b64 exec, exec, s[16:17]
	s_and_saveexec_b64 s[16:17], s[6:7]
	s_cbranch_execnz .LBB165_150
.LBB165_132:
	s_or_b64 exec, exec, s[16:17]
	s_and_saveexec_b64 s[16:17], s[8:9]
	s_cbranch_execnz .LBB165_151
.LBB165_133:
	s_or_b64 exec, exec, s[16:17]
	s_and_saveexec_b64 s[16:17], s[10:11]
	s_cbranch_execnz .LBB165_152
.LBB165_134:
	s_or_b64 exec, exec, s[16:17]
	s_and_saveexec_b64 s[16:17], s[12:13]
	s_cbranch_execnz .LBB165_153
.LBB165_135:
	s_or_b64 exec, exec, s[16:17]
	s_and_saveexec_b64 s[16:17], s[14:15]
	s_cbranch_execz .LBB165_137
.LBB165_136:
	s_mul_i32 s18, s50, 0xe00
	s_mov_b32 s19, 0
	s_lshl_b64 s[18:19], s[18:19], 1
	s_waitcnt lgkmcnt(1)
	v_mov_b32_e32 v3, s19
	v_add_co_u32_e32 v0, vcc, s18, v0
	v_addc_co_u32_e32 v1, vcc, v1, v3, vcc
	s_waitcnt lgkmcnt(0)
	global_store_short v[0:1], v2, off
.LBB165_137:
	s_or_b64 exec, exec, s[16:17]
	s_waitcnt lgkmcnt(0)
	s_barrier
	ds_write2_b64 v63, v[22:23], v[24:25] offset1:1
	ds_write2_b64 v63, v[26:27], v[28:29] offset0:2 offset1:3
	ds_write2_b64 v63, v[30:31], v[32:33] offset0:4 offset1:5
	;; [unrolled: 1-line block ×3, first 2 shown]
	s_waitcnt lgkmcnt(0)
	s_barrier
	ds_read_b64 v[14:15], v45 offset:4096
	ds_read_b64 v[12:13], v56 offset:8192
	;; [unrolled: 1-line block ×7, first 2 shown]
	v_mov_b32_e32 v45, 0
	v_lshlrev_b64 v[2:3], 3, v[44:45]
	v_mov_b32_e32 v16, s51
	v_add_co_u32_e32 v2, vcc, s49, v2
	v_addc_co_u32_e32 v3, vcc, v16, v3, vcc
	s_and_saveexec_b64 s[16:17], s[0:1]
	s_cbranch_execnz .LBB165_154
; %bb.138:
	s_or_b64 exec, exec, s[16:17]
	s_and_saveexec_b64 s[0:1], s[2:3]
	s_cbranch_execnz .LBB165_155
.LBB165_139:
	s_or_b64 exec, exec, s[0:1]
	s_and_saveexec_b64 s[0:1], s[4:5]
	s_cbranch_execnz .LBB165_156
.LBB165_140:
	s_or_b64 exec, exec, s[0:1]
	s_and_saveexec_b64 s[0:1], s[6:7]
	s_cbranch_execnz .LBB165_157
.LBB165_141:
	s_or_b64 exec, exec, s[0:1]
	s_and_saveexec_b64 s[0:1], s[8:9]
	s_cbranch_execnz .LBB165_158
.LBB165_142:
	s_or_b64 exec, exec, s[0:1]
	s_and_saveexec_b64 s[0:1], s[10:11]
	s_cbranch_execnz .LBB165_159
.LBB165_143:
	s_or_b64 exec, exec, s[0:1]
	s_and_saveexec_b64 s[0:1], s[12:13]
	s_cbranch_execnz .LBB165_160
.LBB165_144:
	s_or_b64 exec, exec, s[0:1]
	s_and_saveexec_b64 s[0:1], s[14:15]
	s_cbranch_execz .LBB165_146
.LBB165_145:
	s_mul_i32 s0, s52, 0xe00
	s_mov_b32 s1, 0
	s_lshl_b64 s[0:1], s[0:1], 3
	s_waitcnt lgkmcnt(1)
	v_mov_b32_e32 v4, s1
	v_add_co_u32_e32 v2, vcc, s0, v2
	v_addc_co_u32_e32 v3, vcc, v3, v4, vcc
	s_waitcnt lgkmcnt(0)
	global_store_dwordx2 v[2:3], v[0:1], off
.LBB165_146:
	s_endpgm
.LBB165_147:
	ds_read_u16 v9, v47
	s_waitcnt lgkmcnt(0)
	global_store_short v[0:1], v9, off
	s_or_b64 exec, exec, s[16:17]
	s_and_saveexec_b64 s[16:17], s[2:3]
	s_cbranch_execz .LBB165_130
.LBB165_148:
	s_lshl_b32 s18, s50, 9
	s_mov_b32 s19, 0
	s_lshl_b64 s[18:19], s[18:19], 1
	v_mov_b32_e32 v9, s19
	v_add_co_u32_e32 v10, vcc, s18, v0
	v_addc_co_u32_e32 v11, vcc, v1, v9, vcc
	s_waitcnt lgkmcnt(6)
	global_store_short v[10:11], v8, off
	s_or_b64 exec, exec, s[16:17]
	s_and_saveexec_b64 s[16:17], s[4:5]
	s_cbranch_execz .LBB165_131
.LBB165_149:
	s_lshl_b32 s18, s50, 10
	s_mov_b32 s19, 0
	s_lshl_b64 s[18:19], s[18:19], 1
	v_mov_b32_e32 v9, s19
	s_waitcnt lgkmcnt(6)
	v_add_co_u32_e32 v8, vcc, s18, v0
	v_addc_co_u32_e32 v9, vcc, v1, v9, vcc
	s_waitcnt lgkmcnt(5)
	global_store_short v[8:9], v7, off
	s_or_b64 exec, exec, s[16:17]
	s_and_saveexec_b64 s[16:17], s[6:7]
	s_cbranch_execz .LBB165_132
.LBB165_150:
	s_mul_i32 s18, s50, 0x600
	s_mov_b32 s19, 0
	s_lshl_b64 s[18:19], s[18:19], 1
	s_waitcnt lgkmcnt(5)
	v_mov_b32_e32 v7, s19
	v_add_co_u32_e32 v8, vcc, s18, v0
	v_addc_co_u32_e32 v9, vcc, v1, v7, vcc
	s_waitcnt lgkmcnt(4)
	global_store_short v[8:9], v6, off
	s_or_b64 exec, exec, s[16:17]
	s_and_saveexec_b64 s[16:17], s[8:9]
	s_cbranch_execz .LBB165_133
.LBB165_151:
	s_lshl_b32 s18, s50, 11
	s_mov_b32 s19, 0
	s_lshl_b64 s[18:19], s[18:19], 1
	s_waitcnt lgkmcnt(5)
	v_mov_b32_e32 v7, s19
	s_waitcnt lgkmcnt(4)
	v_add_co_u32_e32 v6, vcc, s18, v0
	v_addc_co_u32_e32 v7, vcc, v1, v7, vcc
	s_waitcnt lgkmcnt(3)
	global_store_short v[6:7], v5, off
	s_or_b64 exec, exec, s[16:17]
	s_and_saveexec_b64 s[16:17], s[10:11]
	s_cbranch_execz .LBB165_134
.LBB165_152:
	s_mul_i32 s18, s50, 0xa00
	s_mov_b32 s19, 0
	s_lshl_b64 s[18:19], s[18:19], 1
	s_waitcnt lgkmcnt(3)
	v_mov_b32_e32 v5, s19
	v_add_co_u32_e32 v6, vcc, s18, v0
	v_addc_co_u32_e32 v7, vcc, v1, v5, vcc
	s_waitcnt lgkmcnt(2)
	global_store_short v[6:7], v4, off
	s_or_b64 exec, exec, s[16:17]
	s_and_saveexec_b64 s[16:17], s[12:13]
	s_cbranch_execz .LBB165_135
.LBB165_153:
	s_mul_i32 s18, s50, 0xc00
	s_mov_b32 s19, 0
	s_lshl_b64 s[18:19], s[18:19], 1
	s_waitcnt lgkmcnt(3)
	v_mov_b32_e32 v5, s19
	s_waitcnt lgkmcnt(2)
	v_add_co_u32_e32 v4, vcc, s18, v0
	v_addc_co_u32_e32 v5, vcc, v1, v5, vcc
	s_waitcnt lgkmcnt(1)
	global_store_short v[4:5], v3, off
	s_or_b64 exec, exec, s[16:17]
	s_and_saveexec_b64 s[16:17], s[14:15]
	s_cbranch_execnz .LBB165_136
	s_branch .LBB165_137
.LBB165_154:
	ds_read_b64 v[16:17], v55
	s_waitcnt lgkmcnt(0)
	global_store_dwordx2 v[2:3], v[16:17], off
	s_or_b64 exec, exec, s[16:17]
	s_and_saveexec_b64 s[0:1], s[2:3]
	s_cbranch_execz .LBB165_139
.LBB165_155:
	s_lshl_b32 s2, s52, 9
	s_mov_b32 s3, 0
	s_lshl_b64 s[2:3], s[2:3], 3
	v_mov_b32_e32 v17, s3
	v_add_co_u32_e32 v16, vcc, s2, v2
	v_addc_co_u32_e32 v17, vcc, v3, v17, vcc
	s_waitcnt lgkmcnt(6)
	global_store_dwordx2 v[16:17], v[14:15], off
	s_or_b64 exec, exec, s[0:1]
	s_and_saveexec_b64 s[0:1], s[4:5]
	s_cbranch_execz .LBB165_140
.LBB165_156:
	s_lshl_b32 s2, s52, 10
	s_mov_b32 s3, 0
	s_lshl_b64 s[2:3], s[2:3], 3
	s_waitcnt lgkmcnt(6)
	v_mov_b32_e32 v15, s3
	v_add_co_u32_e32 v14, vcc, s2, v2
	v_addc_co_u32_e32 v15, vcc, v3, v15, vcc
	s_waitcnt lgkmcnt(5)
	global_store_dwordx2 v[14:15], v[12:13], off
	s_or_b64 exec, exec, s[0:1]
	s_and_saveexec_b64 s[0:1], s[6:7]
	s_cbranch_execz .LBB165_141
.LBB165_157:
	s_mul_i32 s2, s52, 0x600
	s_mov_b32 s3, 0
	s_lshl_b64 s[2:3], s[2:3], 3
	s_waitcnt lgkmcnt(5)
	v_mov_b32_e32 v13, s3
	v_add_co_u32_e32 v12, vcc, s2, v2
	v_addc_co_u32_e32 v13, vcc, v3, v13, vcc
	s_waitcnt lgkmcnt(4)
	global_store_dwordx2 v[12:13], v[10:11], off
	s_or_b64 exec, exec, s[0:1]
	s_and_saveexec_b64 s[0:1], s[8:9]
	s_cbranch_execz .LBB165_142
.LBB165_158:
	s_lshl_b32 s2, s52, 11
	s_mov_b32 s3, 0
	s_lshl_b64 s[2:3], s[2:3], 3
	s_waitcnt lgkmcnt(4)
	v_mov_b32_e32 v11, s3
	v_add_co_u32_e32 v10, vcc, s2, v2
	v_addc_co_u32_e32 v11, vcc, v3, v11, vcc
	s_waitcnt lgkmcnt(3)
	global_store_dwordx2 v[10:11], v[8:9], off
	s_or_b64 exec, exec, s[0:1]
	s_and_saveexec_b64 s[0:1], s[10:11]
	s_cbranch_execz .LBB165_143
.LBB165_159:
	s_mul_i32 s2, s52, 0xa00
	s_mov_b32 s3, 0
	s_lshl_b64 s[2:3], s[2:3], 3
	s_waitcnt lgkmcnt(3)
	v_mov_b32_e32 v9, s3
	v_add_co_u32_e32 v8, vcc, s2, v2
	v_addc_co_u32_e32 v9, vcc, v3, v9, vcc
	s_waitcnt lgkmcnt(2)
	global_store_dwordx2 v[8:9], v[6:7], off
	s_or_b64 exec, exec, s[0:1]
	s_and_saveexec_b64 s[0:1], s[12:13]
	s_cbranch_execz .LBB165_144
.LBB165_160:
	s_mul_i32 s2, s52, 0xc00
	s_mov_b32 s3, 0
	s_lshl_b64 s[2:3], s[2:3], 3
	s_waitcnt lgkmcnt(2)
	v_mov_b32_e32 v7, s3
	v_add_co_u32_e32 v6, vcc, s2, v2
	v_addc_co_u32_e32 v7, vcc, v3, v7, vcc
	s_waitcnt lgkmcnt(1)
	global_store_dwordx2 v[6:7], v[4:5], off
	s_or_b64 exec, exec, s[0:1]
	s_and_saveexec_b64 s[0:1], s[14:15]
	s_cbranch_execnz .LBB165_145
	s_branch .LBB165_146
	.section	.rodata,"a",@progbits
	.p2align	6, 0x0
	.amdhsa_kernel _ZN2at6native18radixSortKVInPlaceILi2ELin1ELi512ELi8EsljEEvNS_4cuda6detail10TensorInfoIT3_T5_EES6_S6_S6_NS4_IT4_S6_EES6_b
		.amdhsa_group_segment_fixed_size 33792
		.amdhsa_private_segment_fixed_size 0
		.amdhsa_kernarg_size 712
		.amdhsa_user_sgpr_count 6
		.amdhsa_user_sgpr_private_segment_buffer 1
		.amdhsa_user_sgpr_dispatch_ptr 0
		.amdhsa_user_sgpr_queue_ptr 0
		.amdhsa_user_sgpr_kernarg_segment_ptr 1
		.amdhsa_user_sgpr_dispatch_id 0
		.amdhsa_user_sgpr_flat_scratch_init 0
		.amdhsa_user_sgpr_kernarg_preload_length 0
		.amdhsa_user_sgpr_kernarg_preload_offset 0
		.amdhsa_user_sgpr_private_segment_size 0
		.amdhsa_uses_dynamic_stack 0
		.amdhsa_system_sgpr_private_segment_wavefront_offset 0
		.amdhsa_system_sgpr_workgroup_id_x 1
		.amdhsa_system_sgpr_workgroup_id_y 1
		.amdhsa_system_sgpr_workgroup_id_z 1
		.amdhsa_system_sgpr_workgroup_info 0
		.amdhsa_system_vgpr_workitem_id 2
		.amdhsa_next_free_vgpr 113
		.amdhsa_next_free_sgpr 56
		.amdhsa_accum_offset 116
		.amdhsa_reserve_vcc 1
		.amdhsa_reserve_flat_scratch 0
		.amdhsa_float_round_mode_32 0
		.amdhsa_float_round_mode_16_64 0
		.amdhsa_float_denorm_mode_32 3
		.amdhsa_float_denorm_mode_16_64 3
		.amdhsa_dx10_clamp 1
		.amdhsa_ieee_mode 1
		.amdhsa_fp16_overflow 0
		.amdhsa_tg_split 0
		.amdhsa_exception_fp_ieee_invalid_op 0
		.amdhsa_exception_fp_denorm_src 0
		.amdhsa_exception_fp_ieee_div_zero 0
		.amdhsa_exception_fp_ieee_overflow 0
		.amdhsa_exception_fp_ieee_underflow 0
		.amdhsa_exception_fp_ieee_inexact 0
		.amdhsa_exception_int_div_zero 0
	.end_amdhsa_kernel
	.section	.text._ZN2at6native18radixSortKVInPlaceILi2ELin1ELi512ELi8EsljEEvNS_4cuda6detail10TensorInfoIT3_T5_EES6_S6_S6_NS4_IT4_S6_EES6_b,"axG",@progbits,_ZN2at6native18radixSortKVInPlaceILi2ELin1ELi512ELi8EsljEEvNS_4cuda6detail10TensorInfoIT3_T5_EES6_S6_S6_NS4_IT4_S6_EES6_b,comdat
.Lfunc_end165:
	.size	_ZN2at6native18radixSortKVInPlaceILi2ELin1ELi512ELi8EsljEEvNS_4cuda6detail10TensorInfoIT3_T5_EES6_S6_S6_NS4_IT4_S6_EES6_b, .Lfunc_end165-_ZN2at6native18radixSortKVInPlaceILi2ELin1ELi512ELi8EsljEEvNS_4cuda6detail10TensorInfoIT3_T5_EES6_S6_S6_NS4_IT4_S6_EES6_b
                                        ; -- End function
	.section	.AMDGPU.csdata,"",@progbits
; Kernel info:
; codeLenInByte = 20732
; NumSgprs: 60
; NumVgprs: 113
; NumAgprs: 0
; TotalNumVgprs: 113
; ScratchSize: 0
; MemoryBound: 0
; FloatMode: 240
; IeeeMode: 1
; LDSByteSize: 33792 bytes/workgroup (compile time only)
; SGPRBlocks: 7
; VGPRBlocks: 14
; NumSGPRsForWavesPerEU: 60
; NumVGPRsForWavesPerEU: 113
; AccumOffset: 116
; Occupancy: 2
; WaveLimiterHint : 1
; COMPUTE_PGM_RSRC2:SCRATCH_EN: 0
; COMPUTE_PGM_RSRC2:USER_SGPR: 6
; COMPUTE_PGM_RSRC2:TRAP_HANDLER: 0
; COMPUTE_PGM_RSRC2:TGID_X_EN: 1
; COMPUTE_PGM_RSRC2:TGID_Y_EN: 1
; COMPUTE_PGM_RSRC2:TGID_Z_EN: 1
; COMPUTE_PGM_RSRC2:TIDIG_COMP_CNT: 2
; COMPUTE_PGM_RSRC3_GFX90A:ACCUM_OFFSET: 28
; COMPUTE_PGM_RSRC3_GFX90A:TG_SPLIT: 0
	.section	.text._ZN2at6native18radixSortKVInPlaceILi2ELin1ELi256ELi8EsljEEvNS_4cuda6detail10TensorInfoIT3_T5_EES6_S6_S6_NS4_IT4_S6_EES6_b,"axG",@progbits,_ZN2at6native18radixSortKVInPlaceILi2ELin1ELi256ELi8EsljEEvNS_4cuda6detail10TensorInfoIT3_T5_EES6_S6_S6_NS4_IT4_S6_EES6_b,comdat
	.protected	_ZN2at6native18radixSortKVInPlaceILi2ELin1ELi256ELi8EsljEEvNS_4cuda6detail10TensorInfoIT3_T5_EES6_S6_S6_NS4_IT4_S6_EES6_b ; -- Begin function _ZN2at6native18radixSortKVInPlaceILi2ELin1ELi256ELi8EsljEEvNS_4cuda6detail10TensorInfoIT3_T5_EES6_S6_S6_NS4_IT4_S6_EES6_b
	.globl	_ZN2at6native18radixSortKVInPlaceILi2ELin1ELi256ELi8EsljEEvNS_4cuda6detail10TensorInfoIT3_T5_EES6_S6_S6_NS4_IT4_S6_EES6_b
	.p2align	8
	.type	_ZN2at6native18radixSortKVInPlaceILi2ELin1ELi256ELi8EsljEEvNS_4cuda6detail10TensorInfoIT3_T5_EES6_S6_S6_NS4_IT4_S6_EES6_b,@function
_ZN2at6native18radixSortKVInPlaceILi2ELin1ELi256ELi8EsljEEvNS_4cuda6detail10TensorInfoIT3_T5_EES6_S6_S6_NS4_IT4_S6_EES6_b: ; @_ZN2at6native18radixSortKVInPlaceILi2ELin1ELi256ELi8EsljEEvNS_4cuda6detail10TensorInfoIT3_T5_EES6_S6_S6_NS4_IT4_S6_EES6_b
; %bb.0:
	s_load_dwordx2 s[0:1], s[4:5], 0x1c8
	s_load_dwordx4 s[44:47], s[4:5], 0xd8
	s_add_u32 s50, s4, 0x1c8
	s_addc_u32 s51, s5, 0
	s_waitcnt lgkmcnt(0)
	s_mul_i32 s1, s1, s8
	s_add_i32 s1, s1, s7
	s_mul_i32 s8, s1, s0
	s_add_i32 s8, s8, s6
	s_cmp_ge_u32 s8, s44
	s_cbranch_scc1 .LBB166_146
; %bb.1:
	s_load_dword s9, s[4:5], 0xc
	s_load_dwordx2 s[0:1], s[4:5], 0x6c
	s_load_dword s6, s[4:5], 0x1b8
	s_add_u32 s14, s4, 0xe8
	s_load_dwordx2 s[2:3], s[4:5], 0x0
	s_waitcnt lgkmcnt(0)
	v_cvt_f32_u32_e32 v1, s9
	s_addc_u32 s15, s5, 0
	s_sub_i32 s7, 0, s9
	s_mov_b32 s17, 0
	v_rcp_iflag_f32_e32 v1, v1
	s_mov_b32 s16, s8
	v_mul_f32_e32 v1, 0x4f7ffffe, v1
	v_cvt_u32_f32_e32 v1, v1
	v_readfirstlane_b32 s10, v1
	s_mul_i32 s7, s7, s10
	s_mul_hi_u32 s7, s10, s7
	s_add_i32 s10, s10, s7
	s_mul_hi_u32 s10, s8, s10
	s_cmp_lt_i32 s6, 2
	s_cbranch_scc1 .LBB166_4
; %bb.2:
	s_add_i32 s16, s6, -1
	s_add_i32 s11, s6, 1
	s_lshl_b64 s[6:7], s[16:17], 2
	s_add_u32 s6, s6, s14
	s_addc_u32 s7, s7, s15
	s_add_u32 s6, s6, 8
	s_addc_u32 s7, s7, 0
	s_mov_b32 s16, s8
.LBB166_3:                              ; =>This Inner Loop Header: Depth=1
	s_load_dword s12, s[6:7], 0x0
	s_load_dword s18, s[6:7], 0x64
	s_mov_b32 s13, s16
	s_waitcnt lgkmcnt(0)
	v_cvt_f32_u32_e32 v1, s12
	s_sub_i32 s16, 0, s12
	v_rcp_iflag_f32_e32 v1, v1
	v_mul_f32_e32 v1, 0x4f7ffffe, v1
	v_cvt_u32_f32_e32 v1, v1
	v_readfirstlane_b32 s19, v1
	s_mul_i32 s16, s16, s19
	s_mul_hi_u32 s16, s19, s16
	s_add_i32 s19, s19, s16
	s_mul_hi_u32 s16, s13, s19
	s_mul_i32 s19, s16, s12
	s_sub_i32 s19, s13, s19
	s_add_i32 s20, s16, 1
	s_sub_i32 s21, s19, s12
	s_cmp_ge_u32 s19, s12
	s_cselect_b32 s16, s20, s16
	s_cselect_b32 s19, s21, s19
	s_add_i32 s20, s16, 1
	s_cmp_ge_u32 s19, s12
	s_cselect_b32 s16, s20, s16
	s_mul_i32 s12, s16, s12
	s_sub_i32 s12, s13, s12
	s_mul_i32 s12, s18, s12
	s_add_i32 s11, s11, -1
	s_add_i32 s17, s12, s17
	s_add_u32 s6, s6, -4
	s_addc_u32 s7, s7, -1
	s_cmp_gt_u32 s11, 2
	s_cbranch_scc1 .LBB166_3
.LBB166_4:
	s_mul_i32 s6, s10, s9
	s_sub_i32 s6, s8, s6
	s_add_i32 s7, s10, 1
	s_sub_i32 s11, s6, s9
	s_cmp_ge_u32 s6, s9
	s_cselect_b32 s7, s7, s10
	s_cselect_b32 s6, s11, s6
	s_add_i32 s10, s7, 1
	s_cmp_ge_u32 s6, s9
	s_cselect_b32 s6, s10, s7
	s_load_dwordx2 s[48:49], s[4:5], 0x1c0
	s_mul_i32 s7, s6, s9
	s_sub_i32 s4, s8, s7
	s_mul_i32 s4, s4, s1
	s_mul_i32 s0, s6, s0
	s_add_i32 s0, s0, s4
	s_waitcnt lgkmcnt(0)
	s_bitcmp1_b32 s49, 0
	s_cselect_b64 s[34:35], -1, 0
	s_mov_b32 s1, 0x8000
	s_and_b64 s[4:5], s[34:35], exec
	s_cselect_b32 s8, s1, 0x7fff
	s_mov_b32 s1, 0
	s_pack_ll_b32_b16 s4, s8, s8
	s_lshl_b64 s[0:1], s[0:1], 1
	s_mov_b32 s5, s4
	s_add_u32 s33, s2, s0
	v_and_b32_e32 v46, 0x3ff, v0
	s_mov_b32 s6, s4
	s_mov_b32 s7, s4
	v_pk_mov_b32 v[2:3], s[4:5], s[4:5] op_sel:[0,1]
	s_addc_u32 s47, s3, s1
	v_cmp_gt_u32_e64 s[0:1], s45, v46
	v_pk_mov_b32 v[4:5], s[6:7], s[6:7] op_sel:[0,1]
	v_mov_b32_e32 v6, s8
	v_mul_lo_u32 v42, v46, s46
	s_and_saveexec_b64 s[2:3], s[0:1]
	s_cbranch_execz .LBB166_6
; %bb.5:
	v_mov_b32_e32 v43, 0
	v_lshlrev_b64 v[2:3], 1, v[42:43]
	v_mov_b32_e32 v1, s47
	v_add_co_u32_e32 v2, vcc, s33, v2
	v_addc_co_u32_e32 v3, vcc, v1, v3, vcc
	global_load_ushort v6, v[2:3], off
	s_mov_b32 s5, 0xffff
	v_mov_b32_e32 v1, s4
	v_mov_b32_e32 v3, s4
	v_mov_b32_e32 v4, s4
	v_mov_b32_e32 v5, s4
	s_waitcnt vmcnt(0)
	v_bfi_b32 v2, s5, v6, v1
.LBB166_6:
	s_or_b64 exec, exec, s[2:3]
	v_add_u32_e32 v1, 0x100, v46
	v_cmp_gt_u32_e64 s[2:3], s45, v1
	s_and_saveexec_b64 s[4:5], s[2:3]
	s_cbranch_execz .LBB166_8
; %bb.7:
	v_mul_lo_u32 v8, v1, s46
	v_mov_b32_e32 v9, 0
	v_lshlrev_b64 v[8:9], 1, v[8:9]
	v_mov_b32_e32 v7, s47
	v_add_co_u32_e32 v8, vcc, s33, v8
	v_addc_co_u32_e32 v9, vcc, v7, v9, vcc
	global_load_ushort v7, v[8:9], off
	s_mov_b32 s6, 0x5040100
	s_waitcnt vmcnt(0)
	v_perm_b32 v2, v7, v2, s6
.LBB166_8:
	s_or_b64 exec, exec, s[4:5]
	v_add_u32_e32 v22, 0x200, v46
	v_cmp_gt_u32_e64 s[4:5], s45, v22
	s_and_saveexec_b64 s[6:7], s[4:5]
	s_cbranch_execz .LBB166_10
; %bb.9:
	v_mul_lo_u32 v8, v22, s46
	v_mov_b32_e32 v9, 0
	v_lshlrev_b64 v[8:9], 1, v[8:9]
	v_mov_b32_e32 v7, s47
	v_add_co_u32_e32 v8, vcc, s33, v8
	v_addc_co_u32_e32 v9, vcc, v7, v9, vcc
	global_load_ushort v7, v[8:9], off
	s_mov_b32 s8, 0xffff
	s_waitcnt vmcnt(0)
	v_bfi_b32 v3, s8, v7, v3
.LBB166_10:
	s_or_b64 exec, exec, s[6:7]
	v_add_u32_e32 v23, 0x300, v46
	v_cmp_gt_u32_e64 s[6:7], s45, v23
	s_and_saveexec_b64 s[8:9], s[6:7]
	s_cbranch_execz .LBB166_12
; %bb.11:
	v_mul_lo_u32 v8, v23, s46
	v_mov_b32_e32 v9, 0
	v_lshlrev_b64 v[8:9], 1, v[8:9]
	v_mov_b32_e32 v7, s47
	v_add_co_u32_e32 v8, vcc, s33, v8
	v_addc_co_u32_e32 v9, vcc, v7, v9, vcc
	global_load_ushort v7, v[8:9], off
	s_mov_b32 s10, 0x5040100
	s_waitcnt vmcnt(0)
	v_perm_b32 v3, v7, v3, s10
.LBB166_12:
	s_or_b64 exec, exec, s[8:9]
	v_or_b32_e32 v24, 0x400, v46
	v_cmp_gt_u32_e64 s[8:9], s45, v24
	s_and_saveexec_b64 s[10:11], s[8:9]
	s_cbranch_execz .LBB166_14
; %bb.13:
	v_mul_lo_u32 v8, v24, s46
	v_mov_b32_e32 v9, 0
	v_lshlrev_b64 v[8:9], 1, v[8:9]
	v_mov_b32_e32 v7, s47
	v_add_co_u32_e32 v8, vcc, s33, v8
	v_addc_co_u32_e32 v9, vcc, v7, v9, vcc
	global_load_ushort v7, v[8:9], off
	s_mov_b32 s12, 0xffff
	s_waitcnt vmcnt(0)
	v_bfi_b32 v4, s12, v7, v4
.LBB166_14:
	s_or_b64 exec, exec, s[10:11]
	v_add_u32_e32 v25, 0x500, v46
	v_cmp_gt_u32_e64 s[10:11], s45, v25
	s_and_saveexec_b64 s[12:13], s[10:11]
	s_cbranch_execz .LBB166_16
; %bb.15:
	v_mul_lo_u32 v8, v25, s46
	v_mov_b32_e32 v9, 0
	v_lshlrev_b64 v[8:9], 1, v[8:9]
	v_mov_b32_e32 v7, s47
	v_add_co_u32_e32 v8, vcc, s33, v8
	v_addc_co_u32_e32 v9, vcc, v7, v9, vcc
	global_load_ushort v7, v[8:9], off
	s_mov_b32 s18, 0x5040100
	s_waitcnt vmcnt(0)
	v_perm_b32 v4, v7, v4, s18
.LBB166_16:
	s_or_b64 exec, exec, s[12:13]
	s_load_dwordx2 s[18:19], s[14:15], 0x0
	v_add_u32_e32 v26, 0x600, v46
	v_cmp_gt_u32_e64 s[12:13], s45, v26
	s_and_saveexec_b64 s[20:21], s[12:13]
	s_cbranch_execz .LBB166_18
; %bb.17:
	v_mul_lo_u32 v8, v26, s46
	v_mov_b32_e32 v9, 0
	v_lshlrev_b64 v[8:9], 1, v[8:9]
	v_mov_b32_e32 v7, s47
	v_add_co_u32_e32 v8, vcc, s33, v8
	v_addc_co_u32_e32 v9, vcc, v7, v9, vcc
	global_load_ushort v7, v[8:9], off
	s_mov_b32 s22, 0xffff
	s_waitcnt vmcnt(0)
	v_bfi_b32 v5, s22, v7, v5
.LBB166_18:
	s_or_b64 exec, exec, s[20:21]
	s_load_dword s22, s[14:15], 0x6c
	v_add_u32_e32 v27, 0x700, v46
	v_cmp_gt_u32_e64 s[14:15], s45, v27
	s_and_saveexec_b64 s[20:21], s[14:15]
	s_cbranch_execz .LBB166_20
; %bb.19:
	v_mul_lo_u32 v8, v27, s46
	v_mov_b32_e32 v9, 0
	v_lshlrev_b64 v[8:9], 1, v[8:9]
	v_mov_b32_e32 v7, s47
	v_add_co_u32_e32 v8, vcc, s33, v8
	v_addc_co_u32_e32 v9, vcc, v7, v9, vcc
	global_load_ushort v7, v[8:9], off
	s_mov_b32 s23, 0x5040100
	s_waitcnt vmcnt(0)
	v_perm_b32 v5, v7, v5, s23
.LBB166_20:
	s_or_b64 exec, exec, s[20:21]
	v_lshrrev_b32_e32 v36, 5, v46
	v_and_b32_e32 v7, 30, v36
	v_add_lshl_u32 v47, v7, v46, 1
	v_lshrrev_b32_e32 v35, 5, v1
	ds_write_b16 v47, v6
	v_and_b32_e32 v6, 62, v35
	v_add_lshl_u32 v43, v6, v46, 1
	v_lshrrev_b32_e32 v34, 5, v22
	ds_write_b16_d16_hi v43, v2 offset:512
	v_and_b32_e32 v2, 62, v34
	v_lshrrev_b32_e32 v33, 5, v23
	v_add_lshl_u32 v48, v2, v46, 1
	v_and_b32_e32 v2, 62, v33
	v_lshrrev_b32_e32 v32, 5, v24
	v_add_lshl_u32 v49, v2, v46, 1
	v_and_b32_e32 v2, 62, v32
	v_lshrrev_b32_e32 v31, 5, v25
	v_add_lshl_u32 v50, v2, v46, 1
	v_and_b32_e32 v2, 0x7e, v31
	v_lshrrev_b32_e32 v29, 5, v26
	v_add_lshl_u32 v51, v2, v46, 1
	v_and_b32_e32 v2, 0x7e, v29
	v_lshrrev_b32_e32 v28, 5, v27
	v_add_lshl_u32 v52, v2, v46, 1
	v_and_b32_e32 v2, 0x7e, v28
	v_lshrrev_b32_e32 v30, 2, v46
	v_add_lshl_u32 v53, v2, v46, 1
	v_lshlrev_b32_e32 v62, 3, v46
	v_and_b32_e32 v2, 0xfe, v30
	s_waitcnt lgkmcnt(0)
	s_mul_i32 s16, s22, s16
	v_add_lshl_u32 v54, v2, v62, 1
	s_add_i32 s16, s16, s17
	s_mov_b32 s17, 0
	ds_write_b16 v48, v3 offset:1024
	ds_write_b16_d16_hi v49, v3 offset:1536
	ds_write_b16 v50, v4 offset:2048
	ds_write_b16_d16_hi v51, v4 offset:2560
	;; [unrolled: 2-line block ×3, first 2 shown]
	s_waitcnt lgkmcnt(0)
	s_barrier
	ds_read_b128 v[18:21], v54
	s_lshl_b64 s[20:21], s[16:17], 3
	s_add_u32 s49, s18, s20
	s_mov_b32 s16, s17
	s_addc_u32 s52, s19, s21
	s_mov_b32 s18, s17
	s_mov_b32 s19, s17
	;; [unrolled: 1-line block ×14, first 2 shown]
	v_pk_mov_b32 v[2:3], s[16:17], s[16:17] op_sel:[0,1]
	v_pk_mov_b32 v[4:5], s[18:19], s[18:19] op_sel:[0,1]
	;; [unrolled: 1-line block ×8, first 2 shown]
	v_pk_mov_b32 v[2:3], 0, 0
	v_mul_lo_u32 v44, v46, s48
	s_waitcnt lgkmcnt(0)
	s_barrier
	s_and_saveexec_b64 s[16:17], s[0:1]
	s_cbranch_execnz .LBB166_75
; %bb.21:
	s_or_b64 exec, exec, s[16:17]
	s_and_saveexec_b64 s[16:17], s[2:3]
	s_cbranch_execnz .LBB166_76
.LBB166_22:
	s_or_b64 exec, exec, s[16:17]
	s_and_saveexec_b64 s[16:17], s[4:5]
	s_cbranch_execnz .LBB166_77
.LBB166_23:
	s_or_b64 exec, exec, s[16:17]
	s_and_saveexec_b64 s[16:17], s[6:7]
	s_cbranch_execnz .LBB166_78
.LBB166_24:
	s_or_b64 exec, exec, s[16:17]
	s_and_saveexec_b64 s[16:17], s[8:9]
	s_cbranch_execnz .LBB166_79
.LBB166_25:
	s_or_b64 exec, exec, s[16:17]
	s_and_saveexec_b64 s[16:17], s[10:11]
	s_cbranch_execnz .LBB166_80
.LBB166_26:
	s_or_b64 exec, exec, s[16:17]
	s_and_saveexec_b64 s[16:17], s[12:13]
	s_cbranch_execnz .LBB166_81
.LBB166_27:
	s_or_b64 exec, exec, s[16:17]
	s_xor_b64 s[16:17], s[34:35], -1
	s_and_saveexec_b64 s[18:19], s[14:15]
	s_cbranch_execz .LBB166_29
.LBB166_28:
	v_mul_lo_u32 v16, v27, s48
	v_mov_b32_e32 v17, 0
	v_lshlrev_b64 v[16:17], 3, v[16:17]
	v_mov_b32_e32 v1, s52
	v_add_co_u32_e32 v16, vcc, s49, v16
	v_addc_co_u32_e32 v17, vcc, v1, v17, vcc
	global_load_dwordx2 v[16:17], v[16:17], off
.LBB166_29:
	s_or_b64 exec, exec, s[18:19]
	v_add_lshl_u32 v55, v36, v46, 3
	v_add_lshl_u32 v45, v35, v46, 3
	;; [unrolled: 1-line block ×9, first 2 shown]
	s_waitcnt vmcnt(0)
	ds_write_b64 v55, v[2:3]
	ds_write_b64 v45, v[4:5] offset:2048
	ds_write_b64 v56, v[6:7] offset:4096
	ds_write_b64 v57, v[8:9] offset:6144
	ds_write_b64 v58, v[10:11] offset:8192
	ds_write_b64 v59, v[12:13] offset:10240
	ds_write_b64 v60, v[14:15] offset:12288
	ds_write_b64 v61, v[16:17] offset:14336
	s_waitcnt lgkmcnt(0)
	s_barrier
	ds_read2_b64 v[14:17], v63 offset1:1
	ds_read2_b64 v[10:13], v63 offset0:2 offset1:3
	ds_read2_b64 v[6:9], v63 offset0:4 offset1:5
	;; [unrolled: 1-line block ×3, first 2 shown]
	v_mbcnt_lo_u32_b32 v1, -1, 0
	v_mbcnt_hi_u32_b32 v65, -1, v1
	v_and_b32_e32 v67, 0x3c0, v46
	v_add_u32_e32 v1, v65, v67
	v_and_b32_e32 v66, 0x1e00, v62
	v_lshlrev_b32_e32 v22, 3, v1
	v_lshlrev_b32_e32 v73, 4, v1
	v_or_b32_e32 v1, v65, v66
	v_lshlrev_b32_e32 v72, 1, v1
	s_and_b64 vcc, exec, s[16:17]
	v_bfe_u32 v68, v0, 10, 10
	v_bfe_u32 v69, v0, 20, 10
	v_lshlrev_b32_e32 v71, 3, v22
	v_lshlrev_b32_e32 v70, 3, v1
	v_lshlrev_b32_e32 v64, 4, v46
	s_waitcnt lgkmcnt(0)
	s_barrier
	s_cbranch_vccz .LBB166_82
; %bb.30:
	s_movk_i32 s16, 0x8000
	v_xor_b32_e32 v0, 0xffff8000, v18
	v_xor_b32_sdwa v1, v18, s16 dst_sel:DWORD dst_unused:UNUSED_PAD src0_sel:WORD_1 src1_sel:DWORD
	v_xor_b32_e32 v22, 0xffff8000, v19
	v_xor_b32_sdwa v23, v19, s16 dst_sel:DWORD dst_unused:UNUSED_PAD src0_sel:WORD_1 src1_sel:DWORD
	;; [unrolled: 2-line block ×4, first 2 shown]
	s_mov_b32 s16, 0x5040100
	v_perm_b32 v25, v27, v25, s16
	v_perm_b32 v24, v26, v24, s16
	;; [unrolled: 1-line block ×4, first 2 shown]
	ds_write_b128 v73, v[22:25]
	; wave barrier
	ds_read_u16 v84, v72
	ds_read_u16 v83, v72 offset:128
	ds_read_u16 v82, v72 offset:256
	;; [unrolled: 1-line block ×7, first 2 shown]
	s_waitcnt lgkmcnt(0)
	s_barrier
	ds_write2_b64 v71, v[14:15], v[16:17] offset1:1
	ds_write2_b64 v71, v[10:11], v[12:13] offset0:2 offset1:3
	ds_write2_b64 v71, v[6:7], v[8:9] offset0:4 offset1:5
	;; [unrolled: 1-line block ×3, first 2 shown]
	; wave barrier
	ds_read2st64_b64 v[34:37], v70 offset1:1
	ds_read2st64_b64 v[30:33], v70 offset0:2 offset1:3
	ds_read2st64_b64 v[26:29], v70 offset0:4 offset1:5
	;; [unrolled: 1-line block ×3, first 2 shown]
	s_waitcnt lgkmcnt(0)
	s_barrier
	s_load_dword s18, s[50:51], 0xc
	s_getpc_b64 s[16:17]
	s_add_u32 s16, s16, _ZN7rocprim17ROCPRIM_400000_NS16block_radix_sortIsLj256ELj8ElLj1ELj1ELj0ELNS0_26block_radix_rank_algorithmE1ELNS0_18block_padding_hintE2ELNS0_4arch9wavefront6targetE1EE19radix_bits_per_passE@rel32@lo+4
	s_addc_u32 s17, s17, _ZN7rocprim17ROCPRIM_400000_NS16block_radix_sortIsLj256ELj8ElLj1ELj1ELj0ELNS0_26block_radix_rank_algorithmE1ELNS0_18block_padding_hintE2ELNS0_4arch9wavefront6targetE1EE19radix_bits_per_passE@rel32@hi+12
	s_load_dword s42, s[16:17], 0x0
	s_waitcnt lgkmcnt(0)
	s_lshr_b32 s16, s18, 16
	s_and_b32 s17, s18, 0xffff
	v_mad_u32_u24 v0, v69, s16, v68
	v_mad_u64_u32 v[0:1], s[16:17], v0, s17, v[46:47]
	s_min_u32 s16, s42, 16
	s_lshl_b32 s16, -1, s16
	s_not_b32 s18, s16
	v_and_b32_sdwa v38, s18, v84 dst_sel:DWORD dst_unused:UNUSED_PAD src0_sel:DWORD src1_sel:WORD_0
	v_lshrrev_b32_e32 v74, 6, v0
	v_lshlrev_b32_e32 v1, 2, v38
	v_add_lshl_u32 v87, v74, v1, 2
	v_and_b32_e32 v1, 1, v38
	v_add_co_u32_e32 v39, vcc, -1, v1
	v_addc_co_u32_e64 v40, s[16:17], 0, -1, vcc
	v_cmp_ne_u32_e32 vcc, 0, v1
	v_xor_b32_e32 v1, vcc_hi, v40
	v_mov_b32_e32 v0, 0
	v_and_b32_e32 v40, exec_hi, v1
	v_lshlrev_b32_e32 v1, 30, v38
	v_xor_b32_e32 v39, vcc_lo, v39
	v_cmp_gt_i64_e32 vcc, 0, v[0:1]
	v_not_b32_e32 v1, v1
	v_ashrrev_i32_e32 v1, 31, v1
	v_and_b32_e32 v39, exec_lo, v39
	v_xor_b32_e32 v41, vcc_hi, v1
	v_xor_b32_e32 v1, vcc_lo, v1
	v_and_b32_e32 v39, v39, v1
	v_lshlrev_b32_e32 v1, 29, v38
	v_cmp_gt_i64_e32 vcc, 0, v[0:1]
	v_not_b32_e32 v1, v1
	v_ashrrev_i32_e32 v1, 31, v1
	v_and_b32_e32 v40, v40, v41
	v_xor_b32_e32 v41, vcc_hi, v1
	v_xor_b32_e32 v1, vcc_lo, v1
	v_and_b32_e32 v39, v39, v1
	v_lshlrev_b32_e32 v1, 28, v38
	v_cmp_gt_i64_e32 vcc, 0, v[0:1]
	v_not_b32_e32 v1, v1
	v_ashrrev_i32_e32 v1, 31, v1
	v_and_b32_e32 v40, v40, v41
	;; [unrolled: 8-line block ×5, first 2 shown]
	v_xor_b32_e32 v41, vcc_hi, v1
	v_xor_b32_e32 v1, vcc_lo, v1
	v_and_b32_e32 v40, v40, v41
	v_and_b32_e32 v41, v39, v1
	v_lshlrev_b32_e32 v1, 24, v38
	v_cmp_gt_i64_e32 vcc, 0, v[0:1]
	v_not_b32_e32 v1, v1
	v_ashrrev_i32_e32 v1, 31, v1
	v_xor_b32_e32 v38, vcc_hi, v1
	v_xor_b32_e32 v1, vcc_lo, v1
	v_and_b32_e32 v39, v40, v38
	v_and_b32_e32 v38, v41, v1
	v_mbcnt_lo_u32_b32 v1, v38, 0
	v_mbcnt_hi_u32_b32 v88, v39, v1
	v_cmp_eq_u32_e32 vcc, 0, v88
	v_cmp_ne_u64_e64 s[16:17], 0, v[38:39]
	s_and_b64 s[20:21], s[16:17], vcc
	ds_write2_b32 v64, v0, v0 offset0:4 offset1:5
	ds_write2_b32 v64, v0, v0 offset0:6 offset1:7
	s_waitcnt lgkmcnt(0)
	s_barrier
	s_waitcnt lgkmcnt(0)
	; wave barrier
	s_and_saveexec_b64 s[16:17], s[20:21]
	s_cbranch_execz .LBB166_32
; %bb.31:
	v_bcnt_u32_b32 v1, v38, 0
	v_bcnt_u32_b32 v1, v39, v1
	ds_write_b32 v87, v1 offset:16
.LBB166_32:
	s_or_b64 exec, exec, s[16:17]
	v_and_b32_sdwa v38, s18, v83 dst_sel:DWORD dst_unused:UNUSED_PAD src0_sel:DWORD src1_sel:WORD_0
	v_lshlrev_b32_e32 v1, 2, v38
	v_add_lshl_u32 v90, v74, v1, 2
	v_and_b32_e32 v1, 1, v38
	v_add_co_u32_e32 v39, vcc, -1, v1
	v_addc_co_u32_e64 v40, s[16:17], 0, -1, vcc
	v_cmp_ne_u32_e32 vcc, 0, v1
	v_xor_b32_e32 v1, vcc_hi, v40
	v_and_b32_e32 v40, exec_hi, v1
	v_lshlrev_b32_e32 v1, 30, v38
	v_xor_b32_e32 v39, vcc_lo, v39
	v_cmp_gt_i64_e32 vcc, 0, v[0:1]
	v_not_b32_e32 v1, v1
	v_ashrrev_i32_e32 v1, 31, v1
	v_and_b32_e32 v39, exec_lo, v39
	v_xor_b32_e32 v41, vcc_hi, v1
	v_xor_b32_e32 v1, vcc_lo, v1
	v_and_b32_e32 v39, v39, v1
	v_lshlrev_b32_e32 v1, 29, v38
	v_cmp_gt_i64_e32 vcc, 0, v[0:1]
	v_not_b32_e32 v1, v1
	v_ashrrev_i32_e32 v1, 31, v1
	v_and_b32_e32 v40, v40, v41
	v_xor_b32_e32 v41, vcc_hi, v1
	v_xor_b32_e32 v1, vcc_lo, v1
	v_and_b32_e32 v39, v39, v1
	v_lshlrev_b32_e32 v1, 28, v38
	v_cmp_gt_i64_e32 vcc, 0, v[0:1]
	v_not_b32_e32 v1, v1
	v_ashrrev_i32_e32 v1, 31, v1
	v_and_b32_e32 v40, v40, v41
	v_xor_b32_e32 v41, vcc_hi, v1
	v_xor_b32_e32 v1, vcc_lo, v1
	v_and_b32_e32 v39, v39, v1
	v_lshlrev_b32_e32 v1, 27, v38
	v_cmp_gt_i64_e32 vcc, 0, v[0:1]
	v_not_b32_e32 v1, v1
	v_ashrrev_i32_e32 v1, 31, v1
	v_and_b32_e32 v40, v40, v41
	v_xor_b32_e32 v41, vcc_hi, v1
	v_xor_b32_e32 v1, vcc_lo, v1
	v_and_b32_e32 v39, v39, v1
	v_lshlrev_b32_e32 v1, 26, v38
	v_cmp_gt_i64_e32 vcc, 0, v[0:1]
	v_not_b32_e32 v1, v1
	v_ashrrev_i32_e32 v1, 31, v1
	v_and_b32_e32 v40, v40, v41
	v_xor_b32_e32 v41, vcc_hi, v1
	v_xor_b32_e32 v1, vcc_lo, v1
	v_and_b32_e32 v39, v39, v1
	v_lshlrev_b32_e32 v1, 25, v38
	v_cmp_gt_i64_e32 vcc, 0, v[0:1]
	v_not_b32_e32 v1, v1
	v_ashrrev_i32_e32 v1, 31, v1
	v_and_b32_e32 v40, v40, v41
	v_xor_b32_e32 v41, vcc_hi, v1
	v_xor_b32_e32 v1, vcc_lo, v1
	v_and_b32_e32 v39, v39, v1
	v_lshlrev_b32_e32 v1, 24, v38
	v_cmp_gt_i64_e32 vcc, 0, v[0:1]
	v_not_b32_e32 v0, v1
	v_ashrrev_i32_e32 v0, 31, v0
	v_xor_b32_e32 v1, vcc_hi, v0
	v_xor_b32_e32 v0, vcc_lo, v0
	; wave barrier
	ds_read_b32 v89, v90 offset:16
	v_and_b32_e32 v40, v40, v41
	v_and_b32_e32 v0, v39, v0
	;; [unrolled: 1-line block ×3, first 2 shown]
	v_mbcnt_lo_u32_b32 v38, v0, 0
	v_mbcnt_hi_u32_b32 v91, v1, v38
	v_cmp_eq_u32_e32 vcc, 0, v91
	v_cmp_ne_u64_e64 s[16:17], 0, v[0:1]
	s_and_b64 s[20:21], s[16:17], vcc
	; wave barrier
	s_and_saveexec_b64 s[16:17], s[20:21]
	s_cbranch_execz .LBB166_34
; %bb.33:
	v_bcnt_u32_b32 v0, v0, 0
	v_bcnt_u32_b32 v0, v1, v0
	s_waitcnt lgkmcnt(0)
	v_add_u32_e32 v0, v89, v0
	ds_write_b32 v90, v0 offset:16
.LBB166_34:
	s_or_b64 exec, exec, s[16:17]
	v_and_b32_sdwa v38, s18, v82 dst_sel:DWORD dst_unused:UNUSED_PAD src0_sel:DWORD src1_sel:WORD_0
	v_and_b32_e32 v1, 1, v38
	v_add_co_u32_e32 v39, vcc, -1, v1
	v_addc_co_u32_e64 v40, s[16:17], 0, -1, vcc
	v_cmp_ne_u32_e32 vcc, 0, v1
	v_lshlrev_b32_e32 v0, 2, v38
	v_xor_b32_e32 v1, vcc_hi, v40
	v_add_lshl_u32 v93, v74, v0, 2
	v_mov_b32_e32 v0, 0
	v_and_b32_e32 v40, exec_hi, v1
	v_lshlrev_b32_e32 v1, 30, v38
	v_xor_b32_e32 v39, vcc_lo, v39
	v_cmp_gt_i64_e32 vcc, 0, v[0:1]
	v_not_b32_e32 v1, v1
	v_ashrrev_i32_e32 v1, 31, v1
	v_and_b32_e32 v39, exec_lo, v39
	v_xor_b32_e32 v41, vcc_hi, v1
	v_xor_b32_e32 v1, vcc_lo, v1
	v_and_b32_e32 v39, v39, v1
	v_lshlrev_b32_e32 v1, 29, v38
	v_cmp_gt_i64_e32 vcc, 0, v[0:1]
	v_not_b32_e32 v1, v1
	v_ashrrev_i32_e32 v1, 31, v1
	v_and_b32_e32 v40, v40, v41
	v_xor_b32_e32 v41, vcc_hi, v1
	v_xor_b32_e32 v1, vcc_lo, v1
	v_and_b32_e32 v39, v39, v1
	v_lshlrev_b32_e32 v1, 28, v38
	v_cmp_gt_i64_e32 vcc, 0, v[0:1]
	v_not_b32_e32 v1, v1
	v_ashrrev_i32_e32 v1, 31, v1
	v_and_b32_e32 v40, v40, v41
	;; [unrolled: 8-line block ×5, first 2 shown]
	v_xor_b32_e32 v41, vcc_hi, v1
	v_xor_b32_e32 v1, vcc_lo, v1
	v_and_b32_e32 v40, v40, v41
	v_and_b32_e32 v41, v39, v1
	v_lshlrev_b32_e32 v1, 24, v38
	v_cmp_gt_i64_e32 vcc, 0, v[0:1]
	v_not_b32_e32 v1, v1
	v_ashrrev_i32_e32 v1, 31, v1
	v_xor_b32_e32 v38, vcc_hi, v1
	v_xor_b32_e32 v1, vcc_lo, v1
	; wave barrier
	ds_read_b32 v92, v93 offset:16
	v_and_b32_e32 v39, v40, v38
	v_and_b32_e32 v38, v41, v1
	v_mbcnt_lo_u32_b32 v1, v38, 0
	v_mbcnt_hi_u32_b32 v94, v39, v1
	v_cmp_eq_u32_e32 vcc, 0, v94
	v_cmp_ne_u64_e64 s[16:17], 0, v[38:39]
	s_and_b64 s[20:21], s[16:17], vcc
	; wave barrier
	s_and_saveexec_b64 s[16:17], s[20:21]
	s_cbranch_execz .LBB166_36
; %bb.35:
	v_bcnt_u32_b32 v1, v38, 0
	v_bcnt_u32_b32 v1, v39, v1
	s_waitcnt lgkmcnt(0)
	v_add_u32_e32 v1, v92, v1
	ds_write_b32 v93, v1 offset:16
.LBB166_36:
	s_or_b64 exec, exec, s[16:17]
	v_and_b32_sdwa v38, s18, v81 dst_sel:DWORD dst_unused:UNUSED_PAD src0_sel:DWORD src1_sel:WORD_0
	v_lshlrev_b32_e32 v1, 2, v38
	v_add_lshl_u32 v96, v74, v1, 2
	v_and_b32_e32 v1, 1, v38
	v_add_co_u32_e32 v39, vcc, -1, v1
	v_addc_co_u32_e64 v40, s[16:17], 0, -1, vcc
	v_cmp_ne_u32_e32 vcc, 0, v1
	v_xor_b32_e32 v1, vcc_hi, v40
	v_and_b32_e32 v40, exec_hi, v1
	v_lshlrev_b32_e32 v1, 30, v38
	v_xor_b32_e32 v39, vcc_lo, v39
	v_cmp_gt_i64_e32 vcc, 0, v[0:1]
	v_not_b32_e32 v1, v1
	v_ashrrev_i32_e32 v1, 31, v1
	v_and_b32_e32 v39, exec_lo, v39
	v_xor_b32_e32 v41, vcc_hi, v1
	v_xor_b32_e32 v1, vcc_lo, v1
	v_and_b32_e32 v39, v39, v1
	v_lshlrev_b32_e32 v1, 29, v38
	v_cmp_gt_i64_e32 vcc, 0, v[0:1]
	v_not_b32_e32 v1, v1
	v_ashrrev_i32_e32 v1, 31, v1
	v_and_b32_e32 v40, v40, v41
	v_xor_b32_e32 v41, vcc_hi, v1
	v_xor_b32_e32 v1, vcc_lo, v1
	v_and_b32_e32 v39, v39, v1
	v_lshlrev_b32_e32 v1, 28, v38
	v_cmp_gt_i64_e32 vcc, 0, v[0:1]
	v_not_b32_e32 v1, v1
	v_ashrrev_i32_e32 v1, 31, v1
	v_and_b32_e32 v40, v40, v41
	v_xor_b32_e32 v41, vcc_hi, v1
	v_xor_b32_e32 v1, vcc_lo, v1
	v_and_b32_e32 v39, v39, v1
	v_lshlrev_b32_e32 v1, 27, v38
	v_cmp_gt_i64_e32 vcc, 0, v[0:1]
	v_not_b32_e32 v1, v1
	v_ashrrev_i32_e32 v1, 31, v1
	v_and_b32_e32 v40, v40, v41
	v_xor_b32_e32 v41, vcc_hi, v1
	v_xor_b32_e32 v1, vcc_lo, v1
	v_and_b32_e32 v39, v39, v1
	v_lshlrev_b32_e32 v1, 26, v38
	v_cmp_gt_i64_e32 vcc, 0, v[0:1]
	v_not_b32_e32 v1, v1
	v_ashrrev_i32_e32 v1, 31, v1
	v_and_b32_e32 v40, v40, v41
	v_xor_b32_e32 v41, vcc_hi, v1
	v_xor_b32_e32 v1, vcc_lo, v1
	v_and_b32_e32 v39, v39, v1
	v_lshlrev_b32_e32 v1, 25, v38
	v_cmp_gt_i64_e32 vcc, 0, v[0:1]
	v_not_b32_e32 v1, v1
	v_ashrrev_i32_e32 v1, 31, v1
	v_and_b32_e32 v40, v40, v41
	v_xor_b32_e32 v41, vcc_hi, v1
	v_xor_b32_e32 v1, vcc_lo, v1
	v_and_b32_e32 v39, v39, v1
	v_lshlrev_b32_e32 v1, 24, v38
	v_cmp_gt_i64_e32 vcc, 0, v[0:1]
	v_not_b32_e32 v0, v1
	v_ashrrev_i32_e32 v0, 31, v0
	v_xor_b32_e32 v1, vcc_hi, v0
	v_xor_b32_e32 v0, vcc_lo, v0
	; wave barrier
	ds_read_b32 v95, v96 offset:16
	v_and_b32_e32 v40, v40, v41
	v_and_b32_e32 v0, v39, v0
	;; [unrolled: 1-line block ×3, first 2 shown]
	v_mbcnt_lo_u32_b32 v38, v0, 0
	v_mbcnt_hi_u32_b32 v97, v1, v38
	v_cmp_eq_u32_e32 vcc, 0, v97
	v_cmp_ne_u64_e64 s[16:17], 0, v[0:1]
	s_and_b64 s[20:21], s[16:17], vcc
	; wave barrier
	s_and_saveexec_b64 s[16:17], s[20:21]
	s_cbranch_execz .LBB166_38
; %bb.37:
	v_bcnt_u32_b32 v0, v0, 0
	v_bcnt_u32_b32 v0, v1, v0
	s_waitcnt lgkmcnt(0)
	v_add_u32_e32 v0, v95, v0
	ds_write_b32 v96, v0 offset:16
.LBB166_38:
	s_or_b64 exec, exec, s[16:17]
	v_and_b32_sdwa v38, s18, v80 dst_sel:DWORD dst_unused:UNUSED_PAD src0_sel:DWORD src1_sel:WORD_0
	v_and_b32_e32 v1, 1, v38
	v_add_co_u32_e32 v39, vcc, -1, v1
	v_addc_co_u32_e64 v40, s[16:17], 0, -1, vcc
	v_cmp_ne_u32_e32 vcc, 0, v1
	v_lshlrev_b32_e32 v0, 2, v38
	v_xor_b32_e32 v1, vcc_hi, v40
	v_add_lshl_u32 v99, v74, v0, 2
	v_mov_b32_e32 v0, 0
	v_and_b32_e32 v40, exec_hi, v1
	v_lshlrev_b32_e32 v1, 30, v38
	v_xor_b32_e32 v39, vcc_lo, v39
	v_cmp_gt_i64_e32 vcc, 0, v[0:1]
	v_not_b32_e32 v1, v1
	v_ashrrev_i32_e32 v1, 31, v1
	v_and_b32_e32 v39, exec_lo, v39
	v_xor_b32_e32 v41, vcc_hi, v1
	v_xor_b32_e32 v1, vcc_lo, v1
	v_and_b32_e32 v39, v39, v1
	v_lshlrev_b32_e32 v1, 29, v38
	v_cmp_gt_i64_e32 vcc, 0, v[0:1]
	v_not_b32_e32 v1, v1
	v_ashrrev_i32_e32 v1, 31, v1
	v_and_b32_e32 v40, v40, v41
	v_xor_b32_e32 v41, vcc_hi, v1
	v_xor_b32_e32 v1, vcc_lo, v1
	v_and_b32_e32 v39, v39, v1
	v_lshlrev_b32_e32 v1, 28, v38
	v_cmp_gt_i64_e32 vcc, 0, v[0:1]
	v_not_b32_e32 v1, v1
	v_ashrrev_i32_e32 v1, 31, v1
	v_and_b32_e32 v40, v40, v41
	;; [unrolled: 8-line block ×5, first 2 shown]
	v_xor_b32_e32 v41, vcc_hi, v1
	v_xor_b32_e32 v1, vcc_lo, v1
	v_and_b32_e32 v40, v40, v41
	v_and_b32_e32 v41, v39, v1
	v_lshlrev_b32_e32 v1, 24, v38
	v_cmp_gt_i64_e32 vcc, 0, v[0:1]
	v_not_b32_e32 v1, v1
	v_ashrrev_i32_e32 v1, 31, v1
	v_xor_b32_e32 v38, vcc_hi, v1
	v_xor_b32_e32 v1, vcc_lo, v1
	; wave barrier
	ds_read_b32 v98, v99 offset:16
	v_and_b32_e32 v39, v40, v38
	v_and_b32_e32 v38, v41, v1
	v_mbcnt_lo_u32_b32 v1, v38, 0
	v_mbcnt_hi_u32_b32 v100, v39, v1
	v_cmp_eq_u32_e32 vcc, 0, v100
	v_cmp_ne_u64_e64 s[16:17], 0, v[38:39]
	s_and_b64 s[20:21], s[16:17], vcc
	; wave barrier
	s_and_saveexec_b64 s[16:17], s[20:21]
	s_cbranch_execz .LBB166_40
; %bb.39:
	v_bcnt_u32_b32 v1, v38, 0
	v_bcnt_u32_b32 v1, v39, v1
	s_waitcnt lgkmcnt(0)
	v_add_u32_e32 v1, v98, v1
	ds_write_b32 v99, v1 offset:16
.LBB166_40:
	s_or_b64 exec, exec, s[16:17]
	v_and_b32_sdwa v38, s18, v79 dst_sel:DWORD dst_unused:UNUSED_PAD src0_sel:DWORD src1_sel:WORD_0
	v_lshlrev_b32_e32 v1, 2, v38
	v_add_lshl_u32 v102, v74, v1, 2
	v_and_b32_e32 v1, 1, v38
	v_add_co_u32_e32 v39, vcc, -1, v1
	v_addc_co_u32_e64 v40, s[16:17], 0, -1, vcc
	v_cmp_ne_u32_e32 vcc, 0, v1
	v_xor_b32_e32 v1, vcc_hi, v40
	v_and_b32_e32 v40, exec_hi, v1
	v_lshlrev_b32_e32 v1, 30, v38
	v_xor_b32_e32 v39, vcc_lo, v39
	v_cmp_gt_i64_e32 vcc, 0, v[0:1]
	v_not_b32_e32 v1, v1
	v_ashrrev_i32_e32 v1, 31, v1
	v_and_b32_e32 v39, exec_lo, v39
	v_xor_b32_e32 v41, vcc_hi, v1
	v_xor_b32_e32 v1, vcc_lo, v1
	v_and_b32_e32 v39, v39, v1
	v_lshlrev_b32_e32 v1, 29, v38
	v_cmp_gt_i64_e32 vcc, 0, v[0:1]
	v_not_b32_e32 v1, v1
	v_ashrrev_i32_e32 v1, 31, v1
	v_and_b32_e32 v40, v40, v41
	v_xor_b32_e32 v41, vcc_hi, v1
	v_xor_b32_e32 v1, vcc_lo, v1
	v_and_b32_e32 v39, v39, v1
	v_lshlrev_b32_e32 v1, 28, v38
	v_cmp_gt_i64_e32 vcc, 0, v[0:1]
	v_not_b32_e32 v1, v1
	v_ashrrev_i32_e32 v1, 31, v1
	v_and_b32_e32 v40, v40, v41
	;; [unrolled: 8-line block ×5, first 2 shown]
	v_xor_b32_e32 v41, vcc_hi, v1
	v_xor_b32_e32 v1, vcc_lo, v1
	v_and_b32_e32 v39, v39, v1
	v_lshlrev_b32_e32 v1, 24, v38
	v_cmp_gt_i64_e32 vcc, 0, v[0:1]
	v_not_b32_e32 v0, v1
	v_ashrrev_i32_e32 v0, 31, v0
	v_xor_b32_e32 v1, vcc_hi, v0
	v_xor_b32_e32 v0, vcc_lo, v0
	; wave barrier
	ds_read_b32 v101, v102 offset:16
	v_and_b32_e32 v40, v40, v41
	v_and_b32_e32 v0, v39, v0
	;; [unrolled: 1-line block ×3, first 2 shown]
	v_mbcnt_lo_u32_b32 v38, v0, 0
	v_mbcnt_hi_u32_b32 v103, v1, v38
	v_cmp_eq_u32_e32 vcc, 0, v103
	v_cmp_ne_u64_e64 s[16:17], 0, v[0:1]
	s_and_b64 s[20:21], s[16:17], vcc
	; wave barrier
	s_and_saveexec_b64 s[16:17], s[20:21]
	s_cbranch_execz .LBB166_42
; %bb.41:
	v_bcnt_u32_b32 v0, v0, 0
	v_bcnt_u32_b32 v0, v1, v0
	s_waitcnt lgkmcnt(0)
	v_add_u32_e32 v0, v101, v0
	ds_write_b32 v102, v0 offset:16
.LBB166_42:
	s_or_b64 exec, exec, s[16:17]
	v_and_b32_sdwa v38, s18, v78 dst_sel:DWORD dst_unused:UNUSED_PAD src0_sel:DWORD src1_sel:WORD_0
	v_and_b32_e32 v1, 1, v38
	v_add_co_u32_e32 v39, vcc, -1, v1
	v_addc_co_u32_e64 v40, s[16:17], 0, -1, vcc
	v_cmp_ne_u32_e32 vcc, 0, v1
	v_lshlrev_b32_e32 v0, 2, v38
	v_xor_b32_e32 v1, vcc_hi, v40
	v_add_lshl_u32 v105, v74, v0, 2
	v_mov_b32_e32 v0, 0
	v_and_b32_e32 v40, exec_hi, v1
	v_lshlrev_b32_e32 v1, 30, v38
	v_xor_b32_e32 v39, vcc_lo, v39
	v_cmp_gt_i64_e32 vcc, 0, v[0:1]
	v_not_b32_e32 v1, v1
	v_ashrrev_i32_e32 v1, 31, v1
	v_and_b32_e32 v39, exec_lo, v39
	v_xor_b32_e32 v41, vcc_hi, v1
	v_xor_b32_e32 v1, vcc_lo, v1
	v_and_b32_e32 v39, v39, v1
	v_lshlrev_b32_e32 v1, 29, v38
	v_cmp_gt_i64_e32 vcc, 0, v[0:1]
	v_not_b32_e32 v1, v1
	v_ashrrev_i32_e32 v1, 31, v1
	v_and_b32_e32 v40, v40, v41
	v_xor_b32_e32 v41, vcc_hi, v1
	v_xor_b32_e32 v1, vcc_lo, v1
	v_and_b32_e32 v39, v39, v1
	v_lshlrev_b32_e32 v1, 28, v38
	v_cmp_gt_i64_e32 vcc, 0, v[0:1]
	v_not_b32_e32 v1, v1
	v_ashrrev_i32_e32 v1, 31, v1
	v_and_b32_e32 v40, v40, v41
	;; [unrolled: 8-line block ×5, first 2 shown]
	v_xor_b32_e32 v41, vcc_hi, v1
	v_xor_b32_e32 v1, vcc_lo, v1
	v_and_b32_e32 v40, v40, v41
	v_and_b32_e32 v41, v39, v1
	v_lshlrev_b32_e32 v1, 24, v38
	v_cmp_gt_i64_e32 vcc, 0, v[0:1]
	v_not_b32_e32 v1, v1
	v_ashrrev_i32_e32 v1, 31, v1
	v_xor_b32_e32 v38, vcc_hi, v1
	v_xor_b32_e32 v1, vcc_lo, v1
	; wave barrier
	ds_read_b32 v104, v105 offset:16
	v_and_b32_e32 v39, v40, v38
	v_and_b32_e32 v38, v41, v1
	v_mbcnt_lo_u32_b32 v1, v38, 0
	v_mbcnt_hi_u32_b32 v106, v39, v1
	v_cmp_eq_u32_e32 vcc, 0, v106
	v_cmp_ne_u64_e64 s[16:17], 0, v[38:39]
	s_and_b64 s[20:21], s[16:17], vcc
	; wave barrier
	s_and_saveexec_b64 s[16:17], s[20:21]
	s_cbranch_execz .LBB166_44
; %bb.43:
	v_bcnt_u32_b32 v1, v38, 0
	v_bcnt_u32_b32 v1, v39, v1
	s_waitcnt lgkmcnt(0)
	v_add_u32_e32 v1, v104, v1
	ds_write_b32 v105, v1 offset:16
.LBB166_44:
	s_or_b64 exec, exec, s[16:17]
	v_and_b32_sdwa v38, s18, v77 dst_sel:DWORD dst_unused:UNUSED_PAD src0_sel:DWORD src1_sel:WORD_0
	v_lshlrev_b32_e32 v1, 2, v38
	v_add_lshl_u32 v108, v74, v1, 2
	v_and_b32_e32 v1, 1, v38
	v_add_co_u32_e32 v39, vcc, -1, v1
	v_addc_co_u32_e64 v40, s[16:17], 0, -1, vcc
	v_cmp_ne_u32_e32 vcc, 0, v1
	v_xor_b32_e32 v1, vcc_hi, v40
	v_and_b32_e32 v40, exec_hi, v1
	v_lshlrev_b32_e32 v1, 30, v38
	v_xor_b32_e32 v39, vcc_lo, v39
	v_cmp_gt_i64_e32 vcc, 0, v[0:1]
	v_not_b32_e32 v1, v1
	v_ashrrev_i32_e32 v1, 31, v1
	v_and_b32_e32 v39, exec_lo, v39
	v_xor_b32_e32 v41, vcc_hi, v1
	v_xor_b32_e32 v1, vcc_lo, v1
	v_and_b32_e32 v39, v39, v1
	v_lshlrev_b32_e32 v1, 29, v38
	v_cmp_gt_i64_e32 vcc, 0, v[0:1]
	v_not_b32_e32 v1, v1
	v_ashrrev_i32_e32 v1, 31, v1
	v_and_b32_e32 v40, v40, v41
	v_xor_b32_e32 v41, vcc_hi, v1
	v_xor_b32_e32 v1, vcc_lo, v1
	v_and_b32_e32 v39, v39, v1
	v_lshlrev_b32_e32 v1, 28, v38
	v_cmp_gt_i64_e32 vcc, 0, v[0:1]
	v_not_b32_e32 v1, v1
	v_ashrrev_i32_e32 v1, 31, v1
	v_and_b32_e32 v40, v40, v41
	v_xor_b32_e32 v41, vcc_hi, v1
	v_xor_b32_e32 v1, vcc_lo, v1
	v_and_b32_e32 v39, v39, v1
	v_lshlrev_b32_e32 v1, 27, v38
	v_cmp_gt_i64_e32 vcc, 0, v[0:1]
	v_not_b32_e32 v1, v1
	v_ashrrev_i32_e32 v1, 31, v1
	v_and_b32_e32 v40, v40, v41
	v_xor_b32_e32 v41, vcc_hi, v1
	v_xor_b32_e32 v1, vcc_lo, v1
	v_and_b32_e32 v39, v39, v1
	v_lshlrev_b32_e32 v1, 26, v38
	v_cmp_gt_i64_e32 vcc, 0, v[0:1]
	v_not_b32_e32 v1, v1
	v_ashrrev_i32_e32 v1, 31, v1
	v_and_b32_e32 v40, v40, v41
	v_xor_b32_e32 v41, vcc_hi, v1
	v_xor_b32_e32 v1, vcc_lo, v1
	v_and_b32_e32 v39, v39, v1
	v_lshlrev_b32_e32 v1, 25, v38
	v_cmp_gt_i64_e32 vcc, 0, v[0:1]
	v_not_b32_e32 v1, v1
	v_ashrrev_i32_e32 v1, 31, v1
	v_and_b32_e32 v40, v40, v41
	v_xor_b32_e32 v41, vcc_hi, v1
	v_xor_b32_e32 v1, vcc_lo, v1
	v_and_b32_e32 v39, v39, v1
	v_lshlrev_b32_e32 v1, 24, v38
	v_cmp_gt_i64_e32 vcc, 0, v[0:1]
	v_not_b32_e32 v0, v1
	v_ashrrev_i32_e32 v0, 31, v0
	v_xor_b32_e32 v1, vcc_hi, v0
	v_xor_b32_e32 v0, vcc_lo, v0
	; wave barrier
	ds_read_b32 v107, v108 offset:16
	v_and_b32_e32 v40, v40, v41
	v_and_b32_e32 v0, v39, v0
	;; [unrolled: 1-line block ×3, first 2 shown]
	v_mbcnt_lo_u32_b32 v38, v0, 0
	v_mbcnt_hi_u32_b32 v109, v1, v38
	v_cmp_eq_u32_e32 vcc, 0, v109
	v_cmp_ne_u64_e64 s[16:17], 0, v[0:1]
	v_add_u32_e32 v75, 16, v64
	v_lshrrev_b32_e32 v76, 6, v46
	v_min_u32_e32 v85, 0xc0, v67
	s_and_b64 s[18:19], s[16:17], vcc
	; wave barrier
	s_and_saveexec_b64 s[16:17], s[18:19]
	s_cbranch_execz .LBB166_46
; %bb.45:
	v_bcnt_u32_b32 v0, v0, 0
	v_bcnt_u32_b32 v0, v1, v0
	s_waitcnt lgkmcnt(0)
	v_add_u32_e32 v0, v107, v0
	ds_write_b32 v108, v0 offset:16
.LBB166_46:
	s_or_b64 exec, exec, s[16:17]
	; wave barrier
	s_waitcnt lgkmcnt(0)
	s_barrier
	ds_read2_b32 v[38:39], v64 offset0:4 offset1:5
	ds_read2_b32 v[40:41], v75 offset0:2 offset1:3
	v_and_b32_e32 v1, 16, v65
	v_cmp_eq_u32_e32 vcc, 0, v1
	v_or_b32_e32 v1, 63, v85
	v_cmp_eq_u32_e64 s[16:17], v1, v46
	s_waitcnt lgkmcnt(1)
	v_add_u32_e32 v1, v39, v38
	v_and_b32_e32 v0, 15, v65
	s_waitcnt lgkmcnt(0)
	v_add3_u32 v1, v1, v40, v41
	v_cmp_eq_u32_e64 s[22:23], 0, v0
	v_cmp_lt_u32_e64 s[24:25], 1, v0
	v_mov_b32_dpp v41, v1 row_shr:1 row_mask:0xf bank_mask:0xf
	v_cndmask_b32_e64 v41, v41, 0, s[22:23]
	v_add_u32_e32 v1, v41, v1
	v_cmp_lt_u32_e64 s[28:29], 3, v0
	v_cmp_lt_u32_e64 s[30:31], 7, v0
	v_mov_b32_dpp v41, v1 row_shr:2 row_mask:0xf bank_mask:0xf
	v_cndmask_b32_e64 v41, 0, v41, s[24:25]
	v_add_u32_e32 v1, v1, v41
	v_bfe_i32 v86, v65, 4, 1
	v_cmp_lt_u32_e64 s[34:35], 31, v65
	v_mov_b32_dpp v41, v1 row_shr:4 row_mask:0xf bank_mask:0xf
	v_cndmask_b32_e64 v41, 0, v41, s[28:29]
	v_add_u32_e32 v1, v1, v41
	v_lshlrev_b32_e32 v76, 2, v76
	s_nop 0
	v_mov_b32_dpp v41, v1 row_shr:8 row_mask:0xf bank_mask:0xf
	v_cndmask_b32_e64 v0, 0, v41, s[30:31]
	v_add_u32_e32 v0, v1, v0
	s_nop 1
	v_mov_b32_dpp v1, v0 row_bcast:15 row_mask:0xf bank_mask:0xf
	v_and_b32_e32 v1, v86, v1
	v_add_u32_e32 v0, v0, v1
	s_nop 1
	v_mov_b32_dpp v1, v0 row_bcast:31 row_mask:0xf bank_mask:0xf
	v_cndmask_b32_e64 v1, 0, v1, s[34:35]
	v_add_u32_e32 v1, v0, v1
	s_and_saveexec_b64 s[18:19], s[16:17]
	s_cbranch_execz .LBB166_48
; %bb.47:
	ds_write_b32 v76, v1
.LBB166_48:
	s_or_b64 exec, exec, s[18:19]
	v_and_b32_e32 v0, 3, v65
	v_cmp_gt_u32_e64 s[26:27], 4, v46
	v_lshlrev_b32_e32 v41, 2, v46
	v_cmp_eq_u32_e64 s[20:21], 0, v0
	v_cmp_lt_u32_e64 s[18:19], 1, v0
	s_waitcnt lgkmcnt(0)
	s_barrier
	s_and_saveexec_b64 s[36:37], s[26:27]
	s_cbranch_execz .LBB166_50
; %bb.49:
	ds_read_b32 v0, v41
	s_waitcnt lgkmcnt(0)
	s_nop 0
	v_mov_b32_dpp v85, v0 row_shr:1 row_mask:0xf bank_mask:0xf
	v_cndmask_b32_e64 v85, v85, 0, s[20:21]
	v_add_u32_e32 v0, v85, v0
	s_nop 1
	v_mov_b32_dpp v85, v0 row_shr:2 row_mask:0xf bank_mask:0xf
	v_cndmask_b32_e64 v85, 0, v85, s[18:19]
	v_add_u32_e32 v0, v0, v85
	ds_write_b32 v41, v0
.LBB166_50:
	s_or_b64 exec, exec, s[36:37]
	v_cmp_lt_u32_e64 s[36:37], 63, v46
	v_add_u32_e32 v85, -4, v76
	v_mov_b32_e32 v0, 0
	v_mov_b32_e32 v110, 0
	s_waitcnt lgkmcnt(0)
	s_barrier
	s_and_saveexec_b64 s[38:39], s[36:37]
	s_cbranch_execz .LBB166_52
; %bb.51:
	ds_read_b32 v110, v85
.LBB166_52:
	s_or_b64 exec, exec, s[38:39]
	v_add_u32_e32 v86, -1, v65
	v_and_b32_e32 v111, 64, v65
	v_cmp_lt_i32_e64 s[38:39], v86, v111
	v_cndmask_b32_e64 v86, v86, v65, s[38:39]
	v_lshlrev_b32_e32 v86, 2, v86
	s_waitcnt lgkmcnt(0)
	v_add_u32_e32 v1, v110, v1
	ds_bpermute_b32 v1, v86, v1
	v_cmp_eq_u32_e64 s[38:39], 0, v65
	v_cmp_eq_u32_e64 s[40:41], 0, v46
	v_and_or_b32 v111, v65, 63, v66
	v_lshlrev_b32_e32 v112, 1, v111
	s_waitcnt lgkmcnt(0)
	v_cndmask_b32_e64 v1, v1, v110, s[38:39]
	v_cndmask_b32_e64 v1, v1, 0, s[40:41]
	v_add_u32_e32 v38, v1, v38
	v_add_u32_e32 v39, v38, v39
	;; [unrolled: 1-line block ×3, first 2 shown]
	ds_write2_b32 v64, v1, v38 offset0:4 offset1:5
	ds_write2_b32 v75, v39, v40 offset0:2 offset1:3
	s_waitcnt lgkmcnt(0)
	s_barrier
	ds_read_b32 v1, v87 offset:16
	ds_read_b32 v38, v90 offset:16
	;; [unrolled: 1-line block ×8, first 2 shown]
	s_waitcnt lgkmcnt(7)
	v_add_u32_e32 v1, v1, v88
	s_waitcnt lgkmcnt(6)
	v_add3_u32 v38, v91, v89, v38
	s_waitcnt lgkmcnt(4)
	v_add3_u32 v88, v97, v95, v40
	v_lshlrev_b32_e32 v40, 1, v1
	v_add3_u32 v39, v94, v92, v39
	s_waitcnt lgkmcnt(0)
	s_barrier
	ds_write_b16 v40, v84
	v_lshlrev_b32_e32 v40, 1, v38
	ds_write_b16 v40, v83
	v_lshlrev_b32_e32 v40, 1, v39
	v_add3_u32 v87, v100, v98, v87
	ds_write_b16 v40, v82
	v_lshlrev_b32_e32 v40, 1, v88
	v_add3_u32 v89, v103, v101, v90
	;; [unrolled: 3-line block ×4, first 2 shown]
	ds_write_b16 v40, v79
	v_lshlrev_b32_e32 v40, 1, v90
	ds_write_b16 v40, v78
	v_lshlrev_b32_e32 v40, 1, v91
	v_lshlrev_b32_e32 v1, 3, v1
	ds_write_b16 v40, v77
	s_waitcnt lgkmcnt(0)
	s_barrier
	ds_read_u16 v83, v112
	ds_read_u16 v82, v112 offset:128
	ds_read_u16 v81, v112 offset:256
	;; [unrolled: 1-line block ×7, first 2 shown]
	s_waitcnt lgkmcnt(0)
	s_barrier
	ds_write_b64 v1, v[34:35]
	v_lshlrev_b32_e32 v1, 3, v38
	ds_write_b64 v1, v[36:37]
	v_lshlrev_b32_e32 v1, 3, v39
	;; [unrolled: 2-line block ×4, first 2 shown]
	s_min_u32 s42, s42, 8
	ds_write_b64 v1, v[26:27]
	v_lshlrev_b32_e32 v1, 3, v89
	s_lshl_b32 s42, -1, s42
	ds_write_b64 v1, v[28:29]
	v_lshlrev_b32_e32 v1, 3, v90
	s_not_b32 s53, s42
	ds_write_b64 v1, v[22:23]
	v_lshlrev_b32_e32 v1, 3, v91
	v_and_b32_sdwa v38, v83, s53 dst_sel:DWORD dst_unused:UNUSED_PAD src0_sel:BYTE_1 src1_sel:DWORD
	ds_write_b64 v1, v[24:25]
	v_lshlrev_b32_e32 v1, 2, v38
	v_add_lshl_u32 v84, v1, v74, 2
	v_and_b32_e32 v1, 1, v38
	v_add_co_u32_e64 v39, s[42:43], -1, v1
	v_addc_co_u32_e64 v87, s[42:43], 0, -1, s[42:43]
	v_cmp_ne_u32_e64 s[42:43], 0, v1
	v_xor_b32_e32 v1, s43, v87
	v_and_b32_e32 v87, exec_hi, v1
	v_lshlrev_b32_e32 v1, 30, v38
	v_xor_b32_e32 v39, s42, v39
	v_cmp_gt_i64_e64 s[42:43], 0, v[0:1]
	v_not_b32_e32 v1, v1
	v_ashrrev_i32_e32 v1, 31, v1
	v_and_b32_e32 v39, exec_lo, v39
	v_xor_b32_e32 v88, s43, v1
	v_xor_b32_e32 v1, s42, v1
	v_and_b32_e32 v39, v39, v1
	v_lshlrev_b32_e32 v1, 29, v38
	v_cmp_gt_i64_e64 s[42:43], 0, v[0:1]
	v_not_b32_e32 v1, v1
	v_ashrrev_i32_e32 v1, 31, v1
	v_and_b32_e32 v87, v87, v88
	v_xor_b32_e32 v88, s43, v1
	v_xor_b32_e32 v1, s42, v1
	v_and_b32_e32 v39, v39, v1
	v_lshlrev_b32_e32 v1, 28, v38
	v_cmp_gt_i64_e64 s[42:43], 0, v[0:1]
	v_not_b32_e32 v1, v1
	v_ashrrev_i32_e32 v1, 31, v1
	v_and_b32_e32 v87, v87, v88
	;; [unrolled: 8-line block ×5, first 2 shown]
	v_xor_b32_e32 v88, s43, v1
	v_xor_b32_e32 v1, s42, v1
	v_lshlrev_b32_e32 v111, 3, v111
	v_and_b32_e32 v39, v39, v1
	v_lshlrev_b32_e32 v1, 24, v38
	s_waitcnt lgkmcnt(0)
	s_barrier
	ds_read2st64_b64 v[34:37], v111 offset1:1
	ds_read2st64_b64 v[30:33], v111 offset0:2 offset1:3
	ds_read2st64_b64 v[26:29], v111 offset0:4 offset1:5
	;; [unrolled: 1-line block ×3, first 2 shown]
	s_waitcnt lgkmcnt(0)
	s_barrier
	ds_write2_b32 v64, v0, v0 offset0:4 offset1:5
	ds_write2_b32 v75, v0, v0 offset0:2 offset1:3
	v_cmp_gt_i64_e64 s[42:43], 0, v[0:1]
	v_not_b32_e32 v0, v1
	v_ashrrev_i32_e32 v0, 31, v0
	v_xor_b32_e32 v1, s43, v0
	v_xor_b32_e32 v0, s42, v0
	v_and_b32_e32 v87, v87, v88
	v_and_b32_e32 v0, v39, v0
	;; [unrolled: 1-line block ×3, first 2 shown]
	v_mbcnt_lo_u32_b32 v38, v0, 0
	v_mbcnt_hi_u32_b32 v87, v1, v38
	v_cmp_eq_u32_e64 s[42:43], 0, v87
	v_cmp_ne_u64_e64 s[44:45], 0, v[0:1]
	s_and_b64 s[44:45], s[44:45], s[42:43]
	s_waitcnt lgkmcnt(0)
	s_barrier
	s_waitcnt lgkmcnt(0)
	; wave barrier
	s_and_saveexec_b64 s[42:43], s[44:45]
	s_cbranch_execz .LBB166_54
; %bb.53:
	v_bcnt_u32_b32 v0, v0, 0
	v_bcnt_u32_b32 v0, v1, v0
	ds_write_b32 v84, v0 offset:16
.LBB166_54:
	s_or_b64 exec, exec, s[42:43]
	v_and_b32_sdwa v38, v82, s53 dst_sel:DWORD dst_unused:UNUSED_PAD src0_sel:BYTE_1 src1_sel:DWORD
	v_and_b32_e32 v1, 1, v38
	v_add_co_u32_e64 v39, s[42:43], -1, v1
	v_addc_co_u32_e64 v90, s[42:43], 0, -1, s[42:43]
	v_cmp_ne_u32_e64 s[42:43], 0, v1
	v_lshlrev_b32_e32 v0, 2, v38
	v_xor_b32_e32 v1, s43, v90
	v_add_lshl_u32 v89, v0, v74, 2
	v_mov_b32_e32 v0, 0
	v_and_b32_e32 v90, exec_hi, v1
	v_lshlrev_b32_e32 v1, 30, v38
	v_xor_b32_e32 v39, s42, v39
	v_cmp_gt_i64_e64 s[42:43], 0, v[0:1]
	v_not_b32_e32 v1, v1
	v_ashrrev_i32_e32 v1, 31, v1
	v_and_b32_e32 v39, exec_lo, v39
	v_xor_b32_e32 v91, s43, v1
	v_xor_b32_e32 v1, s42, v1
	v_and_b32_e32 v39, v39, v1
	v_lshlrev_b32_e32 v1, 29, v38
	v_cmp_gt_i64_e64 s[42:43], 0, v[0:1]
	v_not_b32_e32 v1, v1
	v_ashrrev_i32_e32 v1, 31, v1
	v_and_b32_e32 v90, v90, v91
	v_xor_b32_e32 v91, s43, v1
	v_xor_b32_e32 v1, s42, v1
	v_and_b32_e32 v39, v39, v1
	v_lshlrev_b32_e32 v1, 28, v38
	v_cmp_gt_i64_e64 s[42:43], 0, v[0:1]
	v_not_b32_e32 v1, v1
	v_ashrrev_i32_e32 v1, 31, v1
	v_and_b32_e32 v90, v90, v91
	;; [unrolled: 8-line block ×5, first 2 shown]
	v_xor_b32_e32 v91, s43, v1
	v_xor_b32_e32 v1, s42, v1
	v_and_b32_e32 v90, v90, v91
	v_and_b32_e32 v91, v39, v1
	v_lshlrev_b32_e32 v1, 24, v38
	v_cmp_gt_i64_e64 s[42:43], 0, v[0:1]
	v_not_b32_e32 v1, v1
	v_ashrrev_i32_e32 v1, 31, v1
	v_xor_b32_e32 v38, s43, v1
	v_xor_b32_e32 v1, s42, v1
	; wave barrier
	ds_read_b32 v88, v89 offset:16
	v_and_b32_e32 v39, v90, v38
	v_and_b32_e32 v38, v91, v1
	v_mbcnt_lo_u32_b32 v1, v38, 0
	v_mbcnt_hi_u32_b32 v90, v39, v1
	v_cmp_eq_u32_e64 s[42:43], 0, v90
	v_cmp_ne_u64_e64 s[44:45], 0, v[38:39]
	s_and_b64 s[44:45], s[44:45], s[42:43]
	; wave barrier
	s_and_saveexec_b64 s[42:43], s[44:45]
	s_cbranch_execz .LBB166_56
; %bb.55:
	v_bcnt_u32_b32 v1, v38, 0
	v_bcnt_u32_b32 v1, v39, v1
	s_waitcnt lgkmcnt(0)
	v_add_u32_e32 v1, v88, v1
	ds_write_b32 v89, v1 offset:16
.LBB166_56:
	s_or_b64 exec, exec, s[42:43]
	v_and_b32_sdwa v38, v81, s53 dst_sel:DWORD dst_unused:UNUSED_PAD src0_sel:BYTE_1 src1_sel:DWORD
	v_lshlrev_b32_e32 v1, 2, v38
	v_add_lshl_u32 v92, v1, v74, 2
	v_and_b32_e32 v1, 1, v38
	v_add_co_u32_e64 v39, s[42:43], -1, v1
	v_addc_co_u32_e64 v93, s[42:43], 0, -1, s[42:43]
	v_cmp_ne_u32_e64 s[42:43], 0, v1
	v_xor_b32_e32 v1, s43, v93
	v_and_b32_e32 v93, exec_hi, v1
	v_lshlrev_b32_e32 v1, 30, v38
	v_xor_b32_e32 v39, s42, v39
	v_cmp_gt_i64_e64 s[42:43], 0, v[0:1]
	v_not_b32_e32 v1, v1
	v_ashrrev_i32_e32 v1, 31, v1
	v_and_b32_e32 v39, exec_lo, v39
	v_xor_b32_e32 v94, s43, v1
	v_xor_b32_e32 v1, s42, v1
	v_and_b32_e32 v39, v39, v1
	v_lshlrev_b32_e32 v1, 29, v38
	v_cmp_gt_i64_e64 s[42:43], 0, v[0:1]
	v_not_b32_e32 v1, v1
	v_ashrrev_i32_e32 v1, 31, v1
	v_and_b32_e32 v93, v93, v94
	v_xor_b32_e32 v94, s43, v1
	v_xor_b32_e32 v1, s42, v1
	v_and_b32_e32 v39, v39, v1
	v_lshlrev_b32_e32 v1, 28, v38
	v_cmp_gt_i64_e64 s[42:43], 0, v[0:1]
	v_not_b32_e32 v1, v1
	v_ashrrev_i32_e32 v1, 31, v1
	v_and_b32_e32 v93, v93, v94
	;; [unrolled: 8-line block ×5, first 2 shown]
	v_xor_b32_e32 v94, s43, v1
	v_xor_b32_e32 v1, s42, v1
	v_and_b32_e32 v39, v39, v1
	v_lshlrev_b32_e32 v1, 24, v38
	v_cmp_gt_i64_e64 s[42:43], 0, v[0:1]
	v_not_b32_e32 v0, v1
	v_ashrrev_i32_e32 v0, 31, v0
	v_xor_b32_e32 v1, s43, v0
	v_xor_b32_e32 v0, s42, v0
	; wave barrier
	ds_read_b32 v91, v92 offset:16
	v_and_b32_e32 v93, v93, v94
	v_and_b32_e32 v0, v39, v0
	;; [unrolled: 1-line block ×3, first 2 shown]
	v_mbcnt_lo_u32_b32 v38, v0, 0
	v_mbcnt_hi_u32_b32 v93, v1, v38
	v_cmp_eq_u32_e64 s[42:43], 0, v93
	v_cmp_ne_u64_e64 s[44:45], 0, v[0:1]
	s_and_b64 s[44:45], s[44:45], s[42:43]
	; wave barrier
	s_and_saveexec_b64 s[42:43], s[44:45]
	s_cbranch_execz .LBB166_58
; %bb.57:
	v_bcnt_u32_b32 v0, v0, 0
	v_bcnt_u32_b32 v0, v1, v0
	s_waitcnt lgkmcnt(0)
	v_add_u32_e32 v0, v91, v0
	ds_write_b32 v92, v0 offset:16
.LBB166_58:
	s_or_b64 exec, exec, s[42:43]
	v_and_b32_sdwa v38, v80, s53 dst_sel:DWORD dst_unused:UNUSED_PAD src0_sel:BYTE_1 src1_sel:DWORD
	v_and_b32_e32 v1, 1, v38
	v_add_co_u32_e64 v39, s[42:43], -1, v1
	v_addc_co_u32_e64 v96, s[42:43], 0, -1, s[42:43]
	v_cmp_ne_u32_e64 s[42:43], 0, v1
	v_lshlrev_b32_e32 v0, 2, v38
	v_xor_b32_e32 v1, s43, v96
	v_add_lshl_u32 v95, v0, v74, 2
	v_mov_b32_e32 v0, 0
	v_and_b32_e32 v96, exec_hi, v1
	v_lshlrev_b32_e32 v1, 30, v38
	v_xor_b32_e32 v39, s42, v39
	v_cmp_gt_i64_e64 s[42:43], 0, v[0:1]
	v_not_b32_e32 v1, v1
	v_ashrrev_i32_e32 v1, 31, v1
	v_and_b32_e32 v39, exec_lo, v39
	v_xor_b32_e32 v97, s43, v1
	v_xor_b32_e32 v1, s42, v1
	v_and_b32_e32 v39, v39, v1
	v_lshlrev_b32_e32 v1, 29, v38
	v_cmp_gt_i64_e64 s[42:43], 0, v[0:1]
	v_not_b32_e32 v1, v1
	v_ashrrev_i32_e32 v1, 31, v1
	v_and_b32_e32 v96, v96, v97
	v_xor_b32_e32 v97, s43, v1
	v_xor_b32_e32 v1, s42, v1
	v_and_b32_e32 v39, v39, v1
	v_lshlrev_b32_e32 v1, 28, v38
	v_cmp_gt_i64_e64 s[42:43], 0, v[0:1]
	v_not_b32_e32 v1, v1
	v_ashrrev_i32_e32 v1, 31, v1
	v_and_b32_e32 v96, v96, v97
	;; [unrolled: 8-line block ×5, first 2 shown]
	v_xor_b32_e32 v97, s43, v1
	v_xor_b32_e32 v1, s42, v1
	v_and_b32_e32 v96, v96, v97
	v_and_b32_e32 v97, v39, v1
	v_lshlrev_b32_e32 v1, 24, v38
	v_cmp_gt_i64_e64 s[42:43], 0, v[0:1]
	v_not_b32_e32 v1, v1
	v_ashrrev_i32_e32 v1, 31, v1
	v_xor_b32_e32 v38, s43, v1
	v_xor_b32_e32 v1, s42, v1
	; wave barrier
	ds_read_b32 v94, v95 offset:16
	v_and_b32_e32 v39, v96, v38
	v_and_b32_e32 v38, v97, v1
	v_mbcnt_lo_u32_b32 v1, v38, 0
	v_mbcnt_hi_u32_b32 v96, v39, v1
	v_cmp_eq_u32_e64 s[42:43], 0, v96
	v_cmp_ne_u64_e64 s[44:45], 0, v[38:39]
	s_and_b64 s[44:45], s[44:45], s[42:43]
	; wave barrier
	s_and_saveexec_b64 s[42:43], s[44:45]
	s_cbranch_execz .LBB166_60
; %bb.59:
	v_bcnt_u32_b32 v1, v38, 0
	v_bcnt_u32_b32 v1, v39, v1
	s_waitcnt lgkmcnt(0)
	v_add_u32_e32 v1, v94, v1
	ds_write_b32 v95, v1 offset:16
.LBB166_60:
	s_or_b64 exec, exec, s[42:43]
	v_and_b32_sdwa v38, v79, s53 dst_sel:DWORD dst_unused:UNUSED_PAD src0_sel:BYTE_1 src1_sel:DWORD
	v_lshlrev_b32_e32 v1, 2, v38
	v_add_lshl_u32 v98, v1, v74, 2
	v_and_b32_e32 v1, 1, v38
	v_add_co_u32_e64 v39, s[42:43], -1, v1
	v_addc_co_u32_e64 v99, s[42:43], 0, -1, s[42:43]
	v_cmp_ne_u32_e64 s[42:43], 0, v1
	v_xor_b32_e32 v1, s43, v99
	v_and_b32_e32 v99, exec_hi, v1
	v_lshlrev_b32_e32 v1, 30, v38
	v_xor_b32_e32 v39, s42, v39
	v_cmp_gt_i64_e64 s[42:43], 0, v[0:1]
	v_not_b32_e32 v1, v1
	v_ashrrev_i32_e32 v1, 31, v1
	v_and_b32_e32 v39, exec_lo, v39
	v_xor_b32_e32 v100, s43, v1
	v_xor_b32_e32 v1, s42, v1
	v_and_b32_e32 v39, v39, v1
	v_lshlrev_b32_e32 v1, 29, v38
	v_cmp_gt_i64_e64 s[42:43], 0, v[0:1]
	v_not_b32_e32 v1, v1
	v_ashrrev_i32_e32 v1, 31, v1
	v_and_b32_e32 v99, v99, v100
	v_xor_b32_e32 v100, s43, v1
	v_xor_b32_e32 v1, s42, v1
	v_and_b32_e32 v39, v39, v1
	v_lshlrev_b32_e32 v1, 28, v38
	v_cmp_gt_i64_e64 s[42:43], 0, v[0:1]
	v_not_b32_e32 v1, v1
	v_ashrrev_i32_e32 v1, 31, v1
	v_and_b32_e32 v99, v99, v100
	;; [unrolled: 8-line block ×5, first 2 shown]
	v_xor_b32_e32 v100, s43, v1
	v_xor_b32_e32 v1, s42, v1
	v_and_b32_e32 v39, v39, v1
	v_lshlrev_b32_e32 v1, 24, v38
	v_cmp_gt_i64_e64 s[42:43], 0, v[0:1]
	v_not_b32_e32 v0, v1
	v_ashrrev_i32_e32 v0, 31, v0
	v_xor_b32_e32 v1, s43, v0
	v_xor_b32_e32 v0, s42, v0
	; wave barrier
	ds_read_b32 v97, v98 offset:16
	v_and_b32_e32 v99, v99, v100
	v_and_b32_e32 v0, v39, v0
	;; [unrolled: 1-line block ×3, first 2 shown]
	v_mbcnt_lo_u32_b32 v38, v0, 0
	v_mbcnt_hi_u32_b32 v99, v1, v38
	v_cmp_eq_u32_e64 s[42:43], 0, v99
	v_cmp_ne_u64_e64 s[44:45], 0, v[0:1]
	s_and_b64 s[44:45], s[44:45], s[42:43]
	; wave barrier
	s_and_saveexec_b64 s[42:43], s[44:45]
	s_cbranch_execz .LBB166_62
; %bb.61:
	v_bcnt_u32_b32 v0, v0, 0
	v_bcnt_u32_b32 v0, v1, v0
	s_waitcnt lgkmcnt(0)
	v_add_u32_e32 v0, v97, v0
	ds_write_b32 v98, v0 offset:16
.LBB166_62:
	s_or_b64 exec, exec, s[42:43]
	v_and_b32_sdwa v38, v78, s53 dst_sel:DWORD dst_unused:UNUSED_PAD src0_sel:BYTE_1 src1_sel:DWORD
	v_and_b32_e32 v1, 1, v38
	v_add_co_u32_e64 v39, s[42:43], -1, v1
	v_addc_co_u32_e64 v102, s[42:43], 0, -1, s[42:43]
	v_cmp_ne_u32_e64 s[42:43], 0, v1
	v_lshlrev_b32_e32 v0, 2, v38
	v_xor_b32_e32 v1, s43, v102
	v_add_lshl_u32 v101, v0, v74, 2
	v_mov_b32_e32 v0, 0
	v_and_b32_e32 v102, exec_hi, v1
	v_lshlrev_b32_e32 v1, 30, v38
	v_xor_b32_e32 v39, s42, v39
	v_cmp_gt_i64_e64 s[42:43], 0, v[0:1]
	v_not_b32_e32 v1, v1
	v_ashrrev_i32_e32 v1, 31, v1
	v_and_b32_e32 v39, exec_lo, v39
	v_xor_b32_e32 v103, s43, v1
	v_xor_b32_e32 v1, s42, v1
	v_and_b32_e32 v39, v39, v1
	v_lshlrev_b32_e32 v1, 29, v38
	v_cmp_gt_i64_e64 s[42:43], 0, v[0:1]
	v_not_b32_e32 v1, v1
	v_ashrrev_i32_e32 v1, 31, v1
	v_and_b32_e32 v102, v102, v103
	v_xor_b32_e32 v103, s43, v1
	v_xor_b32_e32 v1, s42, v1
	v_and_b32_e32 v39, v39, v1
	v_lshlrev_b32_e32 v1, 28, v38
	v_cmp_gt_i64_e64 s[42:43], 0, v[0:1]
	v_not_b32_e32 v1, v1
	v_ashrrev_i32_e32 v1, 31, v1
	v_and_b32_e32 v102, v102, v103
	;; [unrolled: 8-line block ×5, first 2 shown]
	v_xor_b32_e32 v103, s43, v1
	v_xor_b32_e32 v1, s42, v1
	v_and_b32_e32 v102, v102, v103
	v_and_b32_e32 v103, v39, v1
	v_lshlrev_b32_e32 v1, 24, v38
	v_cmp_gt_i64_e64 s[42:43], 0, v[0:1]
	v_not_b32_e32 v1, v1
	v_ashrrev_i32_e32 v1, 31, v1
	v_xor_b32_e32 v38, s43, v1
	v_xor_b32_e32 v1, s42, v1
	; wave barrier
	ds_read_b32 v100, v101 offset:16
	v_and_b32_e32 v39, v102, v38
	v_and_b32_e32 v38, v103, v1
	v_mbcnt_lo_u32_b32 v1, v38, 0
	v_mbcnt_hi_u32_b32 v102, v39, v1
	v_cmp_eq_u32_e64 s[42:43], 0, v102
	v_cmp_ne_u64_e64 s[44:45], 0, v[38:39]
	s_and_b64 s[44:45], s[44:45], s[42:43]
	; wave barrier
	s_and_saveexec_b64 s[42:43], s[44:45]
	s_cbranch_execz .LBB166_64
; %bb.63:
	v_bcnt_u32_b32 v1, v38, 0
	v_bcnt_u32_b32 v1, v39, v1
	s_waitcnt lgkmcnt(0)
	v_add_u32_e32 v1, v100, v1
	ds_write_b32 v101, v1 offset:16
.LBB166_64:
	s_or_b64 exec, exec, s[42:43]
	v_and_b32_sdwa v38, v77, s53 dst_sel:DWORD dst_unused:UNUSED_PAD src0_sel:BYTE_1 src1_sel:DWORD
	v_lshlrev_b32_e32 v1, 2, v38
	v_add_lshl_u32 v104, v1, v74, 2
	v_and_b32_e32 v1, 1, v38
	v_add_co_u32_e64 v39, s[42:43], -1, v1
	v_addc_co_u32_e64 v105, s[42:43], 0, -1, s[42:43]
	v_cmp_ne_u32_e64 s[42:43], 0, v1
	v_xor_b32_e32 v1, s43, v105
	v_and_b32_e32 v105, exec_hi, v1
	v_lshlrev_b32_e32 v1, 30, v38
	v_xor_b32_e32 v39, s42, v39
	v_cmp_gt_i64_e64 s[42:43], 0, v[0:1]
	v_not_b32_e32 v1, v1
	v_ashrrev_i32_e32 v1, 31, v1
	v_and_b32_e32 v39, exec_lo, v39
	v_xor_b32_e32 v106, s43, v1
	v_xor_b32_e32 v1, s42, v1
	v_and_b32_e32 v39, v39, v1
	v_lshlrev_b32_e32 v1, 29, v38
	v_cmp_gt_i64_e64 s[42:43], 0, v[0:1]
	v_not_b32_e32 v1, v1
	v_ashrrev_i32_e32 v1, 31, v1
	v_and_b32_e32 v105, v105, v106
	v_xor_b32_e32 v106, s43, v1
	v_xor_b32_e32 v1, s42, v1
	v_and_b32_e32 v39, v39, v1
	v_lshlrev_b32_e32 v1, 28, v38
	v_cmp_gt_i64_e64 s[42:43], 0, v[0:1]
	v_not_b32_e32 v1, v1
	v_ashrrev_i32_e32 v1, 31, v1
	v_and_b32_e32 v105, v105, v106
	;; [unrolled: 8-line block ×5, first 2 shown]
	v_xor_b32_e32 v106, s43, v1
	v_xor_b32_e32 v1, s42, v1
	v_and_b32_e32 v39, v39, v1
	v_lshlrev_b32_e32 v1, 24, v38
	v_cmp_gt_i64_e64 s[42:43], 0, v[0:1]
	v_not_b32_e32 v0, v1
	v_ashrrev_i32_e32 v0, 31, v0
	v_xor_b32_e32 v1, s43, v0
	v_xor_b32_e32 v0, s42, v0
	; wave barrier
	ds_read_b32 v103, v104 offset:16
	v_and_b32_e32 v105, v105, v106
	v_and_b32_e32 v0, v39, v0
	;; [unrolled: 1-line block ×3, first 2 shown]
	v_mbcnt_lo_u32_b32 v38, v0, 0
	v_mbcnt_hi_u32_b32 v105, v1, v38
	v_cmp_eq_u32_e64 s[42:43], 0, v105
	v_cmp_ne_u64_e64 s[44:45], 0, v[0:1]
	s_and_b64 s[44:45], s[44:45], s[42:43]
	; wave barrier
	s_and_saveexec_b64 s[42:43], s[44:45]
	s_cbranch_execz .LBB166_66
; %bb.65:
	v_bcnt_u32_b32 v0, v0, 0
	v_bcnt_u32_b32 v0, v1, v0
	s_waitcnt lgkmcnt(0)
	v_add_u32_e32 v0, v103, v0
	ds_write_b32 v104, v0 offset:16
.LBB166_66:
	s_or_b64 exec, exec, s[42:43]
	v_and_b32_sdwa v38, v40, s53 dst_sel:DWORD dst_unused:UNUSED_PAD src0_sel:BYTE_1 src1_sel:DWORD
	v_and_b32_e32 v1, 1, v38
	v_add_co_u32_e64 v39, s[42:43], -1, v1
	v_addc_co_u32_e64 v107, s[42:43], 0, -1, s[42:43]
	v_cmp_ne_u32_e64 s[42:43], 0, v1
	v_lshlrev_b32_e32 v0, 2, v38
	v_xor_b32_e32 v1, s43, v107
	v_add_lshl_u32 v106, v0, v74, 2
	v_mov_b32_e32 v0, 0
	v_and_b32_e32 v107, exec_hi, v1
	v_lshlrev_b32_e32 v1, 30, v38
	v_xor_b32_e32 v39, s42, v39
	v_cmp_gt_i64_e64 s[42:43], 0, v[0:1]
	v_not_b32_e32 v1, v1
	v_ashrrev_i32_e32 v1, 31, v1
	v_and_b32_e32 v39, exec_lo, v39
	v_xor_b32_e32 v108, s43, v1
	v_xor_b32_e32 v1, s42, v1
	v_and_b32_e32 v39, v39, v1
	v_lshlrev_b32_e32 v1, 29, v38
	v_cmp_gt_i64_e64 s[42:43], 0, v[0:1]
	v_not_b32_e32 v1, v1
	v_ashrrev_i32_e32 v1, 31, v1
	v_and_b32_e32 v107, v107, v108
	v_xor_b32_e32 v108, s43, v1
	v_xor_b32_e32 v1, s42, v1
	v_and_b32_e32 v39, v39, v1
	v_lshlrev_b32_e32 v1, 28, v38
	v_cmp_gt_i64_e64 s[42:43], 0, v[0:1]
	v_not_b32_e32 v1, v1
	v_ashrrev_i32_e32 v1, 31, v1
	v_and_b32_e32 v107, v107, v108
	;; [unrolled: 8-line block ×5, first 2 shown]
	v_xor_b32_e32 v108, s43, v1
	v_xor_b32_e32 v1, s42, v1
	v_and_b32_e32 v39, v39, v1
	v_lshlrev_b32_e32 v1, 24, v38
	v_cmp_gt_i64_e64 s[42:43], 0, v[0:1]
	v_not_b32_e32 v0, v1
	v_ashrrev_i32_e32 v0, 31, v0
	v_xor_b32_e32 v1, s43, v0
	v_xor_b32_e32 v0, s42, v0
	; wave barrier
	ds_read_b32 v74, v106 offset:16
	v_and_b32_e32 v107, v107, v108
	v_and_b32_e32 v0, v39, v0
	;; [unrolled: 1-line block ×3, first 2 shown]
	v_mbcnt_lo_u32_b32 v38, v0, 0
	v_mbcnt_hi_u32_b32 v107, v1, v38
	v_cmp_eq_u32_e64 s[42:43], 0, v107
	v_cmp_ne_u64_e64 s[44:45], 0, v[0:1]
	s_and_b64 s[44:45], s[44:45], s[42:43]
	; wave barrier
	s_and_saveexec_b64 s[42:43], s[44:45]
	s_cbranch_execz .LBB166_68
; %bb.67:
	v_bcnt_u32_b32 v0, v0, 0
	v_bcnt_u32_b32 v0, v1, v0
	s_waitcnt lgkmcnt(0)
	v_add_u32_e32 v0, v74, v0
	ds_write_b32 v106, v0 offset:16
.LBB166_68:
	s_or_b64 exec, exec, s[42:43]
	; wave barrier
	s_waitcnt lgkmcnt(0)
	s_barrier
	ds_read2_b32 v[38:39], v64 offset0:4 offset1:5
	ds_read2_b32 v[0:1], v75 offset0:2 offset1:3
	s_waitcnt lgkmcnt(1)
	v_add_u32_e32 v108, v39, v38
	s_waitcnt lgkmcnt(0)
	v_add3_u32 v1, v108, v0, v1
	s_nop 1
	v_mov_b32_dpp v108, v1 row_shr:1 row_mask:0xf bank_mask:0xf
	v_cndmask_b32_e64 v108, v108, 0, s[22:23]
	v_add_u32_e32 v1, v108, v1
	s_nop 1
	v_mov_b32_dpp v108, v1 row_shr:2 row_mask:0xf bank_mask:0xf
	v_cndmask_b32_e64 v108, 0, v108, s[24:25]
	v_add_u32_e32 v1, v1, v108
	;; [unrolled: 4-line block ×4, first 2 shown]
	s_nop 1
	v_mov_b32_dpp v108, v1 row_bcast:15 row_mask:0xf bank_mask:0xf
	v_cndmask_b32_e64 v108, v108, 0, vcc
	v_add_u32_e32 v1, v1, v108
	s_nop 1
	v_mov_b32_dpp v108, v1 row_bcast:31 row_mask:0xf bank_mask:0xf
	v_cndmask_b32_e64 v108, 0, v108, s[34:35]
	v_add_u32_e32 v1, v1, v108
	s_and_saveexec_b64 s[22:23], s[16:17]
	s_cbranch_execz .LBB166_70
; %bb.69:
	ds_write_b32 v76, v1
.LBB166_70:
	s_or_b64 exec, exec, s[22:23]
	s_waitcnt lgkmcnt(0)
	s_barrier
	s_and_saveexec_b64 s[16:17], s[26:27]
	s_cbranch_execz .LBB166_72
; %bb.71:
	ds_read_b32 v76, v41
	s_waitcnt lgkmcnt(0)
	s_nop 0
	v_mov_b32_dpp v108, v76 row_shr:1 row_mask:0xf bank_mask:0xf
	v_cndmask_b32_e64 v108, v108, 0, s[20:21]
	v_add_u32_e32 v76, v108, v76
	s_nop 1
	v_mov_b32_dpp v108, v76 row_shr:2 row_mask:0xf bank_mask:0xf
	v_cndmask_b32_e64 v108, 0, v108, s[18:19]
	v_add_u32_e32 v76, v76, v108
	ds_write_b32 v41, v76
.LBB166_72:
	s_or_b64 exec, exec, s[16:17]
	v_mov_b32_e32 v41, 0
	s_waitcnt lgkmcnt(0)
	s_barrier
	s_and_saveexec_b64 s[16:17], s[36:37]
	s_cbranch_execz .LBB166_74
; %bb.73:
	ds_read_b32 v41, v85
.LBB166_74:
	s_or_b64 exec, exec, s[16:17]
	s_waitcnt lgkmcnt(0)
	v_add_u32_e32 v1, v41, v1
	ds_bpermute_b32 v1, v86, v1
	s_waitcnt lgkmcnt(0)
	v_cndmask_b32_e64 v1, v1, v41, s[38:39]
	v_cndmask_b32_e64 v1, v1, 0, s[40:41]
	v_add_u32_e32 v38, v1, v38
	v_add_u32_e32 v39, v38, v39
	;; [unrolled: 1-line block ×3, first 2 shown]
	ds_write2_b32 v64, v1, v38 offset0:4 offset1:5
	ds_write2_b32 v75, v39, v0 offset0:2 offset1:3
	s_waitcnt lgkmcnt(0)
	s_barrier
	ds_read_b32 v0, v106 offset:16
	ds_read_b32 v1, v104 offset:16
	;; [unrolled: 1-line block ×4, first 2 shown]
	s_waitcnt lgkmcnt(3)
	v_add3_u32 v0, v107, v74, v0
	s_waitcnt lgkmcnt(2)
	v_add3_u32 v1, v105, v103, v1
	;; [unrolled: 2-line block ×3, first 2 shown]
	ds_read_b32 v38, v95 offset:16
	ds_read_b32 v41, v92 offset:16
	;; [unrolled: 1-line block ×4, first 2 shown]
	s_waitcnt lgkmcnt(0)
	s_barrier
	v_add3_u32 v41, v93, v91, v41
	v_add3_u32 v75, v90, v88, v75
	v_add_u32_e32 v76, v76, v87
	v_lshlrev_b32_e32 v84, 1, v76
	ds_write_b16 v84, v83
	v_lshlrev_b32_e32 v83, 1, v75
	v_add3_u32 v38, v96, v94, v38
	ds_write_b16 v83, v82
	v_lshlrev_b32_e32 v82, 1, v41
	v_add3_u32 v39, v99, v97, v39
	ds_write_b16 v82, v81
	v_lshlrev_b32_e32 v81, 1, v38
	ds_write_b16 v81, v80
	v_lshlrev_b32_e32 v80, 1, v39
	ds_write_b16 v80, v79
	v_lshlrev_b32_e32 v79, 1, v74
	ds_write_b16 v79, v78
	v_lshlrev_b32_e32 v78, 1, v1
	ds_write_b16 v78, v77
	v_lshlrev_b32_e32 v77, 1, v0
	ds_write_b16 v77, v40
	v_lshlrev_b32_e32 v40, 1, v62
	v_lshlrev_b32_e32 v76, 3, v76
	v_lshlrev_b32_e32 v80, 3, v62
	s_waitcnt lgkmcnt(0)
	s_barrier
	v_lshlrev_b32_e32 v75, 3, v75
	v_lshlrev_b32_e32 v77, 3, v41
	;; [unrolled: 1-line block ×4, first 2 shown]
	ds_read_b128 v[38:41], v40
	v_lshlrev_b32_e32 v74, 3, v74
	v_lshlrev_b32_e32 v1, 3, v1
	;; [unrolled: 1-line block ×3, first 2 shown]
	s_waitcnt lgkmcnt(0)
	s_barrier
	ds_write_b64 v76, v[34:35]
	ds_write_b64 v75, v[36:37]
	;; [unrolled: 1-line block ×8, first 2 shown]
	s_waitcnt lgkmcnt(0)
	s_barrier
	ds_read2_b64 v[22:25], v80 offset1:1
	ds_read2_b64 v[26:29], v80 offset0:2 offset1:3
	ds_read2_b64 v[30:33], v80 offset0:4 offset1:5
	;; [unrolled: 1-line block ×3, first 2 shown]
	v_xor_b32_e32 v38, 0x80008000, v38
	v_xor_b32_e32 v39, 0x80008000, v39
	;; [unrolled: 1-line block ×4, first 2 shown]
	s_branch .LBB166_128
.LBB166_75:
	v_mov_b32_e32 v45, 0
	v_lshlrev_b64 v[2:3], 3, v[44:45]
	v_mov_b32_e32 v4, s52
	v_add_co_u32_e32 v2, vcc, s49, v2
	v_addc_co_u32_e32 v3, vcc, v4, v3, vcc
	global_load_dwordx2 v[2:3], v[2:3], off
	v_mov_b32_e32 v4, v45
	v_mov_b32_e32 v5, v45
	;; [unrolled: 1-line block ×14, first 2 shown]
	s_or_b64 exec, exec, s[16:17]
	s_and_saveexec_b64 s[16:17], s[2:3]
	s_cbranch_execz .LBB166_22
.LBB166_76:
	v_mul_lo_u32 v4, v1, s48
	v_mov_b32_e32 v5, 0
	v_lshlrev_b64 v[4:5], 3, v[4:5]
	v_mov_b32_e32 v1, s52
	v_add_co_u32_e32 v4, vcc, s49, v4
	v_addc_co_u32_e32 v5, vcc, v1, v5, vcc
	global_load_dwordx2 v[4:5], v[4:5], off
	s_or_b64 exec, exec, s[16:17]
	s_and_saveexec_b64 s[16:17], s[4:5]
	s_cbranch_execz .LBB166_23
.LBB166_77:
	v_mul_lo_u32 v6, v22, s48
	v_mov_b32_e32 v7, 0
	v_lshlrev_b64 v[6:7], 3, v[6:7]
	v_mov_b32_e32 v1, s52
	v_add_co_u32_e32 v6, vcc, s49, v6
	v_addc_co_u32_e32 v7, vcc, v1, v7, vcc
	global_load_dwordx2 v[6:7], v[6:7], off
	s_or_b64 exec, exec, s[16:17]
	s_and_saveexec_b64 s[16:17], s[6:7]
	s_cbranch_execz .LBB166_24
.LBB166_78:
	v_mul_lo_u32 v8, v23, s48
	v_mov_b32_e32 v9, 0
	v_lshlrev_b64 v[8:9], 3, v[8:9]
	v_mov_b32_e32 v1, s52
	v_add_co_u32_e32 v8, vcc, s49, v8
	v_addc_co_u32_e32 v9, vcc, v1, v9, vcc
	global_load_dwordx2 v[8:9], v[8:9], off
	s_or_b64 exec, exec, s[16:17]
	s_and_saveexec_b64 s[16:17], s[8:9]
	s_cbranch_execz .LBB166_25
.LBB166_79:
	v_mul_lo_u32 v10, v24, s48
	v_mov_b32_e32 v11, 0
	v_lshlrev_b64 v[10:11], 3, v[10:11]
	v_mov_b32_e32 v1, s52
	v_add_co_u32_e32 v10, vcc, s49, v10
	v_addc_co_u32_e32 v11, vcc, v1, v11, vcc
	global_load_dwordx2 v[10:11], v[10:11], off
	s_or_b64 exec, exec, s[16:17]
	s_and_saveexec_b64 s[16:17], s[10:11]
	s_cbranch_execz .LBB166_26
.LBB166_80:
	v_mul_lo_u32 v12, v25, s48
	v_mov_b32_e32 v13, 0
	v_lshlrev_b64 v[12:13], 3, v[12:13]
	v_mov_b32_e32 v1, s52
	v_add_co_u32_e32 v12, vcc, s49, v12
	v_addc_co_u32_e32 v13, vcc, v1, v13, vcc
	global_load_dwordx2 v[12:13], v[12:13], off
	s_or_b64 exec, exec, s[16:17]
	s_and_saveexec_b64 s[16:17], s[12:13]
	s_cbranch_execz .LBB166_27
.LBB166_81:
	v_mul_lo_u32 v14, v26, s48
	v_mov_b32_e32 v15, 0
	v_lshlrev_b64 v[14:15], 3, v[14:15]
	v_mov_b32_e32 v1, s52
	v_add_co_u32_e32 v14, vcc, s49, v14
	v_addc_co_u32_e32 v15, vcc, v1, v15, vcc
	global_load_dwordx2 v[14:15], v[14:15], off
	s_or_b64 exec, exec, s[16:17]
	s_xor_b64 s[16:17], s[34:35], -1
	s_and_saveexec_b64 s[18:19], s[14:15]
	s_cbranch_execnz .LBB166_28
	s_branch .LBB166_29
.LBB166_82:
                                        ; implicit-def: $vgpr41
                                        ; implicit-def: $vgpr36_vgpr37
                                        ; implicit-def: $vgpr32_vgpr33
                                        ; implicit-def: $vgpr28_vgpr29
                                        ; implicit-def: $vgpr24_vgpr25
	s_cbranch_execz .LBB166_128
; %bb.83:
	s_movk_i32 s16, 0x7fff
	v_xor_b32_e32 v0, 0x7fff, v18
	v_xor_b32_sdwa v1, v18, s16 dst_sel:DWORD dst_unused:UNUSED_PAD src0_sel:WORD_1 src1_sel:DWORD
	v_xor_b32_e32 v18, 0x7fff, v19
	v_xor_b32_sdwa v19, v19, s16 dst_sel:DWORD dst_unused:UNUSED_PAD src0_sel:WORD_1 src1_sel:DWORD
	s_waitcnt lgkmcnt(3)
	v_xor_b32_e32 v22, 0x7fff, v20
	v_xor_b32_sdwa v20, v20, s16 dst_sel:DWORD dst_unused:UNUSED_PAD src0_sel:WORD_1 src1_sel:DWORD
	v_xor_b32_e32 v23, 0x7fff, v21
	v_xor_b32_sdwa v21, v21, s16 dst_sel:DWORD dst_unused:UNUSED_PAD src0_sel:WORD_1 src1_sel:DWORD
	s_mov_b32 s16, 0x5040100
	v_perm_b32 v21, v21, v23, s16
	v_perm_b32 v20, v20, v22, s16
	;; [unrolled: 1-line block ×4, first 2 shown]
	ds_write_b128 v73, v[18:21]
	; wave barrier
	s_waitcnt lgkmcnt(2)
	ds_read_u16 v32, v72
	ds_read_u16 v31, v72 offset:128
	ds_read_u16 v30, v72 offset:256
	;; [unrolled: 1-line block ×7, first 2 shown]
	s_waitcnt lgkmcnt(0)
	s_barrier
	ds_write2_b64 v71, v[14:15], v[16:17] offset1:1
	ds_write2_b64 v71, v[10:11], v[12:13] offset0:2 offset1:3
	ds_write2_b64 v71, v[6:7], v[8:9] offset0:4 offset1:5
	;; [unrolled: 1-line block ×3, first 2 shown]
	; wave barrier
	ds_read2st64_b64 v[12:15], v70 offset1:1
	ds_read2st64_b64 v[8:11], v70 offset0:2 offset1:3
	ds_read2st64_b64 v[4:7], v70 offset0:4 offset1:5
	;; [unrolled: 1-line block ×3, first 2 shown]
	s_waitcnt lgkmcnt(0)
	s_barrier
	s_load_dword s18, s[50:51], 0xc
	s_getpc_b64 s[16:17]
	s_add_u32 s16, s16, _ZN7rocprim17ROCPRIM_400000_NS16block_radix_sortIsLj256ELj8ElLj1ELj1ELj0ELNS0_26block_radix_rank_algorithmE1ELNS0_18block_padding_hintE2ELNS0_4arch9wavefront6targetE1EE19radix_bits_per_passE@rel32@lo+4
	s_addc_u32 s17, s17, _ZN7rocprim17ROCPRIM_400000_NS16block_radix_sortIsLj256ELj8ElLj1ELj1ELj0ELNS0_26block_radix_rank_algorithmE1ELNS0_18block_padding_hintE2ELNS0_4arch9wavefront6targetE1EE19radix_bits_per_passE@rel32@hi+12
	s_load_dword s42, s[16:17], 0x0
	s_waitcnt lgkmcnt(0)
	s_lshr_b32 s16, s18, 16
	s_and_b32 s17, s18, 0xffff
	v_mad_u32_u24 v16, v69, s16, v68
	v_mad_u64_u32 v[16:17], s[16:17], v16, s17, v[46:47]
	s_min_u32 s16, s42, 16
	s_lshl_b32 s16, -1, s16
	s_not_b32 s18, s16
	v_and_b32_sdwa v18, s18, v32 dst_sel:DWORD dst_unused:UNUSED_PAD src0_sel:DWORD src1_sel:WORD_0
	v_lshrrev_b32_e32 v22, 6, v16
	v_lshlrev_b32_e32 v17, 2, v18
	v_add_lshl_u32 v35, v22, v17, 2
	v_and_b32_e32 v17, 1, v18
	v_add_co_u32_e32 v19, vcc, -1, v17
	v_addc_co_u32_e64 v20, s[16:17], 0, -1, vcc
	v_cmp_ne_u32_e32 vcc, 0, v17
	v_xor_b32_e32 v17, vcc_hi, v20
	v_mov_b32_e32 v16, 0
	v_and_b32_e32 v20, exec_hi, v17
	v_lshlrev_b32_e32 v17, 30, v18
	v_xor_b32_e32 v19, vcc_lo, v19
	v_cmp_gt_i64_e32 vcc, 0, v[16:17]
	v_not_b32_e32 v17, v17
	v_ashrrev_i32_e32 v17, 31, v17
	v_and_b32_e32 v19, exec_lo, v19
	v_xor_b32_e32 v21, vcc_hi, v17
	v_xor_b32_e32 v17, vcc_lo, v17
	v_and_b32_e32 v19, v19, v17
	v_lshlrev_b32_e32 v17, 29, v18
	v_cmp_gt_i64_e32 vcc, 0, v[16:17]
	v_not_b32_e32 v17, v17
	v_ashrrev_i32_e32 v17, 31, v17
	v_and_b32_e32 v20, v20, v21
	v_xor_b32_e32 v21, vcc_hi, v17
	v_xor_b32_e32 v17, vcc_lo, v17
	v_and_b32_e32 v19, v19, v17
	v_lshlrev_b32_e32 v17, 28, v18
	v_cmp_gt_i64_e32 vcc, 0, v[16:17]
	v_not_b32_e32 v17, v17
	v_ashrrev_i32_e32 v17, 31, v17
	v_and_b32_e32 v20, v20, v21
	;; [unrolled: 8-line block ×5, first 2 shown]
	v_xor_b32_e32 v21, vcc_hi, v17
	v_xor_b32_e32 v17, vcc_lo, v17
	v_and_b32_e32 v20, v20, v21
	v_and_b32_e32 v21, v19, v17
	v_lshlrev_b32_e32 v17, 24, v18
	v_cmp_gt_i64_e32 vcc, 0, v[16:17]
	v_not_b32_e32 v17, v17
	v_ashrrev_i32_e32 v17, 31, v17
	v_xor_b32_e32 v18, vcc_hi, v17
	v_xor_b32_e32 v17, vcc_lo, v17
	v_and_b32_e32 v19, v20, v18
	v_and_b32_e32 v18, v21, v17
	v_mbcnt_lo_u32_b32 v17, v18, 0
	v_mbcnt_hi_u32_b32 v36, v19, v17
	v_cmp_eq_u32_e32 vcc, 0, v36
	v_cmp_ne_u64_e64 s[16:17], 0, v[18:19]
	s_and_b64 s[20:21], s[16:17], vcc
	ds_write2_b32 v64, v16, v16 offset0:4 offset1:5
	ds_write2_b32 v64, v16, v16 offset0:6 offset1:7
	s_waitcnt lgkmcnt(0)
	s_barrier
	s_waitcnt lgkmcnt(0)
	; wave barrier
	s_and_saveexec_b64 s[16:17], s[20:21]
	s_cbranch_execz .LBB166_85
; %bb.84:
	v_bcnt_u32_b32 v17, v18, 0
	v_bcnt_u32_b32 v17, v19, v17
	ds_write_b32 v35, v17 offset:16
.LBB166_85:
	s_or_b64 exec, exec, s[16:17]
	v_and_b32_sdwa v18, s18, v31 dst_sel:DWORD dst_unused:UNUSED_PAD src0_sel:DWORD src1_sel:WORD_0
	v_lshlrev_b32_e32 v17, 2, v18
	v_add_lshl_u32 v38, v22, v17, 2
	v_and_b32_e32 v17, 1, v18
	v_add_co_u32_e32 v19, vcc, -1, v17
	v_addc_co_u32_e64 v20, s[16:17], 0, -1, vcc
	v_cmp_ne_u32_e32 vcc, 0, v17
	v_xor_b32_e32 v17, vcc_hi, v20
	v_and_b32_e32 v20, exec_hi, v17
	v_lshlrev_b32_e32 v17, 30, v18
	v_xor_b32_e32 v19, vcc_lo, v19
	v_cmp_gt_i64_e32 vcc, 0, v[16:17]
	v_not_b32_e32 v17, v17
	v_ashrrev_i32_e32 v17, 31, v17
	v_and_b32_e32 v19, exec_lo, v19
	v_xor_b32_e32 v21, vcc_hi, v17
	v_xor_b32_e32 v17, vcc_lo, v17
	v_and_b32_e32 v19, v19, v17
	v_lshlrev_b32_e32 v17, 29, v18
	v_cmp_gt_i64_e32 vcc, 0, v[16:17]
	v_not_b32_e32 v17, v17
	v_ashrrev_i32_e32 v17, 31, v17
	v_and_b32_e32 v20, v20, v21
	v_xor_b32_e32 v21, vcc_hi, v17
	v_xor_b32_e32 v17, vcc_lo, v17
	v_and_b32_e32 v19, v19, v17
	v_lshlrev_b32_e32 v17, 28, v18
	v_cmp_gt_i64_e32 vcc, 0, v[16:17]
	v_not_b32_e32 v17, v17
	v_ashrrev_i32_e32 v17, 31, v17
	v_and_b32_e32 v20, v20, v21
	;; [unrolled: 8-line block ×5, first 2 shown]
	v_xor_b32_e32 v21, vcc_hi, v17
	v_xor_b32_e32 v17, vcc_lo, v17
	v_and_b32_e32 v19, v19, v17
	v_lshlrev_b32_e32 v17, 24, v18
	v_cmp_gt_i64_e32 vcc, 0, v[16:17]
	v_not_b32_e32 v16, v17
	v_ashrrev_i32_e32 v16, 31, v16
	v_xor_b32_e32 v17, vcc_hi, v16
	v_xor_b32_e32 v16, vcc_lo, v16
	; wave barrier
	ds_read_b32 v37, v38 offset:16
	v_and_b32_e32 v20, v20, v21
	v_and_b32_e32 v16, v19, v16
	;; [unrolled: 1-line block ×3, first 2 shown]
	v_mbcnt_lo_u32_b32 v18, v16, 0
	v_mbcnt_hi_u32_b32 v39, v17, v18
	v_cmp_eq_u32_e32 vcc, 0, v39
	v_cmp_ne_u64_e64 s[16:17], 0, v[16:17]
	s_and_b64 s[20:21], s[16:17], vcc
	; wave barrier
	s_and_saveexec_b64 s[16:17], s[20:21]
	s_cbranch_execz .LBB166_87
; %bb.86:
	v_bcnt_u32_b32 v16, v16, 0
	v_bcnt_u32_b32 v16, v17, v16
	s_waitcnt lgkmcnt(0)
	v_add_u32_e32 v16, v37, v16
	ds_write_b32 v38, v16 offset:16
.LBB166_87:
	s_or_b64 exec, exec, s[16:17]
	v_and_b32_sdwa v18, s18, v30 dst_sel:DWORD dst_unused:UNUSED_PAD src0_sel:DWORD src1_sel:WORD_0
	v_and_b32_e32 v17, 1, v18
	v_add_co_u32_e32 v19, vcc, -1, v17
	v_addc_co_u32_e64 v20, s[16:17], 0, -1, vcc
	v_cmp_ne_u32_e32 vcc, 0, v17
	v_lshlrev_b32_e32 v16, 2, v18
	v_xor_b32_e32 v17, vcc_hi, v20
	v_add_lshl_u32 v41, v22, v16, 2
	v_mov_b32_e32 v16, 0
	v_and_b32_e32 v20, exec_hi, v17
	v_lshlrev_b32_e32 v17, 30, v18
	v_xor_b32_e32 v19, vcc_lo, v19
	v_cmp_gt_i64_e32 vcc, 0, v[16:17]
	v_not_b32_e32 v17, v17
	v_ashrrev_i32_e32 v17, 31, v17
	v_and_b32_e32 v19, exec_lo, v19
	v_xor_b32_e32 v21, vcc_hi, v17
	v_xor_b32_e32 v17, vcc_lo, v17
	v_and_b32_e32 v19, v19, v17
	v_lshlrev_b32_e32 v17, 29, v18
	v_cmp_gt_i64_e32 vcc, 0, v[16:17]
	v_not_b32_e32 v17, v17
	v_ashrrev_i32_e32 v17, 31, v17
	v_and_b32_e32 v20, v20, v21
	v_xor_b32_e32 v21, vcc_hi, v17
	v_xor_b32_e32 v17, vcc_lo, v17
	v_and_b32_e32 v19, v19, v17
	v_lshlrev_b32_e32 v17, 28, v18
	v_cmp_gt_i64_e32 vcc, 0, v[16:17]
	v_not_b32_e32 v17, v17
	v_ashrrev_i32_e32 v17, 31, v17
	v_and_b32_e32 v20, v20, v21
	;; [unrolled: 8-line block ×5, first 2 shown]
	v_xor_b32_e32 v21, vcc_hi, v17
	v_xor_b32_e32 v17, vcc_lo, v17
	v_and_b32_e32 v20, v20, v21
	v_and_b32_e32 v21, v19, v17
	v_lshlrev_b32_e32 v17, 24, v18
	v_cmp_gt_i64_e32 vcc, 0, v[16:17]
	v_not_b32_e32 v17, v17
	v_ashrrev_i32_e32 v17, 31, v17
	v_xor_b32_e32 v18, vcc_hi, v17
	v_xor_b32_e32 v17, vcc_lo, v17
	; wave barrier
	ds_read_b32 v40, v41 offset:16
	v_and_b32_e32 v19, v20, v18
	v_and_b32_e32 v18, v21, v17
	v_mbcnt_lo_u32_b32 v17, v18, 0
	v_mbcnt_hi_u32_b32 v68, v19, v17
	v_cmp_eq_u32_e32 vcc, 0, v68
	v_cmp_ne_u64_e64 s[16:17], 0, v[18:19]
	s_and_b64 s[20:21], s[16:17], vcc
	; wave barrier
	s_and_saveexec_b64 s[16:17], s[20:21]
	s_cbranch_execz .LBB166_89
; %bb.88:
	v_bcnt_u32_b32 v17, v18, 0
	v_bcnt_u32_b32 v17, v19, v17
	s_waitcnt lgkmcnt(0)
	v_add_u32_e32 v17, v40, v17
	ds_write_b32 v41, v17 offset:16
.LBB166_89:
	s_or_b64 exec, exec, s[16:17]
	v_and_b32_sdwa v18, s18, v29 dst_sel:DWORD dst_unused:UNUSED_PAD src0_sel:DWORD src1_sel:WORD_0
	v_lshlrev_b32_e32 v17, 2, v18
	v_add_lshl_u32 v70, v22, v17, 2
	v_and_b32_e32 v17, 1, v18
	v_add_co_u32_e32 v19, vcc, -1, v17
	v_addc_co_u32_e64 v20, s[16:17], 0, -1, vcc
	v_cmp_ne_u32_e32 vcc, 0, v17
	v_xor_b32_e32 v17, vcc_hi, v20
	v_and_b32_e32 v20, exec_hi, v17
	v_lshlrev_b32_e32 v17, 30, v18
	v_xor_b32_e32 v19, vcc_lo, v19
	v_cmp_gt_i64_e32 vcc, 0, v[16:17]
	v_not_b32_e32 v17, v17
	v_ashrrev_i32_e32 v17, 31, v17
	v_and_b32_e32 v19, exec_lo, v19
	v_xor_b32_e32 v21, vcc_hi, v17
	v_xor_b32_e32 v17, vcc_lo, v17
	v_and_b32_e32 v19, v19, v17
	v_lshlrev_b32_e32 v17, 29, v18
	v_cmp_gt_i64_e32 vcc, 0, v[16:17]
	v_not_b32_e32 v17, v17
	v_ashrrev_i32_e32 v17, 31, v17
	v_and_b32_e32 v20, v20, v21
	v_xor_b32_e32 v21, vcc_hi, v17
	v_xor_b32_e32 v17, vcc_lo, v17
	v_and_b32_e32 v19, v19, v17
	v_lshlrev_b32_e32 v17, 28, v18
	v_cmp_gt_i64_e32 vcc, 0, v[16:17]
	v_not_b32_e32 v17, v17
	v_ashrrev_i32_e32 v17, 31, v17
	v_and_b32_e32 v20, v20, v21
	;; [unrolled: 8-line block ×5, first 2 shown]
	v_xor_b32_e32 v21, vcc_hi, v17
	v_xor_b32_e32 v17, vcc_lo, v17
	v_and_b32_e32 v19, v19, v17
	v_lshlrev_b32_e32 v17, 24, v18
	v_cmp_gt_i64_e32 vcc, 0, v[16:17]
	v_not_b32_e32 v16, v17
	v_ashrrev_i32_e32 v16, 31, v16
	v_xor_b32_e32 v17, vcc_hi, v16
	v_xor_b32_e32 v16, vcc_lo, v16
	; wave barrier
	ds_read_b32 v69, v70 offset:16
	v_and_b32_e32 v20, v20, v21
	v_and_b32_e32 v16, v19, v16
	;; [unrolled: 1-line block ×3, first 2 shown]
	v_mbcnt_lo_u32_b32 v18, v16, 0
	v_mbcnt_hi_u32_b32 v71, v17, v18
	v_cmp_eq_u32_e32 vcc, 0, v71
	v_cmp_ne_u64_e64 s[16:17], 0, v[16:17]
	s_and_b64 s[20:21], s[16:17], vcc
	; wave barrier
	s_and_saveexec_b64 s[16:17], s[20:21]
	s_cbranch_execz .LBB166_91
; %bb.90:
	v_bcnt_u32_b32 v16, v16, 0
	v_bcnt_u32_b32 v16, v17, v16
	s_waitcnt lgkmcnt(0)
	v_add_u32_e32 v16, v69, v16
	ds_write_b32 v70, v16 offset:16
.LBB166_91:
	s_or_b64 exec, exec, s[16:17]
	v_and_b32_sdwa v18, s18, v28 dst_sel:DWORD dst_unused:UNUSED_PAD src0_sel:DWORD src1_sel:WORD_0
	v_and_b32_e32 v17, 1, v18
	v_add_co_u32_e32 v19, vcc, -1, v17
	v_addc_co_u32_e64 v20, s[16:17], 0, -1, vcc
	v_cmp_ne_u32_e32 vcc, 0, v17
	v_lshlrev_b32_e32 v16, 2, v18
	v_xor_b32_e32 v17, vcc_hi, v20
	v_add_lshl_u32 v73, v22, v16, 2
	v_mov_b32_e32 v16, 0
	v_and_b32_e32 v20, exec_hi, v17
	v_lshlrev_b32_e32 v17, 30, v18
	v_xor_b32_e32 v19, vcc_lo, v19
	v_cmp_gt_i64_e32 vcc, 0, v[16:17]
	v_not_b32_e32 v17, v17
	v_ashrrev_i32_e32 v17, 31, v17
	v_and_b32_e32 v19, exec_lo, v19
	v_xor_b32_e32 v21, vcc_hi, v17
	v_xor_b32_e32 v17, vcc_lo, v17
	v_and_b32_e32 v19, v19, v17
	v_lshlrev_b32_e32 v17, 29, v18
	v_cmp_gt_i64_e32 vcc, 0, v[16:17]
	v_not_b32_e32 v17, v17
	v_ashrrev_i32_e32 v17, 31, v17
	v_and_b32_e32 v20, v20, v21
	v_xor_b32_e32 v21, vcc_hi, v17
	v_xor_b32_e32 v17, vcc_lo, v17
	v_and_b32_e32 v19, v19, v17
	v_lshlrev_b32_e32 v17, 28, v18
	v_cmp_gt_i64_e32 vcc, 0, v[16:17]
	v_not_b32_e32 v17, v17
	v_ashrrev_i32_e32 v17, 31, v17
	v_and_b32_e32 v20, v20, v21
	;; [unrolled: 8-line block ×5, first 2 shown]
	v_xor_b32_e32 v21, vcc_hi, v17
	v_xor_b32_e32 v17, vcc_lo, v17
	v_and_b32_e32 v20, v20, v21
	v_and_b32_e32 v21, v19, v17
	v_lshlrev_b32_e32 v17, 24, v18
	v_cmp_gt_i64_e32 vcc, 0, v[16:17]
	v_not_b32_e32 v17, v17
	v_ashrrev_i32_e32 v17, 31, v17
	v_xor_b32_e32 v18, vcc_hi, v17
	v_xor_b32_e32 v17, vcc_lo, v17
	; wave barrier
	ds_read_b32 v72, v73 offset:16
	v_and_b32_e32 v19, v20, v18
	v_and_b32_e32 v18, v21, v17
	v_mbcnt_lo_u32_b32 v17, v18, 0
	v_mbcnt_hi_u32_b32 v74, v19, v17
	v_cmp_eq_u32_e32 vcc, 0, v74
	v_cmp_ne_u64_e64 s[16:17], 0, v[18:19]
	s_and_b64 s[20:21], s[16:17], vcc
	; wave barrier
	s_and_saveexec_b64 s[16:17], s[20:21]
	s_cbranch_execz .LBB166_93
; %bb.92:
	v_bcnt_u32_b32 v17, v18, 0
	v_bcnt_u32_b32 v17, v19, v17
	s_waitcnt lgkmcnt(0)
	v_add_u32_e32 v17, v72, v17
	ds_write_b32 v73, v17 offset:16
.LBB166_93:
	s_or_b64 exec, exec, s[16:17]
	v_and_b32_sdwa v18, s18, v27 dst_sel:DWORD dst_unused:UNUSED_PAD src0_sel:DWORD src1_sel:WORD_0
	v_lshlrev_b32_e32 v17, 2, v18
	v_add_lshl_u32 v76, v22, v17, 2
	v_and_b32_e32 v17, 1, v18
	v_add_co_u32_e32 v19, vcc, -1, v17
	v_addc_co_u32_e64 v20, s[16:17], 0, -1, vcc
	v_cmp_ne_u32_e32 vcc, 0, v17
	v_xor_b32_e32 v17, vcc_hi, v20
	v_and_b32_e32 v20, exec_hi, v17
	v_lshlrev_b32_e32 v17, 30, v18
	v_xor_b32_e32 v19, vcc_lo, v19
	v_cmp_gt_i64_e32 vcc, 0, v[16:17]
	v_not_b32_e32 v17, v17
	v_ashrrev_i32_e32 v17, 31, v17
	v_and_b32_e32 v19, exec_lo, v19
	v_xor_b32_e32 v21, vcc_hi, v17
	v_xor_b32_e32 v17, vcc_lo, v17
	v_and_b32_e32 v19, v19, v17
	v_lshlrev_b32_e32 v17, 29, v18
	v_cmp_gt_i64_e32 vcc, 0, v[16:17]
	v_not_b32_e32 v17, v17
	v_ashrrev_i32_e32 v17, 31, v17
	v_and_b32_e32 v20, v20, v21
	v_xor_b32_e32 v21, vcc_hi, v17
	v_xor_b32_e32 v17, vcc_lo, v17
	v_and_b32_e32 v19, v19, v17
	v_lshlrev_b32_e32 v17, 28, v18
	v_cmp_gt_i64_e32 vcc, 0, v[16:17]
	v_not_b32_e32 v17, v17
	v_ashrrev_i32_e32 v17, 31, v17
	v_and_b32_e32 v20, v20, v21
	;; [unrolled: 8-line block ×5, first 2 shown]
	v_xor_b32_e32 v21, vcc_hi, v17
	v_xor_b32_e32 v17, vcc_lo, v17
	v_and_b32_e32 v19, v19, v17
	v_lshlrev_b32_e32 v17, 24, v18
	v_cmp_gt_i64_e32 vcc, 0, v[16:17]
	v_not_b32_e32 v16, v17
	v_ashrrev_i32_e32 v16, 31, v16
	v_xor_b32_e32 v17, vcc_hi, v16
	v_xor_b32_e32 v16, vcc_lo, v16
	; wave barrier
	ds_read_b32 v75, v76 offset:16
	v_and_b32_e32 v20, v20, v21
	v_and_b32_e32 v16, v19, v16
	;; [unrolled: 1-line block ×3, first 2 shown]
	v_mbcnt_lo_u32_b32 v18, v16, 0
	v_mbcnt_hi_u32_b32 v77, v17, v18
	v_cmp_eq_u32_e32 vcc, 0, v77
	v_cmp_ne_u64_e64 s[16:17], 0, v[16:17]
	s_and_b64 s[20:21], s[16:17], vcc
	; wave barrier
	s_and_saveexec_b64 s[16:17], s[20:21]
	s_cbranch_execz .LBB166_95
; %bb.94:
	v_bcnt_u32_b32 v16, v16, 0
	v_bcnt_u32_b32 v16, v17, v16
	s_waitcnt lgkmcnt(0)
	v_add_u32_e32 v16, v75, v16
	ds_write_b32 v76, v16 offset:16
.LBB166_95:
	s_or_b64 exec, exec, s[16:17]
	v_and_b32_sdwa v18, s18, v26 dst_sel:DWORD dst_unused:UNUSED_PAD src0_sel:DWORD src1_sel:WORD_0
	v_and_b32_e32 v17, 1, v18
	v_add_co_u32_e32 v19, vcc, -1, v17
	v_addc_co_u32_e64 v20, s[16:17], 0, -1, vcc
	v_cmp_ne_u32_e32 vcc, 0, v17
	v_lshlrev_b32_e32 v16, 2, v18
	v_xor_b32_e32 v17, vcc_hi, v20
	v_add_lshl_u32 v79, v22, v16, 2
	v_mov_b32_e32 v16, 0
	v_and_b32_e32 v20, exec_hi, v17
	v_lshlrev_b32_e32 v17, 30, v18
	v_xor_b32_e32 v19, vcc_lo, v19
	v_cmp_gt_i64_e32 vcc, 0, v[16:17]
	v_not_b32_e32 v17, v17
	v_ashrrev_i32_e32 v17, 31, v17
	v_and_b32_e32 v19, exec_lo, v19
	v_xor_b32_e32 v21, vcc_hi, v17
	v_xor_b32_e32 v17, vcc_lo, v17
	v_and_b32_e32 v19, v19, v17
	v_lshlrev_b32_e32 v17, 29, v18
	v_cmp_gt_i64_e32 vcc, 0, v[16:17]
	v_not_b32_e32 v17, v17
	v_ashrrev_i32_e32 v17, 31, v17
	v_and_b32_e32 v20, v20, v21
	v_xor_b32_e32 v21, vcc_hi, v17
	v_xor_b32_e32 v17, vcc_lo, v17
	v_and_b32_e32 v19, v19, v17
	v_lshlrev_b32_e32 v17, 28, v18
	v_cmp_gt_i64_e32 vcc, 0, v[16:17]
	v_not_b32_e32 v17, v17
	v_ashrrev_i32_e32 v17, 31, v17
	v_and_b32_e32 v20, v20, v21
	;; [unrolled: 8-line block ×5, first 2 shown]
	v_xor_b32_e32 v21, vcc_hi, v17
	v_xor_b32_e32 v17, vcc_lo, v17
	v_and_b32_e32 v20, v20, v21
	v_and_b32_e32 v21, v19, v17
	v_lshlrev_b32_e32 v17, 24, v18
	v_cmp_gt_i64_e32 vcc, 0, v[16:17]
	v_not_b32_e32 v17, v17
	v_ashrrev_i32_e32 v17, 31, v17
	v_xor_b32_e32 v18, vcc_hi, v17
	v_xor_b32_e32 v17, vcc_lo, v17
	; wave barrier
	ds_read_b32 v78, v79 offset:16
	v_and_b32_e32 v19, v20, v18
	v_and_b32_e32 v18, v21, v17
	v_mbcnt_lo_u32_b32 v17, v18, 0
	v_mbcnt_hi_u32_b32 v80, v19, v17
	v_cmp_eq_u32_e32 vcc, 0, v80
	v_cmp_ne_u64_e64 s[16:17], 0, v[18:19]
	s_and_b64 s[20:21], s[16:17], vcc
	; wave barrier
	s_and_saveexec_b64 s[16:17], s[20:21]
	s_cbranch_execz .LBB166_97
; %bb.96:
	v_bcnt_u32_b32 v17, v18, 0
	v_bcnt_u32_b32 v17, v19, v17
	s_waitcnt lgkmcnt(0)
	v_add_u32_e32 v17, v78, v17
	ds_write_b32 v79, v17 offset:16
.LBB166_97:
	s_or_b64 exec, exec, s[16:17]
	v_and_b32_sdwa v18, s18, v25 dst_sel:DWORD dst_unused:UNUSED_PAD src0_sel:DWORD src1_sel:WORD_0
	v_lshlrev_b32_e32 v17, 2, v18
	v_add_lshl_u32 v81, v22, v17, 2
	v_and_b32_e32 v17, 1, v18
	v_add_co_u32_e32 v19, vcc, -1, v17
	v_addc_co_u32_e64 v20, s[16:17], 0, -1, vcc
	v_cmp_ne_u32_e32 vcc, 0, v17
	v_xor_b32_e32 v17, vcc_hi, v20
	v_and_b32_e32 v20, exec_hi, v17
	v_lshlrev_b32_e32 v17, 30, v18
	v_xor_b32_e32 v19, vcc_lo, v19
	v_cmp_gt_i64_e32 vcc, 0, v[16:17]
	v_not_b32_e32 v17, v17
	v_ashrrev_i32_e32 v17, 31, v17
	v_and_b32_e32 v19, exec_lo, v19
	v_xor_b32_e32 v21, vcc_hi, v17
	v_xor_b32_e32 v17, vcc_lo, v17
	v_and_b32_e32 v19, v19, v17
	v_lshlrev_b32_e32 v17, 29, v18
	v_cmp_gt_i64_e32 vcc, 0, v[16:17]
	v_not_b32_e32 v17, v17
	v_ashrrev_i32_e32 v17, 31, v17
	v_and_b32_e32 v20, v20, v21
	v_xor_b32_e32 v21, vcc_hi, v17
	v_xor_b32_e32 v17, vcc_lo, v17
	v_and_b32_e32 v19, v19, v17
	v_lshlrev_b32_e32 v17, 28, v18
	v_cmp_gt_i64_e32 vcc, 0, v[16:17]
	v_not_b32_e32 v17, v17
	v_ashrrev_i32_e32 v17, 31, v17
	v_and_b32_e32 v20, v20, v21
	;; [unrolled: 8-line block ×5, first 2 shown]
	v_xor_b32_e32 v21, vcc_hi, v17
	v_xor_b32_e32 v17, vcc_lo, v17
	v_and_b32_e32 v19, v19, v17
	v_lshlrev_b32_e32 v17, 24, v18
	v_cmp_gt_i64_e32 vcc, 0, v[16:17]
	v_not_b32_e32 v16, v17
	v_ashrrev_i32_e32 v16, 31, v16
	v_xor_b32_e32 v17, vcc_hi, v16
	v_xor_b32_e32 v16, vcc_lo, v16
	v_min_u32_e32 v33, 0xc0, v67
	; wave barrier
	ds_read_b32 v67, v81 offset:16
	v_and_b32_e32 v20, v20, v21
	v_and_b32_e32 v16, v19, v16
	;; [unrolled: 1-line block ×3, first 2 shown]
	v_mbcnt_lo_u32_b32 v18, v16, 0
	v_mbcnt_hi_u32_b32 v82, v17, v18
	v_cmp_eq_u32_e32 vcc, 0, v82
	v_cmp_ne_u64_e64 s[16:17], 0, v[16:17]
	v_add_u32_e32 v23, 16, v64
	v_lshrrev_b32_e32 v24, 6, v46
	s_and_b64 s[18:19], s[16:17], vcc
	; wave barrier
	s_and_saveexec_b64 s[16:17], s[18:19]
	s_cbranch_execz .LBB166_99
; %bb.98:
	v_bcnt_u32_b32 v16, v16, 0
	v_bcnt_u32_b32 v16, v17, v16
	s_waitcnt lgkmcnt(0)
	v_add_u32_e32 v16, v67, v16
	ds_write_b32 v81, v16 offset:16
.LBB166_99:
	s_or_b64 exec, exec, s[16:17]
	; wave barrier
	s_waitcnt lgkmcnt(0)
	s_barrier
	ds_read2_b32 v[18:19], v64 offset0:4 offset1:5
	ds_read2_b32 v[20:21], v23 offset0:2 offset1:3
	v_and_b32_e32 v17, 16, v65
	v_cmp_eq_u32_e32 vcc, 0, v17
	v_or_b32_e32 v17, 63, v33
	v_cmp_eq_u32_e64 s[16:17], v17, v46
	s_waitcnt lgkmcnt(1)
	v_add_u32_e32 v17, v19, v18
	v_and_b32_e32 v16, 15, v65
	s_waitcnt lgkmcnt(0)
	v_add3_u32 v17, v17, v20, v21
	v_cmp_eq_u32_e64 s[22:23], 0, v16
	v_cmp_lt_u32_e64 s[24:25], 1, v16
	v_mov_b32_dpp v21, v17 row_shr:1 row_mask:0xf bank_mask:0xf
	v_cndmask_b32_e64 v21, v21, 0, s[22:23]
	v_add_u32_e32 v17, v21, v17
	v_cmp_lt_u32_e64 s[28:29], 3, v16
	v_cmp_lt_u32_e64 s[30:31], 7, v16
	v_mov_b32_dpp v21, v17 row_shr:2 row_mask:0xf bank_mask:0xf
	v_cndmask_b32_e64 v21, 0, v21, s[24:25]
	v_add_u32_e32 v17, v17, v21
	v_bfe_i32 v34, v65, 4, 1
	v_cmp_lt_u32_e64 s[34:35], 31, v65
	v_mov_b32_dpp v21, v17 row_shr:4 row_mask:0xf bank_mask:0xf
	v_cndmask_b32_e64 v21, 0, v21, s[28:29]
	v_add_u32_e32 v17, v17, v21
	v_lshlrev_b32_e32 v24, 2, v24
	s_nop 0
	v_mov_b32_dpp v21, v17 row_shr:8 row_mask:0xf bank_mask:0xf
	v_cndmask_b32_e64 v16, 0, v21, s[30:31]
	v_add_u32_e32 v16, v17, v16
	s_nop 1
	v_mov_b32_dpp v17, v16 row_bcast:15 row_mask:0xf bank_mask:0xf
	v_and_b32_e32 v17, v34, v17
	v_add_u32_e32 v16, v16, v17
	s_nop 1
	v_mov_b32_dpp v17, v16 row_bcast:31 row_mask:0xf bank_mask:0xf
	v_cndmask_b32_e64 v17, 0, v17, s[34:35]
	v_add_u32_e32 v17, v16, v17
	s_and_saveexec_b64 s[18:19], s[16:17]
	s_cbranch_execz .LBB166_101
; %bb.100:
	ds_write_b32 v24, v17
.LBB166_101:
	s_or_b64 exec, exec, s[18:19]
	v_and_b32_e32 v16, 3, v65
	v_cmp_gt_u32_e64 s[26:27], 4, v46
	v_lshlrev_b32_e32 v21, 2, v46
	v_cmp_eq_u32_e64 s[20:21], 0, v16
	v_cmp_lt_u32_e64 s[18:19], 1, v16
	s_waitcnt lgkmcnt(0)
	s_barrier
	s_and_saveexec_b64 s[36:37], s[26:27]
	s_cbranch_execz .LBB166_103
; %bb.102:
	ds_read_b32 v16, v21
	s_waitcnt lgkmcnt(0)
	s_nop 0
	v_mov_b32_dpp v33, v16 row_shr:1 row_mask:0xf bank_mask:0xf
	v_cndmask_b32_e64 v33, v33, 0, s[20:21]
	v_add_u32_e32 v16, v33, v16
	s_nop 1
	v_mov_b32_dpp v33, v16 row_shr:2 row_mask:0xf bank_mask:0xf
	v_cndmask_b32_e64 v33, 0, v33, s[18:19]
	v_add_u32_e32 v16, v16, v33
	ds_write_b32 v21, v16
.LBB166_103:
	s_or_b64 exec, exec, s[36:37]
	v_cmp_lt_u32_e64 s[36:37], 63, v46
	v_add_u32_e32 v33, -4, v24
	v_mov_b32_e32 v16, 0
	v_mov_b32_e32 v83, 0
	s_waitcnt lgkmcnt(0)
	s_barrier
	s_and_saveexec_b64 s[38:39], s[36:37]
	s_cbranch_execz .LBB166_105
; %bb.104:
	ds_read_b32 v83, v33
.LBB166_105:
	s_or_b64 exec, exec, s[38:39]
	v_add_u32_e32 v34, -1, v65
	v_and_b32_e32 v84, 64, v65
	v_cmp_lt_i32_e64 s[38:39], v34, v84
	v_cndmask_b32_e64 v34, v34, v65, s[38:39]
	v_lshlrev_b32_e32 v34, 2, v34
	s_waitcnt lgkmcnt(0)
	v_add_u32_e32 v17, v83, v17
	ds_bpermute_b32 v17, v34, v17
	v_cmp_eq_u32_e64 s[38:39], 0, v65
	v_cmp_eq_u32_e64 s[40:41], 0, v46
	s_min_u32 s42, s42, 8
	v_and_or_b32 v66, v65, 63, v66
	s_waitcnt lgkmcnt(0)
	v_cndmask_b32_e64 v17, v17, v83, s[38:39]
	v_cndmask_b32_e64 v17, v17, 0, s[40:41]
	v_add_u32_e32 v18, v17, v18
	v_add_u32_e32 v19, v18, v19
	;; [unrolled: 1-line block ×3, first 2 shown]
	ds_write2_b32 v64, v17, v18 offset0:4 offset1:5
	ds_write2_b32 v23, v19, v20 offset0:2 offset1:3
	s_waitcnt lgkmcnt(0)
	s_barrier
	ds_read_b32 v17, v35 offset:16
	ds_read_b32 v18, v38 offset:16
	;; [unrolled: 1-line block ×8, first 2 shown]
	s_waitcnt lgkmcnt(7)
	v_add_u32_e32 v17, v17, v36
	s_waitcnt lgkmcnt(6)
	v_add3_u32 v18, v39, v37, v18
	s_waitcnt lgkmcnt(4)
	v_add3_u32 v36, v71, v69, v20
	v_lshlrev_b32_e32 v20, 1, v17
	v_add3_u32 v19, v68, v40, v19
	s_waitcnt lgkmcnt(0)
	s_barrier
	ds_write_b16 v20, v32
	v_lshlrev_b32_e32 v20, 1, v18
	ds_write_b16 v20, v31
	v_lshlrev_b32_e32 v20, 1, v19
	v_add3_u32 v35, v74, v72, v35
	ds_write_b16 v20, v30
	v_lshlrev_b32_e32 v20, 1, v36
	v_add3_u32 v37, v77, v75, v38
	ds_write_b16 v20, v29
	v_lshlrev_b32_e32 v20, 1, v35
	v_add3_u32 v38, v80, v78, v41
	ds_write_b16 v20, v28
	v_lshlrev_b32_e32 v20, 1, v37
	v_add3_u32 v39, v82, v67, v46
	ds_write_b16 v20, v27
	v_lshlrev_b32_e32 v20, 1, v38
	s_lshl_b32 s42, -1, s42
	v_lshlrev_b32_e32 v84, 1, v66
	ds_write_b16 v20, v26
	v_lshlrev_b32_e32 v20, 1, v39
	v_lshlrev_b32_e32 v17, 3, v17
	s_not_b32 s50, s42
	ds_write_b16 v20, v25
	s_waitcnt lgkmcnt(0)
	s_barrier
	ds_read_u16 v31, v84
	ds_read_u16 v30, v84 offset:128
	ds_read_u16 v29, v84 offset:256
	;; [unrolled: 1-line block ×7, first 2 shown]
	s_waitcnt lgkmcnt(0)
	s_barrier
	ds_write_b64 v17, v[12:13]
	v_lshlrev_b32_e32 v12, 3, v18
	v_and_b32_sdwa v18, v31, s50 dst_sel:DWORD dst_unused:UNUSED_PAD src0_sel:BYTE_1 src1_sel:DWORD
	v_lshlrev_b32_e32 v17, 2, v18
	ds_write_b64 v12, v[14:15]
	v_lshlrev_b32_e32 v12, 3, v19
	v_add_lshl_u32 v32, v17, v22, 2
	v_and_b32_e32 v17, 1, v18
	ds_write_b64 v12, v[8:9]
	v_lshlrev_b32_e32 v8, 3, v36
	v_add_co_u32_e64 v19, s[42:43], -1, v17
	ds_write_b64 v8, v[10:11]
	v_lshlrev_b32_e32 v8, 3, v35
	v_addc_co_u32_e64 v35, s[42:43], 0, -1, s[42:43]
	v_cmp_ne_u32_e64 s[42:43], 0, v17
	v_xor_b32_e32 v17, s43, v35
	v_and_b32_e32 v35, exec_hi, v17
	v_lshlrev_b32_e32 v17, 30, v18
	v_xor_b32_e32 v19, s42, v19
	v_cmp_gt_i64_e64 s[42:43], 0, v[16:17]
	v_not_b32_e32 v17, v17
	v_ashrrev_i32_e32 v17, 31, v17
	v_and_b32_e32 v19, exec_lo, v19
	v_xor_b32_e32 v36, s43, v17
	v_xor_b32_e32 v17, s42, v17
	v_and_b32_e32 v19, v19, v17
	v_lshlrev_b32_e32 v17, 29, v18
	v_cmp_gt_i64_e64 s[42:43], 0, v[16:17]
	v_not_b32_e32 v17, v17
	v_ashrrev_i32_e32 v17, 31, v17
	v_and_b32_e32 v35, v35, v36
	v_xor_b32_e32 v36, s43, v17
	v_xor_b32_e32 v17, s42, v17
	v_and_b32_e32 v19, v19, v17
	v_lshlrev_b32_e32 v17, 28, v18
	v_cmp_gt_i64_e64 s[42:43], 0, v[16:17]
	v_not_b32_e32 v17, v17
	v_ashrrev_i32_e32 v17, 31, v17
	v_and_b32_e32 v35, v35, v36
	;; [unrolled: 8-line block ×4, first 2 shown]
	v_xor_b32_e32 v36, s43, v17
	v_xor_b32_e32 v17, s42, v17
	v_and_b32_e32 v19, v19, v17
	v_lshlrev_b32_e32 v17, 25, v18
	v_cmp_gt_i64_e64 s[42:43], 0, v[16:17]
	v_not_b32_e32 v17, v17
	ds_write_b64 v8, v[4:5]
	v_lshlrev_b32_e32 v4, 3, v37
	v_ashrrev_i32_e32 v17, 31, v17
	ds_write_b64 v4, v[6:7]
	v_lshlrev_b32_e32 v4, 3, v38
	v_and_b32_e32 v35, v35, v36
	v_xor_b32_e32 v36, s43, v17
	v_xor_b32_e32 v17, s42, v17
	v_lshlrev_b32_e32 v66, 3, v66
	ds_write_b64 v4, v[0:1]
	v_lshlrev_b32_e32 v0, 3, v39
	v_and_b32_e32 v19, v19, v17
	v_lshlrev_b32_e32 v17, 24, v18
	ds_write_b64 v0, v[2:3]
	s_waitcnt lgkmcnt(0)
	s_barrier
	ds_read2st64_b64 v[12:15], v66 offset1:1
	ds_read2st64_b64 v[8:11], v66 offset0:2 offset1:3
	ds_read2st64_b64 v[4:7], v66 offset0:4 offset1:5
	;; [unrolled: 1-line block ×3, first 2 shown]
	s_waitcnt lgkmcnt(0)
	s_barrier
	ds_write2_b32 v64, v16, v16 offset0:4 offset1:5
	ds_write2_b32 v23, v16, v16 offset0:2 offset1:3
	v_cmp_gt_i64_e64 s[42:43], 0, v[16:17]
	v_not_b32_e32 v16, v17
	v_ashrrev_i32_e32 v16, 31, v16
	v_xor_b32_e32 v17, s43, v16
	v_xor_b32_e32 v16, s42, v16
	v_and_b32_e32 v35, v35, v36
	v_and_b32_e32 v16, v19, v16
	;; [unrolled: 1-line block ×3, first 2 shown]
	v_mbcnt_lo_u32_b32 v18, v16, 0
	v_mbcnt_hi_u32_b32 v35, v17, v18
	v_cmp_eq_u32_e64 s[42:43], 0, v35
	v_cmp_ne_u64_e64 s[44:45], 0, v[16:17]
	s_and_b64 s[44:45], s[44:45], s[42:43]
	s_waitcnt lgkmcnt(0)
	s_barrier
	s_waitcnt lgkmcnt(0)
	; wave barrier
	s_and_saveexec_b64 s[42:43], s[44:45]
	s_cbranch_execz .LBB166_107
; %bb.106:
	v_bcnt_u32_b32 v16, v16, 0
	v_bcnt_u32_b32 v16, v17, v16
	ds_write_b32 v32, v16 offset:16
.LBB166_107:
	s_or_b64 exec, exec, s[42:43]
	v_and_b32_sdwa v18, v30, s50 dst_sel:DWORD dst_unused:UNUSED_PAD src0_sel:BYTE_1 src1_sel:DWORD
	v_and_b32_e32 v17, 1, v18
	v_add_co_u32_e64 v19, s[42:43], -1, v17
	v_addc_co_u32_e64 v38, s[42:43], 0, -1, s[42:43]
	v_cmp_ne_u32_e64 s[42:43], 0, v17
	v_lshlrev_b32_e32 v16, 2, v18
	v_xor_b32_e32 v17, s43, v38
	v_add_lshl_u32 v37, v16, v22, 2
	v_mov_b32_e32 v16, 0
	v_and_b32_e32 v38, exec_hi, v17
	v_lshlrev_b32_e32 v17, 30, v18
	v_xor_b32_e32 v19, s42, v19
	v_cmp_gt_i64_e64 s[42:43], 0, v[16:17]
	v_not_b32_e32 v17, v17
	v_ashrrev_i32_e32 v17, 31, v17
	v_and_b32_e32 v19, exec_lo, v19
	v_xor_b32_e32 v39, s43, v17
	v_xor_b32_e32 v17, s42, v17
	v_and_b32_e32 v19, v19, v17
	v_lshlrev_b32_e32 v17, 29, v18
	v_cmp_gt_i64_e64 s[42:43], 0, v[16:17]
	v_not_b32_e32 v17, v17
	v_ashrrev_i32_e32 v17, 31, v17
	v_and_b32_e32 v38, v38, v39
	v_xor_b32_e32 v39, s43, v17
	v_xor_b32_e32 v17, s42, v17
	v_and_b32_e32 v19, v19, v17
	v_lshlrev_b32_e32 v17, 28, v18
	v_cmp_gt_i64_e64 s[42:43], 0, v[16:17]
	v_not_b32_e32 v17, v17
	v_ashrrev_i32_e32 v17, 31, v17
	v_and_b32_e32 v38, v38, v39
	;; [unrolled: 8-line block ×5, first 2 shown]
	v_xor_b32_e32 v39, s43, v17
	v_xor_b32_e32 v17, s42, v17
	v_and_b32_e32 v38, v38, v39
	v_and_b32_e32 v39, v19, v17
	v_lshlrev_b32_e32 v17, 24, v18
	v_cmp_gt_i64_e64 s[42:43], 0, v[16:17]
	v_not_b32_e32 v17, v17
	v_ashrrev_i32_e32 v17, 31, v17
	v_xor_b32_e32 v18, s43, v17
	v_xor_b32_e32 v17, s42, v17
	; wave barrier
	ds_read_b32 v36, v37 offset:16
	v_and_b32_e32 v19, v38, v18
	v_and_b32_e32 v18, v39, v17
	v_mbcnt_lo_u32_b32 v17, v18, 0
	v_mbcnt_hi_u32_b32 v38, v19, v17
	v_cmp_eq_u32_e64 s[42:43], 0, v38
	v_cmp_ne_u64_e64 s[44:45], 0, v[18:19]
	s_and_b64 s[44:45], s[44:45], s[42:43]
	; wave barrier
	s_and_saveexec_b64 s[42:43], s[44:45]
	s_cbranch_execz .LBB166_109
; %bb.108:
	v_bcnt_u32_b32 v17, v18, 0
	v_bcnt_u32_b32 v17, v19, v17
	s_waitcnt lgkmcnt(0)
	v_add_u32_e32 v17, v36, v17
	ds_write_b32 v37, v17 offset:16
.LBB166_109:
	s_or_b64 exec, exec, s[42:43]
	v_and_b32_sdwa v18, v29, s50 dst_sel:DWORD dst_unused:UNUSED_PAD src0_sel:BYTE_1 src1_sel:DWORD
	v_lshlrev_b32_e32 v17, 2, v18
	v_add_lshl_u32 v40, v17, v22, 2
	v_and_b32_e32 v17, 1, v18
	v_add_co_u32_e64 v19, s[42:43], -1, v17
	v_addc_co_u32_e64 v41, s[42:43], 0, -1, s[42:43]
	v_cmp_ne_u32_e64 s[42:43], 0, v17
	v_xor_b32_e32 v17, s43, v41
	v_and_b32_e32 v41, exec_hi, v17
	v_lshlrev_b32_e32 v17, 30, v18
	v_xor_b32_e32 v19, s42, v19
	v_cmp_gt_i64_e64 s[42:43], 0, v[16:17]
	v_not_b32_e32 v17, v17
	v_ashrrev_i32_e32 v17, 31, v17
	v_and_b32_e32 v19, exec_lo, v19
	v_xor_b32_e32 v46, s43, v17
	v_xor_b32_e32 v17, s42, v17
	v_and_b32_e32 v19, v19, v17
	v_lshlrev_b32_e32 v17, 29, v18
	v_cmp_gt_i64_e64 s[42:43], 0, v[16:17]
	v_not_b32_e32 v17, v17
	v_ashrrev_i32_e32 v17, 31, v17
	v_and_b32_e32 v41, v41, v46
	v_xor_b32_e32 v46, s43, v17
	v_xor_b32_e32 v17, s42, v17
	v_and_b32_e32 v19, v19, v17
	v_lshlrev_b32_e32 v17, 28, v18
	v_cmp_gt_i64_e64 s[42:43], 0, v[16:17]
	v_not_b32_e32 v17, v17
	v_ashrrev_i32_e32 v17, 31, v17
	v_and_b32_e32 v41, v41, v46
	;; [unrolled: 8-line block ×5, first 2 shown]
	v_xor_b32_e32 v46, s43, v17
	v_xor_b32_e32 v17, s42, v17
	v_and_b32_e32 v19, v19, v17
	v_lshlrev_b32_e32 v17, 24, v18
	v_cmp_gt_i64_e64 s[42:43], 0, v[16:17]
	v_not_b32_e32 v16, v17
	v_ashrrev_i32_e32 v16, 31, v16
	v_xor_b32_e32 v17, s43, v16
	v_xor_b32_e32 v16, s42, v16
	; wave barrier
	ds_read_b32 v39, v40 offset:16
	v_and_b32_e32 v41, v41, v46
	v_and_b32_e32 v16, v19, v16
	;; [unrolled: 1-line block ×3, first 2 shown]
	v_mbcnt_lo_u32_b32 v18, v16, 0
	v_mbcnt_hi_u32_b32 v41, v17, v18
	v_cmp_eq_u32_e64 s[42:43], 0, v41
	v_cmp_ne_u64_e64 s[44:45], 0, v[16:17]
	s_and_b64 s[44:45], s[44:45], s[42:43]
	; wave barrier
	s_and_saveexec_b64 s[42:43], s[44:45]
	s_cbranch_execz .LBB166_111
; %bb.110:
	v_bcnt_u32_b32 v16, v16, 0
	v_bcnt_u32_b32 v16, v17, v16
	s_waitcnt lgkmcnt(0)
	v_add_u32_e32 v16, v39, v16
	ds_write_b32 v40, v16 offset:16
.LBB166_111:
	s_or_b64 exec, exec, s[42:43]
	v_and_b32_sdwa v18, v28, s50 dst_sel:DWORD dst_unused:UNUSED_PAD src0_sel:BYTE_1 src1_sel:DWORD
	v_and_b32_e32 v17, 1, v18
	v_add_co_u32_e64 v19, s[42:43], -1, v17
	v_addc_co_u32_e64 v66, s[42:43], 0, -1, s[42:43]
	v_cmp_ne_u32_e64 s[42:43], 0, v17
	v_lshlrev_b32_e32 v16, 2, v18
	v_xor_b32_e32 v17, s43, v66
	v_add_lshl_u32 v65, v16, v22, 2
	v_mov_b32_e32 v16, 0
	v_and_b32_e32 v66, exec_hi, v17
	v_lshlrev_b32_e32 v17, 30, v18
	v_xor_b32_e32 v19, s42, v19
	v_cmp_gt_i64_e64 s[42:43], 0, v[16:17]
	v_not_b32_e32 v17, v17
	v_ashrrev_i32_e32 v17, 31, v17
	v_and_b32_e32 v19, exec_lo, v19
	v_xor_b32_e32 v67, s43, v17
	v_xor_b32_e32 v17, s42, v17
	v_and_b32_e32 v19, v19, v17
	v_lshlrev_b32_e32 v17, 29, v18
	v_cmp_gt_i64_e64 s[42:43], 0, v[16:17]
	v_not_b32_e32 v17, v17
	v_ashrrev_i32_e32 v17, 31, v17
	v_and_b32_e32 v66, v66, v67
	v_xor_b32_e32 v67, s43, v17
	v_xor_b32_e32 v17, s42, v17
	v_and_b32_e32 v19, v19, v17
	v_lshlrev_b32_e32 v17, 28, v18
	v_cmp_gt_i64_e64 s[42:43], 0, v[16:17]
	v_not_b32_e32 v17, v17
	v_ashrrev_i32_e32 v17, 31, v17
	v_and_b32_e32 v66, v66, v67
	;; [unrolled: 8-line block ×5, first 2 shown]
	v_xor_b32_e32 v67, s43, v17
	v_xor_b32_e32 v17, s42, v17
	v_and_b32_e32 v66, v66, v67
	v_and_b32_e32 v67, v19, v17
	v_lshlrev_b32_e32 v17, 24, v18
	v_cmp_gt_i64_e64 s[42:43], 0, v[16:17]
	v_not_b32_e32 v17, v17
	v_ashrrev_i32_e32 v17, 31, v17
	v_xor_b32_e32 v18, s43, v17
	v_xor_b32_e32 v17, s42, v17
	; wave barrier
	ds_read_b32 v46, v65 offset:16
	v_and_b32_e32 v19, v66, v18
	v_and_b32_e32 v18, v67, v17
	v_mbcnt_lo_u32_b32 v17, v18, 0
	v_mbcnt_hi_u32_b32 v66, v19, v17
	v_cmp_eq_u32_e64 s[42:43], 0, v66
	v_cmp_ne_u64_e64 s[44:45], 0, v[18:19]
	s_and_b64 s[44:45], s[44:45], s[42:43]
	; wave barrier
	s_and_saveexec_b64 s[42:43], s[44:45]
	s_cbranch_execz .LBB166_113
; %bb.112:
	v_bcnt_u32_b32 v17, v18, 0
	v_bcnt_u32_b32 v17, v19, v17
	s_waitcnt lgkmcnt(0)
	v_add_u32_e32 v17, v46, v17
	ds_write_b32 v65, v17 offset:16
.LBB166_113:
	s_or_b64 exec, exec, s[42:43]
	v_and_b32_sdwa v18, v27, s50 dst_sel:DWORD dst_unused:UNUSED_PAD src0_sel:BYTE_1 src1_sel:DWORD
	v_lshlrev_b32_e32 v17, 2, v18
	v_add_lshl_u32 v68, v17, v22, 2
	v_and_b32_e32 v17, 1, v18
	v_add_co_u32_e64 v19, s[42:43], -1, v17
	v_addc_co_u32_e64 v69, s[42:43], 0, -1, s[42:43]
	v_cmp_ne_u32_e64 s[42:43], 0, v17
	v_xor_b32_e32 v17, s43, v69
	v_and_b32_e32 v69, exec_hi, v17
	v_lshlrev_b32_e32 v17, 30, v18
	v_xor_b32_e32 v19, s42, v19
	v_cmp_gt_i64_e64 s[42:43], 0, v[16:17]
	v_not_b32_e32 v17, v17
	v_ashrrev_i32_e32 v17, 31, v17
	v_and_b32_e32 v19, exec_lo, v19
	v_xor_b32_e32 v70, s43, v17
	v_xor_b32_e32 v17, s42, v17
	v_and_b32_e32 v19, v19, v17
	v_lshlrev_b32_e32 v17, 29, v18
	v_cmp_gt_i64_e64 s[42:43], 0, v[16:17]
	v_not_b32_e32 v17, v17
	v_ashrrev_i32_e32 v17, 31, v17
	v_and_b32_e32 v69, v69, v70
	v_xor_b32_e32 v70, s43, v17
	v_xor_b32_e32 v17, s42, v17
	v_and_b32_e32 v19, v19, v17
	v_lshlrev_b32_e32 v17, 28, v18
	v_cmp_gt_i64_e64 s[42:43], 0, v[16:17]
	v_not_b32_e32 v17, v17
	v_ashrrev_i32_e32 v17, 31, v17
	v_and_b32_e32 v69, v69, v70
	;; [unrolled: 8-line block ×5, first 2 shown]
	v_xor_b32_e32 v70, s43, v17
	v_xor_b32_e32 v17, s42, v17
	v_and_b32_e32 v19, v19, v17
	v_lshlrev_b32_e32 v17, 24, v18
	v_cmp_gt_i64_e64 s[42:43], 0, v[16:17]
	v_not_b32_e32 v16, v17
	v_ashrrev_i32_e32 v16, 31, v16
	v_xor_b32_e32 v17, s43, v16
	v_xor_b32_e32 v16, s42, v16
	; wave barrier
	ds_read_b32 v67, v68 offset:16
	v_and_b32_e32 v69, v69, v70
	v_and_b32_e32 v16, v19, v16
	v_and_b32_e32 v17, v69, v17
	v_mbcnt_lo_u32_b32 v18, v16, 0
	v_mbcnt_hi_u32_b32 v69, v17, v18
	v_cmp_eq_u32_e64 s[42:43], 0, v69
	v_cmp_ne_u64_e64 s[44:45], 0, v[16:17]
	s_and_b64 s[44:45], s[44:45], s[42:43]
	; wave barrier
	s_and_saveexec_b64 s[42:43], s[44:45]
	s_cbranch_execz .LBB166_115
; %bb.114:
	v_bcnt_u32_b32 v16, v16, 0
	v_bcnt_u32_b32 v16, v17, v16
	s_waitcnt lgkmcnt(0)
	v_add_u32_e32 v16, v67, v16
	ds_write_b32 v68, v16 offset:16
.LBB166_115:
	s_or_b64 exec, exec, s[42:43]
	v_and_b32_sdwa v18, v26, s50 dst_sel:DWORD dst_unused:UNUSED_PAD src0_sel:BYTE_1 src1_sel:DWORD
	v_and_b32_e32 v17, 1, v18
	v_add_co_u32_e64 v19, s[42:43], -1, v17
	v_addc_co_u32_e64 v72, s[42:43], 0, -1, s[42:43]
	v_cmp_ne_u32_e64 s[42:43], 0, v17
	v_lshlrev_b32_e32 v16, 2, v18
	v_xor_b32_e32 v17, s43, v72
	v_add_lshl_u32 v71, v16, v22, 2
	v_mov_b32_e32 v16, 0
	v_and_b32_e32 v72, exec_hi, v17
	v_lshlrev_b32_e32 v17, 30, v18
	v_xor_b32_e32 v19, s42, v19
	v_cmp_gt_i64_e64 s[42:43], 0, v[16:17]
	v_not_b32_e32 v17, v17
	v_ashrrev_i32_e32 v17, 31, v17
	v_and_b32_e32 v19, exec_lo, v19
	v_xor_b32_e32 v73, s43, v17
	v_xor_b32_e32 v17, s42, v17
	v_and_b32_e32 v19, v19, v17
	v_lshlrev_b32_e32 v17, 29, v18
	v_cmp_gt_i64_e64 s[42:43], 0, v[16:17]
	v_not_b32_e32 v17, v17
	v_ashrrev_i32_e32 v17, 31, v17
	v_and_b32_e32 v72, v72, v73
	v_xor_b32_e32 v73, s43, v17
	v_xor_b32_e32 v17, s42, v17
	v_and_b32_e32 v19, v19, v17
	v_lshlrev_b32_e32 v17, 28, v18
	v_cmp_gt_i64_e64 s[42:43], 0, v[16:17]
	v_not_b32_e32 v17, v17
	v_ashrrev_i32_e32 v17, 31, v17
	v_and_b32_e32 v72, v72, v73
	;; [unrolled: 8-line block ×5, first 2 shown]
	v_xor_b32_e32 v73, s43, v17
	v_xor_b32_e32 v17, s42, v17
	v_and_b32_e32 v72, v72, v73
	v_and_b32_e32 v73, v19, v17
	v_lshlrev_b32_e32 v17, 24, v18
	v_cmp_gt_i64_e64 s[42:43], 0, v[16:17]
	v_not_b32_e32 v17, v17
	v_ashrrev_i32_e32 v17, 31, v17
	v_xor_b32_e32 v18, s43, v17
	v_xor_b32_e32 v17, s42, v17
	; wave barrier
	ds_read_b32 v70, v71 offset:16
	v_and_b32_e32 v19, v72, v18
	v_and_b32_e32 v18, v73, v17
	v_mbcnt_lo_u32_b32 v17, v18, 0
	v_mbcnt_hi_u32_b32 v72, v19, v17
	v_cmp_eq_u32_e64 s[42:43], 0, v72
	v_cmp_ne_u64_e64 s[44:45], 0, v[18:19]
	s_and_b64 s[44:45], s[44:45], s[42:43]
	; wave barrier
	s_and_saveexec_b64 s[42:43], s[44:45]
	s_cbranch_execz .LBB166_117
; %bb.116:
	v_bcnt_u32_b32 v17, v18, 0
	v_bcnt_u32_b32 v17, v19, v17
	s_waitcnt lgkmcnt(0)
	v_add_u32_e32 v17, v70, v17
	ds_write_b32 v71, v17 offset:16
.LBB166_117:
	s_or_b64 exec, exec, s[42:43]
	v_and_b32_sdwa v18, v25, s50 dst_sel:DWORD dst_unused:UNUSED_PAD src0_sel:BYTE_1 src1_sel:DWORD
	v_lshlrev_b32_e32 v17, 2, v18
	v_add_lshl_u32 v74, v17, v22, 2
	v_and_b32_e32 v17, 1, v18
	v_add_co_u32_e64 v19, s[42:43], -1, v17
	v_addc_co_u32_e64 v75, s[42:43], 0, -1, s[42:43]
	v_cmp_ne_u32_e64 s[42:43], 0, v17
	v_xor_b32_e32 v17, s43, v75
	v_and_b32_e32 v75, exec_hi, v17
	v_lshlrev_b32_e32 v17, 30, v18
	v_xor_b32_e32 v19, s42, v19
	v_cmp_gt_i64_e64 s[42:43], 0, v[16:17]
	v_not_b32_e32 v17, v17
	v_ashrrev_i32_e32 v17, 31, v17
	v_and_b32_e32 v19, exec_lo, v19
	v_xor_b32_e32 v76, s43, v17
	v_xor_b32_e32 v17, s42, v17
	v_and_b32_e32 v19, v19, v17
	v_lshlrev_b32_e32 v17, 29, v18
	v_cmp_gt_i64_e64 s[42:43], 0, v[16:17]
	v_not_b32_e32 v17, v17
	v_ashrrev_i32_e32 v17, 31, v17
	v_and_b32_e32 v75, v75, v76
	v_xor_b32_e32 v76, s43, v17
	v_xor_b32_e32 v17, s42, v17
	v_and_b32_e32 v19, v19, v17
	v_lshlrev_b32_e32 v17, 28, v18
	v_cmp_gt_i64_e64 s[42:43], 0, v[16:17]
	v_not_b32_e32 v17, v17
	v_ashrrev_i32_e32 v17, 31, v17
	v_and_b32_e32 v75, v75, v76
	;; [unrolled: 8-line block ×5, first 2 shown]
	v_xor_b32_e32 v76, s43, v17
	v_xor_b32_e32 v17, s42, v17
	v_and_b32_e32 v19, v19, v17
	v_lshlrev_b32_e32 v17, 24, v18
	v_cmp_gt_i64_e64 s[42:43], 0, v[16:17]
	v_not_b32_e32 v16, v17
	v_ashrrev_i32_e32 v16, 31, v16
	v_xor_b32_e32 v17, s43, v16
	v_xor_b32_e32 v16, s42, v16
	; wave barrier
	ds_read_b32 v73, v74 offset:16
	v_and_b32_e32 v75, v75, v76
	v_and_b32_e32 v16, v19, v16
	;; [unrolled: 1-line block ×3, first 2 shown]
	v_mbcnt_lo_u32_b32 v18, v16, 0
	v_mbcnt_hi_u32_b32 v75, v17, v18
	v_cmp_eq_u32_e64 s[42:43], 0, v75
	v_cmp_ne_u64_e64 s[44:45], 0, v[16:17]
	s_and_b64 s[44:45], s[44:45], s[42:43]
	; wave barrier
	s_and_saveexec_b64 s[42:43], s[44:45]
	s_cbranch_execz .LBB166_119
; %bb.118:
	v_bcnt_u32_b32 v16, v16, 0
	v_bcnt_u32_b32 v16, v17, v16
	s_waitcnt lgkmcnt(0)
	v_add_u32_e32 v16, v73, v16
	ds_write_b32 v74, v16 offset:16
.LBB166_119:
	s_or_b64 exec, exec, s[42:43]
	v_and_b32_sdwa v18, v20, s50 dst_sel:DWORD dst_unused:UNUSED_PAD src0_sel:BYTE_1 src1_sel:DWORD
	v_and_b32_e32 v17, 1, v18
	v_add_co_u32_e64 v19, s[42:43], -1, v17
	v_addc_co_u32_e64 v77, s[42:43], 0, -1, s[42:43]
	v_cmp_ne_u32_e64 s[42:43], 0, v17
	v_lshlrev_b32_e32 v16, 2, v18
	v_xor_b32_e32 v17, s43, v77
	v_add_lshl_u32 v76, v16, v22, 2
	v_mov_b32_e32 v16, 0
	v_and_b32_e32 v77, exec_hi, v17
	v_lshlrev_b32_e32 v17, 30, v18
	v_xor_b32_e32 v19, s42, v19
	v_cmp_gt_i64_e64 s[42:43], 0, v[16:17]
	v_not_b32_e32 v17, v17
	v_ashrrev_i32_e32 v17, 31, v17
	v_and_b32_e32 v19, exec_lo, v19
	v_xor_b32_e32 v78, s43, v17
	v_xor_b32_e32 v17, s42, v17
	v_and_b32_e32 v19, v19, v17
	v_lshlrev_b32_e32 v17, 29, v18
	v_cmp_gt_i64_e64 s[42:43], 0, v[16:17]
	v_not_b32_e32 v17, v17
	v_ashrrev_i32_e32 v17, 31, v17
	v_and_b32_e32 v77, v77, v78
	v_xor_b32_e32 v78, s43, v17
	v_xor_b32_e32 v17, s42, v17
	v_and_b32_e32 v19, v19, v17
	v_lshlrev_b32_e32 v17, 28, v18
	v_cmp_gt_i64_e64 s[42:43], 0, v[16:17]
	v_not_b32_e32 v17, v17
	v_ashrrev_i32_e32 v17, 31, v17
	v_and_b32_e32 v77, v77, v78
	;; [unrolled: 8-line block ×5, first 2 shown]
	v_xor_b32_e32 v78, s43, v17
	v_xor_b32_e32 v17, s42, v17
	v_and_b32_e32 v19, v19, v17
	v_lshlrev_b32_e32 v17, 24, v18
	v_cmp_gt_i64_e64 s[42:43], 0, v[16:17]
	v_not_b32_e32 v16, v17
	v_ashrrev_i32_e32 v16, 31, v16
	v_xor_b32_e32 v17, s43, v16
	v_xor_b32_e32 v16, s42, v16
	; wave barrier
	ds_read_b32 v22, v76 offset:16
	v_and_b32_e32 v77, v77, v78
	v_and_b32_e32 v16, v19, v16
	;; [unrolled: 1-line block ×3, first 2 shown]
	v_mbcnt_lo_u32_b32 v18, v16, 0
	v_mbcnt_hi_u32_b32 v77, v17, v18
	v_cmp_eq_u32_e64 s[42:43], 0, v77
	v_cmp_ne_u64_e64 s[44:45], 0, v[16:17]
	s_and_b64 s[44:45], s[44:45], s[42:43]
	; wave barrier
	s_and_saveexec_b64 s[42:43], s[44:45]
	s_cbranch_execz .LBB166_121
; %bb.120:
	v_bcnt_u32_b32 v16, v16, 0
	v_bcnt_u32_b32 v16, v17, v16
	s_waitcnt lgkmcnt(0)
	v_add_u32_e32 v16, v22, v16
	ds_write_b32 v76, v16 offset:16
.LBB166_121:
	s_or_b64 exec, exec, s[42:43]
	; wave barrier
	s_waitcnt lgkmcnt(0)
	s_barrier
	ds_read2_b32 v[18:19], v64 offset0:4 offset1:5
	ds_read2_b32 v[16:17], v23 offset0:2 offset1:3
	s_waitcnt lgkmcnt(1)
	v_add_u32_e32 v78, v19, v18
	s_waitcnt lgkmcnt(0)
	v_add3_u32 v17, v78, v16, v17
	s_nop 1
	v_mov_b32_dpp v78, v17 row_shr:1 row_mask:0xf bank_mask:0xf
	v_cndmask_b32_e64 v78, v78, 0, s[22:23]
	v_add_u32_e32 v17, v78, v17
	s_nop 1
	v_mov_b32_dpp v78, v17 row_shr:2 row_mask:0xf bank_mask:0xf
	v_cndmask_b32_e64 v78, 0, v78, s[24:25]
	v_add_u32_e32 v17, v17, v78
	;; [unrolled: 4-line block ×4, first 2 shown]
	s_nop 1
	v_mov_b32_dpp v78, v17 row_bcast:15 row_mask:0xf bank_mask:0xf
	v_cndmask_b32_e64 v78, v78, 0, vcc
	v_add_u32_e32 v17, v17, v78
	s_nop 1
	v_mov_b32_dpp v78, v17 row_bcast:31 row_mask:0xf bank_mask:0xf
	v_cndmask_b32_e64 v78, 0, v78, s[34:35]
	v_add_u32_e32 v17, v17, v78
	s_and_saveexec_b64 s[22:23], s[16:17]
	s_cbranch_execz .LBB166_123
; %bb.122:
	ds_write_b32 v24, v17
.LBB166_123:
	s_or_b64 exec, exec, s[22:23]
	s_waitcnt lgkmcnt(0)
	s_barrier
	s_and_saveexec_b64 s[16:17], s[26:27]
	s_cbranch_execz .LBB166_125
; %bb.124:
	ds_read_b32 v24, v21
	s_waitcnt lgkmcnt(0)
	s_nop 0
	v_mov_b32_dpp v78, v24 row_shr:1 row_mask:0xf bank_mask:0xf
	v_cndmask_b32_e64 v78, v78, 0, s[20:21]
	v_add_u32_e32 v24, v78, v24
	s_nop 1
	v_mov_b32_dpp v78, v24 row_shr:2 row_mask:0xf bank_mask:0xf
	v_cndmask_b32_e64 v78, 0, v78, s[18:19]
	v_add_u32_e32 v24, v24, v78
	ds_write_b32 v21, v24
.LBB166_125:
	s_or_b64 exec, exec, s[16:17]
	v_mov_b32_e32 v21, 0
	s_waitcnt lgkmcnt(0)
	s_barrier
	s_and_saveexec_b64 s[16:17], s[36:37]
	s_cbranch_execz .LBB166_127
; %bb.126:
	ds_read_b32 v21, v33
.LBB166_127:
	s_or_b64 exec, exec, s[16:17]
	s_waitcnt lgkmcnt(0)
	v_add_u32_e32 v17, v21, v17
	ds_bpermute_b32 v17, v34, v17
	v_lshlrev_b32_e32 v34, 3, v62
	s_waitcnt lgkmcnt(0)
	v_cndmask_b32_e64 v17, v17, v21, s[38:39]
	v_cndmask_b32_e64 v17, v17, 0, s[40:41]
	v_add_u32_e32 v18, v17, v18
	v_add_u32_e32 v19, v18, v19
	;; [unrolled: 1-line block ×3, first 2 shown]
	ds_write2_b32 v64, v17, v18 offset0:4 offset1:5
	ds_write2_b32 v23, v19, v16 offset0:2 offset1:3
	s_waitcnt lgkmcnt(0)
	s_barrier
	ds_read_b32 v16, v76 offset:16
	ds_read_b32 v17, v74 offset:16
	;; [unrolled: 1-line block ×4, first 2 shown]
	s_waitcnt lgkmcnt(3)
	v_add3_u32 v16, v77, v22, v16
	ds_read_b32 v21, v65 offset:16
	ds_read_b32 v22, v40 offset:16
	;; [unrolled: 1-line block ×4, first 2 shown]
	s_waitcnt lgkmcnt(0)
	s_barrier
	v_add3_u32 v22, v41, v39, v22
	v_add3_u32 v23, v38, v36, v23
	v_add_u32_e32 v24, v24, v35
	v_lshlrev_b32_e32 v32, 1, v24
	ds_write_b16 v32, v31
	v_lshlrev_b32_e32 v31, 1, v23
	v_add3_u32 v21, v66, v46, v21
	ds_write_b16 v31, v30
	v_lshlrev_b32_e32 v30, 1, v22
	v_add3_u32 v19, v69, v67, v19
	;; [unrolled: 3-line block ×4, first 2 shown]
	ds_write_b16 v28, v27
	v_lshlrev_b32_e32 v27, 1, v18
	ds_write_b16 v27, v26
	v_lshlrev_b32_e32 v26, 1, v17
	;; [unrolled: 2-line block ×4, first 2 shown]
	v_lshlrev_b32_e32 v24, 3, v24
	v_lshlrev_b32_e32 v23, 3, v23
	;; [unrolled: 1-line block ×7, first 2 shown]
	s_waitcnt lgkmcnt(0)
	s_barrier
	v_lshlrev_b32_e32 v21, 3, v21
	ds_read_b128 v[16:19], v20
	s_waitcnt lgkmcnt(0)
	s_barrier
	ds_write_b64 v24, v[12:13]
	ds_write_b64 v23, v[14:15]
	;; [unrolled: 1-line block ×8, first 2 shown]
	s_waitcnt lgkmcnt(0)
	s_barrier
	ds_read2_b64 v[22:25], v34 offset1:1
	ds_read2_b64 v[26:29], v34 offset0:2 offset1:3
	ds_read2_b64 v[30:33], v34 offset0:4 offset1:5
	;; [unrolled: 1-line block ×3, first 2 shown]
	v_xor_b32_e32 v38, 0x7fff7fff, v16
	v_xor_b32_e32 v39, 0x7fff7fff, v17
	;; [unrolled: 1-line block ×4, first 2 shown]
.LBB166_128:
	s_waitcnt lgkmcnt(0)
	s_barrier
	ds_write_b128 v54, v[38:41]
	s_waitcnt lgkmcnt(0)
	s_barrier
	ds_read_u16 v8, v43 offset:512
	ds_read_u16 v7, v48 offset:1024
	;; [unrolled: 1-line block ×7, first 2 shown]
	v_mov_b32_e32 v43, 0
	v_lshlrev_b64 v[0:1], 1, v[42:43]
	v_mov_b32_e32 v9, s47
	v_add_co_u32_e32 v0, vcc, s33, v0
	v_addc_co_u32_e32 v1, vcc, v9, v1, vcc
	s_and_saveexec_b64 s[16:17], s[0:1]
	s_cbranch_execnz .LBB166_147
; %bb.129:
	s_or_b64 exec, exec, s[16:17]
	s_and_saveexec_b64 s[16:17], s[2:3]
	s_cbranch_execnz .LBB166_148
.LBB166_130:
	s_or_b64 exec, exec, s[16:17]
	s_and_saveexec_b64 s[16:17], s[4:5]
	s_cbranch_execnz .LBB166_149
.LBB166_131:
	s_or_b64 exec, exec, s[16:17]
	s_and_saveexec_b64 s[16:17], s[6:7]
	s_cbranch_execnz .LBB166_150
.LBB166_132:
	s_or_b64 exec, exec, s[16:17]
	s_and_saveexec_b64 s[16:17], s[8:9]
	s_cbranch_execnz .LBB166_151
.LBB166_133:
	s_or_b64 exec, exec, s[16:17]
	s_and_saveexec_b64 s[16:17], s[10:11]
	s_cbranch_execnz .LBB166_152
.LBB166_134:
	s_or_b64 exec, exec, s[16:17]
	s_and_saveexec_b64 s[16:17], s[12:13]
	s_cbranch_execnz .LBB166_153
.LBB166_135:
	s_or_b64 exec, exec, s[16:17]
	s_and_saveexec_b64 s[16:17], s[14:15]
	s_cbranch_execz .LBB166_137
.LBB166_136:
	s_mul_i32 s18, s46, 0x700
	s_mov_b32 s19, 0
	s_lshl_b64 s[18:19], s[18:19], 1
	s_waitcnt lgkmcnt(1)
	v_mov_b32_e32 v3, s19
	v_add_co_u32_e32 v0, vcc, s18, v0
	v_addc_co_u32_e32 v1, vcc, v1, v3, vcc
	s_waitcnt lgkmcnt(0)
	global_store_short v[0:1], v2, off
.LBB166_137:
	s_or_b64 exec, exec, s[16:17]
	s_waitcnt lgkmcnt(0)
	s_barrier
	ds_write2_b64 v63, v[22:23], v[24:25] offset1:1
	ds_write2_b64 v63, v[26:27], v[28:29] offset0:2 offset1:3
	ds_write2_b64 v63, v[30:31], v[32:33] offset0:4 offset1:5
	;; [unrolled: 1-line block ×3, first 2 shown]
	s_waitcnt lgkmcnt(0)
	s_barrier
	ds_read_b64 v[14:15], v45 offset:2048
	ds_read_b64 v[12:13], v56 offset:4096
	;; [unrolled: 1-line block ×7, first 2 shown]
	v_mov_b32_e32 v45, 0
	v_lshlrev_b64 v[2:3], 3, v[44:45]
	v_mov_b32_e32 v16, s52
	v_add_co_u32_e32 v2, vcc, s49, v2
	v_addc_co_u32_e32 v3, vcc, v16, v3, vcc
	s_and_saveexec_b64 s[16:17], s[0:1]
	s_cbranch_execnz .LBB166_154
; %bb.138:
	s_or_b64 exec, exec, s[16:17]
	s_and_saveexec_b64 s[0:1], s[2:3]
	s_cbranch_execnz .LBB166_155
.LBB166_139:
	s_or_b64 exec, exec, s[0:1]
	s_and_saveexec_b64 s[0:1], s[4:5]
	s_cbranch_execnz .LBB166_156
.LBB166_140:
	s_or_b64 exec, exec, s[0:1]
	s_and_saveexec_b64 s[0:1], s[6:7]
	s_cbranch_execnz .LBB166_157
.LBB166_141:
	s_or_b64 exec, exec, s[0:1]
	s_and_saveexec_b64 s[0:1], s[8:9]
	s_cbranch_execnz .LBB166_158
.LBB166_142:
	s_or_b64 exec, exec, s[0:1]
	s_and_saveexec_b64 s[0:1], s[10:11]
	s_cbranch_execnz .LBB166_159
.LBB166_143:
	s_or_b64 exec, exec, s[0:1]
	s_and_saveexec_b64 s[0:1], s[12:13]
	s_cbranch_execnz .LBB166_160
.LBB166_144:
	s_or_b64 exec, exec, s[0:1]
	s_and_saveexec_b64 s[0:1], s[14:15]
	s_cbranch_execz .LBB166_146
.LBB166_145:
	s_mul_i32 s0, s48, 0x700
	s_mov_b32 s1, 0
	s_lshl_b64 s[0:1], s[0:1], 3
	s_waitcnt lgkmcnt(1)
	v_mov_b32_e32 v4, s1
	v_add_co_u32_e32 v2, vcc, s0, v2
	v_addc_co_u32_e32 v3, vcc, v3, v4, vcc
	s_waitcnt lgkmcnt(0)
	global_store_dwordx2 v[2:3], v[0:1], off
.LBB166_146:
	s_endpgm
.LBB166_147:
	ds_read_u16 v9, v47
	s_waitcnt lgkmcnt(0)
	global_store_short v[0:1], v9, off
	s_or_b64 exec, exec, s[16:17]
	s_and_saveexec_b64 s[16:17], s[2:3]
	s_cbranch_execz .LBB166_130
.LBB166_148:
	s_lshl_b32 s18, s46, 8
	s_mov_b32 s19, 0
	s_lshl_b64 s[18:19], s[18:19], 1
	v_mov_b32_e32 v9, s19
	v_add_co_u32_e32 v10, vcc, s18, v0
	v_addc_co_u32_e32 v11, vcc, v1, v9, vcc
	s_waitcnt lgkmcnt(6)
	global_store_short v[10:11], v8, off
	s_or_b64 exec, exec, s[16:17]
	s_and_saveexec_b64 s[16:17], s[4:5]
	s_cbranch_execz .LBB166_131
.LBB166_149:
	s_lshl_b32 s18, s46, 9
	s_mov_b32 s19, 0
	s_lshl_b64 s[18:19], s[18:19], 1
	v_mov_b32_e32 v9, s19
	s_waitcnt lgkmcnt(6)
	v_add_co_u32_e32 v8, vcc, s18, v0
	v_addc_co_u32_e32 v9, vcc, v1, v9, vcc
	s_waitcnt lgkmcnt(5)
	global_store_short v[8:9], v7, off
	s_or_b64 exec, exec, s[16:17]
	s_and_saveexec_b64 s[16:17], s[6:7]
	s_cbranch_execz .LBB166_132
.LBB166_150:
	s_mul_i32 s18, s46, 0x300
	s_mov_b32 s19, 0
	s_lshl_b64 s[18:19], s[18:19], 1
	s_waitcnt lgkmcnt(5)
	v_mov_b32_e32 v7, s19
	v_add_co_u32_e32 v8, vcc, s18, v0
	v_addc_co_u32_e32 v9, vcc, v1, v7, vcc
	s_waitcnt lgkmcnt(4)
	global_store_short v[8:9], v6, off
	s_or_b64 exec, exec, s[16:17]
	s_and_saveexec_b64 s[16:17], s[8:9]
	s_cbranch_execz .LBB166_133
.LBB166_151:
	s_lshl_b32 s18, s46, 10
	s_mov_b32 s19, 0
	s_lshl_b64 s[18:19], s[18:19], 1
	s_waitcnt lgkmcnt(5)
	v_mov_b32_e32 v7, s19
	s_waitcnt lgkmcnt(4)
	v_add_co_u32_e32 v6, vcc, s18, v0
	v_addc_co_u32_e32 v7, vcc, v1, v7, vcc
	s_waitcnt lgkmcnt(3)
	global_store_short v[6:7], v5, off
	s_or_b64 exec, exec, s[16:17]
	s_and_saveexec_b64 s[16:17], s[10:11]
	s_cbranch_execz .LBB166_134
.LBB166_152:
	s_mul_i32 s18, s46, 0x500
	s_mov_b32 s19, 0
	s_lshl_b64 s[18:19], s[18:19], 1
	s_waitcnt lgkmcnt(3)
	v_mov_b32_e32 v5, s19
	v_add_co_u32_e32 v6, vcc, s18, v0
	v_addc_co_u32_e32 v7, vcc, v1, v5, vcc
	s_waitcnt lgkmcnt(2)
	global_store_short v[6:7], v4, off
	s_or_b64 exec, exec, s[16:17]
	s_and_saveexec_b64 s[16:17], s[12:13]
	s_cbranch_execz .LBB166_135
.LBB166_153:
	s_mul_i32 s18, s46, 0x600
	s_mov_b32 s19, 0
	s_lshl_b64 s[18:19], s[18:19], 1
	s_waitcnt lgkmcnt(3)
	v_mov_b32_e32 v5, s19
	s_waitcnt lgkmcnt(2)
	v_add_co_u32_e32 v4, vcc, s18, v0
	v_addc_co_u32_e32 v5, vcc, v1, v5, vcc
	s_waitcnt lgkmcnt(1)
	global_store_short v[4:5], v3, off
	s_or_b64 exec, exec, s[16:17]
	s_and_saveexec_b64 s[16:17], s[14:15]
	s_cbranch_execnz .LBB166_136
	s_branch .LBB166_137
.LBB166_154:
	ds_read_b64 v[16:17], v55
	s_waitcnt lgkmcnt(0)
	global_store_dwordx2 v[2:3], v[16:17], off
	s_or_b64 exec, exec, s[16:17]
	s_and_saveexec_b64 s[0:1], s[2:3]
	s_cbranch_execz .LBB166_139
.LBB166_155:
	s_lshl_b32 s2, s48, 8
	s_mov_b32 s3, 0
	s_lshl_b64 s[2:3], s[2:3], 3
	v_mov_b32_e32 v17, s3
	v_add_co_u32_e32 v16, vcc, s2, v2
	v_addc_co_u32_e32 v17, vcc, v3, v17, vcc
	s_waitcnt lgkmcnt(6)
	global_store_dwordx2 v[16:17], v[14:15], off
	s_or_b64 exec, exec, s[0:1]
	s_and_saveexec_b64 s[0:1], s[4:5]
	s_cbranch_execz .LBB166_140
.LBB166_156:
	s_lshl_b32 s2, s48, 9
	s_mov_b32 s3, 0
	s_lshl_b64 s[2:3], s[2:3], 3
	s_waitcnt lgkmcnt(6)
	v_mov_b32_e32 v15, s3
	v_add_co_u32_e32 v14, vcc, s2, v2
	v_addc_co_u32_e32 v15, vcc, v3, v15, vcc
	s_waitcnt lgkmcnt(5)
	global_store_dwordx2 v[14:15], v[12:13], off
	s_or_b64 exec, exec, s[0:1]
	s_and_saveexec_b64 s[0:1], s[6:7]
	s_cbranch_execz .LBB166_141
.LBB166_157:
	s_mul_i32 s2, s48, 0x300
	s_mov_b32 s3, 0
	s_lshl_b64 s[2:3], s[2:3], 3
	s_waitcnt lgkmcnt(5)
	v_mov_b32_e32 v13, s3
	v_add_co_u32_e32 v12, vcc, s2, v2
	v_addc_co_u32_e32 v13, vcc, v3, v13, vcc
	s_waitcnt lgkmcnt(4)
	global_store_dwordx2 v[12:13], v[10:11], off
	s_or_b64 exec, exec, s[0:1]
	s_and_saveexec_b64 s[0:1], s[8:9]
	s_cbranch_execz .LBB166_142
.LBB166_158:
	s_lshl_b32 s2, s48, 10
	s_mov_b32 s3, 0
	s_lshl_b64 s[2:3], s[2:3], 3
	s_waitcnt lgkmcnt(4)
	v_mov_b32_e32 v11, s3
	v_add_co_u32_e32 v10, vcc, s2, v2
	v_addc_co_u32_e32 v11, vcc, v3, v11, vcc
	s_waitcnt lgkmcnt(3)
	global_store_dwordx2 v[10:11], v[8:9], off
	s_or_b64 exec, exec, s[0:1]
	s_and_saveexec_b64 s[0:1], s[10:11]
	s_cbranch_execz .LBB166_143
.LBB166_159:
	s_mul_i32 s2, s48, 0x500
	s_mov_b32 s3, 0
	s_lshl_b64 s[2:3], s[2:3], 3
	s_waitcnt lgkmcnt(3)
	v_mov_b32_e32 v9, s3
	v_add_co_u32_e32 v8, vcc, s2, v2
	v_addc_co_u32_e32 v9, vcc, v3, v9, vcc
	s_waitcnt lgkmcnt(2)
	global_store_dwordx2 v[8:9], v[6:7], off
	s_or_b64 exec, exec, s[0:1]
	s_and_saveexec_b64 s[0:1], s[12:13]
	s_cbranch_execz .LBB166_144
.LBB166_160:
	s_mul_i32 s2, s48, 0x600
	s_mov_b32 s3, 0
	s_lshl_b64 s[2:3], s[2:3], 3
	s_waitcnt lgkmcnt(2)
	v_mov_b32_e32 v7, s3
	v_add_co_u32_e32 v6, vcc, s2, v2
	v_addc_co_u32_e32 v7, vcc, v3, v7, vcc
	s_waitcnt lgkmcnt(1)
	global_store_dwordx2 v[6:7], v[4:5], off
	s_or_b64 exec, exec, s[0:1]
	s_and_saveexec_b64 s[0:1], s[14:15]
	s_cbranch_execnz .LBB166_145
	s_branch .LBB166_146
	.section	.rodata,"a",@progbits
	.p2align	6, 0x0
	.amdhsa_kernel _ZN2at6native18radixSortKVInPlaceILi2ELin1ELi256ELi8EsljEEvNS_4cuda6detail10TensorInfoIT3_T5_EES6_S6_S6_NS4_IT4_S6_EES6_b
		.amdhsa_group_segment_fixed_size 16896
		.amdhsa_private_segment_fixed_size 0
		.amdhsa_kernarg_size 712
		.amdhsa_user_sgpr_count 6
		.amdhsa_user_sgpr_private_segment_buffer 1
		.amdhsa_user_sgpr_dispatch_ptr 0
		.amdhsa_user_sgpr_queue_ptr 0
		.amdhsa_user_sgpr_kernarg_segment_ptr 1
		.amdhsa_user_sgpr_dispatch_id 0
		.amdhsa_user_sgpr_flat_scratch_init 0
		.amdhsa_user_sgpr_kernarg_preload_length 0
		.amdhsa_user_sgpr_kernarg_preload_offset 0
		.amdhsa_user_sgpr_private_segment_size 0
		.amdhsa_uses_dynamic_stack 0
		.amdhsa_system_sgpr_private_segment_wavefront_offset 0
		.amdhsa_system_sgpr_workgroup_id_x 1
		.amdhsa_system_sgpr_workgroup_id_y 1
		.amdhsa_system_sgpr_workgroup_id_z 1
		.amdhsa_system_sgpr_workgroup_info 0
		.amdhsa_system_vgpr_workitem_id 2
		.amdhsa_next_free_vgpr 113
		.amdhsa_next_free_sgpr 54
		.amdhsa_accum_offset 116
		.amdhsa_reserve_vcc 1
		.amdhsa_reserve_flat_scratch 0
		.amdhsa_float_round_mode_32 0
		.amdhsa_float_round_mode_16_64 0
		.amdhsa_float_denorm_mode_32 3
		.amdhsa_float_denorm_mode_16_64 3
		.amdhsa_dx10_clamp 1
		.amdhsa_ieee_mode 1
		.amdhsa_fp16_overflow 0
		.amdhsa_tg_split 0
		.amdhsa_exception_fp_ieee_invalid_op 0
		.amdhsa_exception_fp_denorm_src 0
		.amdhsa_exception_fp_ieee_div_zero 0
		.amdhsa_exception_fp_ieee_overflow 0
		.amdhsa_exception_fp_ieee_underflow 0
		.amdhsa_exception_fp_ieee_inexact 0
		.amdhsa_exception_int_div_zero 0
	.end_amdhsa_kernel
	.section	.text._ZN2at6native18radixSortKVInPlaceILi2ELin1ELi256ELi8EsljEEvNS_4cuda6detail10TensorInfoIT3_T5_EES6_S6_S6_NS4_IT4_S6_EES6_b,"axG",@progbits,_ZN2at6native18radixSortKVInPlaceILi2ELin1ELi256ELi8EsljEEvNS_4cuda6detail10TensorInfoIT3_T5_EES6_S6_S6_NS4_IT4_S6_EES6_b,comdat
.Lfunc_end166:
	.size	_ZN2at6native18radixSortKVInPlaceILi2ELin1ELi256ELi8EsljEEvNS_4cuda6detail10TensorInfoIT3_T5_EES6_S6_S6_NS4_IT4_S6_EES6_b, .Lfunc_end166-_ZN2at6native18radixSortKVInPlaceILi2ELin1ELi256ELi8EsljEEvNS_4cuda6detail10TensorInfoIT3_T5_EES6_S6_S6_NS4_IT4_S6_EES6_b
                                        ; -- End function
	.section	.AMDGPU.csdata,"",@progbits
; Kernel info:
; codeLenInByte = 20612
; NumSgprs: 58
; NumVgprs: 113
; NumAgprs: 0
; TotalNumVgprs: 113
; ScratchSize: 0
; MemoryBound: 0
; FloatMode: 240
; IeeeMode: 1
; LDSByteSize: 16896 bytes/workgroup (compile time only)
; SGPRBlocks: 7
; VGPRBlocks: 14
; NumSGPRsForWavesPerEU: 58
; NumVGPRsForWavesPerEU: 113
; AccumOffset: 116
; Occupancy: 3
; WaveLimiterHint : 1
; COMPUTE_PGM_RSRC2:SCRATCH_EN: 0
; COMPUTE_PGM_RSRC2:USER_SGPR: 6
; COMPUTE_PGM_RSRC2:TRAP_HANDLER: 0
; COMPUTE_PGM_RSRC2:TGID_X_EN: 1
; COMPUTE_PGM_RSRC2:TGID_Y_EN: 1
; COMPUTE_PGM_RSRC2:TGID_Z_EN: 1
; COMPUTE_PGM_RSRC2:TIDIG_COMP_CNT: 2
; COMPUTE_PGM_RSRC3_GFX90A:ACCUM_OFFSET: 28
; COMPUTE_PGM_RSRC3_GFX90A:TG_SPLIT: 0
	.section	.text._ZN2at6native18radixSortKVInPlaceILi2ELin1ELi128ELi8EsljEEvNS_4cuda6detail10TensorInfoIT3_T5_EES6_S6_S6_NS4_IT4_S6_EES6_b,"axG",@progbits,_ZN2at6native18radixSortKVInPlaceILi2ELin1ELi128ELi8EsljEEvNS_4cuda6detail10TensorInfoIT3_T5_EES6_S6_S6_NS4_IT4_S6_EES6_b,comdat
	.protected	_ZN2at6native18radixSortKVInPlaceILi2ELin1ELi128ELi8EsljEEvNS_4cuda6detail10TensorInfoIT3_T5_EES6_S6_S6_NS4_IT4_S6_EES6_b ; -- Begin function _ZN2at6native18radixSortKVInPlaceILi2ELin1ELi128ELi8EsljEEvNS_4cuda6detail10TensorInfoIT3_T5_EES6_S6_S6_NS4_IT4_S6_EES6_b
	.globl	_ZN2at6native18radixSortKVInPlaceILi2ELin1ELi128ELi8EsljEEvNS_4cuda6detail10TensorInfoIT3_T5_EES6_S6_S6_NS4_IT4_S6_EES6_b
	.p2align	8
	.type	_ZN2at6native18radixSortKVInPlaceILi2ELin1ELi128ELi8EsljEEvNS_4cuda6detail10TensorInfoIT3_T5_EES6_S6_S6_NS4_IT4_S6_EES6_b,@function
_ZN2at6native18radixSortKVInPlaceILi2ELin1ELi128ELi8EsljEEvNS_4cuda6detail10TensorInfoIT3_T5_EES6_S6_S6_NS4_IT4_S6_EES6_b: ; @_ZN2at6native18radixSortKVInPlaceILi2ELin1ELi128ELi8EsljEEvNS_4cuda6detail10TensorInfoIT3_T5_EES6_S6_S6_NS4_IT4_S6_EES6_b
; %bb.0:
	s_load_dwordx2 s[0:1], s[4:5], 0x1c8
	s_load_dwordx4 s[44:47], s[4:5], 0xd8
	s_add_u32 s50, s4, 0x1c8
	s_addc_u32 s51, s5, 0
	s_waitcnt lgkmcnt(0)
	s_mul_i32 s1, s1, s8
	s_add_i32 s1, s1, s7
	s_mul_i32 s8, s1, s0
	s_add_i32 s8, s8, s6
	s_cmp_ge_u32 s8, s44
	s_cbranch_scc1 .LBB167_146
; %bb.1:
	s_load_dword s9, s[4:5], 0xc
	s_load_dwordx2 s[0:1], s[4:5], 0x6c
	s_load_dword s6, s[4:5], 0x1b8
	s_add_u32 s14, s4, 0xe8
	s_load_dwordx2 s[2:3], s[4:5], 0x0
	s_waitcnt lgkmcnt(0)
	v_cvt_f32_u32_e32 v1, s9
	s_addc_u32 s15, s5, 0
	s_sub_i32 s7, 0, s9
	s_mov_b32 s17, 0
	v_rcp_iflag_f32_e32 v1, v1
	s_mov_b32 s16, s8
	v_mul_f32_e32 v1, 0x4f7ffffe, v1
	v_cvt_u32_f32_e32 v1, v1
	v_readfirstlane_b32 s10, v1
	s_mul_i32 s7, s7, s10
	s_mul_hi_u32 s7, s10, s7
	s_add_i32 s10, s10, s7
	s_mul_hi_u32 s10, s8, s10
	s_cmp_lt_i32 s6, 2
	s_cbranch_scc1 .LBB167_4
; %bb.2:
	s_add_i32 s16, s6, -1
	s_add_i32 s11, s6, 1
	s_lshl_b64 s[6:7], s[16:17], 2
	s_add_u32 s6, s6, s14
	s_addc_u32 s7, s7, s15
	s_add_u32 s6, s6, 8
	s_addc_u32 s7, s7, 0
	s_mov_b32 s16, s8
.LBB167_3:                              ; =>This Inner Loop Header: Depth=1
	s_load_dword s12, s[6:7], 0x0
	s_load_dword s18, s[6:7], 0x64
	s_mov_b32 s13, s16
	s_waitcnt lgkmcnt(0)
	v_cvt_f32_u32_e32 v1, s12
	s_sub_i32 s16, 0, s12
	v_rcp_iflag_f32_e32 v1, v1
	v_mul_f32_e32 v1, 0x4f7ffffe, v1
	v_cvt_u32_f32_e32 v1, v1
	v_readfirstlane_b32 s19, v1
	s_mul_i32 s16, s16, s19
	s_mul_hi_u32 s16, s19, s16
	s_add_i32 s19, s19, s16
	s_mul_hi_u32 s16, s13, s19
	s_mul_i32 s19, s16, s12
	s_sub_i32 s19, s13, s19
	s_add_i32 s20, s16, 1
	s_sub_i32 s21, s19, s12
	s_cmp_ge_u32 s19, s12
	s_cselect_b32 s16, s20, s16
	s_cselect_b32 s19, s21, s19
	s_add_i32 s20, s16, 1
	s_cmp_ge_u32 s19, s12
	s_cselect_b32 s16, s20, s16
	s_mul_i32 s12, s16, s12
	s_sub_i32 s12, s13, s12
	s_mul_i32 s12, s18, s12
	s_add_i32 s11, s11, -1
	s_add_i32 s17, s12, s17
	s_add_u32 s6, s6, -4
	s_addc_u32 s7, s7, -1
	s_cmp_gt_u32 s11, 2
	s_cbranch_scc1 .LBB167_3
.LBB167_4:
	s_mul_i32 s6, s10, s9
	s_sub_i32 s6, s8, s6
	s_add_i32 s7, s10, 1
	s_sub_i32 s11, s6, s9
	s_cmp_ge_u32 s6, s9
	s_cselect_b32 s7, s7, s10
	s_cselect_b32 s6, s11, s6
	s_add_i32 s10, s7, 1
	s_cmp_ge_u32 s6, s9
	s_cselect_b32 s6, s10, s7
	s_load_dwordx2 s[48:49], s[4:5], 0x1c0
	s_mul_i32 s7, s6, s9
	s_sub_i32 s4, s8, s7
	s_mul_i32 s4, s4, s1
	s_mul_i32 s0, s6, s0
	s_add_i32 s0, s0, s4
	s_waitcnt lgkmcnt(0)
	s_bitcmp1_b32 s49, 0
	s_cselect_b64 s[34:35], -1, 0
	s_mov_b32 s1, 0x8000
	s_and_b64 s[4:5], s[34:35], exec
	s_cselect_b32 s8, s1, 0x7fff
	s_mov_b32 s1, 0
	s_pack_ll_b32_b16 s4, s8, s8
	s_lshl_b64 s[0:1], s[0:1], 1
	s_mov_b32 s5, s4
	s_add_u32 s33, s2, s0
	v_and_b32_e32 v46, 0x3ff, v0
	s_mov_b32 s6, s4
	s_mov_b32 s7, s4
	v_pk_mov_b32 v[2:3], s[4:5], s[4:5] op_sel:[0,1]
	s_addc_u32 s44, s3, s1
	v_cmp_gt_u32_e64 s[0:1], s45, v46
	v_pk_mov_b32 v[4:5], s[6:7], s[6:7] op_sel:[0,1]
	v_mov_b32_e32 v6, s8
	v_mul_lo_u32 v42, v46, s46
	s_and_saveexec_b64 s[2:3], s[0:1]
	s_cbranch_execz .LBB167_6
; %bb.5:
	v_mov_b32_e32 v43, 0
	v_lshlrev_b64 v[2:3], 1, v[42:43]
	v_mov_b32_e32 v1, s44
	v_add_co_u32_e32 v2, vcc, s33, v2
	v_addc_co_u32_e32 v3, vcc, v1, v3, vcc
	global_load_ushort v6, v[2:3], off
	s_mov_b32 s5, 0xffff
	v_mov_b32_e32 v1, s4
	v_mov_b32_e32 v3, s4
	;; [unrolled: 1-line block ×4, first 2 shown]
	s_waitcnt vmcnt(0)
	v_bfi_b32 v2, s5, v6, v1
.LBB167_6:
	s_or_b64 exec, exec, s[2:3]
	v_add_u32_e32 v1, 0x80, v46
	v_cmp_gt_u32_e64 s[2:3], s45, v1
	s_and_saveexec_b64 s[4:5], s[2:3]
	s_cbranch_execz .LBB167_8
; %bb.7:
	v_mul_lo_u32 v8, v1, s46
	v_mov_b32_e32 v9, 0
	v_lshlrev_b64 v[8:9], 1, v[8:9]
	v_mov_b32_e32 v7, s44
	v_add_co_u32_e32 v8, vcc, s33, v8
	v_addc_co_u32_e32 v9, vcc, v7, v9, vcc
	global_load_ushort v7, v[8:9], off
	s_mov_b32 s6, 0x5040100
	s_waitcnt vmcnt(0)
	v_perm_b32 v2, v7, v2, s6
.LBB167_8:
	s_or_b64 exec, exec, s[4:5]
	v_add_u32_e32 v22, 0x100, v46
	v_cmp_gt_u32_e64 s[4:5], s45, v22
	s_and_saveexec_b64 s[6:7], s[4:5]
	s_cbranch_execz .LBB167_10
; %bb.9:
	v_mul_lo_u32 v8, v22, s46
	v_mov_b32_e32 v9, 0
	v_lshlrev_b64 v[8:9], 1, v[8:9]
	v_mov_b32_e32 v7, s44
	v_add_co_u32_e32 v8, vcc, s33, v8
	v_addc_co_u32_e32 v9, vcc, v7, v9, vcc
	global_load_ushort v7, v[8:9], off
	s_mov_b32 s8, 0xffff
	s_waitcnt vmcnt(0)
	v_bfi_b32 v3, s8, v7, v3
.LBB167_10:
	s_or_b64 exec, exec, s[6:7]
	v_add_u32_e32 v23, 0x180, v46
	v_cmp_gt_u32_e64 s[6:7], s45, v23
	s_and_saveexec_b64 s[8:9], s[6:7]
	s_cbranch_execz .LBB167_12
; %bb.11:
	v_mul_lo_u32 v8, v23, s46
	v_mov_b32_e32 v9, 0
	v_lshlrev_b64 v[8:9], 1, v[8:9]
	v_mov_b32_e32 v7, s44
	v_add_co_u32_e32 v8, vcc, s33, v8
	v_addc_co_u32_e32 v9, vcc, v7, v9, vcc
	global_load_ushort v7, v[8:9], off
	s_mov_b32 s10, 0x5040100
	s_waitcnt vmcnt(0)
	v_perm_b32 v3, v7, v3, s10
.LBB167_12:
	s_or_b64 exec, exec, s[8:9]
	v_add_u32_e32 v24, 0x200, v46
	v_cmp_gt_u32_e64 s[8:9], s45, v24
	s_and_saveexec_b64 s[10:11], s[8:9]
	s_cbranch_execz .LBB167_14
; %bb.13:
	v_mul_lo_u32 v8, v24, s46
	v_mov_b32_e32 v9, 0
	v_lshlrev_b64 v[8:9], 1, v[8:9]
	v_mov_b32_e32 v7, s44
	v_add_co_u32_e32 v8, vcc, s33, v8
	v_addc_co_u32_e32 v9, vcc, v7, v9, vcc
	global_load_ushort v7, v[8:9], off
	s_mov_b32 s12, 0xffff
	s_waitcnt vmcnt(0)
	v_bfi_b32 v4, s12, v7, v4
.LBB167_14:
	s_or_b64 exec, exec, s[10:11]
	v_add_u32_e32 v25, 0x280, v46
	v_cmp_gt_u32_e64 s[10:11], s45, v25
	s_and_saveexec_b64 s[12:13], s[10:11]
	s_cbranch_execz .LBB167_16
; %bb.15:
	v_mul_lo_u32 v8, v25, s46
	v_mov_b32_e32 v9, 0
	v_lshlrev_b64 v[8:9], 1, v[8:9]
	v_mov_b32_e32 v7, s44
	v_add_co_u32_e32 v8, vcc, s33, v8
	v_addc_co_u32_e32 v9, vcc, v7, v9, vcc
	global_load_ushort v7, v[8:9], off
	s_mov_b32 s18, 0x5040100
	s_waitcnt vmcnt(0)
	v_perm_b32 v4, v7, v4, s18
.LBB167_16:
	s_or_b64 exec, exec, s[12:13]
	s_load_dwordx2 s[18:19], s[14:15], 0x0
	v_add_u32_e32 v26, 0x300, v46
	v_cmp_gt_u32_e64 s[12:13], s45, v26
	s_and_saveexec_b64 s[20:21], s[12:13]
	s_cbranch_execz .LBB167_18
; %bb.17:
	v_mul_lo_u32 v8, v26, s46
	v_mov_b32_e32 v9, 0
	v_lshlrev_b64 v[8:9], 1, v[8:9]
	v_mov_b32_e32 v7, s44
	v_add_co_u32_e32 v8, vcc, s33, v8
	v_addc_co_u32_e32 v9, vcc, v7, v9, vcc
	global_load_ushort v7, v[8:9], off
	s_mov_b32 s22, 0xffff
	s_waitcnt vmcnt(0)
	v_bfi_b32 v5, s22, v7, v5
.LBB167_18:
	s_or_b64 exec, exec, s[20:21]
	s_load_dword s22, s[14:15], 0x6c
	v_add_u32_e32 v27, 0x380, v46
	v_cmp_gt_u32_e64 s[14:15], s45, v27
	s_and_saveexec_b64 s[20:21], s[14:15]
	s_cbranch_execz .LBB167_20
; %bb.19:
	v_mul_lo_u32 v8, v27, s46
	v_mov_b32_e32 v9, 0
	v_lshlrev_b64 v[8:9], 1, v[8:9]
	v_mov_b32_e32 v7, s44
	v_add_co_u32_e32 v8, vcc, s33, v8
	v_addc_co_u32_e32 v9, vcc, v7, v9, vcc
	global_load_ushort v7, v[8:9], off
	s_mov_b32 s23, 0x5040100
	s_waitcnt vmcnt(0)
	v_perm_b32 v5, v7, v5, s23
.LBB167_20:
	s_or_b64 exec, exec, s[20:21]
	v_lshrrev_b32_e32 v36, 5, v46
	v_and_b32_e32 v7, 30, v36
	v_add_lshl_u32 v47, v7, v46, 1
	v_lshrrev_b32_e32 v35, 5, v1
	ds_write_b16 v47, v6
	v_and_b32_e32 v6, 62, v35
	v_add_lshl_u32 v43, v6, v46, 1
	v_lshrrev_b32_e32 v34, 5, v22
	ds_write_b16_d16_hi v43, v2 offset:256
	v_and_b32_e32 v2, 62, v34
	v_lshrrev_b32_e32 v33, 5, v23
	v_add_lshl_u32 v48, v2, v46, 1
	v_and_b32_e32 v2, 62, v33
	v_lshrrev_b32_e32 v32, 5, v24
	v_add_lshl_u32 v49, v2, v46, 1
	;; [unrolled: 3-line block ×6, first 2 shown]
	v_lshlrev_b32_e32 v62, 3, v46
	v_and_b32_e32 v2, 0xfe, v30
	s_waitcnt lgkmcnt(0)
	s_mul_i32 s16, s22, s16
	v_add_lshl_u32 v54, v2, v62, 1
	s_add_i32 s16, s16, s17
	s_mov_b32 s17, 0
	ds_write_b16 v48, v3 offset:512
	ds_write_b16_d16_hi v49, v3 offset:768
	ds_write_b16 v50, v4 offset:1024
	ds_write_b16_d16_hi v51, v4 offset:1280
	;; [unrolled: 2-line block ×3, first 2 shown]
	s_waitcnt lgkmcnt(0)
	s_barrier
	ds_read_b128 v[18:21], v54
	s_lshl_b64 s[20:21], s[16:17], 3
	s_add_u32 s45, s18, s20
	s_mov_b32 s16, s17
	s_addc_u32 s47, s19, s21
	s_mov_b32 s18, s17
	s_mov_b32 s19, s17
	s_mov_b32 s20, s17
	s_mov_b32 s21, s17
	s_mov_b32 s22, s17
	s_mov_b32 s23, s17
	s_mov_b32 s24, s17
	s_mov_b32 s25, s17
	s_mov_b32 s26, s17
	s_mov_b32 s27, s17
	s_mov_b32 s28, s17
	s_mov_b32 s29, s17
	s_mov_b32 s30, s17
	s_mov_b32 s31, s17
	v_pk_mov_b32 v[2:3], s[16:17], s[16:17] op_sel:[0,1]
	v_pk_mov_b32 v[4:5], s[18:19], s[18:19] op_sel:[0,1]
	;; [unrolled: 1-line block ×8, first 2 shown]
	v_pk_mov_b32 v[2:3], 0, 0
	v_mul_lo_u32 v44, v46, s48
	s_waitcnt lgkmcnt(0)
	s_barrier
	s_and_saveexec_b64 s[16:17], s[0:1]
	s_cbranch_execnz .LBB167_75
; %bb.21:
	s_or_b64 exec, exec, s[16:17]
	s_and_saveexec_b64 s[16:17], s[2:3]
	s_cbranch_execnz .LBB167_76
.LBB167_22:
	s_or_b64 exec, exec, s[16:17]
	s_and_saveexec_b64 s[16:17], s[4:5]
	s_cbranch_execnz .LBB167_77
.LBB167_23:
	s_or_b64 exec, exec, s[16:17]
	s_and_saveexec_b64 s[16:17], s[6:7]
	s_cbranch_execnz .LBB167_78
.LBB167_24:
	s_or_b64 exec, exec, s[16:17]
	s_and_saveexec_b64 s[16:17], s[8:9]
	s_cbranch_execnz .LBB167_79
.LBB167_25:
	s_or_b64 exec, exec, s[16:17]
	s_and_saveexec_b64 s[16:17], s[10:11]
	s_cbranch_execnz .LBB167_80
.LBB167_26:
	s_or_b64 exec, exec, s[16:17]
	s_and_saveexec_b64 s[16:17], s[12:13]
	s_cbranch_execnz .LBB167_81
.LBB167_27:
	s_or_b64 exec, exec, s[16:17]
	s_xor_b64 s[16:17], s[34:35], -1
	s_and_saveexec_b64 s[18:19], s[14:15]
	s_cbranch_execz .LBB167_29
.LBB167_28:
	v_mul_lo_u32 v16, v27, s48
	v_mov_b32_e32 v17, 0
	v_lshlrev_b64 v[16:17], 3, v[16:17]
	v_mov_b32_e32 v1, s47
	v_add_co_u32_e32 v16, vcc, s45, v16
	v_addc_co_u32_e32 v17, vcc, v1, v17, vcc
	global_load_dwordx2 v[16:17], v[16:17], off
.LBB167_29:
	s_or_b64 exec, exec, s[18:19]
	v_add_lshl_u32 v55, v36, v46, 3
	v_add_lshl_u32 v45, v35, v46, 3
	v_add_lshl_u32 v56, v34, v46, 3
	v_add_lshl_u32 v57, v33, v46, 3
	v_add_lshl_u32 v58, v32, v46, 3
	v_add_lshl_u32 v59, v31, v46, 3
	v_add_lshl_u32 v60, v29, v46, 3
	v_add_lshl_u32 v61, v28, v46, 3
	v_add_lshl_u32 v63, v30, v62, 3
	s_waitcnt vmcnt(0)
	ds_write_b64 v55, v[2:3]
	ds_write_b64 v45, v[4:5] offset:1024
	ds_write_b64 v56, v[6:7] offset:2048
	;; [unrolled: 1-line block ×7, first 2 shown]
	s_waitcnt lgkmcnt(0)
	s_barrier
	ds_read2_b64 v[14:17], v63 offset1:1
	ds_read2_b64 v[10:13], v63 offset0:2 offset1:3
	ds_read2_b64 v[6:9], v63 offset0:4 offset1:5
	;; [unrolled: 1-line block ×3, first 2 shown]
	v_mbcnt_lo_u32_b32 v1, -1, 0
	v_mbcnt_hi_u32_b32 v65, -1, v1
	v_and_b32_e32 v67, 0x3c0, v46
	v_add_u32_e32 v1, v65, v67
	v_and_b32_e32 v66, 0x1e00, v62
	v_lshlrev_b32_e32 v22, 3, v1
	v_lshlrev_b32_e32 v73, 4, v1
	v_or_b32_e32 v1, v65, v66
	v_lshlrev_b32_e32 v72, 1, v1
	s_and_b64 vcc, exec, s[16:17]
	v_bfe_u32 v68, v0, 10, 10
	v_bfe_u32 v69, v0, 20, 10
	v_lshlrev_b32_e32 v71, 3, v22
	v_lshlrev_b32_e32 v70, 3, v1
	;; [unrolled: 1-line block ×3, first 2 shown]
	s_waitcnt lgkmcnt(0)
	s_barrier
	s_cbranch_vccz .LBB167_82
; %bb.30:
	s_movk_i32 s16, 0x8000
	v_xor_b32_e32 v0, 0xffff8000, v18
	v_xor_b32_sdwa v1, v18, s16 dst_sel:DWORD dst_unused:UNUSED_PAD src0_sel:WORD_1 src1_sel:DWORD
	v_xor_b32_e32 v22, 0xffff8000, v19
	v_xor_b32_sdwa v23, v19, s16 dst_sel:DWORD dst_unused:UNUSED_PAD src0_sel:WORD_1 src1_sel:DWORD
	;; [unrolled: 2-line block ×4, first 2 shown]
	s_mov_b32 s16, 0x5040100
	v_perm_b32 v25, v27, v25, s16
	v_perm_b32 v24, v26, v24, s16
	;; [unrolled: 1-line block ×4, first 2 shown]
	ds_write_b128 v73, v[22:25]
	; wave barrier
	ds_read_u16 v84, v72
	ds_read_u16 v83, v72 offset:128
	ds_read_u16 v82, v72 offset:256
	;; [unrolled: 1-line block ×7, first 2 shown]
	s_waitcnt lgkmcnt(0)
	s_barrier
	ds_write2_b64 v71, v[14:15], v[16:17] offset1:1
	ds_write2_b64 v71, v[10:11], v[12:13] offset0:2 offset1:3
	ds_write2_b64 v71, v[6:7], v[8:9] offset0:4 offset1:5
	;; [unrolled: 1-line block ×3, first 2 shown]
	; wave barrier
	ds_read2st64_b64 v[34:37], v70 offset1:1
	ds_read2st64_b64 v[30:33], v70 offset0:2 offset1:3
	ds_read2st64_b64 v[26:29], v70 offset0:4 offset1:5
	;; [unrolled: 1-line block ×3, first 2 shown]
	s_waitcnt lgkmcnt(0)
	s_barrier
	s_load_dword s18, s[50:51], 0xc
	s_getpc_b64 s[16:17]
	s_add_u32 s16, s16, _ZN7rocprim17ROCPRIM_400000_NS16block_radix_sortIsLj128ELj8ElLj1ELj1ELj0ELNS0_26block_radix_rank_algorithmE1ELNS0_18block_padding_hintE2ELNS0_4arch9wavefront6targetE1EE19radix_bits_per_passE@rel32@lo+4
	s_addc_u32 s17, s17, _ZN7rocprim17ROCPRIM_400000_NS16block_radix_sortIsLj128ELj8ElLj1ELj1ELj0ELNS0_26block_radix_rank_algorithmE1ELNS0_18block_padding_hintE2ELNS0_4arch9wavefront6targetE1EE19radix_bits_per_passE@rel32@hi+12
	s_load_dword s40, s[16:17], 0x0
	s_waitcnt lgkmcnt(0)
	s_lshr_b32 s16, s18, 16
	s_and_b32 s17, s18, 0xffff
	v_mad_u32_u24 v0, v69, s16, v68
	v_mad_u64_u32 v[0:1], s[16:17], v0, s17, v[46:47]
	s_min_u32 s16, s40, 16
	s_lshl_b32 s16, -1, s16
	s_not_b32 s18, s16
	v_and_b32_sdwa v38, s18, v84 dst_sel:DWORD dst_unused:UNUSED_PAD src0_sel:DWORD src1_sel:WORD_0
	v_lshrrev_b32_e32 v74, 6, v0
	v_lshlrev_b32_e32 v1, 1, v38
	v_add_lshl_u32 v87, v74, v1, 2
	v_and_b32_e32 v1, 1, v38
	v_add_co_u32_e32 v39, vcc, -1, v1
	v_addc_co_u32_e64 v40, s[16:17], 0, -1, vcc
	v_cmp_ne_u32_e32 vcc, 0, v1
	v_xor_b32_e32 v1, vcc_hi, v40
	v_mov_b32_e32 v0, 0
	v_and_b32_e32 v40, exec_hi, v1
	v_lshlrev_b32_e32 v1, 30, v38
	v_xor_b32_e32 v39, vcc_lo, v39
	v_cmp_gt_i64_e32 vcc, 0, v[0:1]
	v_not_b32_e32 v1, v1
	v_ashrrev_i32_e32 v1, 31, v1
	v_and_b32_e32 v39, exec_lo, v39
	v_xor_b32_e32 v41, vcc_hi, v1
	v_xor_b32_e32 v1, vcc_lo, v1
	v_and_b32_e32 v39, v39, v1
	v_lshlrev_b32_e32 v1, 29, v38
	v_cmp_gt_i64_e32 vcc, 0, v[0:1]
	v_not_b32_e32 v1, v1
	v_ashrrev_i32_e32 v1, 31, v1
	v_and_b32_e32 v40, v40, v41
	v_xor_b32_e32 v41, vcc_hi, v1
	v_xor_b32_e32 v1, vcc_lo, v1
	v_and_b32_e32 v39, v39, v1
	v_lshlrev_b32_e32 v1, 28, v38
	v_cmp_gt_i64_e32 vcc, 0, v[0:1]
	v_not_b32_e32 v1, v1
	v_ashrrev_i32_e32 v1, 31, v1
	v_and_b32_e32 v40, v40, v41
	;; [unrolled: 8-line block ×5, first 2 shown]
	v_xor_b32_e32 v41, vcc_hi, v1
	v_xor_b32_e32 v1, vcc_lo, v1
	v_and_b32_e32 v40, v40, v41
	v_and_b32_e32 v41, v39, v1
	v_lshlrev_b32_e32 v1, 24, v38
	v_cmp_gt_i64_e32 vcc, 0, v[0:1]
	v_not_b32_e32 v1, v1
	v_ashrrev_i32_e32 v1, 31, v1
	v_xor_b32_e32 v38, vcc_hi, v1
	v_xor_b32_e32 v1, vcc_lo, v1
	v_and_b32_e32 v39, v40, v38
	v_and_b32_e32 v38, v41, v1
	v_mbcnt_lo_u32_b32 v1, v38, 0
	v_mbcnt_hi_u32_b32 v88, v39, v1
	v_cmp_eq_u32_e32 vcc, 0, v88
	v_cmp_ne_u64_e64 s[16:17], 0, v[38:39]
	s_and_b64 s[20:21], s[16:17], vcc
	ds_write2_b32 v64, v0, v0 offset0:2 offset1:3
	ds_write2_b32 v64, v0, v0 offset0:4 offset1:5
	s_waitcnt lgkmcnt(0)
	s_barrier
	s_waitcnt lgkmcnt(0)
	; wave barrier
	s_and_saveexec_b64 s[16:17], s[20:21]
	s_cbranch_execz .LBB167_32
; %bb.31:
	v_bcnt_u32_b32 v1, v38, 0
	v_bcnt_u32_b32 v1, v39, v1
	ds_write_b32 v87, v1 offset:8
.LBB167_32:
	s_or_b64 exec, exec, s[16:17]
	v_and_b32_sdwa v38, s18, v83 dst_sel:DWORD dst_unused:UNUSED_PAD src0_sel:DWORD src1_sel:WORD_0
	v_lshlrev_b32_e32 v1, 1, v38
	v_add_lshl_u32 v90, v74, v1, 2
	v_and_b32_e32 v1, 1, v38
	v_add_co_u32_e32 v39, vcc, -1, v1
	v_addc_co_u32_e64 v40, s[16:17], 0, -1, vcc
	v_cmp_ne_u32_e32 vcc, 0, v1
	v_xor_b32_e32 v1, vcc_hi, v40
	v_and_b32_e32 v40, exec_hi, v1
	v_lshlrev_b32_e32 v1, 30, v38
	v_xor_b32_e32 v39, vcc_lo, v39
	v_cmp_gt_i64_e32 vcc, 0, v[0:1]
	v_not_b32_e32 v1, v1
	v_ashrrev_i32_e32 v1, 31, v1
	v_and_b32_e32 v39, exec_lo, v39
	v_xor_b32_e32 v41, vcc_hi, v1
	v_xor_b32_e32 v1, vcc_lo, v1
	v_and_b32_e32 v39, v39, v1
	v_lshlrev_b32_e32 v1, 29, v38
	v_cmp_gt_i64_e32 vcc, 0, v[0:1]
	v_not_b32_e32 v1, v1
	v_ashrrev_i32_e32 v1, 31, v1
	v_and_b32_e32 v40, v40, v41
	v_xor_b32_e32 v41, vcc_hi, v1
	v_xor_b32_e32 v1, vcc_lo, v1
	v_and_b32_e32 v39, v39, v1
	v_lshlrev_b32_e32 v1, 28, v38
	v_cmp_gt_i64_e32 vcc, 0, v[0:1]
	v_not_b32_e32 v1, v1
	v_ashrrev_i32_e32 v1, 31, v1
	v_and_b32_e32 v40, v40, v41
	;; [unrolled: 8-line block ×5, first 2 shown]
	v_xor_b32_e32 v41, vcc_hi, v1
	v_xor_b32_e32 v1, vcc_lo, v1
	v_and_b32_e32 v39, v39, v1
	v_lshlrev_b32_e32 v1, 24, v38
	v_cmp_gt_i64_e32 vcc, 0, v[0:1]
	v_not_b32_e32 v0, v1
	v_ashrrev_i32_e32 v0, 31, v0
	v_xor_b32_e32 v1, vcc_hi, v0
	v_xor_b32_e32 v0, vcc_lo, v0
	; wave barrier
	ds_read_b32 v89, v90 offset:8
	v_and_b32_e32 v40, v40, v41
	v_and_b32_e32 v0, v39, v0
	;; [unrolled: 1-line block ×3, first 2 shown]
	v_mbcnt_lo_u32_b32 v38, v0, 0
	v_mbcnt_hi_u32_b32 v91, v1, v38
	v_cmp_eq_u32_e32 vcc, 0, v91
	v_cmp_ne_u64_e64 s[16:17], 0, v[0:1]
	s_and_b64 s[20:21], s[16:17], vcc
	; wave barrier
	s_and_saveexec_b64 s[16:17], s[20:21]
	s_cbranch_execz .LBB167_34
; %bb.33:
	v_bcnt_u32_b32 v0, v0, 0
	v_bcnt_u32_b32 v0, v1, v0
	s_waitcnt lgkmcnt(0)
	v_add_u32_e32 v0, v89, v0
	ds_write_b32 v90, v0 offset:8
.LBB167_34:
	s_or_b64 exec, exec, s[16:17]
	v_and_b32_sdwa v38, s18, v82 dst_sel:DWORD dst_unused:UNUSED_PAD src0_sel:DWORD src1_sel:WORD_0
	v_and_b32_e32 v1, 1, v38
	v_add_co_u32_e32 v39, vcc, -1, v1
	v_addc_co_u32_e64 v40, s[16:17], 0, -1, vcc
	v_cmp_ne_u32_e32 vcc, 0, v1
	v_lshlrev_b32_e32 v0, 1, v38
	v_xor_b32_e32 v1, vcc_hi, v40
	v_add_lshl_u32 v93, v74, v0, 2
	v_mov_b32_e32 v0, 0
	v_and_b32_e32 v40, exec_hi, v1
	v_lshlrev_b32_e32 v1, 30, v38
	v_xor_b32_e32 v39, vcc_lo, v39
	v_cmp_gt_i64_e32 vcc, 0, v[0:1]
	v_not_b32_e32 v1, v1
	v_ashrrev_i32_e32 v1, 31, v1
	v_and_b32_e32 v39, exec_lo, v39
	v_xor_b32_e32 v41, vcc_hi, v1
	v_xor_b32_e32 v1, vcc_lo, v1
	v_and_b32_e32 v39, v39, v1
	v_lshlrev_b32_e32 v1, 29, v38
	v_cmp_gt_i64_e32 vcc, 0, v[0:1]
	v_not_b32_e32 v1, v1
	v_ashrrev_i32_e32 v1, 31, v1
	v_and_b32_e32 v40, v40, v41
	v_xor_b32_e32 v41, vcc_hi, v1
	v_xor_b32_e32 v1, vcc_lo, v1
	v_and_b32_e32 v39, v39, v1
	v_lshlrev_b32_e32 v1, 28, v38
	v_cmp_gt_i64_e32 vcc, 0, v[0:1]
	v_not_b32_e32 v1, v1
	v_ashrrev_i32_e32 v1, 31, v1
	v_and_b32_e32 v40, v40, v41
	;; [unrolled: 8-line block ×5, first 2 shown]
	v_xor_b32_e32 v41, vcc_hi, v1
	v_xor_b32_e32 v1, vcc_lo, v1
	v_and_b32_e32 v40, v40, v41
	v_and_b32_e32 v41, v39, v1
	v_lshlrev_b32_e32 v1, 24, v38
	v_cmp_gt_i64_e32 vcc, 0, v[0:1]
	v_not_b32_e32 v1, v1
	v_ashrrev_i32_e32 v1, 31, v1
	v_xor_b32_e32 v38, vcc_hi, v1
	v_xor_b32_e32 v1, vcc_lo, v1
	; wave barrier
	ds_read_b32 v92, v93 offset:8
	v_and_b32_e32 v39, v40, v38
	v_and_b32_e32 v38, v41, v1
	v_mbcnt_lo_u32_b32 v1, v38, 0
	v_mbcnt_hi_u32_b32 v94, v39, v1
	v_cmp_eq_u32_e32 vcc, 0, v94
	v_cmp_ne_u64_e64 s[16:17], 0, v[38:39]
	s_and_b64 s[20:21], s[16:17], vcc
	; wave barrier
	s_and_saveexec_b64 s[16:17], s[20:21]
	s_cbranch_execz .LBB167_36
; %bb.35:
	v_bcnt_u32_b32 v1, v38, 0
	v_bcnt_u32_b32 v1, v39, v1
	s_waitcnt lgkmcnt(0)
	v_add_u32_e32 v1, v92, v1
	ds_write_b32 v93, v1 offset:8
.LBB167_36:
	s_or_b64 exec, exec, s[16:17]
	v_and_b32_sdwa v38, s18, v81 dst_sel:DWORD dst_unused:UNUSED_PAD src0_sel:DWORD src1_sel:WORD_0
	v_lshlrev_b32_e32 v1, 1, v38
	v_add_lshl_u32 v96, v74, v1, 2
	v_and_b32_e32 v1, 1, v38
	v_add_co_u32_e32 v39, vcc, -1, v1
	v_addc_co_u32_e64 v40, s[16:17], 0, -1, vcc
	v_cmp_ne_u32_e32 vcc, 0, v1
	v_xor_b32_e32 v1, vcc_hi, v40
	v_and_b32_e32 v40, exec_hi, v1
	v_lshlrev_b32_e32 v1, 30, v38
	v_xor_b32_e32 v39, vcc_lo, v39
	v_cmp_gt_i64_e32 vcc, 0, v[0:1]
	v_not_b32_e32 v1, v1
	v_ashrrev_i32_e32 v1, 31, v1
	v_and_b32_e32 v39, exec_lo, v39
	v_xor_b32_e32 v41, vcc_hi, v1
	v_xor_b32_e32 v1, vcc_lo, v1
	v_and_b32_e32 v39, v39, v1
	v_lshlrev_b32_e32 v1, 29, v38
	v_cmp_gt_i64_e32 vcc, 0, v[0:1]
	v_not_b32_e32 v1, v1
	v_ashrrev_i32_e32 v1, 31, v1
	v_and_b32_e32 v40, v40, v41
	v_xor_b32_e32 v41, vcc_hi, v1
	v_xor_b32_e32 v1, vcc_lo, v1
	v_and_b32_e32 v39, v39, v1
	v_lshlrev_b32_e32 v1, 28, v38
	v_cmp_gt_i64_e32 vcc, 0, v[0:1]
	v_not_b32_e32 v1, v1
	v_ashrrev_i32_e32 v1, 31, v1
	v_and_b32_e32 v40, v40, v41
	;; [unrolled: 8-line block ×5, first 2 shown]
	v_xor_b32_e32 v41, vcc_hi, v1
	v_xor_b32_e32 v1, vcc_lo, v1
	v_and_b32_e32 v39, v39, v1
	v_lshlrev_b32_e32 v1, 24, v38
	v_cmp_gt_i64_e32 vcc, 0, v[0:1]
	v_not_b32_e32 v0, v1
	v_ashrrev_i32_e32 v0, 31, v0
	v_xor_b32_e32 v1, vcc_hi, v0
	v_xor_b32_e32 v0, vcc_lo, v0
	; wave barrier
	ds_read_b32 v95, v96 offset:8
	v_and_b32_e32 v40, v40, v41
	v_and_b32_e32 v0, v39, v0
	;; [unrolled: 1-line block ×3, first 2 shown]
	v_mbcnt_lo_u32_b32 v38, v0, 0
	v_mbcnt_hi_u32_b32 v97, v1, v38
	v_cmp_eq_u32_e32 vcc, 0, v97
	v_cmp_ne_u64_e64 s[16:17], 0, v[0:1]
	s_and_b64 s[20:21], s[16:17], vcc
	; wave barrier
	s_and_saveexec_b64 s[16:17], s[20:21]
	s_cbranch_execz .LBB167_38
; %bb.37:
	v_bcnt_u32_b32 v0, v0, 0
	v_bcnt_u32_b32 v0, v1, v0
	s_waitcnt lgkmcnt(0)
	v_add_u32_e32 v0, v95, v0
	ds_write_b32 v96, v0 offset:8
.LBB167_38:
	s_or_b64 exec, exec, s[16:17]
	v_and_b32_sdwa v38, s18, v80 dst_sel:DWORD dst_unused:UNUSED_PAD src0_sel:DWORD src1_sel:WORD_0
	v_and_b32_e32 v1, 1, v38
	v_add_co_u32_e32 v39, vcc, -1, v1
	v_addc_co_u32_e64 v40, s[16:17], 0, -1, vcc
	v_cmp_ne_u32_e32 vcc, 0, v1
	v_lshlrev_b32_e32 v0, 1, v38
	v_xor_b32_e32 v1, vcc_hi, v40
	v_add_lshl_u32 v99, v74, v0, 2
	v_mov_b32_e32 v0, 0
	v_and_b32_e32 v40, exec_hi, v1
	v_lshlrev_b32_e32 v1, 30, v38
	v_xor_b32_e32 v39, vcc_lo, v39
	v_cmp_gt_i64_e32 vcc, 0, v[0:1]
	v_not_b32_e32 v1, v1
	v_ashrrev_i32_e32 v1, 31, v1
	v_and_b32_e32 v39, exec_lo, v39
	v_xor_b32_e32 v41, vcc_hi, v1
	v_xor_b32_e32 v1, vcc_lo, v1
	v_and_b32_e32 v39, v39, v1
	v_lshlrev_b32_e32 v1, 29, v38
	v_cmp_gt_i64_e32 vcc, 0, v[0:1]
	v_not_b32_e32 v1, v1
	v_ashrrev_i32_e32 v1, 31, v1
	v_and_b32_e32 v40, v40, v41
	v_xor_b32_e32 v41, vcc_hi, v1
	v_xor_b32_e32 v1, vcc_lo, v1
	v_and_b32_e32 v39, v39, v1
	v_lshlrev_b32_e32 v1, 28, v38
	v_cmp_gt_i64_e32 vcc, 0, v[0:1]
	v_not_b32_e32 v1, v1
	v_ashrrev_i32_e32 v1, 31, v1
	v_and_b32_e32 v40, v40, v41
	;; [unrolled: 8-line block ×5, first 2 shown]
	v_xor_b32_e32 v41, vcc_hi, v1
	v_xor_b32_e32 v1, vcc_lo, v1
	v_and_b32_e32 v40, v40, v41
	v_and_b32_e32 v41, v39, v1
	v_lshlrev_b32_e32 v1, 24, v38
	v_cmp_gt_i64_e32 vcc, 0, v[0:1]
	v_not_b32_e32 v1, v1
	v_ashrrev_i32_e32 v1, 31, v1
	v_xor_b32_e32 v38, vcc_hi, v1
	v_xor_b32_e32 v1, vcc_lo, v1
	; wave barrier
	ds_read_b32 v98, v99 offset:8
	v_and_b32_e32 v39, v40, v38
	v_and_b32_e32 v38, v41, v1
	v_mbcnt_lo_u32_b32 v1, v38, 0
	v_mbcnt_hi_u32_b32 v100, v39, v1
	v_cmp_eq_u32_e32 vcc, 0, v100
	v_cmp_ne_u64_e64 s[16:17], 0, v[38:39]
	s_and_b64 s[20:21], s[16:17], vcc
	; wave barrier
	s_and_saveexec_b64 s[16:17], s[20:21]
	s_cbranch_execz .LBB167_40
; %bb.39:
	v_bcnt_u32_b32 v1, v38, 0
	v_bcnt_u32_b32 v1, v39, v1
	s_waitcnt lgkmcnt(0)
	v_add_u32_e32 v1, v98, v1
	ds_write_b32 v99, v1 offset:8
.LBB167_40:
	s_or_b64 exec, exec, s[16:17]
	v_and_b32_sdwa v38, s18, v79 dst_sel:DWORD dst_unused:UNUSED_PAD src0_sel:DWORD src1_sel:WORD_0
	v_lshlrev_b32_e32 v1, 1, v38
	v_add_lshl_u32 v102, v74, v1, 2
	v_and_b32_e32 v1, 1, v38
	v_add_co_u32_e32 v39, vcc, -1, v1
	v_addc_co_u32_e64 v40, s[16:17], 0, -1, vcc
	v_cmp_ne_u32_e32 vcc, 0, v1
	v_xor_b32_e32 v1, vcc_hi, v40
	v_and_b32_e32 v40, exec_hi, v1
	v_lshlrev_b32_e32 v1, 30, v38
	v_xor_b32_e32 v39, vcc_lo, v39
	v_cmp_gt_i64_e32 vcc, 0, v[0:1]
	v_not_b32_e32 v1, v1
	v_ashrrev_i32_e32 v1, 31, v1
	v_and_b32_e32 v39, exec_lo, v39
	v_xor_b32_e32 v41, vcc_hi, v1
	v_xor_b32_e32 v1, vcc_lo, v1
	v_and_b32_e32 v39, v39, v1
	v_lshlrev_b32_e32 v1, 29, v38
	v_cmp_gt_i64_e32 vcc, 0, v[0:1]
	v_not_b32_e32 v1, v1
	v_ashrrev_i32_e32 v1, 31, v1
	v_and_b32_e32 v40, v40, v41
	v_xor_b32_e32 v41, vcc_hi, v1
	v_xor_b32_e32 v1, vcc_lo, v1
	v_and_b32_e32 v39, v39, v1
	v_lshlrev_b32_e32 v1, 28, v38
	v_cmp_gt_i64_e32 vcc, 0, v[0:1]
	v_not_b32_e32 v1, v1
	v_ashrrev_i32_e32 v1, 31, v1
	v_and_b32_e32 v40, v40, v41
	;; [unrolled: 8-line block ×5, first 2 shown]
	v_xor_b32_e32 v41, vcc_hi, v1
	v_xor_b32_e32 v1, vcc_lo, v1
	v_and_b32_e32 v39, v39, v1
	v_lshlrev_b32_e32 v1, 24, v38
	v_cmp_gt_i64_e32 vcc, 0, v[0:1]
	v_not_b32_e32 v0, v1
	v_ashrrev_i32_e32 v0, 31, v0
	v_xor_b32_e32 v1, vcc_hi, v0
	v_xor_b32_e32 v0, vcc_lo, v0
	; wave barrier
	ds_read_b32 v101, v102 offset:8
	v_and_b32_e32 v40, v40, v41
	v_and_b32_e32 v0, v39, v0
	;; [unrolled: 1-line block ×3, first 2 shown]
	v_mbcnt_lo_u32_b32 v38, v0, 0
	v_mbcnt_hi_u32_b32 v103, v1, v38
	v_cmp_eq_u32_e32 vcc, 0, v103
	v_cmp_ne_u64_e64 s[16:17], 0, v[0:1]
	s_and_b64 s[20:21], s[16:17], vcc
	; wave barrier
	s_and_saveexec_b64 s[16:17], s[20:21]
	s_cbranch_execz .LBB167_42
; %bb.41:
	v_bcnt_u32_b32 v0, v0, 0
	v_bcnt_u32_b32 v0, v1, v0
	s_waitcnt lgkmcnt(0)
	v_add_u32_e32 v0, v101, v0
	ds_write_b32 v102, v0 offset:8
.LBB167_42:
	s_or_b64 exec, exec, s[16:17]
	v_and_b32_sdwa v38, s18, v78 dst_sel:DWORD dst_unused:UNUSED_PAD src0_sel:DWORD src1_sel:WORD_0
	v_and_b32_e32 v1, 1, v38
	v_add_co_u32_e32 v39, vcc, -1, v1
	v_addc_co_u32_e64 v40, s[16:17], 0, -1, vcc
	v_cmp_ne_u32_e32 vcc, 0, v1
	v_lshlrev_b32_e32 v0, 1, v38
	v_xor_b32_e32 v1, vcc_hi, v40
	v_add_lshl_u32 v105, v74, v0, 2
	v_mov_b32_e32 v0, 0
	v_and_b32_e32 v40, exec_hi, v1
	v_lshlrev_b32_e32 v1, 30, v38
	v_xor_b32_e32 v39, vcc_lo, v39
	v_cmp_gt_i64_e32 vcc, 0, v[0:1]
	v_not_b32_e32 v1, v1
	v_ashrrev_i32_e32 v1, 31, v1
	v_and_b32_e32 v39, exec_lo, v39
	v_xor_b32_e32 v41, vcc_hi, v1
	v_xor_b32_e32 v1, vcc_lo, v1
	v_and_b32_e32 v39, v39, v1
	v_lshlrev_b32_e32 v1, 29, v38
	v_cmp_gt_i64_e32 vcc, 0, v[0:1]
	v_not_b32_e32 v1, v1
	v_ashrrev_i32_e32 v1, 31, v1
	v_and_b32_e32 v40, v40, v41
	v_xor_b32_e32 v41, vcc_hi, v1
	v_xor_b32_e32 v1, vcc_lo, v1
	v_and_b32_e32 v39, v39, v1
	v_lshlrev_b32_e32 v1, 28, v38
	v_cmp_gt_i64_e32 vcc, 0, v[0:1]
	v_not_b32_e32 v1, v1
	v_ashrrev_i32_e32 v1, 31, v1
	v_and_b32_e32 v40, v40, v41
	;; [unrolled: 8-line block ×5, first 2 shown]
	v_xor_b32_e32 v41, vcc_hi, v1
	v_xor_b32_e32 v1, vcc_lo, v1
	v_and_b32_e32 v40, v40, v41
	v_and_b32_e32 v41, v39, v1
	v_lshlrev_b32_e32 v1, 24, v38
	v_cmp_gt_i64_e32 vcc, 0, v[0:1]
	v_not_b32_e32 v1, v1
	v_ashrrev_i32_e32 v1, 31, v1
	v_xor_b32_e32 v38, vcc_hi, v1
	v_xor_b32_e32 v1, vcc_lo, v1
	; wave barrier
	ds_read_b32 v104, v105 offset:8
	v_and_b32_e32 v39, v40, v38
	v_and_b32_e32 v38, v41, v1
	v_mbcnt_lo_u32_b32 v1, v38, 0
	v_mbcnt_hi_u32_b32 v106, v39, v1
	v_cmp_eq_u32_e32 vcc, 0, v106
	v_cmp_ne_u64_e64 s[16:17], 0, v[38:39]
	s_and_b64 s[20:21], s[16:17], vcc
	; wave barrier
	s_and_saveexec_b64 s[16:17], s[20:21]
	s_cbranch_execz .LBB167_44
; %bb.43:
	v_bcnt_u32_b32 v1, v38, 0
	v_bcnt_u32_b32 v1, v39, v1
	s_waitcnt lgkmcnt(0)
	v_add_u32_e32 v1, v104, v1
	ds_write_b32 v105, v1 offset:8
.LBB167_44:
	s_or_b64 exec, exec, s[16:17]
	v_and_b32_sdwa v38, s18, v77 dst_sel:DWORD dst_unused:UNUSED_PAD src0_sel:DWORD src1_sel:WORD_0
	v_lshlrev_b32_e32 v1, 1, v38
	v_add_lshl_u32 v108, v74, v1, 2
	v_and_b32_e32 v1, 1, v38
	v_add_co_u32_e32 v39, vcc, -1, v1
	v_addc_co_u32_e64 v40, s[16:17], 0, -1, vcc
	v_cmp_ne_u32_e32 vcc, 0, v1
	v_xor_b32_e32 v1, vcc_hi, v40
	v_and_b32_e32 v40, exec_hi, v1
	v_lshlrev_b32_e32 v1, 30, v38
	v_xor_b32_e32 v39, vcc_lo, v39
	v_cmp_gt_i64_e32 vcc, 0, v[0:1]
	v_not_b32_e32 v1, v1
	v_ashrrev_i32_e32 v1, 31, v1
	v_and_b32_e32 v39, exec_lo, v39
	v_xor_b32_e32 v41, vcc_hi, v1
	v_xor_b32_e32 v1, vcc_lo, v1
	v_and_b32_e32 v39, v39, v1
	v_lshlrev_b32_e32 v1, 29, v38
	v_cmp_gt_i64_e32 vcc, 0, v[0:1]
	v_not_b32_e32 v1, v1
	v_ashrrev_i32_e32 v1, 31, v1
	v_and_b32_e32 v40, v40, v41
	v_xor_b32_e32 v41, vcc_hi, v1
	v_xor_b32_e32 v1, vcc_lo, v1
	v_and_b32_e32 v39, v39, v1
	v_lshlrev_b32_e32 v1, 28, v38
	v_cmp_gt_i64_e32 vcc, 0, v[0:1]
	v_not_b32_e32 v1, v1
	v_ashrrev_i32_e32 v1, 31, v1
	v_and_b32_e32 v40, v40, v41
	;; [unrolled: 8-line block ×5, first 2 shown]
	v_xor_b32_e32 v41, vcc_hi, v1
	v_xor_b32_e32 v1, vcc_lo, v1
	v_and_b32_e32 v39, v39, v1
	v_lshlrev_b32_e32 v1, 24, v38
	v_cmp_gt_i64_e32 vcc, 0, v[0:1]
	v_not_b32_e32 v0, v1
	v_ashrrev_i32_e32 v0, 31, v0
	v_xor_b32_e32 v1, vcc_hi, v0
	v_xor_b32_e32 v0, vcc_lo, v0
	; wave barrier
	ds_read_b32 v107, v108 offset:8
	v_and_b32_e32 v40, v40, v41
	v_and_b32_e32 v0, v39, v0
	;; [unrolled: 1-line block ×3, first 2 shown]
	v_mbcnt_lo_u32_b32 v38, v0, 0
	v_mbcnt_hi_u32_b32 v109, v1, v38
	v_cmp_eq_u32_e32 vcc, 0, v109
	v_cmp_ne_u64_e64 s[16:17], 0, v[0:1]
	v_or_b32_e32 v75, 8, v64
	v_lshrrev_b32_e32 v76, 6, v46
	v_min_u32_e32 v85, 64, v67
	s_and_b64 s[18:19], s[16:17], vcc
	; wave barrier
	s_and_saveexec_b64 s[16:17], s[18:19]
	s_cbranch_execz .LBB167_46
; %bb.45:
	v_bcnt_u32_b32 v0, v0, 0
	v_bcnt_u32_b32 v0, v1, v0
	s_waitcnt lgkmcnt(0)
	v_add_u32_e32 v0, v107, v0
	ds_write_b32 v108, v0 offset:8
.LBB167_46:
	s_or_b64 exec, exec, s[16:17]
	; wave barrier
	s_waitcnt lgkmcnt(0)
	s_barrier
	ds_read2_b32 v[38:39], v64 offset0:2 offset1:3
	ds_read2_b32 v[40:41], v75 offset0:2 offset1:3
	v_and_b32_e32 v1, 16, v65
	v_cmp_eq_u32_e32 vcc, 0, v1
	v_or_b32_e32 v1, 63, v85
	v_cmp_eq_u32_e64 s[16:17], v1, v46
	s_waitcnt lgkmcnt(1)
	v_add_u32_e32 v1, v39, v38
	v_and_b32_e32 v0, 15, v65
	s_waitcnt lgkmcnt(0)
	v_add3_u32 v1, v1, v40, v41
	v_cmp_eq_u32_e64 s[20:21], 0, v0
	v_cmp_lt_u32_e64 s[22:23], 1, v0
	v_mov_b32_dpp v41, v1 row_shr:1 row_mask:0xf bank_mask:0xf
	v_cndmask_b32_e64 v41, v41, 0, s[20:21]
	v_add_u32_e32 v1, v41, v1
	v_cmp_lt_u32_e64 s[26:27], 3, v0
	v_cmp_lt_u32_e64 s[28:29], 7, v0
	v_mov_b32_dpp v41, v1 row_shr:2 row_mask:0xf bank_mask:0xf
	v_cndmask_b32_e64 v41, 0, v41, s[22:23]
	v_add_u32_e32 v1, v1, v41
	v_bfe_i32 v86, v65, 4, 1
	v_cmp_lt_u32_e64 s[34:35], 31, v65
	v_mov_b32_dpp v41, v1 row_shr:4 row_mask:0xf bank_mask:0xf
	v_cndmask_b32_e64 v41, 0, v41, s[26:27]
	v_add_u32_e32 v1, v1, v41
	v_lshlrev_b32_e32 v76, 2, v76
	s_nop 0
	v_mov_b32_dpp v41, v1 row_shr:8 row_mask:0xf bank_mask:0xf
	v_cndmask_b32_e64 v0, 0, v41, s[28:29]
	v_add_u32_e32 v0, v1, v0
	s_nop 1
	v_mov_b32_dpp v1, v0 row_bcast:15 row_mask:0xf bank_mask:0xf
	v_and_b32_e32 v1, v86, v1
	v_add_u32_e32 v0, v0, v1
	s_nop 1
	v_mov_b32_dpp v1, v0 row_bcast:31 row_mask:0xf bank_mask:0xf
	v_cndmask_b32_e64 v1, 0, v1, s[34:35]
	v_add_u32_e32 v1, v0, v1
	s_and_saveexec_b64 s[18:19], s[16:17]
	s_cbranch_execz .LBB167_48
; %bb.47:
	ds_write_b32 v76, v1
.LBB167_48:
	s_or_b64 exec, exec, s[18:19]
	v_and_b32_e32 v0, 1, v65
	v_cmp_gt_u32_e64 s[24:25], 2, v46
	v_lshlrev_b32_e32 v41, 2, v46
	v_cmp_eq_u32_e64 s[18:19], 0, v0
	s_waitcnt lgkmcnt(0)
	s_barrier
	s_and_saveexec_b64 s[30:31], s[24:25]
	s_cbranch_execz .LBB167_50
; %bb.49:
	ds_read_b32 v0, v41
	s_waitcnt lgkmcnt(0)
	s_nop 0
	v_mov_b32_dpp v85, v0 row_shr:1 row_mask:0xf bank_mask:0xf
	v_cndmask_b32_e64 v85, v85, 0, s[18:19]
	v_add_u32_e32 v0, v85, v0
	ds_write_b32 v41, v0
.LBB167_50:
	s_or_b64 exec, exec, s[30:31]
	v_cmp_lt_u32_e64 s[30:31], 63, v46
	v_add_u32_e32 v85, -4, v76
	v_mov_b32_e32 v0, 0
	v_mov_b32_e32 v110, 0
	s_waitcnt lgkmcnt(0)
	s_barrier
	s_and_saveexec_b64 s[36:37], s[30:31]
	s_cbranch_execz .LBB167_52
; %bb.51:
	ds_read_b32 v110, v85
.LBB167_52:
	s_or_b64 exec, exec, s[36:37]
	v_add_u32_e32 v86, -1, v65
	v_and_b32_e32 v111, 64, v65
	v_cmp_lt_i32_e64 s[36:37], v86, v111
	v_cndmask_b32_e64 v86, v86, v65, s[36:37]
	v_lshlrev_b32_e32 v86, 2, v86
	s_waitcnt lgkmcnt(0)
	v_add_u32_e32 v1, v110, v1
	ds_bpermute_b32 v1, v86, v1
	v_cmp_eq_u32_e64 s[36:37], 0, v65
	v_cmp_eq_u32_e64 s[38:39], 0, v46
	v_and_or_b32 v111, v65, 63, v66
	v_lshlrev_b32_e32 v112, 1, v111
	s_waitcnt lgkmcnt(0)
	v_cndmask_b32_e64 v1, v1, v110, s[36:37]
	v_cndmask_b32_e64 v1, v1, 0, s[38:39]
	v_add_u32_e32 v38, v1, v38
	v_add_u32_e32 v39, v38, v39
	;; [unrolled: 1-line block ×3, first 2 shown]
	ds_write2_b32 v64, v1, v38 offset0:2 offset1:3
	ds_write2_b32 v75, v39, v40 offset0:2 offset1:3
	s_waitcnt lgkmcnt(0)
	s_barrier
	ds_read_b32 v1, v87 offset:8
	ds_read_b32 v38, v90 offset:8
	;; [unrolled: 1-line block ×8, first 2 shown]
	s_waitcnt lgkmcnt(7)
	v_add_u32_e32 v1, v1, v88
	s_waitcnt lgkmcnt(6)
	v_add3_u32 v38, v91, v89, v38
	s_waitcnt lgkmcnt(4)
	v_add3_u32 v88, v97, v95, v40
	v_lshlrev_b32_e32 v40, 1, v1
	v_add3_u32 v39, v94, v92, v39
	s_waitcnt lgkmcnt(0)
	s_barrier
	ds_write_b16 v40, v84
	v_lshlrev_b32_e32 v40, 1, v38
	ds_write_b16 v40, v83
	v_lshlrev_b32_e32 v40, 1, v39
	v_add3_u32 v87, v100, v98, v87
	ds_write_b16 v40, v82
	v_lshlrev_b32_e32 v40, 1, v88
	v_add3_u32 v89, v103, v101, v90
	;; [unrolled: 3-line block ×4, first 2 shown]
	ds_write_b16 v40, v79
	v_lshlrev_b32_e32 v40, 1, v90
	ds_write_b16 v40, v78
	v_lshlrev_b32_e32 v40, 1, v91
	v_lshlrev_b32_e32 v1, 3, v1
	ds_write_b16 v40, v77
	s_waitcnt lgkmcnt(0)
	s_barrier
	ds_read_u16 v83, v112
	ds_read_u16 v82, v112 offset:128
	ds_read_u16 v81, v112 offset:256
	;; [unrolled: 1-line block ×7, first 2 shown]
	s_waitcnt lgkmcnt(0)
	s_barrier
	ds_write_b64 v1, v[34:35]
	v_lshlrev_b32_e32 v1, 3, v38
	ds_write_b64 v1, v[36:37]
	v_lshlrev_b32_e32 v1, 3, v39
	ds_write_b64 v1, v[30:31]
	v_lshlrev_b32_e32 v1, 3, v88
	ds_write_b64 v1, v[32:33]
	v_lshlrev_b32_e32 v1, 3, v87
	s_min_u32 s40, s40, 8
	ds_write_b64 v1, v[26:27]
	v_lshlrev_b32_e32 v1, 3, v89
	s_lshl_b32 s40, -1, s40
	ds_write_b64 v1, v[28:29]
	v_lshlrev_b32_e32 v1, 3, v90
	s_not_b32 s49, s40
	ds_write_b64 v1, v[22:23]
	v_lshlrev_b32_e32 v1, 3, v91
	v_and_b32_sdwa v38, v83, s49 dst_sel:DWORD dst_unused:UNUSED_PAD src0_sel:BYTE_1 src1_sel:DWORD
	ds_write_b64 v1, v[24:25]
	v_lshlrev_b32_e32 v1, 1, v38
	v_add_lshl_u32 v84, v1, v74, 2
	v_and_b32_e32 v1, 1, v38
	v_add_co_u32_e64 v39, s[40:41], -1, v1
	v_addc_co_u32_e64 v87, s[40:41], 0, -1, s[40:41]
	v_cmp_ne_u32_e64 s[40:41], 0, v1
	v_xor_b32_e32 v1, s41, v87
	v_and_b32_e32 v87, exec_hi, v1
	v_lshlrev_b32_e32 v1, 30, v38
	v_xor_b32_e32 v39, s40, v39
	v_cmp_gt_i64_e64 s[40:41], 0, v[0:1]
	v_not_b32_e32 v1, v1
	v_ashrrev_i32_e32 v1, 31, v1
	v_and_b32_e32 v39, exec_lo, v39
	v_xor_b32_e32 v88, s41, v1
	v_xor_b32_e32 v1, s40, v1
	v_and_b32_e32 v39, v39, v1
	v_lshlrev_b32_e32 v1, 29, v38
	v_cmp_gt_i64_e64 s[40:41], 0, v[0:1]
	v_not_b32_e32 v1, v1
	v_ashrrev_i32_e32 v1, 31, v1
	v_and_b32_e32 v87, v87, v88
	v_xor_b32_e32 v88, s41, v1
	v_xor_b32_e32 v1, s40, v1
	v_and_b32_e32 v39, v39, v1
	v_lshlrev_b32_e32 v1, 28, v38
	v_cmp_gt_i64_e64 s[40:41], 0, v[0:1]
	v_not_b32_e32 v1, v1
	v_ashrrev_i32_e32 v1, 31, v1
	v_and_b32_e32 v87, v87, v88
	;; [unrolled: 8-line block ×5, first 2 shown]
	v_xor_b32_e32 v88, s41, v1
	v_xor_b32_e32 v1, s40, v1
	v_lshlrev_b32_e32 v111, 3, v111
	v_and_b32_e32 v39, v39, v1
	v_lshlrev_b32_e32 v1, 24, v38
	s_waitcnt lgkmcnt(0)
	s_barrier
	ds_read2st64_b64 v[34:37], v111 offset1:1
	ds_read2st64_b64 v[30:33], v111 offset0:2 offset1:3
	ds_read2st64_b64 v[26:29], v111 offset0:4 offset1:5
	ds_read2st64_b64 v[22:25], v111 offset0:6 offset1:7
	s_waitcnt lgkmcnt(0)
	s_barrier
	ds_write2_b32 v64, v0, v0 offset0:2 offset1:3
	ds_write2_b32 v75, v0, v0 offset0:2 offset1:3
	v_cmp_gt_i64_e64 s[40:41], 0, v[0:1]
	v_not_b32_e32 v0, v1
	v_ashrrev_i32_e32 v0, 31, v0
	v_xor_b32_e32 v1, s41, v0
	v_xor_b32_e32 v0, s40, v0
	v_and_b32_e32 v87, v87, v88
	v_and_b32_e32 v0, v39, v0
	;; [unrolled: 1-line block ×3, first 2 shown]
	v_mbcnt_lo_u32_b32 v38, v0, 0
	v_mbcnt_hi_u32_b32 v87, v1, v38
	v_cmp_eq_u32_e64 s[40:41], 0, v87
	v_cmp_ne_u64_e64 s[42:43], 0, v[0:1]
	s_and_b64 s[42:43], s[42:43], s[40:41]
	s_waitcnt lgkmcnt(0)
	s_barrier
	s_waitcnt lgkmcnt(0)
	; wave barrier
	s_and_saveexec_b64 s[40:41], s[42:43]
	s_cbranch_execz .LBB167_54
; %bb.53:
	v_bcnt_u32_b32 v0, v0, 0
	v_bcnt_u32_b32 v0, v1, v0
	ds_write_b32 v84, v0 offset:8
.LBB167_54:
	s_or_b64 exec, exec, s[40:41]
	v_and_b32_sdwa v38, v82, s49 dst_sel:DWORD dst_unused:UNUSED_PAD src0_sel:BYTE_1 src1_sel:DWORD
	v_and_b32_e32 v1, 1, v38
	v_add_co_u32_e64 v39, s[40:41], -1, v1
	v_addc_co_u32_e64 v90, s[40:41], 0, -1, s[40:41]
	v_cmp_ne_u32_e64 s[40:41], 0, v1
	v_lshlrev_b32_e32 v0, 1, v38
	v_xor_b32_e32 v1, s41, v90
	v_add_lshl_u32 v89, v0, v74, 2
	v_mov_b32_e32 v0, 0
	v_and_b32_e32 v90, exec_hi, v1
	v_lshlrev_b32_e32 v1, 30, v38
	v_xor_b32_e32 v39, s40, v39
	v_cmp_gt_i64_e64 s[40:41], 0, v[0:1]
	v_not_b32_e32 v1, v1
	v_ashrrev_i32_e32 v1, 31, v1
	v_and_b32_e32 v39, exec_lo, v39
	v_xor_b32_e32 v91, s41, v1
	v_xor_b32_e32 v1, s40, v1
	v_and_b32_e32 v39, v39, v1
	v_lshlrev_b32_e32 v1, 29, v38
	v_cmp_gt_i64_e64 s[40:41], 0, v[0:1]
	v_not_b32_e32 v1, v1
	v_ashrrev_i32_e32 v1, 31, v1
	v_and_b32_e32 v90, v90, v91
	v_xor_b32_e32 v91, s41, v1
	v_xor_b32_e32 v1, s40, v1
	v_and_b32_e32 v39, v39, v1
	v_lshlrev_b32_e32 v1, 28, v38
	v_cmp_gt_i64_e64 s[40:41], 0, v[0:1]
	v_not_b32_e32 v1, v1
	v_ashrrev_i32_e32 v1, 31, v1
	v_and_b32_e32 v90, v90, v91
	;; [unrolled: 8-line block ×5, first 2 shown]
	v_xor_b32_e32 v91, s41, v1
	v_xor_b32_e32 v1, s40, v1
	v_and_b32_e32 v90, v90, v91
	v_and_b32_e32 v91, v39, v1
	v_lshlrev_b32_e32 v1, 24, v38
	v_cmp_gt_i64_e64 s[40:41], 0, v[0:1]
	v_not_b32_e32 v1, v1
	v_ashrrev_i32_e32 v1, 31, v1
	v_xor_b32_e32 v38, s41, v1
	v_xor_b32_e32 v1, s40, v1
	; wave barrier
	ds_read_b32 v88, v89 offset:8
	v_and_b32_e32 v39, v90, v38
	v_and_b32_e32 v38, v91, v1
	v_mbcnt_lo_u32_b32 v1, v38, 0
	v_mbcnt_hi_u32_b32 v90, v39, v1
	v_cmp_eq_u32_e64 s[40:41], 0, v90
	v_cmp_ne_u64_e64 s[42:43], 0, v[38:39]
	s_and_b64 s[42:43], s[42:43], s[40:41]
	; wave barrier
	s_and_saveexec_b64 s[40:41], s[42:43]
	s_cbranch_execz .LBB167_56
; %bb.55:
	v_bcnt_u32_b32 v1, v38, 0
	v_bcnt_u32_b32 v1, v39, v1
	s_waitcnt lgkmcnt(0)
	v_add_u32_e32 v1, v88, v1
	ds_write_b32 v89, v1 offset:8
.LBB167_56:
	s_or_b64 exec, exec, s[40:41]
	v_and_b32_sdwa v38, v81, s49 dst_sel:DWORD dst_unused:UNUSED_PAD src0_sel:BYTE_1 src1_sel:DWORD
	v_lshlrev_b32_e32 v1, 1, v38
	v_add_lshl_u32 v92, v1, v74, 2
	v_and_b32_e32 v1, 1, v38
	v_add_co_u32_e64 v39, s[40:41], -1, v1
	v_addc_co_u32_e64 v93, s[40:41], 0, -1, s[40:41]
	v_cmp_ne_u32_e64 s[40:41], 0, v1
	v_xor_b32_e32 v1, s41, v93
	v_and_b32_e32 v93, exec_hi, v1
	v_lshlrev_b32_e32 v1, 30, v38
	v_xor_b32_e32 v39, s40, v39
	v_cmp_gt_i64_e64 s[40:41], 0, v[0:1]
	v_not_b32_e32 v1, v1
	v_ashrrev_i32_e32 v1, 31, v1
	v_and_b32_e32 v39, exec_lo, v39
	v_xor_b32_e32 v94, s41, v1
	v_xor_b32_e32 v1, s40, v1
	v_and_b32_e32 v39, v39, v1
	v_lshlrev_b32_e32 v1, 29, v38
	v_cmp_gt_i64_e64 s[40:41], 0, v[0:1]
	v_not_b32_e32 v1, v1
	v_ashrrev_i32_e32 v1, 31, v1
	v_and_b32_e32 v93, v93, v94
	v_xor_b32_e32 v94, s41, v1
	v_xor_b32_e32 v1, s40, v1
	v_and_b32_e32 v39, v39, v1
	v_lshlrev_b32_e32 v1, 28, v38
	v_cmp_gt_i64_e64 s[40:41], 0, v[0:1]
	v_not_b32_e32 v1, v1
	v_ashrrev_i32_e32 v1, 31, v1
	v_and_b32_e32 v93, v93, v94
	;; [unrolled: 8-line block ×5, first 2 shown]
	v_xor_b32_e32 v94, s41, v1
	v_xor_b32_e32 v1, s40, v1
	v_and_b32_e32 v39, v39, v1
	v_lshlrev_b32_e32 v1, 24, v38
	v_cmp_gt_i64_e64 s[40:41], 0, v[0:1]
	v_not_b32_e32 v0, v1
	v_ashrrev_i32_e32 v0, 31, v0
	v_xor_b32_e32 v1, s41, v0
	v_xor_b32_e32 v0, s40, v0
	; wave barrier
	ds_read_b32 v91, v92 offset:8
	v_and_b32_e32 v93, v93, v94
	v_and_b32_e32 v0, v39, v0
	;; [unrolled: 1-line block ×3, first 2 shown]
	v_mbcnt_lo_u32_b32 v38, v0, 0
	v_mbcnt_hi_u32_b32 v93, v1, v38
	v_cmp_eq_u32_e64 s[40:41], 0, v93
	v_cmp_ne_u64_e64 s[42:43], 0, v[0:1]
	s_and_b64 s[42:43], s[42:43], s[40:41]
	; wave barrier
	s_and_saveexec_b64 s[40:41], s[42:43]
	s_cbranch_execz .LBB167_58
; %bb.57:
	v_bcnt_u32_b32 v0, v0, 0
	v_bcnt_u32_b32 v0, v1, v0
	s_waitcnt lgkmcnt(0)
	v_add_u32_e32 v0, v91, v0
	ds_write_b32 v92, v0 offset:8
.LBB167_58:
	s_or_b64 exec, exec, s[40:41]
	v_and_b32_sdwa v38, v80, s49 dst_sel:DWORD dst_unused:UNUSED_PAD src0_sel:BYTE_1 src1_sel:DWORD
	v_and_b32_e32 v1, 1, v38
	v_add_co_u32_e64 v39, s[40:41], -1, v1
	v_addc_co_u32_e64 v96, s[40:41], 0, -1, s[40:41]
	v_cmp_ne_u32_e64 s[40:41], 0, v1
	v_lshlrev_b32_e32 v0, 1, v38
	v_xor_b32_e32 v1, s41, v96
	v_add_lshl_u32 v95, v0, v74, 2
	v_mov_b32_e32 v0, 0
	v_and_b32_e32 v96, exec_hi, v1
	v_lshlrev_b32_e32 v1, 30, v38
	v_xor_b32_e32 v39, s40, v39
	v_cmp_gt_i64_e64 s[40:41], 0, v[0:1]
	v_not_b32_e32 v1, v1
	v_ashrrev_i32_e32 v1, 31, v1
	v_and_b32_e32 v39, exec_lo, v39
	v_xor_b32_e32 v97, s41, v1
	v_xor_b32_e32 v1, s40, v1
	v_and_b32_e32 v39, v39, v1
	v_lshlrev_b32_e32 v1, 29, v38
	v_cmp_gt_i64_e64 s[40:41], 0, v[0:1]
	v_not_b32_e32 v1, v1
	v_ashrrev_i32_e32 v1, 31, v1
	v_and_b32_e32 v96, v96, v97
	v_xor_b32_e32 v97, s41, v1
	v_xor_b32_e32 v1, s40, v1
	v_and_b32_e32 v39, v39, v1
	v_lshlrev_b32_e32 v1, 28, v38
	v_cmp_gt_i64_e64 s[40:41], 0, v[0:1]
	v_not_b32_e32 v1, v1
	v_ashrrev_i32_e32 v1, 31, v1
	v_and_b32_e32 v96, v96, v97
	;; [unrolled: 8-line block ×5, first 2 shown]
	v_xor_b32_e32 v97, s41, v1
	v_xor_b32_e32 v1, s40, v1
	v_and_b32_e32 v96, v96, v97
	v_and_b32_e32 v97, v39, v1
	v_lshlrev_b32_e32 v1, 24, v38
	v_cmp_gt_i64_e64 s[40:41], 0, v[0:1]
	v_not_b32_e32 v1, v1
	v_ashrrev_i32_e32 v1, 31, v1
	v_xor_b32_e32 v38, s41, v1
	v_xor_b32_e32 v1, s40, v1
	; wave barrier
	ds_read_b32 v94, v95 offset:8
	v_and_b32_e32 v39, v96, v38
	v_and_b32_e32 v38, v97, v1
	v_mbcnt_lo_u32_b32 v1, v38, 0
	v_mbcnt_hi_u32_b32 v96, v39, v1
	v_cmp_eq_u32_e64 s[40:41], 0, v96
	v_cmp_ne_u64_e64 s[42:43], 0, v[38:39]
	s_and_b64 s[42:43], s[42:43], s[40:41]
	; wave barrier
	s_and_saveexec_b64 s[40:41], s[42:43]
	s_cbranch_execz .LBB167_60
; %bb.59:
	v_bcnt_u32_b32 v1, v38, 0
	v_bcnt_u32_b32 v1, v39, v1
	s_waitcnt lgkmcnt(0)
	v_add_u32_e32 v1, v94, v1
	ds_write_b32 v95, v1 offset:8
.LBB167_60:
	s_or_b64 exec, exec, s[40:41]
	v_and_b32_sdwa v38, v79, s49 dst_sel:DWORD dst_unused:UNUSED_PAD src0_sel:BYTE_1 src1_sel:DWORD
	v_lshlrev_b32_e32 v1, 1, v38
	v_add_lshl_u32 v98, v1, v74, 2
	v_and_b32_e32 v1, 1, v38
	v_add_co_u32_e64 v39, s[40:41], -1, v1
	v_addc_co_u32_e64 v99, s[40:41], 0, -1, s[40:41]
	v_cmp_ne_u32_e64 s[40:41], 0, v1
	v_xor_b32_e32 v1, s41, v99
	v_and_b32_e32 v99, exec_hi, v1
	v_lshlrev_b32_e32 v1, 30, v38
	v_xor_b32_e32 v39, s40, v39
	v_cmp_gt_i64_e64 s[40:41], 0, v[0:1]
	v_not_b32_e32 v1, v1
	v_ashrrev_i32_e32 v1, 31, v1
	v_and_b32_e32 v39, exec_lo, v39
	v_xor_b32_e32 v100, s41, v1
	v_xor_b32_e32 v1, s40, v1
	v_and_b32_e32 v39, v39, v1
	v_lshlrev_b32_e32 v1, 29, v38
	v_cmp_gt_i64_e64 s[40:41], 0, v[0:1]
	v_not_b32_e32 v1, v1
	v_ashrrev_i32_e32 v1, 31, v1
	v_and_b32_e32 v99, v99, v100
	v_xor_b32_e32 v100, s41, v1
	v_xor_b32_e32 v1, s40, v1
	v_and_b32_e32 v39, v39, v1
	v_lshlrev_b32_e32 v1, 28, v38
	v_cmp_gt_i64_e64 s[40:41], 0, v[0:1]
	v_not_b32_e32 v1, v1
	v_ashrrev_i32_e32 v1, 31, v1
	v_and_b32_e32 v99, v99, v100
	;; [unrolled: 8-line block ×5, first 2 shown]
	v_xor_b32_e32 v100, s41, v1
	v_xor_b32_e32 v1, s40, v1
	v_and_b32_e32 v39, v39, v1
	v_lshlrev_b32_e32 v1, 24, v38
	v_cmp_gt_i64_e64 s[40:41], 0, v[0:1]
	v_not_b32_e32 v0, v1
	v_ashrrev_i32_e32 v0, 31, v0
	v_xor_b32_e32 v1, s41, v0
	v_xor_b32_e32 v0, s40, v0
	; wave barrier
	ds_read_b32 v97, v98 offset:8
	v_and_b32_e32 v99, v99, v100
	v_and_b32_e32 v0, v39, v0
	;; [unrolled: 1-line block ×3, first 2 shown]
	v_mbcnt_lo_u32_b32 v38, v0, 0
	v_mbcnt_hi_u32_b32 v99, v1, v38
	v_cmp_eq_u32_e64 s[40:41], 0, v99
	v_cmp_ne_u64_e64 s[42:43], 0, v[0:1]
	s_and_b64 s[42:43], s[42:43], s[40:41]
	; wave barrier
	s_and_saveexec_b64 s[40:41], s[42:43]
	s_cbranch_execz .LBB167_62
; %bb.61:
	v_bcnt_u32_b32 v0, v0, 0
	v_bcnt_u32_b32 v0, v1, v0
	s_waitcnt lgkmcnt(0)
	v_add_u32_e32 v0, v97, v0
	ds_write_b32 v98, v0 offset:8
.LBB167_62:
	s_or_b64 exec, exec, s[40:41]
	v_and_b32_sdwa v38, v78, s49 dst_sel:DWORD dst_unused:UNUSED_PAD src0_sel:BYTE_1 src1_sel:DWORD
	v_and_b32_e32 v1, 1, v38
	v_add_co_u32_e64 v39, s[40:41], -1, v1
	v_addc_co_u32_e64 v102, s[40:41], 0, -1, s[40:41]
	v_cmp_ne_u32_e64 s[40:41], 0, v1
	v_lshlrev_b32_e32 v0, 1, v38
	v_xor_b32_e32 v1, s41, v102
	v_add_lshl_u32 v101, v0, v74, 2
	v_mov_b32_e32 v0, 0
	v_and_b32_e32 v102, exec_hi, v1
	v_lshlrev_b32_e32 v1, 30, v38
	v_xor_b32_e32 v39, s40, v39
	v_cmp_gt_i64_e64 s[40:41], 0, v[0:1]
	v_not_b32_e32 v1, v1
	v_ashrrev_i32_e32 v1, 31, v1
	v_and_b32_e32 v39, exec_lo, v39
	v_xor_b32_e32 v103, s41, v1
	v_xor_b32_e32 v1, s40, v1
	v_and_b32_e32 v39, v39, v1
	v_lshlrev_b32_e32 v1, 29, v38
	v_cmp_gt_i64_e64 s[40:41], 0, v[0:1]
	v_not_b32_e32 v1, v1
	v_ashrrev_i32_e32 v1, 31, v1
	v_and_b32_e32 v102, v102, v103
	v_xor_b32_e32 v103, s41, v1
	v_xor_b32_e32 v1, s40, v1
	v_and_b32_e32 v39, v39, v1
	v_lshlrev_b32_e32 v1, 28, v38
	v_cmp_gt_i64_e64 s[40:41], 0, v[0:1]
	v_not_b32_e32 v1, v1
	v_ashrrev_i32_e32 v1, 31, v1
	v_and_b32_e32 v102, v102, v103
	;; [unrolled: 8-line block ×5, first 2 shown]
	v_xor_b32_e32 v103, s41, v1
	v_xor_b32_e32 v1, s40, v1
	v_and_b32_e32 v102, v102, v103
	v_and_b32_e32 v103, v39, v1
	v_lshlrev_b32_e32 v1, 24, v38
	v_cmp_gt_i64_e64 s[40:41], 0, v[0:1]
	v_not_b32_e32 v1, v1
	v_ashrrev_i32_e32 v1, 31, v1
	v_xor_b32_e32 v38, s41, v1
	v_xor_b32_e32 v1, s40, v1
	; wave barrier
	ds_read_b32 v100, v101 offset:8
	v_and_b32_e32 v39, v102, v38
	v_and_b32_e32 v38, v103, v1
	v_mbcnt_lo_u32_b32 v1, v38, 0
	v_mbcnt_hi_u32_b32 v102, v39, v1
	v_cmp_eq_u32_e64 s[40:41], 0, v102
	v_cmp_ne_u64_e64 s[42:43], 0, v[38:39]
	s_and_b64 s[42:43], s[42:43], s[40:41]
	; wave barrier
	s_and_saveexec_b64 s[40:41], s[42:43]
	s_cbranch_execz .LBB167_64
; %bb.63:
	v_bcnt_u32_b32 v1, v38, 0
	v_bcnt_u32_b32 v1, v39, v1
	s_waitcnt lgkmcnt(0)
	v_add_u32_e32 v1, v100, v1
	ds_write_b32 v101, v1 offset:8
.LBB167_64:
	s_or_b64 exec, exec, s[40:41]
	v_and_b32_sdwa v38, v77, s49 dst_sel:DWORD dst_unused:UNUSED_PAD src0_sel:BYTE_1 src1_sel:DWORD
	v_lshlrev_b32_e32 v1, 1, v38
	v_add_lshl_u32 v104, v1, v74, 2
	v_and_b32_e32 v1, 1, v38
	v_add_co_u32_e64 v39, s[40:41], -1, v1
	v_addc_co_u32_e64 v105, s[40:41], 0, -1, s[40:41]
	v_cmp_ne_u32_e64 s[40:41], 0, v1
	v_xor_b32_e32 v1, s41, v105
	v_and_b32_e32 v105, exec_hi, v1
	v_lshlrev_b32_e32 v1, 30, v38
	v_xor_b32_e32 v39, s40, v39
	v_cmp_gt_i64_e64 s[40:41], 0, v[0:1]
	v_not_b32_e32 v1, v1
	v_ashrrev_i32_e32 v1, 31, v1
	v_and_b32_e32 v39, exec_lo, v39
	v_xor_b32_e32 v106, s41, v1
	v_xor_b32_e32 v1, s40, v1
	v_and_b32_e32 v39, v39, v1
	v_lshlrev_b32_e32 v1, 29, v38
	v_cmp_gt_i64_e64 s[40:41], 0, v[0:1]
	v_not_b32_e32 v1, v1
	v_ashrrev_i32_e32 v1, 31, v1
	v_and_b32_e32 v105, v105, v106
	v_xor_b32_e32 v106, s41, v1
	v_xor_b32_e32 v1, s40, v1
	v_and_b32_e32 v39, v39, v1
	v_lshlrev_b32_e32 v1, 28, v38
	v_cmp_gt_i64_e64 s[40:41], 0, v[0:1]
	v_not_b32_e32 v1, v1
	v_ashrrev_i32_e32 v1, 31, v1
	v_and_b32_e32 v105, v105, v106
	;; [unrolled: 8-line block ×5, first 2 shown]
	v_xor_b32_e32 v106, s41, v1
	v_xor_b32_e32 v1, s40, v1
	v_and_b32_e32 v39, v39, v1
	v_lshlrev_b32_e32 v1, 24, v38
	v_cmp_gt_i64_e64 s[40:41], 0, v[0:1]
	v_not_b32_e32 v0, v1
	v_ashrrev_i32_e32 v0, 31, v0
	v_xor_b32_e32 v1, s41, v0
	v_xor_b32_e32 v0, s40, v0
	; wave barrier
	ds_read_b32 v103, v104 offset:8
	v_and_b32_e32 v105, v105, v106
	v_and_b32_e32 v0, v39, v0
	;; [unrolled: 1-line block ×3, first 2 shown]
	v_mbcnt_lo_u32_b32 v38, v0, 0
	v_mbcnt_hi_u32_b32 v105, v1, v38
	v_cmp_eq_u32_e64 s[40:41], 0, v105
	v_cmp_ne_u64_e64 s[42:43], 0, v[0:1]
	s_and_b64 s[42:43], s[42:43], s[40:41]
	; wave barrier
	s_and_saveexec_b64 s[40:41], s[42:43]
	s_cbranch_execz .LBB167_66
; %bb.65:
	v_bcnt_u32_b32 v0, v0, 0
	v_bcnt_u32_b32 v0, v1, v0
	s_waitcnt lgkmcnt(0)
	v_add_u32_e32 v0, v103, v0
	ds_write_b32 v104, v0 offset:8
.LBB167_66:
	s_or_b64 exec, exec, s[40:41]
	v_and_b32_sdwa v38, v40, s49 dst_sel:DWORD dst_unused:UNUSED_PAD src0_sel:BYTE_1 src1_sel:DWORD
	v_and_b32_e32 v1, 1, v38
	v_add_co_u32_e64 v39, s[40:41], -1, v1
	v_addc_co_u32_e64 v107, s[40:41], 0, -1, s[40:41]
	v_cmp_ne_u32_e64 s[40:41], 0, v1
	v_lshlrev_b32_e32 v0, 1, v38
	v_xor_b32_e32 v1, s41, v107
	v_add_lshl_u32 v106, v0, v74, 2
	v_mov_b32_e32 v0, 0
	v_and_b32_e32 v107, exec_hi, v1
	v_lshlrev_b32_e32 v1, 30, v38
	v_xor_b32_e32 v39, s40, v39
	v_cmp_gt_i64_e64 s[40:41], 0, v[0:1]
	v_not_b32_e32 v1, v1
	v_ashrrev_i32_e32 v1, 31, v1
	v_and_b32_e32 v39, exec_lo, v39
	v_xor_b32_e32 v108, s41, v1
	v_xor_b32_e32 v1, s40, v1
	v_and_b32_e32 v39, v39, v1
	v_lshlrev_b32_e32 v1, 29, v38
	v_cmp_gt_i64_e64 s[40:41], 0, v[0:1]
	v_not_b32_e32 v1, v1
	v_ashrrev_i32_e32 v1, 31, v1
	v_and_b32_e32 v107, v107, v108
	v_xor_b32_e32 v108, s41, v1
	v_xor_b32_e32 v1, s40, v1
	v_and_b32_e32 v39, v39, v1
	v_lshlrev_b32_e32 v1, 28, v38
	v_cmp_gt_i64_e64 s[40:41], 0, v[0:1]
	v_not_b32_e32 v1, v1
	v_ashrrev_i32_e32 v1, 31, v1
	v_and_b32_e32 v107, v107, v108
	;; [unrolled: 8-line block ×5, first 2 shown]
	v_xor_b32_e32 v108, s41, v1
	v_xor_b32_e32 v1, s40, v1
	v_and_b32_e32 v39, v39, v1
	v_lshlrev_b32_e32 v1, 24, v38
	v_cmp_gt_i64_e64 s[40:41], 0, v[0:1]
	v_not_b32_e32 v0, v1
	v_ashrrev_i32_e32 v0, 31, v0
	v_xor_b32_e32 v1, s41, v0
	v_xor_b32_e32 v0, s40, v0
	; wave barrier
	ds_read_b32 v74, v106 offset:8
	v_and_b32_e32 v107, v107, v108
	v_and_b32_e32 v0, v39, v0
	;; [unrolled: 1-line block ×3, first 2 shown]
	v_mbcnt_lo_u32_b32 v38, v0, 0
	v_mbcnt_hi_u32_b32 v107, v1, v38
	v_cmp_eq_u32_e64 s[40:41], 0, v107
	v_cmp_ne_u64_e64 s[42:43], 0, v[0:1]
	s_and_b64 s[42:43], s[42:43], s[40:41]
	; wave barrier
	s_and_saveexec_b64 s[40:41], s[42:43]
	s_cbranch_execz .LBB167_68
; %bb.67:
	v_bcnt_u32_b32 v0, v0, 0
	v_bcnt_u32_b32 v0, v1, v0
	s_waitcnt lgkmcnt(0)
	v_add_u32_e32 v0, v74, v0
	ds_write_b32 v106, v0 offset:8
.LBB167_68:
	s_or_b64 exec, exec, s[40:41]
	; wave barrier
	s_waitcnt lgkmcnt(0)
	s_barrier
	ds_read2_b32 v[38:39], v64 offset0:2 offset1:3
	ds_read2_b32 v[0:1], v75 offset0:2 offset1:3
	s_waitcnt lgkmcnt(1)
	v_add_u32_e32 v108, v39, v38
	s_waitcnt lgkmcnt(0)
	v_add3_u32 v1, v108, v0, v1
	s_nop 1
	v_mov_b32_dpp v108, v1 row_shr:1 row_mask:0xf bank_mask:0xf
	v_cndmask_b32_e64 v108, v108, 0, s[20:21]
	v_add_u32_e32 v1, v108, v1
	s_nop 1
	v_mov_b32_dpp v108, v1 row_shr:2 row_mask:0xf bank_mask:0xf
	v_cndmask_b32_e64 v108, 0, v108, s[22:23]
	v_add_u32_e32 v1, v1, v108
	;; [unrolled: 4-line block ×4, first 2 shown]
	s_nop 1
	v_mov_b32_dpp v108, v1 row_bcast:15 row_mask:0xf bank_mask:0xf
	v_cndmask_b32_e64 v108, v108, 0, vcc
	v_add_u32_e32 v1, v1, v108
	s_nop 1
	v_mov_b32_dpp v108, v1 row_bcast:31 row_mask:0xf bank_mask:0xf
	v_cndmask_b32_e64 v108, 0, v108, s[34:35]
	v_add_u32_e32 v1, v1, v108
	s_and_saveexec_b64 s[20:21], s[16:17]
	s_cbranch_execz .LBB167_70
; %bb.69:
	ds_write_b32 v76, v1
.LBB167_70:
	s_or_b64 exec, exec, s[20:21]
	s_waitcnt lgkmcnt(0)
	s_barrier
	s_and_saveexec_b64 s[16:17], s[24:25]
	s_cbranch_execz .LBB167_72
; %bb.71:
	ds_read_b32 v76, v41
	s_waitcnt lgkmcnt(0)
	s_nop 0
	v_mov_b32_dpp v108, v76 row_shr:1 row_mask:0xf bank_mask:0xf
	v_cndmask_b32_e64 v108, v108, 0, s[18:19]
	v_add_u32_e32 v76, v108, v76
	ds_write_b32 v41, v76
.LBB167_72:
	s_or_b64 exec, exec, s[16:17]
	v_mov_b32_e32 v41, 0
	s_waitcnt lgkmcnt(0)
	s_barrier
	s_and_saveexec_b64 s[16:17], s[30:31]
	s_cbranch_execz .LBB167_74
; %bb.73:
	ds_read_b32 v41, v85
.LBB167_74:
	s_or_b64 exec, exec, s[16:17]
	s_waitcnt lgkmcnt(0)
	v_add_u32_e32 v1, v41, v1
	ds_bpermute_b32 v1, v86, v1
	s_waitcnt lgkmcnt(0)
	v_cndmask_b32_e64 v1, v1, v41, s[36:37]
	v_cndmask_b32_e64 v1, v1, 0, s[38:39]
	v_add_u32_e32 v38, v1, v38
	v_add_u32_e32 v39, v38, v39
	;; [unrolled: 1-line block ×3, first 2 shown]
	ds_write2_b32 v64, v1, v38 offset0:2 offset1:3
	ds_write2_b32 v75, v39, v0 offset0:2 offset1:3
	s_waitcnt lgkmcnt(0)
	s_barrier
	ds_read_b32 v0, v106 offset:8
	ds_read_b32 v1, v104 offset:8
	;; [unrolled: 1-line block ×4, first 2 shown]
	s_waitcnt lgkmcnt(3)
	v_add3_u32 v0, v107, v74, v0
	s_waitcnt lgkmcnt(2)
	v_add3_u32 v1, v105, v103, v1
	;; [unrolled: 2-line block ×3, first 2 shown]
	ds_read_b32 v38, v95 offset:8
	ds_read_b32 v41, v92 offset:8
	;; [unrolled: 1-line block ×4, first 2 shown]
	s_waitcnt lgkmcnt(0)
	s_barrier
	v_add3_u32 v41, v93, v91, v41
	v_add3_u32 v75, v90, v88, v75
	v_add_u32_e32 v76, v76, v87
	v_lshlrev_b32_e32 v84, 1, v76
	ds_write_b16 v84, v83
	v_lshlrev_b32_e32 v83, 1, v75
	v_add3_u32 v38, v96, v94, v38
	ds_write_b16 v83, v82
	v_lshlrev_b32_e32 v82, 1, v41
	v_add3_u32 v39, v99, v97, v39
	ds_write_b16 v82, v81
	v_lshlrev_b32_e32 v81, 1, v38
	ds_write_b16 v81, v80
	v_lshlrev_b32_e32 v80, 1, v39
	ds_write_b16 v80, v79
	v_lshlrev_b32_e32 v79, 1, v74
	ds_write_b16 v79, v78
	v_lshlrev_b32_e32 v78, 1, v1
	ds_write_b16 v78, v77
	v_lshlrev_b32_e32 v77, 1, v0
	ds_write_b16 v77, v40
	v_lshlrev_b32_e32 v40, 1, v62
	v_lshlrev_b32_e32 v76, 3, v76
	v_lshlrev_b32_e32 v80, 3, v62
	s_waitcnt lgkmcnt(0)
	s_barrier
	v_lshlrev_b32_e32 v75, 3, v75
	v_lshlrev_b32_e32 v77, 3, v41
	;; [unrolled: 1-line block ×4, first 2 shown]
	ds_read_b128 v[38:41], v40
	v_lshlrev_b32_e32 v74, 3, v74
	v_lshlrev_b32_e32 v1, 3, v1
	;; [unrolled: 1-line block ×3, first 2 shown]
	s_waitcnt lgkmcnt(0)
	s_barrier
	ds_write_b64 v76, v[34:35]
	ds_write_b64 v75, v[36:37]
	;; [unrolled: 1-line block ×8, first 2 shown]
	s_waitcnt lgkmcnt(0)
	s_barrier
	ds_read2_b64 v[22:25], v80 offset1:1
	ds_read2_b64 v[26:29], v80 offset0:2 offset1:3
	ds_read2_b64 v[30:33], v80 offset0:4 offset1:5
	;; [unrolled: 1-line block ×3, first 2 shown]
	v_xor_b32_e32 v38, 0x80008000, v38
	v_xor_b32_e32 v39, 0x80008000, v39
	;; [unrolled: 1-line block ×4, first 2 shown]
	s_branch .LBB167_128
.LBB167_75:
	v_mov_b32_e32 v45, 0
	v_lshlrev_b64 v[2:3], 3, v[44:45]
	v_mov_b32_e32 v4, s47
	v_add_co_u32_e32 v2, vcc, s45, v2
	v_addc_co_u32_e32 v3, vcc, v4, v3, vcc
	global_load_dwordx2 v[2:3], v[2:3], off
	v_mov_b32_e32 v4, v45
	v_mov_b32_e32 v5, v45
	;; [unrolled: 1-line block ×14, first 2 shown]
	s_or_b64 exec, exec, s[16:17]
	s_and_saveexec_b64 s[16:17], s[2:3]
	s_cbranch_execz .LBB167_22
.LBB167_76:
	v_mul_lo_u32 v4, v1, s48
	v_mov_b32_e32 v5, 0
	v_lshlrev_b64 v[4:5], 3, v[4:5]
	v_mov_b32_e32 v1, s47
	v_add_co_u32_e32 v4, vcc, s45, v4
	v_addc_co_u32_e32 v5, vcc, v1, v5, vcc
	global_load_dwordx2 v[4:5], v[4:5], off
	s_or_b64 exec, exec, s[16:17]
	s_and_saveexec_b64 s[16:17], s[4:5]
	s_cbranch_execz .LBB167_23
.LBB167_77:
	v_mul_lo_u32 v6, v22, s48
	v_mov_b32_e32 v7, 0
	v_lshlrev_b64 v[6:7], 3, v[6:7]
	v_mov_b32_e32 v1, s47
	v_add_co_u32_e32 v6, vcc, s45, v6
	v_addc_co_u32_e32 v7, vcc, v1, v7, vcc
	global_load_dwordx2 v[6:7], v[6:7], off
	s_or_b64 exec, exec, s[16:17]
	s_and_saveexec_b64 s[16:17], s[6:7]
	s_cbranch_execz .LBB167_24
.LBB167_78:
	v_mul_lo_u32 v8, v23, s48
	v_mov_b32_e32 v9, 0
	v_lshlrev_b64 v[8:9], 3, v[8:9]
	v_mov_b32_e32 v1, s47
	v_add_co_u32_e32 v8, vcc, s45, v8
	v_addc_co_u32_e32 v9, vcc, v1, v9, vcc
	global_load_dwordx2 v[8:9], v[8:9], off
	s_or_b64 exec, exec, s[16:17]
	s_and_saveexec_b64 s[16:17], s[8:9]
	s_cbranch_execz .LBB167_25
.LBB167_79:
	v_mul_lo_u32 v10, v24, s48
	v_mov_b32_e32 v11, 0
	v_lshlrev_b64 v[10:11], 3, v[10:11]
	v_mov_b32_e32 v1, s47
	v_add_co_u32_e32 v10, vcc, s45, v10
	v_addc_co_u32_e32 v11, vcc, v1, v11, vcc
	global_load_dwordx2 v[10:11], v[10:11], off
	s_or_b64 exec, exec, s[16:17]
	s_and_saveexec_b64 s[16:17], s[10:11]
	s_cbranch_execz .LBB167_26
.LBB167_80:
	v_mul_lo_u32 v12, v25, s48
	v_mov_b32_e32 v13, 0
	v_lshlrev_b64 v[12:13], 3, v[12:13]
	v_mov_b32_e32 v1, s47
	v_add_co_u32_e32 v12, vcc, s45, v12
	v_addc_co_u32_e32 v13, vcc, v1, v13, vcc
	global_load_dwordx2 v[12:13], v[12:13], off
	s_or_b64 exec, exec, s[16:17]
	s_and_saveexec_b64 s[16:17], s[12:13]
	s_cbranch_execz .LBB167_27
.LBB167_81:
	v_mul_lo_u32 v14, v26, s48
	v_mov_b32_e32 v15, 0
	v_lshlrev_b64 v[14:15], 3, v[14:15]
	v_mov_b32_e32 v1, s47
	v_add_co_u32_e32 v14, vcc, s45, v14
	v_addc_co_u32_e32 v15, vcc, v1, v15, vcc
	global_load_dwordx2 v[14:15], v[14:15], off
	s_or_b64 exec, exec, s[16:17]
	s_xor_b64 s[16:17], s[34:35], -1
	s_and_saveexec_b64 s[18:19], s[14:15]
	s_cbranch_execnz .LBB167_28
	s_branch .LBB167_29
.LBB167_82:
                                        ; implicit-def: $vgpr41
                                        ; implicit-def: $vgpr36_vgpr37
                                        ; implicit-def: $vgpr32_vgpr33
                                        ; implicit-def: $vgpr28_vgpr29
                                        ; implicit-def: $vgpr24_vgpr25
	s_cbranch_execz .LBB167_128
; %bb.83:
	s_movk_i32 s16, 0x7fff
	v_xor_b32_e32 v0, 0x7fff, v18
	v_xor_b32_sdwa v1, v18, s16 dst_sel:DWORD dst_unused:UNUSED_PAD src0_sel:WORD_1 src1_sel:DWORD
	v_xor_b32_e32 v18, 0x7fff, v19
	v_xor_b32_sdwa v19, v19, s16 dst_sel:DWORD dst_unused:UNUSED_PAD src0_sel:WORD_1 src1_sel:DWORD
	s_waitcnt lgkmcnt(3)
	v_xor_b32_e32 v22, 0x7fff, v20
	v_xor_b32_sdwa v20, v20, s16 dst_sel:DWORD dst_unused:UNUSED_PAD src0_sel:WORD_1 src1_sel:DWORD
	v_xor_b32_e32 v23, 0x7fff, v21
	v_xor_b32_sdwa v21, v21, s16 dst_sel:DWORD dst_unused:UNUSED_PAD src0_sel:WORD_1 src1_sel:DWORD
	s_mov_b32 s16, 0x5040100
	v_perm_b32 v21, v21, v23, s16
	v_perm_b32 v20, v20, v22, s16
	;; [unrolled: 1-line block ×4, first 2 shown]
	ds_write_b128 v73, v[18:21]
	; wave barrier
	s_waitcnt lgkmcnt(2)
	ds_read_u16 v32, v72
	ds_read_u16 v31, v72 offset:128
	ds_read_u16 v30, v72 offset:256
	;; [unrolled: 1-line block ×7, first 2 shown]
	s_waitcnt lgkmcnt(0)
	s_barrier
	ds_write2_b64 v71, v[14:15], v[16:17] offset1:1
	ds_write2_b64 v71, v[10:11], v[12:13] offset0:2 offset1:3
	ds_write2_b64 v71, v[6:7], v[8:9] offset0:4 offset1:5
	;; [unrolled: 1-line block ×3, first 2 shown]
	; wave barrier
	ds_read2st64_b64 v[12:15], v70 offset1:1
	ds_read2st64_b64 v[8:11], v70 offset0:2 offset1:3
	ds_read2st64_b64 v[4:7], v70 offset0:4 offset1:5
	;; [unrolled: 1-line block ×3, first 2 shown]
	s_waitcnt lgkmcnt(0)
	s_barrier
	s_load_dword s18, s[50:51], 0xc
	s_getpc_b64 s[16:17]
	s_add_u32 s16, s16, _ZN7rocprim17ROCPRIM_400000_NS16block_radix_sortIsLj128ELj8ElLj1ELj1ELj0ELNS0_26block_radix_rank_algorithmE1ELNS0_18block_padding_hintE2ELNS0_4arch9wavefront6targetE1EE19radix_bits_per_passE@rel32@lo+4
	s_addc_u32 s17, s17, _ZN7rocprim17ROCPRIM_400000_NS16block_radix_sortIsLj128ELj8ElLj1ELj1ELj0ELNS0_26block_radix_rank_algorithmE1ELNS0_18block_padding_hintE2ELNS0_4arch9wavefront6targetE1EE19radix_bits_per_passE@rel32@hi+12
	s_load_dword s40, s[16:17], 0x0
	s_waitcnt lgkmcnt(0)
	s_lshr_b32 s16, s18, 16
	s_and_b32 s17, s18, 0xffff
	v_mad_u32_u24 v16, v69, s16, v68
	v_mad_u64_u32 v[16:17], s[16:17], v16, s17, v[46:47]
	s_min_u32 s16, s40, 16
	s_lshl_b32 s16, -1, s16
	s_not_b32 s18, s16
	v_and_b32_sdwa v18, s18, v32 dst_sel:DWORD dst_unused:UNUSED_PAD src0_sel:DWORD src1_sel:WORD_0
	v_lshrrev_b32_e32 v22, 6, v16
	v_lshlrev_b32_e32 v17, 1, v18
	v_add_lshl_u32 v35, v22, v17, 2
	v_and_b32_e32 v17, 1, v18
	v_add_co_u32_e32 v19, vcc, -1, v17
	v_addc_co_u32_e64 v20, s[16:17], 0, -1, vcc
	v_cmp_ne_u32_e32 vcc, 0, v17
	v_xor_b32_e32 v17, vcc_hi, v20
	v_mov_b32_e32 v16, 0
	v_and_b32_e32 v20, exec_hi, v17
	v_lshlrev_b32_e32 v17, 30, v18
	v_xor_b32_e32 v19, vcc_lo, v19
	v_cmp_gt_i64_e32 vcc, 0, v[16:17]
	v_not_b32_e32 v17, v17
	v_ashrrev_i32_e32 v17, 31, v17
	v_and_b32_e32 v19, exec_lo, v19
	v_xor_b32_e32 v21, vcc_hi, v17
	v_xor_b32_e32 v17, vcc_lo, v17
	v_and_b32_e32 v19, v19, v17
	v_lshlrev_b32_e32 v17, 29, v18
	v_cmp_gt_i64_e32 vcc, 0, v[16:17]
	v_not_b32_e32 v17, v17
	v_ashrrev_i32_e32 v17, 31, v17
	v_and_b32_e32 v20, v20, v21
	v_xor_b32_e32 v21, vcc_hi, v17
	v_xor_b32_e32 v17, vcc_lo, v17
	v_and_b32_e32 v19, v19, v17
	v_lshlrev_b32_e32 v17, 28, v18
	v_cmp_gt_i64_e32 vcc, 0, v[16:17]
	v_not_b32_e32 v17, v17
	v_ashrrev_i32_e32 v17, 31, v17
	v_and_b32_e32 v20, v20, v21
	;; [unrolled: 8-line block ×5, first 2 shown]
	v_xor_b32_e32 v21, vcc_hi, v17
	v_xor_b32_e32 v17, vcc_lo, v17
	v_and_b32_e32 v20, v20, v21
	v_and_b32_e32 v21, v19, v17
	v_lshlrev_b32_e32 v17, 24, v18
	v_cmp_gt_i64_e32 vcc, 0, v[16:17]
	v_not_b32_e32 v17, v17
	v_ashrrev_i32_e32 v17, 31, v17
	v_xor_b32_e32 v18, vcc_hi, v17
	v_xor_b32_e32 v17, vcc_lo, v17
	v_and_b32_e32 v19, v20, v18
	v_and_b32_e32 v18, v21, v17
	v_mbcnt_lo_u32_b32 v17, v18, 0
	v_mbcnt_hi_u32_b32 v36, v19, v17
	v_cmp_eq_u32_e32 vcc, 0, v36
	v_cmp_ne_u64_e64 s[16:17], 0, v[18:19]
	s_and_b64 s[20:21], s[16:17], vcc
	ds_write2_b32 v64, v16, v16 offset0:2 offset1:3
	ds_write2_b32 v64, v16, v16 offset0:4 offset1:5
	s_waitcnt lgkmcnt(0)
	s_barrier
	s_waitcnt lgkmcnt(0)
	; wave barrier
	s_and_saveexec_b64 s[16:17], s[20:21]
	s_cbranch_execz .LBB167_85
; %bb.84:
	v_bcnt_u32_b32 v17, v18, 0
	v_bcnt_u32_b32 v17, v19, v17
	ds_write_b32 v35, v17 offset:8
.LBB167_85:
	s_or_b64 exec, exec, s[16:17]
	v_and_b32_sdwa v18, s18, v31 dst_sel:DWORD dst_unused:UNUSED_PAD src0_sel:DWORD src1_sel:WORD_0
	v_lshlrev_b32_e32 v17, 1, v18
	v_add_lshl_u32 v38, v22, v17, 2
	v_and_b32_e32 v17, 1, v18
	v_add_co_u32_e32 v19, vcc, -1, v17
	v_addc_co_u32_e64 v20, s[16:17], 0, -1, vcc
	v_cmp_ne_u32_e32 vcc, 0, v17
	v_xor_b32_e32 v17, vcc_hi, v20
	v_and_b32_e32 v20, exec_hi, v17
	v_lshlrev_b32_e32 v17, 30, v18
	v_xor_b32_e32 v19, vcc_lo, v19
	v_cmp_gt_i64_e32 vcc, 0, v[16:17]
	v_not_b32_e32 v17, v17
	v_ashrrev_i32_e32 v17, 31, v17
	v_and_b32_e32 v19, exec_lo, v19
	v_xor_b32_e32 v21, vcc_hi, v17
	v_xor_b32_e32 v17, vcc_lo, v17
	v_and_b32_e32 v19, v19, v17
	v_lshlrev_b32_e32 v17, 29, v18
	v_cmp_gt_i64_e32 vcc, 0, v[16:17]
	v_not_b32_e32 v17, v17
	v_ashrrev_i32_e32 v17, 31, v17
	v_and_b32_e32 v20, v20, v21
	v_xor_b32_e32 v21, vcc_hi, v17
	v_xor_b32_e32 v17, vcc_lo, v17
	v_and_b32_e32 v19, v19, v17
	v_lshlrev_b32_e32 v17, 28, v18
	v_cmp_gt_i64_e32 vcc, 0, v[16:17]
	v_not_b32_e32 v17, v17
	v_ashrrev_i32_e32 v17, 31, v17
	v_and_b32_e32 v20, v20, v21
	;; [unrolled: 8-line block ×5, first 2 shown]
	v_xor_b32_e32 v21, vcc_hi, v17
	v_xor_b32_e32 v17, vcc_lo, v17
	v_and_b32_e32 v19, v19, v17
	v_lshlrev_b32_e32 v17, 24, v18
	v_cmp_gt_i64_e32 vcc, 0, v[16:17]
	v_not_b32_e32 v16, v17
	v_ashrrev_i32_e32 v16, 31, v16
	v_xor_b32_e32 v17, vcc_hi, v16
	v_xor_b32_e32 v16, vcc_lo, v16
	; wave barrier
	ds_read_b32 v37, v38 offset:8
	v_and_b32_e32 v20, v20, v21
	v_and_b32_e32 v16, v19, v16
	;; [unrolled: 1-line block ×3, first 2 shown]
	v_mbcnt_lo_u32_b32 v18, v16, 0
	v_mbcnt_hi_u32_b32 v39, v17, v18
	v_cmp_eq_u32_e32 vcc, 0, v39
	v_cmp_ne_u64_e64 s[16:17], 0, v[16:17]
	s_and_b64 s[20:21], s[16:17], vcc
	; wave barrier
	s_and_saveexec_b64 s[16:17], s[20:21]
	s_cbranch_execz .LBB167_87
; %bb.86:
	v_bcnt_u32_b32 v16, v16, 0
	v_bcnt_u32_b32 v16, v17, v16
	s_waitcnt lgkmcnt(0)
	v_add_u32_e32 v16, v37, v16
	ds_write_b32 v38, v16 offset:8
.LBB167_87:
	s_or_b64 exec, exec, s[16:17]
	v_and_b32_sdwa v18, s18, v30 dst_sel:DWORD dst_unused:UNUSED_PAD src0_sel:DWORD src1_sel:WORD_0
	v_and_b32_e32 v17, 1, v18
	v_add_co_u32_e32 v19, vcc, -1, v17
	v_addc_co_u32_e64 v20, s[16:17], 0, -1, vcc
	v_cmp_ne_u32_e32 vcc, 0, v17
	v_lshlrev_b32_e32 v16, 1, v18
	v_xor_b32_e32 v17, vcc_hi, v20
	v_add_lshl_u32 v41, v22, v16, 2
	v_mov_b32_e32 v16, 0
	v_and_b32_e32 v20, exec_hi, v17
	v_lshlrev_b32_e32 v17, 30, v18
	v_xor_b32_e32 v19, vcc_lo, v19
	v_cmp_gt_i64_e32 vcc, 0, v[16:17]
	v_not_b32_e32 v17, v17
	v_ashrrev_i32_e32 v17, 31, v17
	v_and_b32_e32 v19, exec_lo, v19
	v_xor_b32_e32 v21, vcc_hi, v17
	v_xor_b32_e32 v17, vcc_lo, v17
	v_and_b32_e32 v19, v19, v17
	v_lshlrev_b32_e32 v17, 29, v18
	v_cmp_gt_i64_e32 vcc, 0, v[16:17]
	v_not_b32_e32 v17, v17
	v_ashrrev_i32_e32 v17, 31, v17
	v_and_b32_e32 v20, v20, v21
	v_xor_b32_e32 v21, vcc_hi, v17
	v_xor_b32_e32 v17, vcc_lo, v17
	v_and_b32_e32 v19, v19, v17
	v_lshlrev_b32_e32 v17, 28, v18
	v_cmp_gt_i64_e32 vcc, 0, v[16:17]
	v_not_b32_e32 v17, v17
	v_ashrrev_i32_e32 v17, 31, v17
	v_and_b32_e32 v20, v20, v21
	;; [unrolled: 8-line block ×5, first 2 shown]
	v_xor_b32_e32 v21, vcc_hi, v17
	v_xor_b32_e32 v17, vcc_lo, v17
	v_and_b32_e32 v20, v20, v21
	v_and_b32_e32 v21, v19, v17
	v_lshlrev_b32_e32 v17, 24, v18
	v_cmp_gt_i64_e32 vcc, 0, v[16:17]
	v_not_b32_e32 v17, v17
	v_ashrrev_i32_e32 v17, 31, v17
	v_xor_b32_e32 v18, vcc_hi, v17
	v_xor_b32_e32 v17, vcc_lo, v17
	; wave barrier
	ds_read_b32 v40, v41 offset:8
	v_and_b32_e32 v19, v20, v18
	v_and_b32_e32 v18, v21, v17
	v_mbcnt_lo_u32_b32 v17, v18, 0
	v_mbcnt_hi_u32_b32 v68, v19, v17
	v_cmp_eq_u32_e32 vcc, 0, v68
	v_cmp_ne_u64_e64 s[16:17], 0, v[18:19]
	s_and_b64 s[20:21], s[16:17], vcc
	; wave barrier
	s_and_saveexec_b64 s[16:17], s[20:21]
	s_cbranch_execz .LBB167_89
; %bb.88:
	v_bcnt_u32_b32 v17, v18, 0
	v_bcnt_u32_b32 v17, v19, v17
	s_waitcnt lgkmcnt(0)
	v_add_u32_e32 v17, v40, v17
	ds_write_b32 v41, v17 offset:8
.LBB167_89:
	s_or_b64 exec, exec, s[16:17]
	v_and_b32_sdwa v18, s18, v29 dst_sel:DWORD dst_unused:UNUSED_PAD src0_sel:DWORD src1_sel:WORD_0
	v_lshlrev_b32_e32 v17, 1, v18
	v_add_lshl_u32 v70, v22, v17, 2
	v_and_b32_e32 v17, 1, v18
	v_add_co_u32_e32 v19, vcc, -1, v17
	v_addc_co_u32_e64 v20, s[16:17], 0, -1, vcc
	v_cmp_ne_u32_e32 vcc, 0, v17
	v_xor_b32_e32 v17, vcc_hi, v20
	v_and_b32_e32 v20, exec_hi, v17
	v_lshlrev_b32_e32 v17, 30, v18
	v_xor_b32_e32 v19, vcc_lo, v19
	v_cmp_gt_i64_e32 vcc, 0, v[16:17]
	v_not_b32_e32 v17, v17
	v_ashrrev_i32_e32 v17, 31, v17
	v_and_b32_e32 v19, exec_lo, v19
	v_xor_b32_e32 v21, vcc_hi, v17
	v_xor_b32_e32 v17, vcc_lo, v17
	v_and_b32_e32 v19, v19, v17
	v_lshlrev_b32_e32 v17, 29, v18
	v_cmp_gt_i64_e32 vcc, 0, v[16:17]
	v_not_b32_e32 v17, v17
	v_ashrrev_i32_e32 v17, 31, v17
	v_and_b32_e32 v20, v20, v21
	v_xor_b32_e32 v21, vcc_hi, v17
	v_xor_b32_e32 v17, vcc_lo, v17
	v_and_b32_e32 v19, v19, v17
	v_lshlrev_b32_e32 v17, 28, v18
	v_cmp_gt_i64_e32 vcc, 0, v[16:17]
	v_not_b32_e32 v17, v17
	v_ashrrev_i32_e32 v17, 31, v17
	v_and_b32_e32 v20, v20, v21
	;; [unrolled: 8-line block ×5, first 2 shown]
	v_xor_b32_e32 v21, vcc_hi, v17
	v_xor_b32_e32 v17, vcc_lo, v17
	v_and_b32_e32 v19, v19, v17
	v_lshlrev_b32_e32 v17, 24, v18
	v_cmp_gt_i64_e32 vcc, 0, v[16:17]
	v_not_b32_e32 v16, v17
	v_ashrrev_i32_e32 v16, 31, v16
	v_xor_b32_e32 v17, vcc_hi, v16
	v_xor_b32_e32 v16, vcc_lo, v16
	; wave barrier
	ds_read_b32 v69, v70 offset:8
	v_and_b32_e32 v20, v20, v21
	v_and_b32_e32 v16, v19, v16
	;; [unrolled: 1-line block ×3, first 2 shown]
	v_mbcnt_lo_u32_b32 v18, v16, 0
	v_mbcnt_hi_u32_b32 v71, v17, v18
	v_cmp_eq_u32_e32 vcc, 0, v71
	v_cmp_ne_u64_e64 s[16:17], 0, v[16:17]
	s_and_b64 s[20:21], s[16:17], vcc
	; wave barrier
	s_and_saveexec_b64 s[16:17], s[20:21]
	s_cbranch_execz .LBB167_91
; %bb.90:
	v_bcnt_u32_b32 v16, v16, 0
	v_bcnt_u32_b32 v16, v17, v16
	s_waitcnt lgkmcnt(0)
	v_add_u32_e32 v16, v69, v16
	ds_write_b32 v70, v16 offset:8
.LBB167_91:
	s_or_b64 exec, exec, s[16:17]
	v_and_b32_sdwa v18, s18, v28 dst_sel:DWORD dst_unused:UNUSED_PAD src0_sel:DWORD src1_sel:WORD_0
	v_and_b32_e32 v17, 1, v18
	v_add_co_u32_e32 v19, vcc, -1, v17
	v_addc_co_u32_e64 v20, s[16:17], 0, -1, vcc
	v_cmp_ne_u32_e32 vcc, 0, v17
	v_lshlrev_b32_e32 v16, 1, v18
	v_xor_b32_e32 v17, vcc_hi, v20
	v_add_lshl_u32 v73, v22, v16, 2
	v_mov_b32_e32 v16, 0
	v_and_b32_e32 v20, exec_hi, v17
	v_lshlrev_b32_e32 v17, 30, v18
	v_xor_b32_e32 v19, vcc_lo, v19
	v_cmp_gt_i64_e32 vcc, 0, v[16:17]
	v_not_b32_e32 v17, v17
	v_ashrrev_i32_e32 v17, 31, v17
	v_and_b32_e32 v19, exec_lo, v19
	v_xor_b32_e32 v21, vcc_hi, v17
	v_xor_b32_e32 v17, vcc_lo, v17
	v_and_b32_e32 v19, v19, v17
	v_lshlrev_b32_e32 v17, 29, v18
	v_cmp_gt_i64_e32 vcc, 0, v[16:17]
	v_not_b32_e32 v17, v17
	v_ashrrev_i32_e32 v17, 31, v17
	v_and_b32_e32 v20, v20, v21
	v_xor_b32_e32 v21, vcc_hi, v17
	v_xor_b32_e32 v17, vcc_lo, v17
	v_and_b32_e32 v19, v19, v17
	v_lshlrev_b32_e32 v17, 28, v18
	v_cmp_gt_i64_e32 vcc, 0, v[16:17]
	v_not_b32_e32 v17, v17
	v_ashrrev_i32_e32 v17, 31, v17
	v_and_b32_e32 v20, v20, v21
	;; [unrolled: 8-line block ×5, first 2 shown]
	v_xor_b32_e32 v21, vcc_hi, v17
	v_xor_b32_e32 v17, vcc_lo, v17
	v_and_b32_e32 v20, v20, v21
	v_and_b32_e32 v21, v19, v17
	v_lshlrev_b32_e32 v17, 24, v18
	v_cmp_gt_i64_e32 vcc, 0, v[16:17]
	v_not_b32_e32 v17, v17
	v_ashrrev_i32_e32 v17, 31, v17
	v_xor_b32_e32 v18, vcc_hi, v17
	v_xor_b32_e32 v17, vcc_lo, v17
	; wave barrier
	ds_read_b32 v72, v73 offset:8
	v_and_b32_e32 v19, v20, v18
	v_and_b32_e32 v18, v21, v17
	v_mbcnt_lo_u32_b32 v17, v18, 0
	v_mbcnt_hi_u32_b32 v74, v19, v17
	v_cmp_eq_u32_e32 vcc, 0, v74
	v_cmp_ne_u64_e64 s[16:17], 0, v[18:19]
	s_and_b64 s[20:21], s[16:17], vcc
	; wave barrier
	s_and_saveexec_b64 s[16:17], s[20:21]
	s_cbranch_execz .LBB167_93
; %bb.92:
	v_bcnt_u32_b32 v17, v18, 0
	v_bcnt_u32_b32 v17, v19, v17
	s_waitcnt lgkmcnt(0)
	v_add_u32_e32 v17, v72, v17
	ds_write_b32 v73, v17 offset:8
.LBB167_93:
	s_or_b64 exec, exec, s[16:17]
	v_and_b32_sdwa v18, s18, v27 dst_sel:DWORD dst_unused:UNUSED_PAD src0_sel:DWORD src1_sel:WORD_0
	v_lshlrev_b32_e32 v17, 1, v18
	v_add_lshl_u32 v76, v22, v17, 2
	v_and_b32_e32 v17, 1, v18
	v_add_co_u32_e32 v19, vcc, -1, v17
	v_addc_co_u32_e64 v20, s[16:17], 0, -1, vcc
	v_cmp_ne_u32_e32 vcc, 0, v17
	v_xor_b32_e32 v17, vcc_hi, v20
	v_and_b32_e32 v20, exec_hi, v17
	v_lshlrev_b32_e32 v17, 30, v18
	v_xor_b32_e32 v19, vcc_lo, v19
	v_cmp_gt_i64_e32 vcc, 0, v[16:17]
	v_not_b32_e32 v17, v17
	v_ashrrev_i32_e32 v17, 31, v17
	v_and_b32_e32 v19, exec_lo, v19
	v_xor_b32_e32 v21, vcc_hi, v17
	v_xor_b32_e32 v17, vcc_lo, v17
	v_and_b32_e32 v19, v19, v17
	v_lshlrev_b32_e32 v17, 29, v18
	v_cmp_gt_i64_e32 vcc, 0, v[16:17]
	v_not_b32_e32 v17, v17
	v_ashrrev_i32_e32 v17, 31, v17
	v_and_b32_e32 v20, v20, v21
	v_xor_b32_e32 v21, vcc_hi, v17
	v_xor_b32_e32 v17, vcc_lo, v17
	v_and_b32_e32 v19, v19, v17
	v_lshlrev_b32_e32 v17, 28, v18
	v_cmp_gt_i64_e32 vcc, 0, v[16:17]
	v_not_b32_e32 v17, v17
	v_ashrrev_i32_e32 v17, 31, v17
	v_and_b32_e32 v20, v20, v21
	;; [unrolled: 8-line block ×5, first 2 shown]
	v_xor_b32_e32 v21, vcc_hi, v17
	v_xor_b32_e32 v17, vcc_lo, v17
	v_and_b32_e32 v19, v19, v17
	v_lshlrev_b32_e32 v17, 24, v18
	v_cmp_gt_i64_e32 vcc, 0, v[16:17]
	v_not_b32_e32 v16, v17
	v_ashrrev_i32_e32 v16, 31, v16
	v_xor_b32_e32 v17, vcc_hi, v16
	v_xor_b32_e32 v16, vcc_lo, v16
	; wave barrier
	ds_read_b32 v75, v76 offset:8
	v_and_b32_e32 v20, v20, v21
	v_and_b32_e32 v16, v19, v16
	;; [unrolled: 1-line block ×3, first 2 shown]
	v_mbcnt_lo_u32_b32 v18, v16, 0
	v_mbcnt_hi_u32_b32 v77, v17, v18
	v_cmp_eq_u32_e32 vcc, 0, v77
	v_cmp_ne_u64_e64 s[16:17], 0, v[16:17]
	s_and_b64 s[20:21], s[16:17], vcc
	; wave barrier
	s_and_saveexec_b64 s[16:17], s[20:21]
	s_cbranch_execz .LBB167_95
; %bb.94:
	v_bcnt_u32_b32 v16, v16, 0
	v_bcnt_u32_b32 v16, v17, v16
	s_waitcnt lgkmcnt(0)
	v_add_u32_e32 v16, v75, v16
	ds_write_b32 v76, v16 offset:8
.LBB167_95:
	s_or_b64 exec, exec, s[16:17]
	v_and_b32_sdwa v18, s18, v26 dst_sel:DWORD dst_unused:UNUSED_PAD src0_sel:DWORD src1_sel:WORD_0
	v_and_b32_e32 v17, 1, v18
	v_add_co_u32_e32 v19, vcc, -1, v17
	v_addc_co_u32_e64 v20, s[16:17], 0, -1, vcc
	v_cmp_ne_u32_e32 vcc, 0, v17
	v_lshlrev_b32_e32 v16, 1, v18
	v_xor_b32_e32 v17, vcc_hi, v20
	v_add_lshl_u32 v79, v22, v16, 2
	v_mov_b32_e32 v16, 0
	v_and_b32_e32 v20, exec_hi, v17
	v_lshlrev_b32_e32 v17, 30, v18
	v_xor_b32_e32 v19, vcc_lo, v19
	v_cmp_gt_i64_e32 vcc, 0, v[16:17]
	v_not_b32_e32 v17, v17
	v_ashrrev_i32_e32 v17, 31, v17
	v_and_b32_e32 v19, exec_lo, v19
	v_xor_b32_e32 v21, vcc_hi, v17
	v_xor_b32_e32 v17, vcc_lo, v17
	v_and_b32_e32 v19, v19, v17
	v_lshlrev_b32_e32 v17, 29, v18
	v_cmp_gt_i64_e32 vcc, 0, v[16:17]
	v_not_b32_e32 v17, v17
	v_ashrrev_i32_e32 v17, 31, v17
	v_and_b32_e32 v20, v20, v21
	v_xor_b32_e32 v21, vcc_hi, v17
	v_xor_b32_e32 v17, vcc_lo, v17
	v_and_b32_e32 v19, v19, v17
	v_lshlrev_b32_e32 v17, 28, v18
	v_cmp_gt_i64_e32 vcc, 0, v[16:17]
	v_not_b32_e32 v17, v17
	v_ashrrev_i32_e32 v17, 31, v17
	v_and_b32_e32 v20, v20, v21
	;; [unrolled: 8-line block ×5, first 2 shown]
	v_xor_b32_e32 v21, vcc_hi, v17
	v_xor_b32_e32 v17, vcc_lo, v17
	v_and_b32_e32 v20, v20, v21
	v_and_b32_e32 v21, v19, v17
	v_lshlrev_b32_e32 v17, 24, v18
	v_cmp_gt_i64_e32 vcc, 0, v[16:17]
	v_not_b32_e32 v17, v17
	v_ashrrev_i32_e32 v17, 31, v17
	v_xor_b32_e32 v18, vcc_hi, v17
	v_xor_b32_e32 v17, vcc_lo, v17
	; wave barrier
	ds_read_b32 v78, v79 offset:8
	v_and_b32_e32 v19, v20, v18
	v_and_b32_e32 v18, v21, v17
	v_mbcnt_lo_u32_b32 v17, v18, 0
	v_mbcnt_hi_u32_b32 v80, v19, v17
	v_cmp_eq_u32_e32 vcc, 0, v80
	v_cmp_ne_u64_e64 s[16:17], 0, v[18:19]
	s_and_b64 s[20:21], s[16:17], vcc
	; wave barrier
	s_and_saveexec_b64 s[16:17], s[20:21]
	s_cbranch_execz .LBB167_97
; %bb.96:
	v_bcnt_u32_b32 v17, v18, 0
	v_bcnt_u32_b32 v17, v19, v17
	s_waitcnt lgkmcnt(0)
	v_add_u32_e32 v17, v78, v17
	ds_write_b32 v79, v17 offset:8
.LBB167_97:
	s_or_b64 exec, exec, s[16:17]
	v_and_b32_sdwa v18, s18, v25 dst_sel:DWORD dst_unused:UNUSED_PAD src0_sel:DWORD src1_sel:WORD_0
	v_lshlrev_b32_e32 v17, 1, v18
	v_add_lshl_u32 v81, v22, v17, 2
	v_and_b32_e32 v17, 1, v18
	v_add_co_u32_e32 v19, vcc, -1, v17
	v_addc_co_u32_e64 v20, s[16:17], 0, -1, vcc
	v_cmp_ne_u32_e32 vcc, 0, v17
	v_xor_b32_e32 v17, vcc_hi, v20
	v_and_b32_e32 v20, exec_hi, v17
	v_lshlrev_b32_e32 v17, 30, v18
	v_xor_b32_e32 v19, vcc_lo, v19
	v_cmp_gt_i64_e32 vcc, 0, v[16:17]
	v_not_b32_e32 v17, v17
	v_ashrrev_i32_e32 v17, 31, v17
	v_and_b32_e32 v19, exec_lo, v19
	v_xor_b32_e32 v21, vcc_hi, v17
	v_xor_b32_e32 v17, vcc_lo, v17
	v_and_b32_e32 v19, v19, v17
	v_lshlrev_b32_e32 v17, 29, v18
	v_cmp_gt_i64_e32 vcc, 0, v[16:17]
	v_not_b32_e32 v17, v17
	v_ashrrev_i32_e32 v17, 31, v17
	v_and_b32_e32 v20, v20, v21
	v_xor_b32_e32 v21, vcc_hi, v17
	v_xor_b32_e32 v17, vcc_lo, v17
	v_and_b32_e32 v19, v19, v17
	v_lshlrev_b32_e32 v17, 28, v18
	v_cmp_gt_i64_e32 vcc, 0, v[16:17]
	v_not_b32_e32 v17, v17
	v_ashrrev_i32_e32 v17, 31, v17
	v_and_b32_e32 v20, v20, v21
	v_xor_b32_e32 v21, vcc_hi, v17
	v_xor_b32_e32 v17, vcc_lo, v17
	v_and_b32_e32 v19, v19, v17
	v_lshlrev_b32_e32 v17, 27, v18
	v_cmp_gt_i64_e32 vcc, 0, v[16:17]
	v_not_b32_e32 v17, v17
	v_ashrrev_i32_e32 v17, 31, v17
	v_and_b32_e32 v20, v20, v21
	v_xor_b32_e32 v21, vcc_hi, v17
	v_xor_b32_e32 v17, vcc_lo, v17
	v_and_b32_e32 v19, v19, v17
	v_lshlrev_b32_e32 v17, 26, v18
	v_cmp_gt_i64_e32 vcc, 0, v[16:17]
	v_not_b32_e32 v17, v17
	v_ashrrev_i32_e32 v17, 31, v17
	v_and_b32_e32 v20, v20, v21
	v_xor_b32_e32 v21, vcc_hi, v17
	v_xor_b32_e32 v17, vcc_lo, v17
	v_and_b32_e32 v19, v19, v17
	v_lshlrev_b32_e32 v17, 25, v18
	v_cmp_gt_i64_e32 vcc, 0, v[16:17]
	v_not_b32_e32 v17, v17
	v_ashrrev_i32_e32 v17, 31, v17
	v_and_b32_e32 v20, v20, v21
	v_xor_b32_e32 v21, vcc_hi, v17
	v_xor_b32_e32 v17, vcc_lo, v17
	v_and_b32_e32 v19, v19, v17
	v_lshlrev_b32_e32 v17, 24, v18
	v_cmp_gt_i64_e32 vcc, 0, v[16:17]
	v_not_b32_e32 v16, v17
	v_ashrrev_i32_e32 v16, 31, v16
	v_xor_b32_e32 v17, vcc_hi, v16
	v_xor_b32_e32 v16, vcc_lo, v16
	v_min_u32_e32 v33, 64, v67
	; wave barrier
	ds_read_b32 v67, v81 offset:8
	v_and_b32_e32 v20, v20, v21
	v_and_b32_e32 v16, v19, v16
	;; [unrolled: 1-line block ×3, first 2 shown]
	v_mbcnt_lo_u32_b32 v18, v16, 0
	v_mbcnt_hi_u32_b32 v82, v17, v18
	v_cmp_eq_u32_e32 vcc, 0, v82
	v_cmp_ne_u64_e64 s[16:17], 0, v[16:17]
	v_or_b32_e32 v23, 8, v64
	v_lshrrev_b32_e32 v24, 6, v46
	s_and_b64 s[18:19], s[16:17], vcc
	; wave barrier
	s_and_saveexec_b64 s[16:17], s[18:19]
	s_cbranch_execz .LBB167_99
; %bb.98:
	v_bcnt_u32_b32 v16, v16, 0
	v_bcnt_u32_b32 v16, v17, v16
	s_waitcnt lgkmcnt(0)
	v_add_u32_e32 v16, v67, v16
	ds_write_b32 v81, v16 offset:8
.LBB167_99:
	s_or_b64 exec, exec, s[16:17]
	; wave barrier
	s_waitcnt lgkmcnt(0)
	s_barrier
	ds_read2_b32 v[18:19], v64 offset0:2 offset1:3
	ds_read2_b32 v[20:21], v23 offset0:2 offset1:3
	v_and_b32_e32 v17, 16, v65
	v_cmp_eq_u32_e32 vcc, 0, v17
	v_or_b32_e32 v17, 63, v33
	v_cmp_eq_u32_e64 s[16:17], v17, v46
	s_waitcnt lgkmcnt(1)
	v_add_u32_e32 v17, v19, v18
	v_and_b32_e32 v16, 15, v65
	s_waitcnt lgkmcnt(0)
	v_add3_u32 v17, v17, v20, v21
	v_cmp_eq_u32_e64 s[20:21], 0, v16
	v_cmp_lt_u32_e64 s[22:23], 1, v16
	v_mov_b32_dpp v21, v17 row_shr:1 row_mask:0xf bank_mask:0xf
	v_cndmask_b32_e64 v21, v21, 0, s[20:21]
	v_add_u32_e32 v17, v21, v17
	v_cmp_lt_u32_e64 s[26:27], 3, v16
	v_cmp_lt_u32_e64 s[28:29], 7, v16
	v_mov_b32_dpp v21, v17 row_shr:2 row_mask:0xf bank_mask:0xf
	v_cndmask_b32_e64 v21, 0, v21, s[22:23]
	v_add_u32_e32 v17, v17, v21
	v_bfe_i32 v34, v65, 4, 1
	v_cmp_lt_u32_e64 s[34:35], 31, v65
	v_mov_b32_dpp v21, v17 row_shr:4 row_mask:0xf bank_mask:0xf
	v_cndmask_b32_e64 v21, 0, v21, s[26:27]
	v_add_u32_e32 v17, v17, v21
	v_lshlrev_b32_e32 v24, 2, v24
	s_nop 0
	v_mov_b32_dpp v21, v17 row_shr:8 row_mask:0xf bank_mask:0xf
	v_cndmask_b32_e64 v16, 0, v21, s[28:29]
	v_add_u32_e32 v16, v17, v16
	s_nop 1
	v_mov_b32_dpp v17, v16 row_bcast:15 row_mask:0xf bank_mask:0xf
	v_and_b32_e32 v17, v34, v17
	v_add_u32_e32 v16, v16, v17
	s_nop 1
	v_mov_b32_dpp v17, v16 row_bcast:31 row_mask:0xf bank_mask:0xf
	v_cndmask_b32_e64 v17, 0, v17, s[34:35]
	v_add_u32_e32 v17, v16, v17
	s_and_saveexec_b64 s[18:19], s[16:17]
	s_cbranch_execz .LBB167_101
; %bb.100:
	ds_write_b32 v24, v17
.LBB167_101:
	s_or_b64 exec, exec, s[18:19]
	v_and_b32_e32 v16, 1, v65
	v_cmp_gt_u32_e64 s[24:25], 2, v46
	v_lshlrev_b32_e32 v21, 2, v46
	v_cmp_eq_u32_e64 s[18:19], 0, v16
	s_waitcnt lgkmcnt(0)
	s_barrier
	s_and_saveexec_b64 s[30:31], s[24:25]
	s_cbranch_execz .LBB167_103
; %bb.102:
	ds_read_b32 v16, v21
	s_waitcnt lgkmcnt(0)
	s_nop 0
	v_mov_b32_dpp v33, v16 row_shr:1 row_mask:0xf bank_mask:0xf
	v_cndmask_b32_e64 v33, v33, 0, s[18:19]
	v_add_u32_e32 v16, v33, v16
	ds_write_b32 v21, v16
.LBB167_103:
	s_or_b64 exec, exec, s[30:31]
	v_cmp_lt_u32_e64 s[30:31], 63, v46
	v_add_u32_e32 v33, -4, v24
	v_mov_b32_e32 v16, 0
	v_mov_b32_e32 v83, 0
	s_waitcnt lgkmcnt(0)
	s_barrier
	s_and_saveexec_b64 s[36:37], s[30:31]
	s_cbranch_execz .LBB167_105
; %bb.104:
	ds_read_b32 v83, v33
.LBB167_105:
	s_or_b64 exec, exec, s[36:37]
	v_add_u32_e32 v34, -1, v65
	v_and_b32_e32 v84, 64, v65
	v_cmp_lt_i32_e64 s[36:37], v34, v84
	v_cndmask_b32_e64 v34, v34, v65, s[36:37]
	v_lshlrev_b32_e32 v34, 2, v34
	s_waitcnt lgkmcnt(0)
	v_add_u32_e32 v17, v83, v17
	ds_bpermute_b32 v17, v34, v17
	v_cmp_eq_u32_e64 s[36:37], 0, v65
	v_cmp_eq_u32_e64 s[38:39], 0, v46
	s_min_u32 s40, s40, 8
	v_and_or_b32 v66, v65, 63, v66
	s_waitcnt lgkmcnt(0)
	v_cndmask_b32_e64 v17, v17, v83, s[36:37]
	v_cndmask_b32_e64 v17, v17, 0, s[38:39]
	v_add_u32_e32 v18, v17, v18
	v_add_u32_e32 v19, v18, v19
	;; [unrolled: 1-line block ×3, first 2 shown]
	ds_write2_b32 v64, v17, v18 offset0:2 offset1:3
	ds_write2_b32 v23, v19, v20 offset0:2 offset1:3
	s_waitcnt lgkmcnt(0)
	s_barrier
	ds_read_b32 v17, v35 offset:8
	ds_read_b32 v18, v38 offset:8
	;; [unrolled: 1-line block ×8, first 2 shown]
	s_waitcnt lgkmcnt(7)
	v_add_u32_e32 v17, v17, v36
	s_waitcnt lgkmcnt(6)
	v_add3_u32 v18, v39, v37, v18
	s_waitcnt lgkmcnt(4)
	v_add3_u32 v36, v71, v69, v20
	v_lshlrev_b32_e32 v20, 1, v17
	v_add3_u32 v19, v68, v40, v19
	s_waitcnt lgkmcnt(0)
	s_barrier
	ds_write_b16 v20, v32
	v_lshlrev_b32_e32 v20, 1, v18
	ds_write_b16 v20, v31
	v_lshlrev_b32_e32 v20, 1, v19
	v_add3_u32 v35, v74, v72, v35
	ds_write_b16 v20, v30
	v_lshlrev_b32_e32 v20, 1, v36
	v_add3_u32 v37, v77, v75, v38
	;; [unrolled: 3-line block ×4, first 2 shown]
	ds_write_b16 v20, v27
	v_lshlrev_b32_e32 v20, 1, v38
	s_lshl_b32 s40, -1, s40
	v_lshlrev_b32_e32 v84, 1, v66
	ds_write_b16 v20, v26
	v_lshlrev_b32_e32 v20, 1, v39
	v_lshlrev_b32_e32 v17, 3, v17
	s_not_b32 s49, s40
	ds_write_b16 v20, v25
	s_waitcnt lgkmcnt(0)
	s_barrier
	ds_read_u16 v31, v84
	ds_read_u16 v30, v84 offset:128
	ds_read_u16 v29, v84 offset:256
	ds_read_u16 v28, v84 offset:384
	ds_read_u16 v27, v84 offset:512
	ds_read_u16 v26, v84 offset:640
	ds_read_u16 v25, v84 offset:768
	ds_read_u16 v20, v84 offset:896
	s_waitcnt lgkmcnt(0)
	s_barrier
	ds_write_b64 v17, v[12:13]
	v_lshlrev_b32_e32 v12, 3, v18
	v_and_b32_sdwa v18, v31, s49 dst_sel:DWORD dst_unused:UNUSED_PAD src0_sel:BYTE_1 src1_sel:DWORD
	v_lshlrev_b32_e32 v17, 1, v18
	ds_write_b64 v12, v[14:15]
	v_lshlrev_b32_e32 v12, 3, v19
	v_add_lshl_u32 v32, v17, v22, 2
	v_and_b32_e32 v17, 1, v18
	ds_write_b64 v12, v[8:9]
	v_lshlrev_b32_e32 v8, 3, v36
	v_add_co_u32_e64 v19, s[40:41], -1, v17
	ds_write_b64 v8, v[10:11]
	v_lshlrev_b32_e32 v8, 3, v35
	v_addc_co_u32_e64 v35, s[40:41], 0, -1, s[40:41]
	v_cmp_ne_u32_e64 s[40:41], 0, v17
	v_xor_b32_e32 v17, s41, v35
	v_and_b32_e32 v35, exec_hi, v17
	v_lshlrev_b32_e32 v17, 30, v18
	v_xor_b32_e32 v19, s40, v19
	v_cmp_gt_i64_e64 s[40:41], 0, v[16:17]
	v_not_b32_e32 v17, v17
	v_ashrrev_i32_e32 v17, 31, v17
	v_and_b32_e32 v19, exec_lo, v19
	v_xor_b32_e32 v36, s41, v17
	v_xor_b32_e32 v17, s40, v17
	v_and_b32_e32 v19, v19, v17
	v_lshlrev_b32_e32 v17, 29, v18
	v_cmp_gt_i64_e64 s[40:41], 0, v[16:17]
	v_not_b32_e32 v17, v17
	v_ashrrev_i32_e32 v17, 31, v17
	v_and_b32_e32 v35, v35, v36
	v_xor_b32_e32 v36, s41, v17
	v_xor_b32_e32 v17, s40, v17
	v_and_b32_e32 v19, v19, v17
	v_lshlrev_b32_e32 v17, 28, v18
	v_cmp_gt_i64_e64 s[40:41], 0, v[16:17]
	v_not_b32_e32 v17, v17
	v_ashrrev_i32_e32 v17, 31, v17
	v_and_b32_e32 v35, v35, v36
	;; [unrolled: 8-line block ×4, first 2 shown]
	v_xor_b32_e32 v36, s41, v17
	v_xor_b32_e32 v17, s40, v17
	v_and_b32_e32 v19, v19, v17
	v_lshlrev_b32_e32 v17, 25, v18
	v_cmp_gt_i64_e64 s[40:41], 0, v[16:17]
	v_not_b32_e32 v17, v17
	ds_write_b64 v8, v[4:5]
	v_lshlrev_b32_e32 v4, 3, v37
	v_ashrrev_i32_e32 v17, 31, v17
	ds_write_b64 v4, v[6:7]
	v_lshlrev_b32_e32 v4, 3, v38
	v_and_b32_e32 v35, v35, v36
	v_xor_b32_e32 v36, s41, v17
	v_xor_b32_e32 v17, s40, v17
	v_lshlrev_b32_e32 v66, 3, v66
	ds_write_b64 v4, v[0:1]
	v_lshlrev_b32_e32 v0, 3, v39
	v_and_b32_e32 v19, v19, v17
	v_lshlrev_b32_e32 v17, 24, v18
	ds_write_b64 v0, v[2:3]
	s_waitcnt lgkmcnt(0)
	s_barrier
	ds_read2st64_b64 v[12:15], v66 offset1:1
	ds_read2st64_b64 v[8:11], v66 offset0:2 offset1:3
	ds_read2st64_b64 v[4:7], v66 offset0:4 offset1:5
	;; [unrolled: 1-line block ×3, first 2 shown]
	s_waitcnt lgkmcnt(0)
	s_barrier
	ds_write2_b32 v64, v16, v16 offset0:2 offset1:3
	ds_write2_b32 v23, v16, v16 offset0:2 offset1:3
	v_cmp_gt_i64_e64 s[40:41], 0, v[16:17]
	v_not_b32_e32 v16, v17
	v_ashrrev_i32_e32 v16, 31, v16
	v_xor_b32_e32 v17, s41, v16
	v_xor_b32_e32 v16, s40, v16
	v_and_b32_e32 v35, v35, v36
	v_and_b32_e32 v16, v19, v16
	;; [unrolled: 1-line block ×3, first 2 shown]
	v_mbcnt_lo_u32_b32 v18, v16, 0
	v_mbcnt_hi_u32_b32 v35, v17, v18
	v_cmp_eq_u32_e64 s[40:41], 0, v35
	v_cmp_ne_u64_e64 s[42:43], 0, v[16:17]
	s_and_b64 s[42:43], s[42:43], s[40:41]
	s_waitcnt lgkmcnt(0)
	s_barrier
	s_waitcnt lgkmcnt(0)
	; wave barrier
	s_and_saveexec_b64 s[40:41], s[42:43]
	s_cbranch_execz .LBB167_107
; %bb.106:
	v_bcnt_u32_b32 v16, v16, 0
	v_bcnt_u32_b32 v16, v17, v16
	ds_write_b32 v32, v16 offset:8
.LBB167_107:
	s_or_b64 exec, exec, s[40:41]
	v_and_b32_sdwa v18, v30, s49 dst_sel:DWORD dst_unused:UNUSED_PAD src0_sel:BYTE_1 src1_sel:DWORD
	v_and_b32_e32 v17, 1, v18
	v_add_co_u32_e64 v19, s[40:41], -1, v17
	v_addc_co_u32_e64 v38, s[40:41], 0, -1, s[40:41]
	v_cmp_ne_u32_e64 s[40:41], 0, v17
	v_lshlrev_b32_e32 v16, 1, v18
	v_xor_b32_e32 v17, s41, v38
	v_add_lshl_u32 v37, v16, v22, 2
	v_mov_b32_e32 v16, 0
	v_and_b32_e32 v38, exec_hi, v17
	v_lshlrev_b32_e32 v17, 30, v18
	v_xor_b32_e32 v19, s40, v19
	v_cmp_gt_i64_e64 s[40:41], 0, v[16:17]
	v_not_b32_e32 v17, v17
	v_ashrrev_i32_e32 v17, 31, v17
	v_and_b32_e32 v19, exec_lo, v19
	v_xor_b32_e32 v39, s41, v17
	v_xor_b32_e32 v17, s40, v17
	v_and_b32_e32 v19, v19, v17
	v_lshlrev_b32_e32 v17, 29, v18
	v_cmp_gt_i64_e64 s[40:41], 0, v[16:17]
	v_not_b32_e32 v17, v17
	v_ashrrev_i32_e32 v17, 31, v17
	v_and_b32_e32 v38, v38, v39
	v_xor_b32_e32 v39, s41, v17
	v_xor_b32_e32 v17, s40, v17
	v_and_b32_e32 v19, v19, v17
	v_lshlrev_b32_e32 v17, 28, v18
	v_cmp_gt_i64_e64 s[40:41], 0, v[16:17]
	v_not_b32_e32 v17, v17
	v_ashrrev_i32_e32 v17, 31, v17
	v_and_b32_e32 v38, v38, v39
	;; [unrolled: 8-line block ×5, first 2 shown]
	v_xor_b32_e32 v39, s41, v17
	v_xor_b32_e32 v17, s40, v17
	v_and_b32_e32 v38, v38, v39
	v_and_b32_e32 v39, v19, v17
	v_lshlrev_b32_e32 v17, 24, v18
	v_cmp_gt_i64_e64 s[40:41], 0, v[16:17]
	v_not_b32_e32 v17, v17
	v_ashrrev_i32_e32 v17, 31, v17
	v_xor_b32_e32 v18, s41, v17
	v_xor_b32_e32 v17, s40, v17
	; wave barrier
	ds_read_b32 v36, v37 offset:8
	v_and_b32_e32 v19, v38, v18
	v_and_b32_e32 v18, v39, v17
	v_mbcnt_lo_u32_b32 v17, v18, 0
	v_mbcnt_hi_u32_b32 v38, v19, v17
	v_cmp_eq_u32_e64 s[40:41], 0, v38
	v_cmp_ne_u64_e64 s[42:43], 0, v[18:19]
	s_and_b64 s[42:43], s[42:43], s[40:41]
	; wave barrier
	s_and_saveexec_b64 s[40:41], s[42:43]
	s_cbranch_execz .LBB167_109
; %bb.108:
	v_bcnt_u32_b32 v17, v18, 0
	v_bcnt_u32_b32 v17, v19, v17
	s_waitcnt lgkmcnt(0)
	v_add_u32_e32 v17, v36, v17
	ds_write_b32 v37, v17 offset:8
.LBB167_109:
	s_or_b64 exec, exec, s[40:41]
	v_and_b32_sdwa v18, v29, s49 dst_sel:DWORD dst_unused:UNUSED_PAD src0_sel:BYTE_1 src1_sel:DWORD
	v_lshlrev_b32_e32 v17, 1, v18
	v_add_lshl_u32 v40, v17, v22, 2
	v_and_b32_e32 v17, 1, v18
	v_add_co_u32_e64 v19, s[40:41], -1, v17
	v_addc_co_u32_e64 v41, s[40:41], 0, -1, s[40:41]
	v_cmp_ne_u32_e64 s[40:41], 0, v17
	v_xor_b32_e32 v17, s41, v41
	v_and_b32_e32 v41, exec_hi, v17
	v_lshlrev_b32_e32 v17, 30, v18
	v_xor_b32_e32 v19, s40, v19
	v_cmp_gt_i64_e64 s[40:41], 0, v[16:17]
	v_not_b32_e32 v17, v17
	v_ashrrev_i32_e32 v17, 31, v17
	v_and_b32_e32 v19, exec_lo, v19
	v_xor_b32_e32 v46, s41, v17
	v_xor_b32_e32 v17, s40, v17
	v_and_b32_e32 v19, v19, v17
	v_lshlrev_b32_e32 v17, 29, v18
	v_cmp_gt_i64_e64 s[40:41], 0, v[16:17]
	v_not_b32_e32 v17, v17
	v_ashrrev_i32_e32 v17, 31, v17
	v_and_b32_e32 v41, v41, v46
	v_xor_b32_e32 v46, s41, v17
	v_xor_b32_e32 v17, s40, v17
	v_and_b32_e32 v19, v19, v17
	v_lshlrev_b32_e32 v17, 28, v18
	v_cmp_gt_i64_e64 s[40:41], 0, v[16:17]
	v_not_b32_e32 v17, v17
	v_ashrrev_i32_e32 v17, 31, v17
	v_and_b32_e32 v41, v41, v46
	;; [unrolled: 8-line block ×5, first 2 shown]
	v_xor_b32_e32 v46, s41, v17
	v_xor_b32_e32 v17, s40, v17
	v_and_b32_e32 v19, v19, v17
	v_lshlrev_b32_e32 v17, 24, v18
	v_cmp_gt_i64_e64 s[40:41], 0, v[16:17]
	v_not_b32_e32 v16, v17
	v_ashrrev_i32_e32 v16, 31, v16
	v_xor_b32_e32 v17, s41, v16
	v_xor_b32_e32 v16, s40, v16
	; wave barrier
	ds_read_b32 v39, v40 offset:8
	v_and_b32_e32 v41, v41, v46
	v_and_b32_e32 v16, v19, v16
	;; [unrolled: 1-line block ×3, first 2 shown]
	v_mbcnt_lo_u32_b32 v18, v16, 0
	v_mbcnt_hi_u32_b32 v41, v17, v18
	v_cmp_eq_u32_e64 s[40:41], 0, v41
	v_cmp_ne_u64_e64 s[42:43], 0, v[16:17]
	s_and_b64 s[42:43], s[42:43], s[40:41]
	; wave barrier
	s_and_saveexec_b64 s[40:41], s[42:43]
	s_cbranch_execz .LBB167_111
; %bb.110:
	v_bcnt_u32_b32 v16, v16, 0
	v_bcnt_u32_b32 v16, v17, v16
	s_waitcnt lgkmcnt(0)
	v_add_u32_e32 v16, v39, v16
	ds_write_b32 v40, v16 offset:8
.LBB167_111:
	s_or_b64 exec, exec, s[40:41]
	v_and_b32_sdwa v18, v28, s49 dst_sel:DWORD dst_unused:UNUSED_PAD src0_sel:BYTE_1 src1_sel:DWORD
	v_and_b32_e32 v17, 1, v18
	v_add_co_u32_e64 v19, s[40:41], -1, v17
	v_addc_co_u32_e64 v66, s[40:41], 0, -1, s[40:41]
	v_cmp_ne_u32_e64 s[40:41], 0, v17
	v_lshlrev_b32_e32 v16, 1, v18
	v_xor_b32_e32 v17, s41, v66
	v_add_lshl_u32 v65, v16, v22, 2
	v_mov_b32_e32 v16, 0
	v_and_b32_e32 v66, exec_hi, v17
	v_lshlrev_b32_e32 v17, 30, v18
	v_xor_b32_e32 v19, s40, v19
	v_cmp_gt_i64_e64 s[40:41], 0, v[16:17]
	v_not_b32_e32 v17, v17
	v_ashrrev_i32_e32 v17, 31, v17
	v_and_b32_e32 v19, exec_lo, v19
	v_xor_b32_e32 v67, s41, v17
	v_xor_b32_e32 v17, s40, v17
	v_and_b32_e32 v19, v19, v17
	v_lshlrev_b32_e32 v17, 29, v18
	v_cmp_gt_i64_e64 s[40:41], 0, v[16:17]
	v_not_b32_e32 v17, v17
	v_ashrrev_i32_e32 v17, 31, v17
	v_and_b32_e32 v66, v66, v67
	v_xor_b32_e32 v67, s41, v17
	v_xor_b32_e32 v17, s40, v17
	v_and_b32_e32 v19, v19, v17
	v_lshlrev_b32_e32 v17, 28, v18
	v_cmp_gt_i64_e64 s[40:41], 0, v[16:17]
	v_not_b32_e32 v17, v17
	v_ashrrev_i32_e32 v17, 31, v17
	v_and_b32_e32 v66, v66, v67
	;; [unrolled: 8-line block ×5, first 2 shown]
	v_xor_b32_e32 v67, s41, v17
	v_xor_b32_e32 v17, s40, v17
	v_and_b32_e32 v66, v66, v67
	v_and_b32_e32 v67, v19, v17
	v_lshlrev_b32_e32 v17, 24, v18
	v_cmp_gt_i64_e64 s[40:41], 0, v[16:17]
	v_not_b32_e32 v17, v17
	v_ashrrev_i32_e32 v17, 31, v17
	v_xor_b32_e32 v18, s41, v17
	v_xor_b32_e32 v17, s40, v17
	; wave barrier
	ds_read_b32 v46, v65 offset:8
	v_and_b32_e32 v19, v66, v18
	v_and_b32_e32 v18, v67, v17
	v_mbcnt_lo_u32_b32 v17, v18, 0
	v_mbcnt_hi_u32_b32 v66, v19, v17
	v_cmp_eq_u32_e64 s[40:41], 0, v66
	v_cmp_ne_u64_e64 s[42:43], 0, v[18:19]
	s_and_b64 s[42:43], s[42:43], s[40:41]
	; wave barrier
	s_and_saveexec_b64 s[40:41], s[42:43]
	s_cbranch_execz .LBB167_113
; %bb.112:
	v_bcnt_u32_b32 v17, v18, 0
	v_bcnt_u32_b32 v17, v19, v17
	s_waitcnt lgkmcnt(0)
	v_add_u32_e32 v17, v46, v17
	ds_write_b32 v65, v17 offset:8
.LBB167_113:
	s_or_b64 exec, exec, s[40:41]
	v_and_b32_sdwa v18, v27, s49 dst_sel:DWORD dst_unused:UNUSED_PAD src0_sel:BYTE_1 src1_sel:DWORD
	v_lshlrev_b32_e32 v17, 1, v18
	v_add_lshl_u32 v68, v17, v22, 2
	v_and_b32_e32 v17, 1, v18
	v_add_co_u32_e64 v19, s[40:41], -1, v17
	v_addc_co_u32_e64 v69, s[40:41], 0, -1, s[40:41]
	v_cmp_ne_u32_e64 s[40:41], 0, v17
	v_xor_b32_e32 v17, s41, v69
	v_and_b32_e32 v69, exec_hi, v17
	v_lshlrev_b32_e32 v17, 30, v18
	v_xor_b32_e32 v19, s40, v19
	v_cmp_gt_i64_e64 s[40:41], 0, v[16:17]
	v_not_b32_e32 v17, v17
	v_ashrrev_i32_e32 v17, 31, v17
	v_and_b32_e32 v19, exec_lo, v19
	v_xor_b32_e32 v70, s41, v17
	v_xor_b32_e32 v17, s40, v17
	v_and_b32_e32 v19, v19, v17
	v_lshlrev_b32_e32 v17, 29, v18
	v_cmp_gt_i64_e64 s[40:41], 0, v[16:17]
	v_not_b32_e32 v17, v17
	v_ashrrev_i32_e32 v17, 31, v17
	v_and_b32_e32 v69, v69, v70
	v_xor_b32_e32 v70, s41, v17
	v_xor_b32_e32 v17, s40, v17
	v_and_b32_e32 v19, v19, v17
	v_lshlrev_b32_e32 v17, 28, v18
	v_cmp_gt_i64_e64 s[40:41], 0, v[16:17]
	v_not_b32_e32 v17, v17
	v_ashrrev_i32_e32 v17, 31, v17
	v_and_b32_e32 v69, v69, v70
	;; [unrolled: 8-line block ×5, first 2 shown]
	v_xor_b32_e32 v70, s41, v17
	v_xor_b32_e32 v17, s40, v17
	v_and_b32_e32 v19, v19, v17
	v_lshlrev_b32_e32 v17, 24, v18
	v_cmp_gt_i64_e64 s[40:41], 0, v[16:17]
	v_not_b32_e32 v16, v17
	v_ashrrev_i32_e32 v16, 31, v16
	v_xor_b32_e32 v17, s41, v16
	v_xor_b32_e32 v16, s40, v16
	; wave barrier
	ds_read_b32 v67, v68 offset:8
	v_and_b32_e32 v69, v69, v70
	v_and_b32_e32 v16, v19, v16
	;; [unrolled: 1-line block ×3, first 2 shown]
	v_mbcnt_lo_u32_b32 v18, v16, 0
	v_mbcnt_hi_u32_b32 v69, v17, v18
	v_cmp_eq_u32_e64 s[40:41], 0, v69
	v_cmp_ne_u64_e64 s[42:43], 0, v[16:17]
	s_and_b64 s[42:43], s[42:43], s[40:41]
	; wave barrier
	s_and_saveexec_b64 s[40:41], s[42:43]
	s_cbranch_execz .LBB167_115
; %bb.114:
	v_bcnt_u32_b32 v16, v16, 0
	v_bcnt_u32_b32 v16, v17, v16
	s_waitcnt lgkmcnt(0)
	v_add_u32_e32 v16, v67, v16
	ds_write_b32 v68, v16 offset:8
.LBB167_115:
	s_or_b64 exec, exec, s[40:41]
	v_and_b32_sdwa v18, v26, s49 dst_sel:DWORD dst_unused:UNUSED_PAD src0_sel:BYTE_1 src1_sel:DWORD
	v_and_b32_e32 v17, 1, v18
	v_add_co_u32_e64 v19, s[40:41], -1, v17
	v_addc_co_u32_e64 v72, s[40:41], 0, -1, s[40:41]
	v_cmp_ne_u32_e64 s[40:41], 0, v17
	v_lshlrev_b32_e32 v16, 1, v18
	v_xor_b32_e32 v17, s41, v72
	v_add_lshl_u32 v71, v16, v22, 2
	v_mov_b32_e32 v16, 0
	v_and_b32_e32 v72, exec_hi, v17
	v_lshlrev_b32_e32 v17, 30, v18
	v_xor_b32_e32 v19, s40, v19
	v_cmp_gt_i64_e64 s[40:41], 0, v[16:17]
	v_not_b32_e32 v17, v17
	v_ashrrev_i32_e32 v17, 31, v17
	v_and_b32_e32 v19, exec_lo, v19
	v_xor_b32_e32 v73, s41, v17
	v_xor_b32_e32 v17, s40, v17
	v_and_b32_e32 v19, v19, v17
	v_lshlrev_b32_e32 v17, 29, v18
	v_cmp_gt_i64_e64 s[40:41], 0, v[16:17]
	v_not_b32_e32 v17, v17
	v_ashrrev_i32_e32 v17, 31, v17
	v_and_b32_e32 v72, v72, v73
	v_xor_b32_e32 v73, s41, v17
	v_xor_b32_e32 v17, s40, v17
	v_and_b32_e32 v19, v19, v17
	v_lshlrev_b32_e32 v17, 28, v18
	v_cmp_gt_i64_e64 s[40:41], 0, v[16:17]
	v_not_b32_e32 v17, v17
	v_ashrrev_i32_e32 v17, 31, v17
	v_and_b32_e32 v72, v72, v73
	;; [unrolled: 8-line block ×5, first 2 shown]
	v_xor_b32_e32 v73, s41, v17
	v_xor_b32_e32 v17, s40, v17
	v_and_b32_e32 v72, v72, v73
	v_and_b32_e32 v73, v19, v17
	v_lshlrev_b32_e32 v17, 24, v18
	v_cmp_gt_i64_e64 s[40:41], 0, v[16:17]
	v_not_b32_e32 v17, v17
	v_ashrrev_i32_e32 v17, 31, v17
	v_xor_b32_e32 v18, s41, v17
	v_xor_b32_e32 v17, s40, v17
	; wave barrier
	ds_read_b32 v70, v71 offset:8
	v_and_b32_e32 v19, v72, v18
	v_and_b32_e32 v18, v73, v17
	v_mbcnt_lo_u32_b32 v17, v18, 0
	v_mbcnt_hi_u32_b32 v72, v19, v17
	v_cmp_eq_u32_e64 s[40:41], 0, v72
	v_cmp_ne_u64_e64 s[42:43], 0, v[18:19]
	s_and_b64 s[42:43], s[42:43], s[40:41]
	; wave barrier
	s_and_saveexec_b64 s[40:41], s[42:43]
	s_cbranch_execz .LBB167_117
; %bb.116:
	v_bcnt_u32_b32 v17, v18, 0
	v_bcnt_u32_b32 v17, v19, v17
	s_waitcnt lgkmcnt(0)
	v_add_u32_e32 v17, v70, v17
	ds_write_b32 v71, v17 offset:8
.LBB167_117:
	s_or_b64 exec, exec, s[40:41]
	v_and_b32_sdwa v18, v25, s49 dst_sel:DWORD dst_unused:UNUSED_PAD src0_sel:BYTE_1 src1_sel:DWORD
	v_lshlrev_b32_e32 v17, 1, v18
	v_add_lshl_u32 v74, v17, v22, 2
	v_and_b32_e32 v17, 1, v18
	v_add_co_u32_e64 v19, s[40:41], -1, v17
	v_addc_co_u32_e64 v75, s[40:41], 0, -1, s[40:41]
	v_cmp_ne_u32_e64 s[40:41], 0, v17
	v_xor_b32_e32 v17, s41, v75
	v_and_b32_e32 v75, exec_hi, v17
	v_lshlrev_b32_e32 v17, 30, v18
	v_xor_b32_e32 v19, s40, v19
	v_cmp_gt_i64_e64 s[40:41], 0, v[16:17]
	v_not_b32_e32 v17, v17
	v_ashrrev_i32_e32 v17, 31, v17
	v_and_b32_e32 v19, exec_lo, v19
	v_xor_b32_e32 v76, s41, v17
	v_xor_b32_e32 v17, s40, v17
	v_and_b32_e32 v19, v19, v17
	v_lshlrev_b32_e32 v17, 29, v18
	v_cmp_gt_i64_e64 s[40:41], 0, v[16:17]
	v_not_b32_e32 v17, v17
	v_ashrrev_i32_e32 v17, 31, v17
	v_and_b32_e32 v75, v75, v76
	v_xor_b32_e32 v76, s41, v17
	v_xor_b32_e32 v17, s40, v17
	v_and_b32_e32 v19, v19, v17
	v_lshlrev_b32_e32 v17, 28, v18
	v_cmp_gt_i64_e64 s[40:41], 0, v[16:17]
	v_not_b32_e32 v17, v17
	v_ashrrev_i32_e32 v17, 31, v17
	v_and_b32_e32 v75, v75, v76
	;; [unrolled: 8-line block ×5, first 2 shown]
	v_xor_b32_e32 v76, s41, v17
	v_xor_b32_e32 v17, s40, v17
	v_and_b32_e32 v19, v19, v17
	v_lshlrev_b32_e32 v17, 24, v18
	v_cmp_gt_i64_e64 s[40:41], 0, v[16:17]
	v_not_b32_e32 v16, v17
	v_ashrrev_i32_e32 v16, 31, v16
	v_xor_b32_e32 v17, s41, v16
	v_xor_b32_e32 v16, s40, v16
	; wave barrier
	ds_read_b32 v73, v74 offset:8
	v_and_b32_e32 v75, v75, v76
	v_and_b32_e32 v16, v19, v16
	;; [unrolled: 1-line block ×3, first 2 shown]
	v_mbcnt_lo_u32_b32 v18, v16, 0
	v_mbcnt_hi_u32_b32 v75, v17, v18
	v_cmp_eq_u32_e64 s[40:41], 0, v75
	v_cmp_ne_u64_e64 s[42:43], 0, v[16:17]
	s_and_b64 s[42:43], s[42:43], s[40:41]
	; wave barrier
	s_and_saveexec_b64 s[40:41], s[42:43]
	s_cbranch_execz .LBB167_119
; %bb.118:
	v_bcnt_u32_b32 v16, v16, 0
	v_bcnt_u32_b32 v16, v17, v16
	s_waitcnt lgkmcnt(0)
	v_add_u32_e32 v16, v73, v16
	ds_write_b32 v74, v16 offset:8
.LBB167_119:
	s_or_b64 exec, exec, s[40:41]
	v_and_b32_sdwa v18, v20, s49 dst_sel:DWORD dst_unused:UNUSED_PAD src0_sel:BYTE_1 src1_sel:DWORD
	v_and_b32_e32 v17, 1, v18
	v_add_co_u32_e64 v19, s[40:41], -1, v17
	v_addc_co_u32_e64 v77, s[40:41], 0, -1, s[40:41]
	v_cmp_ne_u32_e64 s[40:41], 0, v17
	v_lshlrev_b32_e32 v16, 1, v18
	v_xor_b32_e32 v17, s41, v77
	v_add_lshl_u32 v76, v16, v22, 2
	v_mov_b32_e32 v16, 0
	v_and_b32_e32 v77, exec_hi, v17
	v_lshlrev_b32_e32 v17, 30, v18
	v_xor_b32_e32 v19, s40, v19
	v_cmp_gt_i64_e64 s[40:41], 0, v[16:17]
	v_not_b32_e32 v17, v17
	v_ashrrev_i32_e32 v17, 31, v17
	v_and_b32_e32 v19, exec_lo, v19
	v_xor_b32_e32 v78, s41, v17
	v_xor_b32_e32 v17, s40, v17
	v_and_b32_e32 v19, v19, v17
	v_lshlrev_b32_e32 v17, 29, v18
	v_cmp_gt_i64_e64 s[40:41], 0, v[16:17]
	v_not_b32_e32 v17, v17
	v_ashrrev_i32_e32 v17, 31, v17
	v_and_b32_e32 v77, v77, v78
	v_xor_b32_e32 v78, s41, v17
	v_xor_b32_e32 v17, s40, v17
	v_and_b32_e32 v19, v19, v17
	v_lshlrev_b32_e32 v17, 28, v18
	v_cmp_gt_i64_e64 s[40:41], 0, v[16:17]
	v_not_b32_e32 v17, v17
	v_ashrrev_i32_e32 v17, 31, v17
	v_and_b32_e32 v77, v77, v78
	;; [unrolled: 8-line block ×5, first 2 shown]
	v_xor_b32_e32 v78, s41, v17
	v_xor_b32_e32 v17, s40, v17
	v_and_b32_e32 v19, v19, v17
	v_lshlrev_b32_e32 v17, 24, v18
	v_cmp_gt_i64_e64 s[40:41], 0, v[16:17]
	v_not_b32_e32 v16, v17
	v_ashrrev_i32_e32 v16, 31, v16
	v_xor_b32_e32 v17, s41, v16
	v_xor_b32_e32 v16, s40, v16
	; wave barrier
	ds_read_b32 v22, v76 offset:8
	v_and_b32_e32 v77, v77, v78
	v_and_b32_e32 v16, v19, v16
	;; [unrolled: 1-line block ×3, first 2 shown]
	v_mbcnt_lo_u32_b32 v18, v16, 0
	v_mbcnt_hi_u32_b32 v77, v17, v18
	v_cmp_eq_u32_e64 s[40:41], 0, v77
	v_cmp_ne_u64_e64 s[42:43], 0, v[16:17]
	s_and_b64 s[42:43], s[42:43], s[40:41]
	; wave barrier
	s_and_saveexec_b64 s[40:41], s[42:43]
	s_cbranch_execz .LBB167_121
; %bb.120:
	v_bcnt_u32_b32 v16, v16, 0
	v_bcnt_u32_b32 v16, v17, v16
	s_waitcnt lgkmcnt(0)
	v_add_u32_e32 v16, v22, v16
	ds_write_b32 v76, v16 offset:8
.LBB167_121:
	s_or_b64 exec, exec, s[40:41]
	; wave barrier
	s_waitcnt lgkmcnt(0)
	s_barrier
	ds_read2_b32 v[18:19], v64 offset0:2 offset1:3
	ds_read2_b32 v[16:17], v23 offset0:2 offset1:3
	s_waitcnt lgkmcnt(1)
	v_add_u32_e32 v78, v19, v18
	s_waitcnt lgkmcnt(0)
	v_add3_u32 v17, v78, v16, v17
	s_nop 1
	v_mov_b32_dpp v78, v17 row_shr:1 row_mask:0xf bank_mask:0xf
	v_cndmask_b32_e64 v78, v78, 0, s[20:21]
	v_add_u32_e32 v17, v78, v17
	s_nop 1
	v_mov_b32_dpp v78, v17 row_shr:2 row_mask:0xf bank_mask:0xf
	v_cndmask_b32_e64 v78, 0, v78, s[22:23]
	v_add_u32_e32 v17, v17, v78
	s_nop 1
	v_mov_b32_dpp v78, v17 row_shr:4 row_mask:0xf bank_mask:0xf
	v_cndmask_b32_e64 v78, 0, v78, s[26:27]
	v_add_u32_e32 v17, v17, v78
	s_nop 1
	v_mov_b32_dpp v78, v17 row_shr:8 row_mask:0xf bank_mask:0xf
	v_cndmask_b32_e64 v78, 0, v78, s[28:29]
	v_add_u32_e32 v17, v17, v78
	s_nop 1
	v_mov_b32_dpp v78, v17 row_bcast:15 row_mask:0xf bank_mask:0xf
	v_cndmask_b32_e64 v78, v78, 0, vcc
	v_add_u32_e32 v17, v17, v78
	s_nop 1
	v_mov_b32_dpp v78, v17 row_bcast:31 row_mask:0xf bank_mask:0xf
	v_cndmask_b32_e64 v78, 0, v78, s[34:35]
	v_add_u32_e32 v17, v17, v78
	s_and_saveexec_b64 s[20:21], s[16:17]
	s_cbranch_execz .LBB167_123
; %bb.122:
	ds_write_b32 v24, v17
.LBB167_123:
	s_or_b64 exec, exec, s[20:21]
	s_waitcnt lgkmcnt(0)
	s_barrier
	s_and_saveexec_b64 s[16:17], s[24:25]
	s_cbranch_execz .LBB167_125
; %bb.124:
	ds_read_b32 v24, v21
	s_waitcnt lgkmcnt(0)
	s_nop 0
	v_mov_b32_dpp v78, v24 row_shr:1 row_mask:0xf bank_mask:0xf
	v_cndmask_b32_e64 v78, v78, 0, s[18:19]
	v_add_u32_e32 v24, v78, v24
	ds_write_b32 v21, v24
.LBB167_125:
	s_or_b64 exec, exec, s[16:17]
	v_mov_b32_e32 v21, 0
	s_waitcnt lgkmcnt(0)
	s_barrier
	s_and_saveexec_b64 s[16:17], s[30:31]
	s_cbranch_execz .LBB167_127
; %bb.126:
	ds_read_b32 v21, v33
.LBB167_127:
	s_or_b64 exec, exec, s[16:17]
	s_waitcnt lgkmcnt(0)
	v_add_u32_e32 v17, v21, v17
	ds_bpermute_b32 v17, v34, v17
	v_lshlrev_b32_e32 v34, 3, v62
	s_waitcnt lgkmcnt(0)
	v_cndmask_b32_e64 v17, v17, v21, s[36:37]
	v_cndmask_b32_e64 v17, v17, 0, s[38:39]
	v_add_u32_e32 v18, v17, v18
	v_add_u32_e32 v19, v18, v19
	;; [unrolled: 1-line block ×3, first 2 shown]
	ds_write2_b32 v64, v17, v18 offset0:2 offset1:3
	ds_write2_b32 v23, v19, v16 offset0:2 offset1:3
	s_waitcnt lgkmcnt(0)
	s_barrier
	ds_read_b32 v16, v76 offset:8
	ds_read_b32 v17, v74 offset:8
	;; [unrolled: 1-line block ×4, first 2 shown]
	s_waitcnt lgkmcnt(3)
	v_add3_u32 v16, v77, v22, v16
	ds_read_b32 v21, v65 offset:8
	ds_read_b32 v22, v40 offset:8
	;; [unrolled: 1-line block ×4, first 2 shown]
	s_waitcnt lgkmcnt(0)
	s_barrier
	v_add3_u32 v22, v41, v39, v22
	v_add3_u32 v23, v38, v36, v23
	v_add_u32_e32 v24, v24, v35
	v_lshlrev_b32_e32 v32, 1, v24
	ds_write_b16 v32, v31
	v_lshlrev_b32_e32 v31, 1, v23
	v_add3_u32 v21, v66, v46, v21
	ds_write_b16 v31, v30
	v_lshlrev_b32_e32 v30, 1, v22
	v_add3_u32 v19, v69, v67, v19
	;; [unrolled: 3-line block ×4, first 2 shown]
	ds_write_b16 v28, v27
	v_lshlrev_b32_e32 v27, 1, v18
	ds_write_b16 v27, v26
	v_lshlrev_b32_e32 v26, 1, v17
	ds_write_b16 v26, v25
	v_lshlrev_b32_e32 v25, 1, v16
	ds_write_b16 v25, v20
	v_lshlrev_b32_e32 v20, 1, v62
	v_lshlrev_b32_e32 v24, 3, v24
	v_lshlrev_b32_e32 v23, 3, v23
	;; [unrolled: 1-line block ×7, first 2 shown]
	s_waitcnt lgkmcnt(0)
	s_barrier
	v_lshlrev_b32_e32 v21, 3, v21
	ds_read_b128 v[16:19], v20
	s_waitcnt lgkmcnt(0)
	s_barrier
	ds_write_b64 v24, v[12:13]
	ds_write_b64 v23, v[14:15]
	;; [unrolled: 1-line block ×8, first 2 shown]
	s_waitcnt lgkmcnt(0)
	s_barrier
	ds_read2_b64 v[22:25], v34 offset1:1
	ds_read2_b64 v[26:29], v34 offset0:2 offset1:3
	ds_read2_b64 v[30:33], v34 offset0:4 offset1:5
	ds_read2_b64 v[34:37], v34 offset0:6 offset1:7
	v_xor_b32_e32 v38, 0x7fff7fff, v16
	v_xor_b32_e32 v39, 0x7fff7fff, v17
	;; [unrolled: 1-line block ×4, first 2 shown]
.LBB167_128:
	s_waitcnt lgkmcnt(0)
	s_barrier
	ds_write_b128 v54, v[38:41]
	s_waitcnt lgkmcnt(0)
	s_barrier
	ds_read_u16 v8, v43 offset:256
	ds_read_u16 v7, v48 offset:512
	;; [unrolled: 1-line block ×7, first 2 shown]
	v_mov_b32_e32 v43, 0
	v_lshlrev_b64 v[0:1], 1, v[42:43]
	v_mov_b32_e32 v9, s44
	v_add_co_u32_e32 v0, vcc, s33, v0
	v_addc_co_u32_e32 v1, vcc, v9, v1, vcc
	s_and_saveexec_b64 s[16:17], s[0:1]
	s_cbranch_execnz .LBB167_147
; %bb.129:
	s_or_b64 exec, exec, s[16:17]
	s_and_saveexec_b64 s[16:17], s[2:3]
	s_cbranch_execnz .LBB167_148
.LBB167_130:
	s_or_b64 exec, exec, s[16:17]
	s_and_saveexec_b64 s[16:17], s[4:5]
	s_cbranch_execnz .LBB167_149
.LBB167_131:
	s_or_b64 exec, exec, s[16:17]
	s_and_saveexec_b64 s[16:17], s[6:7]
	s_cbranch_execnz .LBB167_150
.LBB167_132:
	s_or_b64 exec, exec, s[16:17]
	s_and_saveexec_b64 s[16:17], s[8:9]
	s_cbranch_execnz .LBB167_151
.LBB167_133:
	s_or_b64 exec, exec, s[16:17]
	s_and_saveexec_b64 s[16:17], s[10:11]
	s_cbranch_execnz .LBB167_152
.LBB167_134:
	s_or_b64 exec, exec, s[16:17]
	s_and_saveexec_b64 s[16:17], s[12:13]
	s_cbranch_execnz .LBB167_153
.LBB167_135:
	s_or_b64 exec, exec, s[16:17]
	s_and_saveexec_b64 s[16:17], s[14:15]
	s_cbranch_execz .LBB167_137
.LBB167_136:
	s_mul_i32 s18, s46, 0x380
	s_mov_b32 s19, 0
	s_lshl_b64 s[18:19], s[18:19], 1
	s_waitcnt lgkmcnt(1)
	v_mov_b32_e32 v3, s19
	v_add_co_u32_e32 v0, vcc, s18, v0
	v_addc_co_u32_e32 v1, vcc, v1, v3, vcc
	s_waitcnt lgkmcnt(0)
	global_store_short v[0:1], v2, off
.LBB167_137:
	s_or_b64 exec, exec, s[16:17]
	s_waitcnt lgkmcnt(0)
	s_barrier
	ds_write2_b64 v63, v[22:23], v[24:25] offset1:1
	ds_write2_b64 v63, v[26:27], v[28:29] offset0:2 offset1:3
	ds_write2_b64 v63, v[30:31], v[32:33] offset0:4 offset1:5
	;; [unrolled: 1-line block ×3, first 2 shown]
	s_waitcnt lgkmcnt(0)
	s_barrier
	ds_read_b64 v[14:15], v45 offset:1024
	ds_read_b64 v[12:13], v56 offset:2048
	;; [unrolled: 1-line block ×7, first 2 shown]
	v_mov_b32_e32 v45, 0
	v_lshlrev_b64 v[2:3], 3, v[44:45]
	v_mov_b32_e32 v16, s47
	v_add_co_u32_e32 v2, vcc, s45, v2
	v_addc_co_u32_e32 v3, vcc, v16, v3, vcc
	s_and_saveexec_b64 s[16:17], s[0:1]
	s_cbranch_execnz .LBB167_154
; %bb.138:
	s_or_b64 exec, exec, s[16:17]
	s_and_saveexec_b64 s[0:1], s[2:3]
	s_cbranch_execnz .LBB167_155
.LBB167_139:
	s_or_b64 exec, exec, s[0:1]
	s_and_saveexec_b64 s[0:1], s[4:5]
	s_cbranch_execnz .LBB167_156
.LBB167_140:
	s_or_b64 exec, exec, s[0:1]
	s_and_saveexec_b64 s[0:1], s[6:7]
	s_cbranch_execnz .LBB167_157
.LBB167_141:
	s_or_b64 exec, exec, s[0:1]
	s_and_saveexec_b64 s[0:1], s[8:9]
	s_cbranch_execnz .LBB167_158
.LBB167_142:
	s_or_b64 exec, exec, s[0:1]
	s_and_saveexec_b64 s[0:1], s[10:11]
	s_cbranch_execnz .LBB167_159
.LBB167_143:
	s_or_b64 exec, exec, s[0:1]
	s_and_saveexec_b64 s[0:1], s[12:13]
	s_cbranch_execnz .LBB167_160
.LBB167_144:
	s_or_b64 exec, exec, s[0:1]
	s_and_saveexec_b64 s[0:1], s[14:15]
	s_cbranch_execz .LBB167_146
.LBB167_145:
	s_mul_i32 s0, s48, 0x380
	s_mov_b32 s1, 0
	s_lshl_b64 s[0:1], s[0:1], 3
	s_waitcnt lgkmcnt(1)
	v_mov_b32_e32 v4, s1
	v_add_co_u32_e32 v2, vcc, s0, v2
	v_addc_co_u32_e32 v3, vcc, v3, v4, vcc
	s_waitcnt lgkmcnt(0)
	global_store_dwordx2 v[2:3], v[0:1], off
.LBB167_146:
	s_endpgm
.LBB167_147:
	ds_read_u16 v9, v47
	s_waitcnt lgkmcnt(0)
	global_store_short v[0:1], v9, off
	s_or_b64 exec, exec, s[16:17]
	s_and_saveexec_b64 s[16:17], s[2:3]
	s_cbranch_execz .LBB167_130
.LBB167_148:
	s_lshl_b32 s18, s46, 7
	s_mov_b32 s19, 0
	s_lshl_b64 s[18:19], s[18:19], 1
	v_mov_b32_e32 v9, s19
	v_add_co_u32_e32 v10, vcc, s18, v0
	v_addc_co_u32_e32 v11, vcc, v1, v9, vcc
	s_waitcnt lgkmcnt(6)
	global_store_short v[10:11], v8, off
	s_or_b64 exec, exec, s[16:17]
	s_and_saveexec_b64 s[16:17], s[4:5]
	s_cbranch_execz .LBB167_131
.LBB167_149:
	s_lshl_b32 s18, s46, 8
	s_mov_b32 s19, 0
	s_lshl_b64 s[18:19], s[18:19], 1
	v_mov_b32_e32 v9, s19
	s_waitcnt lgkmcnt(6)
	v_add_co_u32_e32 v8, vcc, s18, v0
	v_addc_co_u32_e32 v9, vcc, v1, v9, vcc
	s_waitcnt lgkmcnt(5)
	global_store_short v[8:9], v7, off
	s_or_b64 exec, exec, s[16:17]
	s_and_saveexec_b64 s[16:17], s[6:7]
	s_cbranch_execz .LBB167_132
.LBB167_150:
	s_mul_i32 s18, s46, 0x180
	s_mov_b32 s19, 0
	s_lshl_b64 s[18:19], s[18:19], 1
	s_waitcnt lgkmcnt(5)
	v_mov_b32_e32 v7, s19
	v_add_co_u32_e32 v8, vcc, s18, v0
	v_addc_co_u32_e32 v9, vcc, v1, v7, vcc
	s_waitcnt lgkmcnt(4)
	global_store_short v[8:9], v6, off
	s_or_b64 exec, exec, s[16:17]
	s_and_saveexec_b64 s[16:17], s[8:9]
	s_cbranch_execz .LBB167_133
.LBB167_151:
	s_lshl_b32 s18, s46, 9
	s_mov_b32 s19, 0
	s_lshl_b64 s[18:19], s[18:19], 1
	s_waitcnt lgkmcnt(5)
	v_mov_b32_e32 v7, s19
	s_waitcnt lgkmcnt(4)
	v_add_co_u32_e32 v6, vcc, s18, v0
	v_addc_co_u32_e32 v7, vcc, v1, v7, vcc
	s_waitcnt lgkmcnt(3)
	global_store_short v[6:7], v5, off
	s_or_b64 exec, exec, s[16:17]
	s_and_saveexec_b64 s[16:17], s[10:11]
	s_cbranch_execz .LBB167_134
.LBB167_152:
	s_mul_i32 s18, s46, 0x280
	s_mov_b32 s19, 0
	s_lshl_b64 s[18:19], s[18:19], 1
	s_waitcnt lgkmcnt(3)
	v_mov_b32_e32 v5, s19
	v_add_co_u32_e32 v6, vcc, s18, v0
	v_addc_co_u32_e32 v7, vcc, v1, v5, vcc
	s_waitcnt lgkmcnt(2)
	global_store_short v[6:7], v4, off
	s_or_b64 exec, exec, s[16:17]
	s_and_saveexec_b64 s[16:17], s[12:13]
	s_cbranch_execz .LBB167_135
.LBB167_153:
	s_mul_i32 s18, s46, 0x300
	s_mov_b32 s19, 0
	s_lshl_b64 s[18:19], s[18:19], 1
	s_waitcnt lgkmcnt(3)
	v_mov_b32_e32 v5, s19
	s_waitcnt lgkmcnt(2)
	v_add_co_u32_e32 v4, vcc, s18, v0
	v_addc_co_u32_e32 v5, vcc, v1, v5, vcc
	s_waitcnt lgkmcnt(1)
	global_store_short v[4:5], v3, off
	s_or_b64 exec, exec, s[16:17]
	s_and_saveexec_b64 s[16:17], s[14:15]
	s_cbranch_execnz .LBB167_136
	s_branch .LBB167_137
.LBB167_154:
	ds_read_b64 v[16:17], v55
	s_waitcnt lgkmcnt(0)
	global_store_dwordx2 v[2:3], v[16:17], off
	s_or_b64 exec, exec, s[16:17]
	s_and_saveexec_b64 s[0:1], s[2:3]
	s_cbranch_execz .LBB167_139
.LBB167_155:
	s_lshl_b32 s2, s48, 7
	s_mov_b32 s3, 0
	s_lshl_b64 s[2:3], s[2:3], 3
	v_mov_b32_e32 v17, s3
	v_add_co_u32_e32 v16, vcc, s2, v2
	v_addc_co_u32_e32 v17, vcc, v3, v17, vcc
	s_waitcnt lgkmcnt(6)
	global_store_dwordx2 v[16:17], v[14:15], off
	s_or_b64 exec, exec, s[0:1]
	s_and_saveexec_b64 s[0:1], s[4:5]
	s_cbranch_execz .LBB167_140
.LBB167_156:
	s_lshl_b32 s2, s48, 8
	s_mov_b32 s3, 0
	s_lshl_b64 s[2:3], s[2:3], 3
	s_waitcnt lgkmcnt(6)
	v_mov_b32_e32 v15, s3
	v_add_co_u32_e32 v14, vcc, s2, v2
	v_addc_co_u32_e32 v15, vcc, v3, v15, vcc
	s_waitcnt lgkmcnt(5)
	global_store_dwordx2 v[14:15], v[12:13], off
	s_or_b64 exec, exec, s[0:1]
	s_and_saveexec_b64 s[0:1], s[6:7]
	s_cbranch_execz .LBB167_141
.LBB167_157:
	s_mul_i32 s2, s48, 0x180
	s_mov_b32 s3, 0
	s_lshl_b64 s[2:3], s[2:3], 3
	s_waitcnt lgkmcnt(5)
	v_mov_b32_e32 v13, s3
	v_add_co_u32_e32 v12, vcc, s2, v2
	v_addc_co_u32_e32 v13, vcc, v3, v13, vcc
	s_waitcnt lgkmcnt(4)
	global_store_dwordx2 v[12:13], v[10:11], off
	s_or_b64 exec, exec, s[0:1]
	s_and_saveexec_b64 s[0:1], s[8:9]
	s_cbranch_execz .LBB167_142
.LBB167_158:
	s_lshl_b32 s2, s48, 9
	s_mov_b32 s3, 0
	s_lshl_b64 s[2:3], s[2:3], 3
	s_waitcnt lgkmcnt(4)
	v_mov_b32_e32 v11, s3
	v_add_co_u32_e32 v10, vcc, s2, v2
	v_addc_co_u32_e32 v11, vcc, v3, v11, vcc
	s_waitcnt lgkmcnt(3)
	global_store_dwordx2 v[10:11], v[8:9], off
	s_or_b64 exec, exec, s[0:1]
	s_and_saveexec_b64 s[0:1], s[10:11]
	s_cbranch_execz .LBB167_143
.LBB167_159:
	s_mul_i32 s2, s48, 0x280
	s_mov_b32 s3, 0
	s_lshl_b64 s[2:3], s[2:3], 3
	s_waitcnt lgkmcnt(3)
	v_mov_b32_e32 v9, s3
	v_add_co_u32_e32 v8, vcc, s2, v2
	v_addc_co_u32_e32 v9, vcc, v3, v9, vcc
	s_waitcnt lgkmcnt(2)
	global_store_dwordx2 v[8:9], v[6:7], off
	s_or_b64 exec, exec, s[0:1]
	s_and_saveexec_b64 s[0:1], s[12:13]
	s_cbranch_execz .LBB167_144
.LBB167_160:
	s_mul_i32 s2, s48, 0x300
	s_mov_b32 s3, 0
	s_lshl_b64 s[2:3], s[2:3], 3
	s_waitcnt lgkmcnt(2)
	v_mov_b32_e32 v7, s3
	v_add_co_u32_e32 v6, vcc, s2, v2
	v_addc_co_u32_e32 v7, vcc, v3, v7, vcc
	s_waitcnt lgkmcnt(1)
	global_store_dwordx2 v[6:7], v[4:5], off
	s_or_b64 exec, exec, s[0:1]
	s_and_saveexec_b64 s[0:1], s[14:15]
	s_cbranch_execnz .LBB167_145
	s_branch .LBB167_146
	.section	.rodata,"a",@progbits
	.p2align	6, 0x0
	.amdhsa_kernel _ZN2at6native18radixSortKVInPlaceILi2ELin1ELi128ELi8EsljEEvNS_4cuda6detail10TensorInfoIT3_T5_EES6_S6_S6_NS4_IT4_S6_EES6_b
		.amdhsa_group_segment_fixed_size 8448
		.amdhsa_private_segment_fixed_size 0
		.amdhsa_kernarg_size 712
		.amdhsa_user_sgpr_count 6
		.amdhsa_user_sgpr_private_segment_buffer 1
		.amdhsa_user_sgpr_dispatch_ptr 0
		.amdhsa_user_sgpr_queue_ptr 0
		.amdhsa_user_sgpr_kernarg_segment_ptr 1
		.amdhsa_user_sgpr_dispatch_id 0
		.amdhsa_user_sgpr_flat_scratch_init 0
		.amdhsa_user_sgpr_kernarg_preload_length 0
		.amdhsa_user_sgpr_kernarg_preload_offset 0
		.amdhsa_user_sgpr_private_segment_size 0
		.amdhsa_uses_dynamic_stack 0
		.amdhsa_system_sgpr_private_segment_wavefront_offset 0
		.amdhsa_system_sgpr_workgroup_id_x 1
		.amdhsa_system_sgpr_workgroup_id_y 1
		.amdhsa_system_sgpr_workgroup_id_z 1
		.amdhsa_system_sgpr_workgroup_info 0
		.amdhsa_system_vgpr_workitem_id 2
		.amdhsa_next_free_vgpr 113
		.amdhsa_next_free_sgpr 52
		.amdhsa_accum_offset 116
		.amdhsa_reserve_vcc 1
		.amdhsa_reserve_flat_scratch 0
		.amdhsa_float_round_mode_32 0
		.amdhsa_float_round_mode_16_64 0
		.amdhsa_float_denorm_mode_32 3
		.amdhsa_float_denorm_mode_16_64 3
		.amdhsa_dx10_clamp 1
		.amdhsa_ieee_mode 1
		.amdhsa_fp16_overflow 0
		.amdhsa_tg_split 0
		.amdhsa_exception_fp_ieee_invalid_op 0
		.amdhsa_exception_fp_denorm_src 0
		.amdhsa_exception_fp_ieee_div_zero 0
		.amdhsa_exception_fp_ieee_overflow 0
		.amdhsa_exception_fp_ieee_underflow 0
		.amdhsa_exception_fp_ieee_inexact 0
		.amdhsa_exception_int_div_zero 0
	.end_amdhsa_kernel
	.section	.text._ZN2at6native18radixSortKVInPlaceILi2ELin1ELi128ELi8EsljEEvNS_4cuda6detail10TensorInfoIT3_T5_EES6_S6_S6_NS4_IT4_S6_EES6_b,"axG",@progbits,_ZN2at6native18radixSortKVInPlaceILi2ELin1ELi128ELi8EsljEEvNS_4cuda6detail10TensorInfoIT3_T5_EES6_S6_S6_NS4_IT4_S6_EES6_b,comdat
.Lfunc_end167:
	.size	_ZN2at6native18radixSortKVInPlaceILi2ELin1ELi128ELi8EsljEEvNS_4cuda6detail10TensorInfoIT3_T5_EES6_S6_S6_NS4_IT4_S6_EES6_b, .Lfunc_end167-_ZN2at6native18radixSortKVInPlaceILi2ELin1ELi128ELi8EsljEEvNS_4cuda6detail10TensorInfoIT3_T5_EES6_S6_S6_NS4_IT4_S6_EES6_b
                                        ; -- End function
	.section	.AMDGPU.csdata,"",@progbits
; Kernel info:
; codeLenInByte = 20480
; NumSgprs: 56
; NumVgprs: 113
; NumAgprs: 0
; TotalNumVgprs: 113
; ScratchSize: 0
; MemoryBound: 0
; FloatMode: 240
; IeeeMode: 1
; LDSByteSize: 8448 bytes/workgroup (compile time only)
; SGPRBlocks: 6
; VGPRBlocks: 14
; NumSGPRsForWavesPerEU: 56
; NumVGPRsForWavesPerEU: 113
; AccumOffset: 116
; Occupancy: 4
; WaveLimiterHint : 1
; COMPUTE_PGM_RSRC2:SCRATCH_EN: 0
; COMPUTE_PGM_RSRC2:USER_SGPR: 6
; COMPUTE_PGM_RSRC2:TRAP_HANDLER: 0
; COMPUTE_PGM_RSRC2:TGID_X_EN: 1
; COMPUTE_PGM_RSRC2:TGID_Y_EN: 1
; COMPUTE_PGM_RSRC2:TGID_Z_EN: 1
; COMPUTE_PGM_RSRC2:TIDIG_COMP_CNT: 2
; COMPUTE_PGM_RSRC3_GFX90A:ACCUM_OFFSET: 28
; COMPUTE_PGM_RSRC3_GFX90A:TG_SPLIT: 0
	.section	.text._ZN2at6native18radixSortKVInPlaceILi2ELin1ELi32ELi4EsljEEvNS_4cuda6detail10TensorInfoIT3_T5_EES6_S6_S6_NS4_IT4_S6_EES6_b,"axG",@progbits,_ZN2at6native18radixSortKVInPlaceILi2ELin1ELi32ELi4EsljEEvNS_4cuda6detail10TensorInfoIT3_T5_EES6_S6_S6_NS4_IT4_S6_EES6_b,comdat
	.protected	_ZN2at6native18radixSortKVInPlaceILi2ELin1ELi32ELi4EsljEEvNS_4cuda6detail10TensorInfoIT3_T5_EES6_S6_S6_NS4_IT4_S6_EES6_b ; -- Begin function _ZN2at6native18radixSortKVInPlaceILi2ELin1ELi32ELi4EsljEEvNS_4cuda6detail10TensorInfoIT3_T5_EES6_S6_S6_NS4_IT4_S6_EES6_b
	.globl	_ZN2at6native18radixSortKVInPlaceILi2ELin1ELi32ELi4EsljEEvNS_4cuda6detail10TensorInfoIT3_T5_EES6_S6_S6_NS4_IT4_S6_EES6_b
	.p2align	8
	.type	_ZN2at6native18radixSortKVInPlaceILi2ELin1ELi32ELi4EsljEEvNS_4cuda6detail10TensorInfoIT3_T5_EES6_S6_S6_NS4_IT4_S6_EES6_b,@function
_ZN2at6native18radixSortKVInPlaceILi2ELin1ELi32ELi4EsljEEvNS_4cuda6detail10TensorInfoIT3_T5_EES6_S6_S6_NS4_IT4_S6_EES6_b: ; @_ZN2at6native18radixSortKVInPlaceILi2ELin1ELi32ELi4EsljEEvNS_4cuda6detail10TensorInfoIT3_T5_EES6_S6_S6_NS4_IT4_S6_EES6_b
; %bb.0:
	s_load_dwordx2 s[0:1], s[4:5], 0x1c8
	s_load_dwordx4 s[24:27], s[4:5], 0xd8
	s_waitcnt lgkmcnt(0)
	s_mul_i32 s1, s1, s8
	s_add_i32 s1, s1, s7
	s_mul_i32 s12, s1, s0
	s_add_i32 s12, s12, s6
	s_cmp_ge_u32 s12, s24
	s_cbranch_scc1 .LBB168_60
; %bb.1:
	s_load_dword s13, s[4:5], 0xc
	s_load_dwordx2 s[0:1], s[4:5], 0x6c
	s_load_dword s8, s[4:5], 0x1b8
	s_add_u32 s6, s4, 0xe8
	s_load_dwordx2 s[2:3], s[4:5], 0x0
	s_waitcnt lgkmcnt(0)
	v_cvt_f32_u32_e32 v1, s13
	s_addc_u32 s7, s5, 0
	s_sub_i32 s9, 0, s13
	s_mov_b32 s11, 0
	v_rcp_iflag_f32_e32 v1, v1
	v_mul_f32_e32 v1, 0x4f7ffffe, v1
	v_cvt_u32_f32_e32 v1, v1
	v_readfirstlane_b32 s10, v1
	s_mul_i32 s9, s9, s10
	s_mul_hi_u32 s9, s10, s9
	s_add_i32 s10, s10, s9
	s_mul_hi_u32 s14, s12, s10
	s_cmp_lt_i32 s8, 2
	s_mov_b32 s10, s12
	s_cbranch_scc1 .LBB168_4
; %bb.2:
	s_add_i32 s10, s8, -1
	s_add_i32 s15, s8, 1
	s_lshl_b64 s[8:9], s[10:11], 2
	s_add_u32 s8, s8, s6
	s_addc_u32 s9, s9, s7
	s_add_u32 s8, s8, 8
	s_addc_u32 s9, s9, 0
	s_mov_b32 s10, s12
.LBB168_3:                              ; =>This Inner Loop Header: Depth=1
	s_load_dword s16, s[8:9], 0x0
	s_load_dword s18, s[8:9], 0x64
	s_mov_b32 s17, s10
	s_waitcnt lgkmcnt(0)
	v_cvt_f32_u32_e32 v1, s16
	s_sub_i32 s10, 0, s16
	v_rcp_iflag_f32_e32 v1, v1
	v_mul_f32_e32 v1, 0x4f7ffffe, v1
	v_cvt_u32_f32_e32 v1, v1
	v_readfirstlane_b32 s19, v1
	s_mul_i32 s10, s10, s19
	s_mul_hi_u32 s10, s19, s10
	s_add_i32 s19, s19, s10
	s_mul_hi_u32 s10, s17, s19
	s_mul_i32 s19, s10, s16
	s_sub_i32 s19, s17, s19
	s_add_i32 s20, s10, 1
	s_sub_i32 s21, s19, s16
	s_cmp_ge_u32 s19, s16
	s_cselect_b32 s10, s20, s10
	s_cselect_b32 s19, s21, s19
	s_add_i32 s20, s10, 1
	s_cmp_ge_u32 s19, s16
	s_cselect_b32 s10, s20, s10
	s_mul_i32 s16, s10, s16
	s_sub_i32 s16, s17, s16
	s_mul_i32 s16, s18, s16
	s_add_i32 s15, s15, -1
	s_add_i32 s11, s16, s11
	s_add_u32 s8, s8, -4
	s_addc_u32 s9, s9, -1
	s_cmp_gt_u32 s15, 2
	s_cbranch_scc1 .LBB168_3
.LBB168_4:
	s_mul_i32 s8, s14, s13
	s_sub_i32 s8, s12, s8
	s_add_i32 s9, s14, 1
	s_sub_i32 s15, s8, s13
	s_cmp_ge_u32 s8, s13
	s_cselect_b32 s9, s9, s14
	s_cselect_b32 s8, s15, s8
	s_add_i32 s14, s9, 1
	s_cmp_ge_u32 s8, s13
	s_cselect_b32 s8, s14, s9
	s_load_dwordx2 s[28:29], s[4:5], 0x1c0
	s_mul_i32 s9, s8, s13
	s_sub_i32 s4, s12, s9
	s_mul_i32 s4, s4, s1
	s_mul_i32 s0, s8, s0
	s_add_i32 s0, s0, s4
	s_waitcnt lgkmcnt(0)
	s_bitcmp1_b32 s29, 0
	s_cselect_b64 s[8:9], -1, 0
	s_mov_b32 s1, 0x8000
	s_and_b64 s[4:5], s[8:9], exec
	s_cselect_b32 s4, s1, 0x7fff
	s_mov_b32 s1, 0
	s_lshl_b64 s[0:1], s[0:1], 1
	s_add_u32 s27, s2, s0
	s_pack_ll_b32_b16 s2, s4, s4
	s_addc_u32 s29, s3, s1
	s_mov_b32 s3, s2
	v_cmp_gt_u32_e64 s[0:1], s25, v0
	v_pk_mov_b32 v[2:3], s[2:3], s[2:3] op_sel:[0,1]
	v_mov_b32_e32 v4, s4
	v_mul_lo_u32 v18, v0, s26
	s_and_saveexec_b64 s[4:5], s[0:1]
	s_cbranch_execz .LBB168_6
; %bb.5:
	v_mov_b32_e32 v19, 0
	v_lshlrev_b64 v[2:3], 1, v[18:19]
	v_mov_b32_e32 v1, s29
	v_add_co_u32_e32 v2, vcc, s27, v2
	v_addc_co_u32_e32 v3, vcc, v1, v3, vcc
	global_load_ushort v4, v[2:3], off
	s_mov_b32 s3, 0xffff
	v_mov_b32_e32 v1, s2
	v_mov_b32_e32 v3, s2
	s_waitcnt vmcnt(0)
	v_bfi_b32 v2, s3, v4, v1
.LBB168_6:
	s_or_b64 exec, exec, s[4:5]
	v_or_b32_e32 v1, 32, v0
	v_cmp_gt_u32_e64 s[2:3], s25, v1
	s_and_saveexec_b64 s[4:5], s[2:3]
	s_cbranch_execz .LBB168_8
; %bb.7:
	v_mul_lo_u32 v6, v1, s26
	v_mov_b32_e32 v7, 0
	v_lshlrev_b64 v[6:7], 1, v[6:7]
	v_mov_b32_e32 v5, s29
	v_add_co_u32_e32 v6, vcc, s27, v6
	v_addc_co_u32_e32 v7, vcc, v5, v7, vcc
	global_load_ushort v5, v[6:7], off
	s_mov_b32 s12, 0x5040100
	s_waitcnt vmcnt(0)
	v_perm_b32 v2, v5, v2, s12
.LBB168_8:
	s_or_b64 exec, exec, s[4:5]
	s_load_dwordx2 s[12:13], s[6:7], 0x0
	v_or_b32_e32 v11, 64, v0
	v_cmp_gt_u32_e64 s[4:5], s25, v11
	s_and_saveexec_b64 s[14:15], s[4:5]
	s_cbranch_execz .LBB168_10
; %bb.9:
	v_mul_lo_u32 v6, v11, s26
	v_mov_b32_e32 v7, 0
	v_lshlrev_b64 v[6:7], 1, v[6:7]
	v_mov_b32_e32 v5, s29
	v_add_co_u32_e32 v6, vcc, s27, v6
	v_addc_co_u32_e32 v7, vcc, v5, v7, vcc
	global_load_ushort v5, v[6:7], off
	s_mov_b32 s16, 0xffff
	s_waitcnt vmcnt(0)
	v_bfi_b32 v3, s16, v5, v3
.LBB168_10:
	s_or_b64 exec, exec, s[14:15]
	s_load_dword s16, s[6:7], 0x6c
	v_or_b32_e32 v12, 0x60, v0
	v_cmp_gt_u32_e64 s[6:7], s25, v12
	s_and_saveexec_b64 s[14:15], s[6:7]
	s_cbranch_execz .LBB168_12
; %bb.11:
	v_mul_lo_u32 v6, v12, s26
	v_mov_b32_e32 v7, 0
	v_lshlrev_b64 v[6:7], 1, v[6:7]
	v_mov_b32_e32 v5, s29
	v_add_co_u32_e32 v6, vcc, s27, v6
	v_addc_co_u32_e32 v7, vcc, v5, v7, vcc
	global_load_ushort v5, v[6:7], off
	s_mov_b32 s17, 0x5040100
	s_waitcnt vmcnt(0)
	v_perm_b32 v3, v5, v3, s17
.LBB168_12:
	s_or_b64 exec, exec, s[14:15]
	v_lshlrev_b32_e32 v34, 1, v0
	v_lshrrev_b32_e32 v14, 5, v11
	ds_write_b16 v34, v4
	ds_write_b16_d16_hi v34, v2 offset:64
	v_and_b32_e32 v2, 2, v14
	v_lshrrev_b32_e32 v13, 5, v12
	v_add_lshl_u32 v19, v2, v0, 1
	v_and_b32_e32 v2, 2, v13
	v_lshlrev_b32_e32 v10, 2, v0
	v_lshrrev_b32_e32 v15, 3, v0
	v_add_lshl_u32 v35, v2, v0, 1
	v_and_or_b32 v2, v15, 2, v10
	v_lshlrev_b32_e32 v36, 1, v2
	s_waitcnt lgkmcnt(0)
	s_mul_i32 s10, s16, s10
	ds_write_b16 v19, v3 offset:128
	ds_write_b16_d16_hi v35, v3 offset:192
	s_waitcnt lgkmcnt(0)
	; wave barrier
	s_waitcnt lgkmcnt(0)
	ds_read_b64 v[22:23], v36
	s_add_i32 s16, s10, s11
	s_mov_b32 s17, 0
	s_lshl_b64 s[10:11], s[16:17], 3
	s_mov_b32 s16, s17
	s_add_u32 s33, s12, s10
	s_mov_b32 s18, s17
	s_mov_b32 s19, s17
	;; [unrolled: 1-line block ×6, first 2 shown]
	v_pk_mov_b32 v[2:3], s[16:17], s[16:17] op_sel:[0,1]
	s_addc_u32 s38, s13, s11
	v_pk_mov_b32 v[4:5], s[18:19], s[18:19] op_sel:[0,1]
	v_pk_mov_b32 v[6:7], s[20:21], s[20:21] op_sel:[0,1]
	;; [unrolled: 1-line block ×3, first 2 shown]
	v_pk_mov_b32 v[2:3], 0, 0
	v_mul_lo_u32 v20, v0, s28
	s_waitcnt lgkmcnt(0)
	; wave barrier
	s_waitcnt lgkmcnt(0)
	s_and_saveexec_b64 s[10:11], s[0:1]
	s_cbranch_execnz .LBB168_33
; %bb.13:
	s_or_b64 exec, exec, s[10:11]
	s_and_saveexec_b64 s[10:11], s[2:3]
	s_cbranch_execnz .LBB168_34
.LBB168_14:
	s_or_b64 exec, exec, s[10:11]
	s_and_saveexec_b64 s[10:11], s[4:5]
	s_cbranch_execz .LBB168_16
.LBB168_15:
	v_mul_lo_u32 v6, v11, s28
	v_mov_b32_e32 v7, 0
	v_lshlrev_b64 v[6:7], 3, v[6:7]
	v_mov_b32_e32 v11, s38
	v_add_co_u32_e32 v6, vcc, s33, v6
	v_addc_co_u32_e32 v7, vcc, v11, v7, vcc
	global_load_dwordx2 v[6:7], v[6:7], off
.LBB168_16:
	s_or_b64 exec, exec, s[10:11]
	s_xor_b64 s[24:25], s[8:9], -1
	v_lshrrev_b32_e32 v11, 5, v1
	s_and_saveexec_b64 s[8:9], s[6:7]
	s_cbranch_execz .LBB168_18
; %bb.17:
	v_mul_lo_u32 v8, v12, s28
	v_mov_b32_e32 v9, 0
	v_lshlrev_b64 v[8:9], 3, v[8:9]
	v_mov_b32_e32 v12, s38
	v_add_co_u32_e32 v8, vcc, s33, v8
	v_addc_co_u32_e32 v9, vcc, v12, v9, vcc
	global_load_dwordx2 v[8:9], v[8:9], off
.LBB168_18:
	s_or_b64 exec, exec, s[8:9]
	v_add_lshl_u32 v21, v11, v0, 3
	v_mbcnt_lo_u32_b32 v11, -1, 0
	v_mbcnt_hi_u32_b32 v11, -1, v11
	v_lshlrev_b32_e32 v37, 3, v0
	v_add_lshl_u32 v38, v14, v0, 3
	v_add_lshl_u32 v39, v13, v0, 3
	;; [unrolled: 1-line block ×3, first 2 shown]
	s_getpc_b64 s[8:9]
	s_add_u32 s8, s8, _ZN7rocprim17ROCPRIM_400000_NS16block_radix_sortIsLj32ELj4ElLj1ELj1ELj0ELNS0_26block_radix_rank_algorithmE1ELNS0_18block_padding_hintE2ELNS0_4arch9wavefront6targetE1EE19radix_bits_per_passE@rel32@lo+4
	s_addc_u32 s9, s9, _ZN7rocprim17ROCPRIM_400000_NS16block_radix_sortIsLj32ELj4ElLj1ELj1ELj0ELNS0_26block_radix_rank_algorithmE1ELNS0_18block_padding_hintE2ELNS0_4arch9wavefront6targetE1EE19radix_bits_per_passE@rel32@hi+12
	v_and_b32_e32 v12, 15, v11
	s_waitcnt vmcnt(0)
	ds_write_b64 v37, v[2:3]
	ds_write_b64 v21, v[4:5] offset:256
	ds_write_b64 v38, v[6:7] offset:512
	;; [unrolled: 1-line block ×3, first 2 shown]
	s_waitcnt lgkmcnt(0)
	; wave barrier
	s_waitcnt lgkmcnt(0)
	ds_read2_b64 v[2:5], v40 offset1:1
	ds_read2_b64 v[6:9], v40 offset0:2 offset1:3
	s_load_dword s39, s[8:9], 0x0
	v_cmp_eq_u32_e64 s[10:11], 0, v12
	v_cmp_lt_u32_e64 s[12:13], 1, v12
	v_cmp_lt_u32_e64 s[14:15], 3, v12
	;; [unrolled: 1-line block ×3, first 2 shown]
	v_and_b32_e32 v12, 16, v11
	v_cmp_eq_u32_e64 s[18:19], 0, v12
	v_add_u32_e32 v12, -1, v11
	v_and_b32_e32 v13, 0x60, v11
	v_cmp_lt_i32_e32 vcc, v12, v13
	s_movk_i32 s8, 0x100
	v_cndmask_b32_e32 v12, v12, v11, vcc
	v_cmp_gt_u32_e64 s[8:9], s8, v0
	v_lshlrev_b32_e32 v43, 5, v0
	s_mov_b32 s40, 0
	v_cmp_eq_u32_e64 s[20:21], 31, v0
	v_lshlrev_b32_e32 v44, 2, v12
	v_cmp_eq_u32_e64 s[22:23], 0, v11
	v_lshlrev_b32_e32 v42, 1, v10
	v_lshlrev_b32_e32 v41, 3, v10
	s_and_b64 vcc, exec, s[24:25]
	v_add_u32_e64 v45, 7, 2
	s_waitcnt lgkmcnt(0)
	; wave barrier
	s_waitcnt lgkmcnt(0)
	s_cbranch_vccz .LBB168_35
; %bb.19:
	v_xor_b32_e32 v32, 0x80008000, v22
	v_xor_b32_e32 v33, 0x80008000, v23
	v_and_b32_e32 v46, 14, v45
	v_mov_b32_e32 v47, 0
	s_movk_i32 s41, 0xe0
	v_pk_mov_b32 v[10:11], v[2:3], v[2:3] op_sel:[0,1]
	v_pk_mov_b32 v[12:13], v[4:5], v[4:5] op_sel:[0,1]
	;; [unrolled: 1-line block ×4, first 2 shown]
	s_branch .LBB168_21
.LBB168_20:                             ;   in Loop: Header=BB168_21 Depth=1
	v_lshlrev_b32_e32 v10, 1, v51
	s_waitcnt lgkmcnt(0)
	; wave barrier
	ds_write_b16 v10, v32
	v_lshlrev_b32_e32 v10, 1, v52
	ds_write_b16 v10, v48
	v_lshlrev_b32_e32 v10, 1, v53
	;; [unrolled: 2-line block ×4, first 2 shown]
	s_waitcnt lgkmcnt(0)
	; wave barrier
	s_waitcnt lgkmcnt(0)
	ds_read_b64 v[32:33], v42
	s_waitcnt lgkmcnt(0)
	; wave barrier
	s_waitcnt lgkmcnt(0)
	ds_write_b64 v10, v[30:31]
	v_lshlrev_b32_e32 v10, 3, v52
	ds_write_b64 v10, v[28:29]
	v_lshlrev_b32_e32 v10, 3, v53
	;; [unrolled: 2-line block ×3, first 2 shown]
	ds_write_b64 v10, v[24:25]
	s_waitcnt lgkmcnt(0)
	; wave barrier
	s_waitcnt lgkmcnt(0)
	ds_read2_b64 v[10:13], v41 offset1:1
	ds_read2_b64 v[14:17], v41 offset0:2 offset1:3
	s_add_i32 s40, s40, 4
	s_waitcnt lgkmcnt(0)
	; wave barrier
	s_waitcnt lgkmcnt(0)
	s_cbranch_execz .LBB168_32
.LBB168_21:                             ; =>This Loop Header: Depth=1
                                        ;     Child Loop BB168_24 Depth 2
	v_pk_mov_b32 v[24:25], v[16:17], v[16:17] op_sel:[0,1]
	v_pk_mov_b32 v[26:27], v[14:15], v[14:15] op_sel:[0,1]
	;; [unrolled: 1-line block ×4, first 2 shown]
	s_and_saveexec_b64 s[24:25], s[8:9]
	s_cbranch_execz .LBB168_28
; %bb.22:                               ;   in Loop: Header=BB168_21 Depth=1
	s_mov_b32 s42, 0
	s_mov_b64 s[30:31], 0
	v_pk_mov_b32 v[10:11], v[0:1], v[0:1] op_sel:[0,1]
	s_branch .LBB168_24
.LBB168_23:                             ;   in Loop: Header=BB168_24 Depth=2
	s_or_b64 exec, exec, s[36:37]
	s_add_i32 s42, s42, 2
	v_cmp_eq_u32_e32 vcc, s42, v46
	v_add_u32_e32 v11, 64, v11
	s_or_b64 s[30:31], vcc, s[30:31]
	v_add_u32_e32 v10, 64, v10
	s_andn2_b64 exec, exec, s[30:31]
	s_cbranch_execz .LBB168_28
.LBB168_24:                             ;   Parent Loop BB168_21 Depth=1
                                        ; =>  This Inner Loop Header: Depth=2
	s_or_b32 s34, s42, 1
	v_cmp_le_u32_e64 s[34:35], s34, 7
	v_cmp_le_u32_e64 s[44:45], s42, 7
	s_and_saveexec_b64 s[36:37], s[44:45]
	s_cbranch_execz .LBB168_26
; %bb.25:                               ;   in Loop: Header=BB168_24 Depth=2
	v_lshlrev_b32_e32 v12, 2, v10
	ds_write_b32 v12, v47
.LBB168_26:                             ;   in Loop: Header=BB168_24 Depth=2
	s_or_b64 exec, exec, s[36:37]
	s_and_saveexec_b64 s[36:37], s[34:35]
	s_cbranch_execz .LBB168_23
; %bb.27:                               ;   in Loop: Header=BB168_24 Depth=2
	v_lshlrev_b32_e32 v12, 2, v11
	ds_write_b32 v12, v47
	s_branch .LBB168_23
.LBB168_28:                             ;   in Loop: Header=BB168_21 Depth=1
	s_or_b64 exec, exec, s[24:25]
	s_sub_i32 s24, 16, s40
	s_min_u32 s24, s39, s24
	s_lshl_b32 s24, -1, s24
	s_not_b32 s24, s24
	v_lshrrev_b32_sdwa v10, s40, v32 dst_sel:DWORD dst_unused:UNUSED_PAD src0_sel:DWORD src1_sel:WORD_0
	v_and_b32_e32 v10, s24, v10
	v_lshrrev_b32_e32 v11, 3, v10
	v_lshlrev_b32_e32 v10, 5, v10
	v_and_or_b32 v10, v10, s41, v0
	v_lshlrev_b32_e32 v10, 1, v10
	v_add_lshl_u32 v52, v10, v11, 1
	ds_read_u16 v51, v52
	v_lshrrev_b32_e32 v48, 16, v32
	v_lshrrev_b32_e32 v10, s40, v48
	v_and_b32_e32 v10, s24, v10
	v_lshrrev_b32_e32 v49, 16, v33
	s_waitcnt lgkmcnt(0)
	v_add_u16_e32 v11, 1, v51
	ds_write_b16 v52, v11
	v_lshrrev_b32_e32 v11, 3, v10
	v_lshlrev_b32_e32 v10, 5, v10
	v_and_or_b32 v10, v10, s41, v0
	v_lshlrev_b32_e32 v10, 1, v10
	v_add_lshl_u32 v54, v10, v11, 1
	ds_read_u16 v53, v54
	s_waitcnt lgkmcnt(0)
	v_add_u16_e32 v10, 1, v53
	ds_write_b16 v54, v10
	v_lshrrev_b32_sdwa v10, s40, v33 dst_sel:DWORD dst_unused:UNUSED_PAD src0_sel:DWORD src1_sel:WORD_0
	v_and_b32_e32 v10, s24, v10
	v_lshrrev_b32_e32 v11, 3, v10
	v_lshlrev_b32_e32 v10, 5, v10
	v_and_or_b32 v10, v10, s41, v0
	v_lshlrev_b32_e32 v10, 1, v10
	v_add_lshl_u32 v55, v10, v11, 1
	ds_read_u16 v56, v55
	s_waitcnt lgkmcnt(0)
	v_add_u16_e32 v10, 1, v56
	ds_write_b16 v55, v10
	v_lshrrev_b32_e32 v10, s40, v49
	v_and_b32_e32 v10, s24, v10
	v_lshrrev_b32_e32 v11, 3, v10
	v_lshlrev_b32_e32 v10, 5, v10
	v_and_or_b32 v10, v10, s41, v0
	v_lshlrev_b32_e32 v10, 1, v10
	v_add_lshl_u32 v58, v10, v11, 1
	ds_read_u16 v57, v58
	s_waitcnt lgkmcnt(0)
	v_add_u16_e32 v10, 1, v57
	ds_write_b16 v58, v10
	s_waitcnt lgkmcnt(0)
	; wave barrier
	s_waitcnt lgkmcnt(0)
	ds_read2_b32 v[16:17], v43 offset1:1
	ds_read2_b32 v[14:15], v43 offset0:2 offset1:3
	ds_read2_b32 v[10:11], v43 offset0:4 offset1:5
	;; [unrolled: 1-line block ×3, first 2 shown]
	s_waitcnt lgkmcnt(3)
	v_add_u32_e32 v50, v17, v16
	s_waitcnt lgkmcnt(2)
	v_add3_u32 v50, v50, v14, v15
	s_waitcnt lgkmcnt(1)
	v_add3_u32 v50, v50, v10, v11
	;; [unrolled: 2-line block ×3, first 2 shown]
	s_nop 1
	v_mov_b32_dpp v50, v13 row_shr:1 row_mask:0xf bank_mask:0xf
	v_cndmask_b32_e64 v50, v50, 0, s[10:11]
	v_add_u32_e32 v13, v50, v13
	s_nop 1
	v_mov_b32_dpp v50, v13 row_shr:2 row_mask:0xf bank_mask:0xf
	v_cndmask_b32_e64 v50, 0, v50, s[12:13]
	v_add_u32_e32 v13, v13, v50
	s_nop 1
	v_mov_b32_dpp v50, v13 row_shr:4 row_mask:0xf bank_mask:0xf
	v_cndmask_b32_e64 v50, 0, v50, s[14:15]
	v_add_u32_e32 v13, v13, v50
	s_nop 1
	v_mov_b32_dpp v50, v13 row_shr:8 row_mask:0xf bank_mask:0xf
	v_cndmask_b32_e64 v50, 0, v50, s[16:17]
	v_add_u32_e32 v13, v13, v50
	s_nop 1
	v_mov_b32_dpp v50, v13 row_bcast:15 row_mask:0xf bank_mask:0xf
	v_cndmask_b32_e64 v50, v50, 0, s[18:19]
	v_add_u32_e32 v13, v13, v50
	s_and_saveexec_b64 s[24:25], s[20:21]
	s_cbranch_execz .LBB168_30
; %bb.29:                               ;   in Loop: Header=BB168_21 Depth=1
	ds_write_b32 v47, v13 offset:1024
.LBB168_30:                             ;   in Loop: Header=BB168_21 Depth=1
	s_or_b64 exec, exec, s[24:25]
	ds_bpermute_b32 v13, v44, v13
	s_waitcnt lgkmcnt(0)
	; wave barrier
	s_waitcnt lgkmcnt(0)
	ds_read_b32 v59, v47 offset:1024
	v_mov_b32_e32 v50, v32
	v_cndmask_b32_e64 v13, v13, 0, s[22:23]
	s_cmp_gt_u32 s40, 11
	s_waitcnt lgkmcnt(0)
	v_lshl_add_u32 v13, v59, 16, v13
	v_add_u32_e32 v16, v13, v16
	v_add_u32_e32 v17, v16, v17
	;; [unrolled: 1-line block ×7, first 2 shown]
	ds_write2_b32 v43, v13, v16 offset1:1
	ds_write2_b32 v43, v17, v14 offset0:2 offset1:3
	ds_write2_b32 v43, v15, v10 offset0:4 offset1:5
	ds_write2_b32 v43, v11, v12 offset0:6 offset1:7
	s_waitcnt lgkmcnt(0)
	; wave barrier
	s_waitcnt lgkmcnt(0)
	ds_read_u16 v10, v52
	ds_read_u16 v11, v54
	;; [unrolled: 1-line block ×4, first 2 shown]
	v_mov_b32_e32 v55, v33
	s_waitcnt lgkmcnt(3)
	v_add_u32_sdwa v51, v10, v51 dst_sel:DWORD dst_unused:UNUSED_PAD src0_sel:DWORD src1_sel:WORD_0
	s_waitcnt lgkmcnt(2)
	v_add_u32_sdwa v52, v11, v53 dst_sel:DWORD dst_unused:UNUSED_PAD src0_sel:DWORD src1_sel:WORD_0
	;; [unrolled: 2-line block ×4, first 2 shown]
	s_cbranch_scc0 .LBB168_20
; %bb.31:
                                        ; implicit-def: $vgpr33
                                        ; implicit-def: $vgpr16_vgpr17
                                        ; implicit-def: $vgpr12_vgpr13
                                        ; implicit-def: $sgpr40
.LBB168_32:
	v_lshlrev_b32_e32 v10, 1, v51
	s_waitcnt lgkmcnt(0)
	; wave barrier
	ds_write_b16 v10, v50
	v_lshlrev_b32_e32 v10, 1, v52
	ds_write_b16 v10, v48
	v_lshlrev_b32_e32 v10, 1, v53
	;; [unrolled: 2-line block ×4, first 2 shown]
	v_lshlrev_b32_e32 v11, 3, v52
	v_lshlrev_b32_e32 v12, 3, v53
	;; [unrolled: 1-line block ×3, first 2 shown]
	s_waitcnt lgkmcnt(0)
	; wave barrier
	s_waitcnt lgkmcnt(0)
	ds_read_b64 v[32:33], v42
	s_waitcnt lgkmcnt(0)
	; wave barrier
	s_waitcnt lgkmcnt(0)
	ds_write_b64 v10, v[30:31]
	ds_write_b64 v11, v[28:29]
	;; [unrolled: 1-line block ×4, first 2 shown]
	s_waitcnt lgkmcnt(0)
	; wave barrier
	s_waitcnt lgkmcnt(0)
	ds_read2_b64 v[10:13], v41 offset1:1
	ds_read2_b64 v[14:17], v41 offset0:2 offset1:3
	v_xor_b32_e32 v24, 0x80008000, v32
	v_xor_b32_e32 v25, 0x80008000, v33
	s_branch .LBB168_50
.LBB168_33:
	v_mov_b32_e32 v21, 0
	v_lshlrev_b64 v[2:3], 3, v[20:21]
	v_mov_b32_e32 v4, s38
	v_add_co_u32_e32 v2, vcc, s33, v2
	v_addc_co_u32_e32 v3, vcc, v4, v3, vcc
	global_load_dwordx2 v[2:3], v[2:3], off
	v_mov_b32_e32 v4, v21
	v_mov_b32_e32 v5, v21
	;; [unrolled: 1-line block ×6, first 2 shown]
	s_or_b64 exec, exec, s[10:11]
	s_and_saveexec_b64 s[10:11], s[2:3]
	s_cbranch_execz .LBB168_14
.LBB168_34:
	v_mul_lo_u32 v4, v1, s28
	v_mov_b32_e32 v5, 0
	v_lshlrev_b64 v[4:5], 3, v[4:5]
	v_mov_b32_e32 v16, s38
	v_add_co_u32_e32 v4, vcc, s33, v4
	v_addc_co_u32_e32 v5, vcc, v16, v5, vcc
	global_load_dwordx2 v[4:5], v[4:5], off
	s_or_b64 exec, exec, s[10:11]
	s_and_saveexec_b64 s[10:11], s[4:5]
	s_cbranch_execnz .LBB168_15
	s_branch .LBB168_16
.LBB168_35:
                                        ; implicit-def: $vgpr25
                                        ; implicit-def: $vgpr16_vgpr17
                                        ; implicit-def: $vgpr12_vgpr13
	s_cbranch_execz .LBB168_50
; %bb.36:
	v_xor_b32_e32 v22, 0x7fff7fff, v22
	v_xor_b32_e32 v23, 0x7fff7fff, v23
	v_and_b32_e32 v24, 14, v45
	s_mov_b32 s41, 0
	v_mov_b32_e32 v25, 0
	s_movk_i32 s40, 0xe0
	s_branch .LBB168_38
.LBB168_37:                             ;   in Loop: Header=BB168_38 Depth=1
	v_lshlrev_b32_e32 v2, 1, v29
	s_waitcnt lgkmcnt(0)
	; wave barrier
	ds_write_b16 v2, v22
	v_lshlrev_b32_e32 v2, 1, v30
	ds_write_b16 v2, v26
	v_lshlrev_b32_e32 v2, 1, v31
	;; [unrolled: 2-line block ×4, first 2 shown]
	s_waitcnt lgkmcnt(0)
	; wave barrier
	s_waitcnt lgkmcnt(0)
	ds_read_b64 v[22:23], v42
	s_waitcnt lgkmcnt(0)
	; wave barrier
	s_waitcnt lgkmcnt(0)
	ds_write_b64 v2, v[16:17]
	v_lshlrev_b32_e32 v2, 3, v30
	ds_write_b64 v2, v[14:15]
	v_lshlrev_b32_e32 v2, 3, v31
	;; [unrolled: 2-line block ×3, first 2 shown]
	ds_write_b64 v2, v[10:11]
	s_waitcnt lgkmcnt(0)
	; wave barrier
	s_waitcnt lgkmcnt(0)
	ds_read2_b64 v[2:5], v41 offset1:1
	ds_read2_b64 v[6:9], v41 offset0:2 offset1:3
	s_add_i32 s41, s41, 4
	s_waitcnt lgkmcnt(0)
	; wave barrier
	s_waitcnt lgkmcnt(0)
	s_cbranch_execz .LBB168_49
.LBB168_38:                             ; =>This Loop Header: Depth=1
                                        ;     Child Loop BB168_41 Depth 2
	s_waitcnt lgkmcnt(1)
	v_pk_mov_b32 v[10:11], v[8:9], v[8:9] op_sel:[0,1]
	v_pk_mov_b32 v[12:13], v[6:7], v[6:7] op_sel:[0,1]
	s_waitcnt lgkmcnt(0)
	v_pk_mov_b32 v[14:15], v[4:5], v[4:5] op_sel:[0,1]
	v_pk_mov_b32 v[16:17], v[2:3], v[2:3] op_sel:[0,1]
	s_and_saveexec_b64 s[24:25], s[8:9]
	s_cbranch_execz .LBB168_45
; %bb.39:                               ;   in Loop: Header=BB168_38 Depth=1
	s_mov_b32 s42, 0
	s_mov_b64 s[30:31], 0
	v_pk_mov_b32 v[2:3], v[0:1], v[0:1] op_sel:[0,1]
	s_branch .LBB168_41
.LBB168_40:                             ;   in Loop: Header=BB168_41 Depth=2
	s_or_b64 exec, exec, s[36:37]
	s_add_i32 s42, s42, 2
	v_cmp_eq_u32_e32 vcc, s42, v24
	v_add_u32_e32 v3, 64, v3
	s_or_b64 s[30:31], vcc, s[30:31]
	v_add_u32_e32 v2, 64, v2
	s_andn2_b64 exec, exec, s[30:31]
	s_cbranch_execz .LBB168_45
.LBB168_41:                             ;   Parent Loop BB168_38 Depth=1
                                        ; =>  This Inner Loop Header: Depth=2
	s_or_b32 s34, s42, 1
	v_cmp_le_u32_e64 s[34:35], s34, 7
	v_cmp_le_u32_e64 s[44:45], s42, 7
	s_and_saveexec_b64 s[36:37], s[44:45]
	s_cbranch_execz .LBB168_43
; %bb.42:                               ;   in Loop: Header=BB168_41 Depth=2
	v_lshlrev_b32_e32 v4, 2, v2
	ds_write_b32 v4, v25
.LBB168_43:                             ;   in Loop: Header=BB168_41 Depth=2
	s_or_b64 exec, exec, s[36:37]
	s_and_saveexec_b64 s[36:37], s[34:35]
	s_cbranch_execz .LBB168_40
; %bb.44:                               ;   in Loop: Header=BB168_41 Depth=2
	v_lshlrev_b32_e32 v4, 2, v3
	ds_write_b32 v4, v25
	s_branch .LBB168_40
.LBB168_45:                             ;   in Loop: Header=BB168_38 Depth=1
	s_or_b64 exec, exec, s[24:25]
	s_sub_i32 s24, 16, s41
	s_min_u32 s24, s39, s24
	s_lshl_b32 s24, -1, s24
	s_not_b32 s24, s24
	v_lshrrev_b32_sdwa v2, s41, v22 dst_sel:DWORD dst_unused:UNUSED_PAD src0_sel:DWORD src1_sel:WORD_0
	v_and_b32_e32 v2, s24, v2
	v_lshrrev_b32_e32 v3, 3, v2
	v_lshlrev_b32_e32 v2, 5, v2
	v_and_or_b32 v2, v2, s40, v0
	v_lshlrev_b32_e32 v2, 1, v2
	v_add_lshl_u32 v30, v2, v3, 1
	ds_read_u16 v29, v30
	v_lshrrev_b32_e32 v26, 16, v22
	v_lshrrev_b32_e32 v2, s41, v26
	v_and_b32_e32 v2, s24, v2
	v_lshrrev_b32_e32 v27, 16, v23
	s_waitcnt lgkmcnt(0)
	v_add_u16_e32 v3, 1, v29
	ds_write_b16 v30, v3
	v_lshrrev_b32_e32 v3, 3, v2
	v_lshlrev_b32_e32 v2, 5, v2
	v_and_or_b32 v2, v2, s40, v0
	v_lshlrev_b32_e32 v2, 1, v2
	v_add_lshl_u32 v32, v2, v3, 1
	ds_read_u16 v31, v32
	s_waitcnt lgkmcnt(0)
	v_add_u16_e32 v2, 1, v31
	ds_write_b16 v32, v2
	v_lshrrev_b32_sdwa v2, s41, v23 dst_sel:DWORD dst_unused:UNUSED_PAD src0_sel:DWORD src1_sel:WORD_0
	v_and_b32_e32 v2, s24, v2
	v_lshrrev_b32_e32 v3, 3, v2
	v_lshlrev_b32_e32 v2, 5, v2
	v_and_or_b32 v2, v2, s40, v0
	v_lshlrev_b32_e32 v2, 1, v2
	v_add_lshl_u32 v33, v2, v3, 1
	ds_read_u16 v45, v33
	s_waitcnt lgkmcnt(0)
	v_add_u16_e32 v2, 1, v45
	ds_write_b16 v33, v2
	v_lshrrev_b32_e32 v2, s41, v27
	v_and_b32_e32 v2, s24, v2
	v_lshrrev_b32_e32 v3, 3, v2
	v_lshlrev_b32_e32 v2, 5, v2
	v_and_or_b32 v2, v2, s40, v0
	v_lshlrev_b32_e32 v2, 1, v2
	v_add_lshl_u32 v47, v2, v3, 1
	ds_read_u16 v46, v47
	s_waitcnt lgkmcnt(0)
	v_add_u16_e32 v2, 1, v46
	ds_write_b16 v47, v2
	s_waitcnt lgkmcnt(0)
	; wave barrier
	s_waitcnt lgkmcnt(0)
	ds_read2_b32 v[8:9], v43 offset1:1
	ds_read2_b32 v[6:7], v43 offset0:2 offset1:3
	ds_read2_b32 v[2:3], v43 offset0:4 offset1:5
	;; [unrolled: 1-line block ×3, first 2 shown]
	s_waitcnt lgkmcnt(3)
	v_add_u32_e32 v28, v9, v8
	s_waitcnt lgkmcnt(2)
	v_add3_u32 v28, v28, v6, v7
	s_waitcnt lgkmcnt(1)
	v_add3_u32 v28, v28, v2, v3
	;; [unrolled: 2-line block ×3, first 2 shown]
	s_nop 1
	v_mov_b32_dpp v28, v5 row_shr:1 row_mask:0xf bank_mask:0xf
	v_cndmask_b32_e64 v28, v28, 0, s[10:11]
	v_add_u32_e32 v5, v28, v5
	s_nop 1
	v_mov_b32_dpp v28, v5 row_shr:2 row_mask:0xf bank_mask:0xf
	v_cndmask_b32_e64 v28, 0, v28, s[12:13]
	v_add_u32_e32 v5, v5, v28
	;; [unrolled: 4-line block ×4, first 2 shown]
	s_nop 1
	v_mov_b32_dpp v28, v5 row_bcast:15 row_mask:0xf bank_mask:0xf
	v_cndmask_b32_e64 v28, v28, 0, s[18:19]
	v_add_u32_e32 v5, v5, v28
	s_and_saveexec_b64 s[24:25], s[20:21]
	s_cbranch_execz .LBB168_47
; %bb.46:                               ;   in Loop: Header=BB168_38 Depth=1
	ds_write_b32 v25, v5 offset:1024
.LBB168_47:                             ;   in Loop: Header=BB168_38 Depth=1
	s_or_b64 exec, exec, s[24:25]
	ds_bpermute_b32 v5, v44, v5
	s_waitcnt lgkmcnt(0)
	; wave barrier
	s_waitcnt lgkmcnt(0)
	ds_read_b32 v48, v25 offset:1024
	v_mov_b32_e32 v28, v22
	v_cndmask_b32_e64 v5, v5, 0, s[22:23]
	s_cmp_gt_u32 s41, 11
	s_waitcnt lgkmcnt(0)
	v_lshl_add_u32 v5, v48, 16, v5
	v_add_u32_e32 v8, v5, v8
	v_add_u32_e32 v9, v8, v9
	;; [unrolled: 1-line block ×7, first 2 shown]
	ds_write2_b32 v43, v5, v8 offset1:1
	ds_write2_b32 v43, v9, v6 offset0:2 offset1:3
	ds_write2_b32 v43, v7, v2 offset0:4 offset1:5
	;; [unrolled: 1-line block ×3, first 2 shown]
	s_waitcnt lgkmcnt(0)
	; wave barrier
	s_waitcnt lgkmcnt(0)
	ds_read_u16 v2, v30
	ds_read_u16 v3, v32
	;; [unrolled: 1-line block ×4, first 2 shown]
	v_mov_b32_e32 v33, v23
	s_waitcnt lgkmcnt(3)
	v_add_u32_sdwa v29, v2, v29 dst_sel:DWORD dst_unused:UNUSED_PAD src0_sel:DWORD src1_sel:WORD_0
	s_waitcnt lgkmcnt(2)
	v_add_u32_sdwa v30, v3, v31 dst_sel:DWORD dst_unused:UNUSED_PAD src0_sel:DWORD src1_sel:WORD_0
	;; [unrolled: 2-line block ×4, first 2 shown]
	s_cbranch_scc0 .LBB168_37
; %bb.48:
                                        ; implicit-def: $vgpr23
                                        ; implicit-def: $vgpr8_vgpr9
                                        ; implicit-def: $vgpr4_vgpr5
                                        ; implicit-def: $sgpr41
.LBB168_49:
	v_lshlrev_b32_e32 v0, 1, v29
	s_waitcnt lgkmcnt(0)
	; wave barrier
	ds_write_b16 v0, v28
	v_lshlrev_b32_e32 v0, 1, v30
	ds_write_b16 v0, v26
	v_lshlrev_b32_e32 v0, 1, v31
	;; [unrolled: 2-line block ×3, first 2 shown]
	v_lshlrev_b32_e32 v2, 3, v29
	ds_write_b16 v0, v27
	s_waitcnt lgkmcnt(0)
	; wave barrier
	s_waitcnt lgkmcnt(0)
	v_lshlrev_b32_e32 v3, 3, v30
	v_lshlrev_b32_e32 v4, 3, v31
	;; [unrolled: 1-line block ×3, first 2 shown]
	ds_read_b64 v[0:1], v42
	s_waitcnt lgkmcnt(0)
	; wave barrier
	s_waitcnt lgkmcnt(0)
	ds_write_b64 v2, v[16:17]
	ds_write_b64 v3, v[14:15]
	;; [unrolled: 1-line block ×4, first 2 shown]
	s_waitcnt lgkmcnt(0)
	; wave barrier
	s_waitcnt lgkmcnt(0)
	ds_read2_b64 v[10:13], v41 offset1:1
	ds_read2_b64 v[14:17], v41 offset0:2 offset1:3
	v_xor_b32_e32 v24, 0x7fff7fff, v0
	v_xor_b32_e32 v25, 0x7fff7fff, v1
.LBB168_50:
	s_waitcnt lgkmcnt(0)
	; wave barrier
	s_waitcnt lgkmcnt(0)
	ds_write_b64 v36, v[24:25]
	s_waitcnt lgkmcnt(0)
	; wave barrier
	s_waitcnt lgkmcnt(0)
	ds_read_u16 v4, v34 offset:64
	ds_read_u16 v3, v19 offset:128
	;; [unrolled: 1-line block ×3, first 2 shown]
	v_mov_b32_e32 v19, 0
	v_lshlrev_b64 v[0:1], 1, v[18:19]
	v_mov_b32_e32 v5, s29
	v_add_co_u32_e32 v0, vcc, s27, v0
	v_addc_co_u32_e32 v1, vcc, v5, v1, vcc
	s_and_saveexec_b64 s[8:9], s[0:1]
	s_cbranch_execnz .LBB168_61
; %bb.51:
	s_or_b64 exec, exec, s[8:9]
	s_and_saveexec_b64 s[8:9], s[2:3]
	s_cbranch_execnz .LBB168_62
.LBB168_52:
	s_or_b64 exec, exec, s[8:9]
	s_and_saveexec_b64 s[8:9], s[4:5]
	s_cbranch_execnz .LBB168_63
.LBB168_53:
	s_or_b64 exec, exec, s[8:9]
	s_and_saveexec_b64 s[8:9], s[6:7]
	s_cbranch_execz .LBB168_55
.LBB168_54:
	s_mul_i32 s10, s26, 0x60
	s_mov_b32 s11, 0
	s_lshl_b64 s[10:11], s[10:11], 1
	s_waitcnt lgkmcnt(1)
	v_mov_b32_e32 v3, s11
	v_add_co_u32_e32 v0, vcc, s10, v0
	v_addc_co_u32_e32 v1, vcc, v1, v3, vcc
	s_waitcnt lgkmcnt(0)
	global_store_short v[0:1], v2, off
.LBB168_55:
	s_or_b64 exec, exec, s[8:9]
	s_waitcnt lgkmcnt(0)
	; wave barrier
	s_waitcnt lgkmcnt(0)
	ds_write2_b64 v40, v[10:11], v[12:13] offset1:1
	ds_write2_b64 v40, v[14:15], v[16:17] offset0:2 offset1:3
	s_waitcnt lgkmcnt(0)
	; wave barrier
	s_waitcnt lgkmcnt(0)
	ds_read_b64 v[6:7], v21 offset:256
	ds_read_b64 v[4:5], v38 offset:512
	;; [unrolled: 1-line block ×3, first 2 shown]
	v_mov_b32_e32 v21, 0
	v_lshlrev_b64 v[2:3], 3, v[20:21]
	v_mov_b32_e32 v8, s38
	v_add_co_u32_e32 v2, vcc, s33, v2
	v_addc_co_u32_e32 v3, vcc, v8, v3, vcc
	s_and_saveexec_b64 s[8:9], s[0:1]
	s_cbranch_execnz .LBB168_64
; %bb.56:
	s_or_b64 exec, exec, s[8:9]
	s_and_saveexec_b64 s[0:1], s[2:3]
	s_cbranch_execnz .LBB168_65
.LBB168_57:
	s_or_b64 exec, exec, s[0:1]
	s_and_saveexec_b64 s[0:1], s[4:5]
	s_cbranch_execnz .LBB168_66
.LBB168_58:
	s_or_b64 exec, exec, s[0:1]
	s_and_saveexec_b64 s[0:1], s[6:7]
	s_cbranch_execz .LBB168_60
.LBB168_59:
	s_mul_i32 s0, s28, 0x60
	s_mov_b32 s1, 0
	s_lshl_b64 s[0:1], s[0:1], 3
	s_waitcnt lgkmcnt(1)
	v_mov_b32_e32 v4, s1
	v_add_co_u32_e32 v2, vcc, s0, v2
	v_addc_co_u32_e32 v3, vcc, v3, v4, vcc
	s_waitcnt lgkmcnt(0)
	global_store_dwordx2 v[2:3], v[0:1], off
.LBB168_60:
	s_endpgm
.LBB168_61:
	ds_read_u16 v5, v34
	s_waitcnt lgkmcnt(0)
	global_store_short v[0:1], v5, off
	s_or_b64 exec, exec, s[8:9]
	s_and_saveexec_b64 s[8:9], s[2:3]
	s_cbranch_execz .LBB168_52
.LBB168_62:
	s_lshl_b32 s10, s26, 5
	s_mov_b32 s11, 0
	s_lshl_b64 s[10:11], s[10:11], 1
	v_mov_b32_e32 v5, s11
	v_add_co_u32_e32 v6, vcc, s10, v0
	v_addc_co_u32_e32 v7, vcc, v1, v5, vcc
	s_waitcnt lgkmcnt(2)
	global_store_short v[6:7], v4, off
	s_or_b64 exec, exec, s[8:9]
	s_and_saveexec_b64 s[8:9], s[4:5]
	s_cbranch_execz .LBB168_53
.LBB168_63:
	s_lshl_b32 s10, s26, 6
	s_mov_b32 s11, 0
	s_lshl_b64 s[10:11], s[10:11], 1
	v_mov_b32_e32 v5, s11
	s_waitcnt lgkmcnt(2)
	v_add_co_u32_e32 v4, vcc, s10, v0
	v_addc_co_u32_e32 v5, vcc, v1, v5, vcc
	s_waitcnt lgkmcnt(1)
	global_store_short v[4:5], v3, off
	s_or_b64 exec, exec, s[8:9]
	s_and_saveexec_b64 s[8:9], s[6:7]
	s_cbranch_execnz .LBB168_54
	s_branch .LBB168_55
.LBB168_64:
	ds_read_b64 v[8:9], v37
	s_waitcnt lgkmcnt(0)
	global_store_dwordx2 v[2:3], v[8:9], off
	s_or_b64 exec, exec, s[8:9]
	s_and_saveexec_b64 s[0:1], s[2:3]
	s_cbranch_execz .LBB168_57
.LBB168_65:
	s_lshl_b32 s2, s28, 5
	s_mov_b32 s3, 0
	s_lshl_b64 s[2:3], s[2:3], 3
	v_mov_b32_e32 v9, s3
	v_add_co_u32_e32 v8, vcc, s2, v2
	v_addc_co_u32_e32 v9, vcc, v3, v9, vcc
	s_waitcnt lgkmcnt(2)
	global_store_dwordx2 v[8:9], v[6:7], off
	s_or_b64 exec, exec, s[0:1]
	s_and_saveexec_b64 s[0:1], s[4:5]
	s_cbranch_execz .LBB168_58
.LBB168_66:
	s_lshl_b32 s2, s28, 6
	s_mov_b32 s3, 0
	s_lshl_b64 s[2:3], s[2:3], 3
	s_waitcnt lgkmcnt(2)
	v_mov_b32_e32 v7, s3
	v_add_co_u32_e32 v6, vcc, s2, v2
	v_addc_co_u32_e32 v7, vcc, v3, v7, vcc
	s_waitcnt lgkmcnt(1)
	global_store_dwordx2 v[6:7], v[4:5], off
	s_or_b64 exec, exec, s[0:1]
	s_and_saveexec_b64 s[0:1], s[6:7]
	s_cbranch_execnz .LBB168_59
	s_branch .LBB168_60
	.section	.rodata,"a",@progbits
	.p2align	6, 0x0
	.amdhsa_kernel _ZN2at6native18radixSortKVInPlaceILi2ELin1ELi32ELi4EsljEEvNS_4cuda6detail10TensorInfoIT3_T5_EES6_S6_S6_NS4_IT4_S6_EES6_b
		.amdhsa_group_segment_fixed_size 1056
		.amdhsa_private_segment_fixed_size 0
		.amdhsa_kernarg_size 712
		.amdhsa_user_sgpr_count 6
		.amdhsa_user_sgpr_private_segment_buffer 1
		.amdhsa_user_sgpr_dispatch_ptr 0
		.amdhsa_user_sgpr_queue_ptr 0
		.amdhsa_user_sgpr_kernarg_segment_ptr 1
		.amdhsa_user_sgpr_dispatch_id 0
		.amdhsa_user_sgpr_flat_scratch_init 0
		.amdhsa_user_sgpr_kernarg_preload_length 0
		.amdhsa_user_sgpr_kernarg_preload_offset 0
		.amdhsa_user_sgpr_private_segment_size 0
		.amdhsa_uses_dynamic_stack 0
		.amdhsa_system_sgpr_private_segment_wavefront_offset 0
		.amdhsa_system_sgpr_workgroup_id_x 1
		.amdhsa_system_sgpr_workgroup_id_y 1
		.amdhsa_system_sgpr_workgroup_id_z 1
		.amdhsa_system_sgpr_workgroup_info 0
		.amdhsa_system_vgpr_workitem_id 0
		.amdhsa_next_free_vgpr 60
		.amdhsa_next_free_sgpr 46
		.amdhsa_accum_offset 60
		.amdhsa_reserve_vcc 1
		.amdhsa_reserve_flat_scratch 0
		.amdhsa_float_round_mode_32 0
		.amdhsa_float_round_mode_16_64 0
		.amdhsa_float_denorm_mode_32 3
		.amdhsa_float_denorm_mode_16_64 3
		.amdhsa_dx10_clamp 1
		.amdhsa_ieee_mode 1
		.amdhsa_fp16_overflow 0
		.amdhsa_tg_split 0
		.amdhsa_exception_fp_ieee_invalid_op 0
		.amdhsa_exception_fp_denorm_src 0
		.amdhsa_exception_fp_ieee_div_zero 0
		.amdhsa_exception_fp_ieee_overflow 0
		.amdhsa_exception_fp_ieee_underflow 0
		.amdhsa_exception_fp_ieee_inexact 0
		.amdhsa_exception_int_div_zero 0
	.end_amdhsa_kernel
	.section	.text._ZN2at6native18radixSortKVInPlaceILi2ELin1ELi32ELi4EsljEEvNS_4cuda6detail10TensorInfoIT3_T5_EES6_S6_S6_NS4_IT4_S6_EES6_b,"axG",@progbits,_ZN2at6native18radixSortKVInPlaceILi2ELin1ELi32ELi4EsljEEvNS_4cuda6detail10TensorInfoIT3_T5_EES6_S6_S6_NS4_IT4_S6_EES6_b,comdat
.Lfunc_end168:
	.size	_ZN2at6native18radixSortKVInPlaceILi2ELin1ELi32ELi4EsljEEvNS_4cuda6detail10TensorInfoIT3_T5_EES6_S6_S6_NS4_IT4_S6_EES6_b, .Lfunc_end168-_ZN2at6native18radixSortKVInPlaceILi2ELin1ELi32ELi4EsljEEvNS_4cuda6detail10TensorInfoIT3_T5_EES6_S6_S6_NS4_IT4_S6_EES6_b
                                        ; -- End function
	.section	.AMDGPU.csdata,"",@progbits
; Kernel info:
; codeLenInByte = 4696
; NumSgprs: 50
; NumVgprs: 60
; NumAgprs: 0
; TotalNumVgprs: 60
; ScratchSize: 0
; MemoryBound: 0
; FloatMode: 240
; IeeeMode: 1
; LDSByteSize: 1056 bytes/workgroup (compile time only)
; SGPRBlocks: 6
; VGPRBlocks: 7
; NumSGPRsForWavesPerEU: 50
; NumVGPRsForWavesPerEU: 60
; AccumOffset: 60
; Occupancy: 8
; WaveLimiterHint : 1
; COMPUTE_PGM_RSRC2:SCRATCH_EN: 0
; COMPUTE_PGM_RSRC2:USER_SGPR: 6
; COMPUTE_PGM_RSRC2:TRAP_HANDLER: 0
; COMPUTE_PGM_RSRC2:TGID_X_EN: 1
; COMPUTE_PGM_RSRC2:TGID_Y_EN: 1
; COMPUTE_PGM_RSRC2:TGID_Z_EN: 1
; COMPUTE_PGM_RSRC2:TIDIG_COMP_CNT: 0
; COMPUTE_PGM_RSRC3_GFX90A:ACCUM_OFFSET: 14
; COMPUTE_PGM_RSRC3_GFX90A:TG_SPLIT: 0
	.section	.text._ZN2at6native18radixSortKVInPlaceILi2ELin1ELi16ELi2EsljEEvNS_4cuda6detail10TensorInfoIT3_T5_EES6_S6_S6_NS4_IT4_S6_EES6_b,"axG",@progbits,_ZN2at6native18radixSortKVInPlaceILi2ELin1ELi16ELi2EsljEEvNS_4cuda6detail10TensorInfoIT3_T5_EES6_S6_S6_NS4_IT4_S6_EES6_b,comdat
	.protected	_ZN2at6native18radixSortKVInPlaceILi2ELin1ELi16ELi2EsljEEvNS_4cuda6detail10TensorInfoIT3_T5_EES6_S6_S6_NS4_IT4_S6_EES6_b ; -- Begin function _ZN2at6native18radixSortKVInPlaceILi2ELin1ELi16ELi2EsljEEvNS_4cuda6detail10TensorInfoIT3_T5_EES6_S6_S6_NS4_IT4_S6_EES6_b
	.globl	_ZN2at6native18radixSortKVInPlaceILi2ELin1ELi16ELi2EsljEEvNS_4cuda6detail10TensorInfoIT3_T5_EES6_S6_S6_NS4_IT4_S6_EES6_b
	.p2align	8
	.type	_ZN2at6native18radixSortKVInPlaceILi2ELin1ELi16ELi2EsljEEvNS_4cuda6detail10TensorInfoIT3_T5_EES6_S6_S6_NS4_IT4_S6_EES6_b,@function
_ZN2at6native18radixSortKVInPlaceILi2ELin1ELi16ELi2EsljEEvNS_4cuda6detail10TensorInfoIT3_T5_EES6_S6_S6_NS4_IT4_S6_EES6_b: ; @_ZN2at6native18radixSortKVInPlaceILi2ELin1ELi16ELi2EsljEEvNS_4cuda6detail10TensorInfoIT3_T5_EES6_S6_S6_NS4_IT4_S6_EES6_b
; %bb.0:
	s_load_dwordx2 s[0:1], s[4:5], 0x1c8
	s_load_dwordx4 s[16:19], s[4:5], 0xd8
	s_waitcnt lgkmcnt(0)
	s_mul_i32 s1, s1, s8
	s_add_i32 s1, s1, s7
	s_mul_i32 s12, s1, s0
	s_add_i32 s12, s12, s6
	s_cmp_ge_u32 s12, s16
	s_cbranch_scc1 .LBB169_50
; %bb.1:
	s_load_dword s13, s[4:5], 0xc
	s_load_dwordx2 s[8:9], s[4:5], 0x6c
	s_load_dword s10, s[4:5], 0x1b8
	s_add_u32 s2, s4, 0xe8
	s_load_dwordx2 s[0:1], s[4:5], 0x0
	s_waitcnt lgkmcnt(0)
	v_cvt_f32_u32_e32 v1, s13
	s_addc_u32 s3, s5, 0
	s_sub_i32 s6, 0, s13
	s_mov_b32 s7, 0
	v_rcp_iflag_f32_e32 v1, v1
	v_mul_f32_e32 v1, 0x4f7ffffe, v1
	v_cvt_u32_f32_e32 v1, v1
	v_readfirstlane_b32 s11, v1
	s_mul_i32 s6, s6, s11
	s_mul_hi_u32 s6, s11, s6
	s_add_i32 s11, s11, s6
	s_mul_hi_u32 s14, s12, s11
	s_cmp_lt_i32 s10, 2
	s_mov_b32 s6, s12
	s_cbranch_scc1 .LBB169_4
; %bb.2:
	s_add_i32 s6, s10, -1
	s_add_i32 s15, s10, 1
	s_lshl_b64 s[10:11], s[6:7], 2
	s_add_u32 s6, s10, s2
	s_addc_u32 s11, s11, s3
	s_add_u32 s10, s6, 8
	s_addc_u32 s11, s11, 0
	s_mov_b32 s6, s12
.LBB169_3:                              ; =>This Inner Loop Header: Depth=1
	s_load_dword s16, s[10:11], 0x0
	s_load_dword s20, s[10:11], 0x64
	s_mov_b32 s19, s6
	s_waitcnt lgkmcnt(0)
	v_cvt_f32_u32_e32 v1, s16
	s_sub_i32 s6, 0, s16
	v_rcp_iflag_f32_e32 v1, v1
	v_mul_f32_e32 v1, 0x4f7ffffe, v1
	v_cvt_u32_f32_e32 v1, v1
	v_readfirstlane_b32 s21, v1
	s_mul_i32 s6, s6, s21
	s_mul_hi_u32 s6, s21, s6
	s_add_i32 s21, s21, s6
	s_mul_hi_u32 s6, s19, s21
	s_mul_i32 s21, s6, s16
	s_sub_i32 s21, s19, s21
	s_add_i32 s22, s6, 1
	s_sub_i32 s23, s21, s16
	s_cmp_ge_u32 s21, s16
	s_cselect_b32 s6, s22, s6
	s_cselect_b32 s21, s23, s21
	s_add_i32 s22, s6, 1
	s_cmp_ge_u32 s21, s16
	s_cselect_b32 s6, s22, s6
	s_mul_i32 s16, s6, s16
	s_sub_i32 s16, s19, s16
	s_mul_i32 s16, s20, s16
	s_add_i32 s15, s15, -1
	s_add_i32 s7, s16, s7
	s_add_u32 s10, s10, -4
	s_addc_u32 s11, s11, -1
	s_cmp_gt_u32 s15, 2
	s_cbranch_scc1 .LBB169_3
.LBB169_4:
	s_mul_i32 s10, s14, s13
	s_sub_i32 s10, s12, s10
	s_add_i32 s11, s14, 1
	s_sub_i32 s15, s10, s13
	s_cmp_ge_u32 s10, s13
	s_cselect_b32 s11, s11, s14
	s_cselect_b32 s10, s15, s10
	s_add_i32 s14, s11, 1
	s_cmp_ge_u32 s10, s13
	s_cselect_b32 s10, s14, s11
	s_load_dwordx2 s[20:21], s[4:5], 0x1c0
	s_mul_i32 s11, s10, s13
	s_sub_i32 s11, s12, s11
	s_mul_i32 s11, s11, s9
	s_mul_i32 s4, s10, s8
	s_add_i32 s10, s4, s11
	s_waitcnt lgkmcnt(0)
	s_bitcmp1_b32 s21, 0
	s_cselect_b64 s[4:5], -1, 0
	s_load_dwordx2 s[8:9], s[2:3], 0x0
	s_mov_b32 s11, 0x8000
	s_and_b64 s[12:13], s[4:5], exec
	s_cselect_b32 s13, s11, 0x7fff
	s_mov_b32 s11, 0
	s_lshl_b64 s[10:11], s[10:11], 1
	s_add_u32 s19, s0, s10
	s_pack_ll_b32_b16 s12, s13, s13
	s_addc_u32 s21, s1, s11
	v_cmp_gt_u32_e64 s[0:1], s17, v0
	v_mov_b32_e32 v3, s12
	v_mov_b32_e32 v2, s13
	v_mul_lo_u32 v10, v0, s18
	s_and_saveexec_b64 s[10:11], s[0:1]
	s_cbranch_execz .LBB169_6
; %bb.5:
	v_mov_b32_e32 v11, 0
	v_lshlrev_b64 v[2:3], 1, v[10:11]
	v_mov_b32_e32 v1, s21
	v_add_co_u32_e32 v2, vcc, s19, v2
	v_addc_co_u32_e32 v3, vcc, v1, v3, vcc
	global_load_ushort v2, v[2:3], off
	s_mov_b32 s13, 0xffff
	v_mov_b32_e32 v1, s12
	s_waitcnt vmcnt(0)
	v_bfi_b32 v3, s13, v2, v1
.LBB169_6:
	s_or_b64 exec, exec, s[10:11]
	s_load_dword s12, s[2:3], 0x6c
	v_or_b32_e32 v1, 16, v0
	v_cmp_gt_u32_e64 s[2:3], s17, v1
	s_and_saveexec_b64 s[10:11], s[2:3]
	s_cbranch_execz .LBB169_8
; %bb.7:
	v_mul_lo_u32 v4, v1, s18
	v_mov_b32_e32 v5, 0
	v_lshlrev_b64 v[4:5], 1, v[4:5]
	v_mov_b32_e32 v6, s21
	v_add_co_u32_e32 v4, vcc, s19, v4
	v_addc_co_u32_e32 v5, vcc, v6, v5, vcc
	global_load_ushort v4, v[4:5], off
	s_mov_b32 s13, 0x5040100
	s_waitcnt vmcnt(0)
	v_perm_b32 v3, v4, v3, s13
.LBB169_8:
	s_or_b64 exec, exec, s[10:11]
	v_lshlrev_b32_e32 v22, 1, v0
	v_lshlrev_b32_e32 v11, 2, v0
	s_waitcnt lgkmcnt(0)
	s_mul_i32 s6, s12, s6
	ds_write_b16 v22, v2
	ds_write_b16_d16_hi v22, v3 offset:32
	s_waitcnt lgkmcnt(0)
	; wave barrier
	s_waitcnt lgkmcnt(0)
	ds_read_b32 v27, v11
	s_add_i32 s12, s6, s7
	s_mov_b32 s13, 0
	s_lshl_b64 s[6:7], s[12:13], 3
	s_mov_b32 s12, s13
	s_add_u32 s30, s8, s6
	s_mov_b32 s14, s13
	s_mov_b32 s15, s13
	v_pk_mov_b32 v[2:3], s[12:13], s[12:13] op_sel:[0,1]
	s_addc_u32 s31, s9, s7
	v_pk_mov_b32 v[4:5], s[14:15], s[14:15] op_sel:[0,1]
	v_pk_mov_b32 v[2:3], 0, 0
	v_mul_lo_u32 v12, v0, s20
	s_waitcnt lgkmcnt(0)
	; wave barrier
	s_waitcnt lgkmcnt(0)
	s_and_saveexec_b64 s[6:7], s[0:1]
	s_cbranch_execz .LBB169_10
; %bb.9:
	v_mov_b32_e32 v13, 0
	v_lshlrev_b64 v[2:3], 3, v[12:13]
	v_mov_b32_e32 v4, s31
	v_add_co_u32_e32 v2, vcc, s30, v2
	v_addc_co_u32_e32 v3, vcc, v4, v3, vcc
	global_load_dwordx2 v[2:3], v[2:3], off
	v_mov_b32_e32 v4, v13
	v_mov_b32_e32 v5, v13
.LBB169_10:
	s_or_b64 exec, exec, s[6:7]
	s_xor_b64 s[22:23], s[4:5], -1
	s_and_saveexec_b64 s[4:5], s[2:3]
	s_cbranch_execz .LBB169_12
; %bb.11:
	v_mul_lo_u32 v4, v1, s20
	v_mov_b32_e32 v5, 0
	v_lshlrev_b64 v[4:5], 3, v[4:5]
	v_mov_b32_e32 v6, s31
	v_add_co_u32_e32 v4, vcc, s30, v4
	v_addc_co_u32_e32 v5, vcc, v6, v5, vcc
	global_load_dwordx2 v[4:5], v[4:5], off
.LBB169_12:
	s_or_b64 exec, exec, s[4:5]
	v_mbcnt_lo_u32_b32 v6, -1, 0
	v_lshlrev_b32_e32 v23, 3, v0
	v_lshlrev_b32_e32 v13, 3, v22
	s_getpc_b64 s[4:5]
	s_add_u32 s4, s4, _ZN7rocprim17ROCPRIM_400000_NS16block_radix_sortIsLj16ELj2ElLj1ELj1ELj0ELNS0_26block_radix_rank_algorithmE1ELNS0_18block_padding_hintE2ELNS0_4arch9wavefront6targetE1EE19radix_bits_per_passE@rel32@lo+4
	s_addc_u32 s5, s5, _ZN7rocprim17ROCPRIM_400000_NS16block_radix_sortIsLj16ELj2ElLj1ELj1ELj0ELNS0_26block_radix_rank_algorithmE1ELNS0_18block_padding_hintE2ELNS0_4arch9wavefront6targetE1EE19radix_bits_per_passE@rel32@hi+12
	v_mbcnt_hi_u32_b32 v6, -1, v6
	s_waitcnt vmcnt(0)
	ds_write2_b64 v23, v[2:3], v[4:5] offset1:16
	s_waitcnt lgkmcnt(0)
	; wave barrier
	s_waitcnt lgkmcnt(0)
	ds_read2_b64 v[2:5], v13 offset1:1
	s_load_dword s33, s[4:5], 0x0
	v_and_b32_e32 v7, 15, v6
	v_cmp_eq_u32_e64 s[6:7], 0, v7
	v_cmp_lt_u32_e64 s[8:9], 1, v7
	v_cmp_lt_u32_e64 s[10:11], 3, v7
	;; [unrolled: 1-line block ×3, first 2 shown]
	v_add_u32_e32 v7, -1, v6
	v_and_b32_e32 v8, 0x70, v6
	v_cmp_lt_i32_e32 vcc, v7, v8
	s_movk_i32 s4, 0x80
	v_cndmask_b32_e32 v7, v7, v6, vcc
	v_cmp_gt_u32_e64 s[4:5], s4, v0
	v_lshlrev_b32_e32 v24, 5, v0
	s_mov_b32 s34, 0
	v_cmp_eq_u32_e64 s[14:15], 15, v0
	s_movk_i32 s35, 0x70
	v_lshlrev_b32_e32 v26, 2, v7
	v_cmp_eq_u32_e64 s[16:17], 0, v6
	v_lshlrev_b32_e32 v25, 1, v22
	s_and_b64 vcc, exec, s[22:23]
	v_add_u32_e64 v28, 7, 2
	s_waitcnt lgkmcnt(0)
	; wave barrier
	s_waitcnt lgkmcnt(0)
	s_cbranch_vccz .LBB169_27
; %bb.13:
	v_xor_b32_e32 v31, 0x80008000, v27
	v_and_b32_e32 v29, 14, v28
	v_mov_b32_e32 v30, 0
	v_pk_mov_b32 v[6:7], v[2:3], v[2:3] op_sel:[0,1]
	v_pk_mov_b32 v[8:9], v[4:5], v[4:5] op_sel:[0,1]
	s_branch .LBB169_15
.LBB169_14:                             ;   in Loop: Header=BB169_15 Depth=1
	v_lshlrev_b32_e32 v6, 1, v18
	s_waitcnt lgkmcnt(0)
	; wave barrier
	ds_write_b16 v6, v31
	v_lshlrev_b32_e32 v6, 1, v19
	ds_write_b16 v6, v32
	v_lshlrev_b32_e32 v6, 3, v18
	s_waitcnt lgkmcnt(0)
	; wave barrier
	s_waitcnt lgkmcnt(0)
	ds_read_b32 v31, v25
	s_waitcnt lgkmcnt(0)
	; wave barrier
	s_waitcnt lgkmcnt(0)
	ds_write_b64 v6, v[16:17]
	v_lshlrev_b32_e32 v6, 3, v19
	ds_write_b64 v6, v[14:15]
	s_waitcnt lgkmcnt(0)
	; wave barrier
	s_waitcnt lgkmcnt(0)
	ds_read2_b64 v[6:9], v13 offset1:1
	s_add_i32 s34, s34, 4
	s_waitcnt lgkmcnt(0)
	; wave barrier
	s_waitcnt lgkmcnt(0)
	s_cbranch_execz .LBB169_26
.LBB169_15:                             ; =>This Loop Header: Depth=1
                                        ;     Child Loop BB169_18 Depth 2
	v_pk_mov_b32 v[14:15], v[8:9], v[8:9] op_sel:[0,1]
	v_pk_mov_b32 v[16:17], v[6:7], v[6:7] op_sel:[0,1]
	s_and_saveexec_b64 s[22:23], s[4:5]
	s_cbranch_execz .LBB169_22
; %bb.16:                               ;   in Loop: Header=BB169_15 Depth=1
	s_mov_b32 s36, 0
	s_mov_b64 s[24:25], 0
	v_pk_mov_b32 v[6:7], v[0:1], v[0:1] op_sel:[0,1]
	s_branch .LBB169_18
.LBB169_17:                             ;   in Loop: Header=BB169_18 Depth=2
	s_or_b64 exec, exec, s[28:29]
	s_add_i32 s36, s36, 2
	v_cmp_eq_u32_e32 vcc, s36, v29
	v_add_u32_e32 v7, 32, v7
	s_or_b64 s[24:25], vcc, s[24:25]
	v_add_u32_e32 v6, 32, v6
	s_andn2_b64 exec, exec, s[24:25]
	s_cbranch_execz .LBB169_22
.LBB169_18:                             ;   Parent Loop BB169_15 Depth=1
                                        ; =>  This Inner Loop Header: Depth=2
	s_or_b32 s26, s36, 1
	v_cmp_le_u32_e64 s[26:27], s26, 7
	v_cmp_le_u32_e64 s[38:39], s36, 7
	s_and_saveexec_b64 s[28:29], s[38:39]
	s_cbranch_execz .LBB169_20
; %bb.19:                               ;   in Loop: Header=BB169_18 Depth=2
	v_lshlrev_b32_e32 v8, 2, v6
	ds_write_b32 v8, v30
.LBB169_20:                             ;   in Loop: Header=BB169_18 Depth=2
	s_or_b64 exec, exec, s[28:29]
	s_and_saveexec_b64 s[28:29], s[26:27]
	s_cbranch_execz .LBB169_17
; %bb.21:                               ;   in Loop: Header=BB169_18 Depth=2
	v_lshlrev_b32_e32 v8, 2, v7
	ds_write_b32 v8, v30
	s_branch .LBB169_17
.LBB169_22:                             ;   in Loop: Header=BB169_15 Depth=1
	s_or_b64 exec, exec, s[22:23]
	s_sub_i32 s22, 16, s34
	s_min_u32 s22, s33, s22
	s_lshl_b32 s22, -1, s22
	s_not_b32 s22, s22
	v_lshrrev_b32_sdwa v6, s34, v31 dst_sel:DWORD dst_unused:UNUSED_PAD src0_sel:DWORD src1_sel:WORD_0
	v_and_b32_e32 v6, s22, v6
	v_lshrrev_b32_e32 v7, 3, v6
	v_lshlrev_b32_e32 v6, 4, v6
	v_and_or_b32 v6, v6, s35, v0
	v_lshlrev_b32_e32 v6, 1, v6
	v_add_lshl_u32 v34, v6, v7, 1
	ds_read_u16 v33, v34
	v_lshrrev_b32_e32 v32, 16, v31
	v_lshrrev_b32_e32 v6, s34, v32
	v_and_b32_e32 v6, s22, v6
	s_waitcnt lgkmcnt(0)
	v_add_u16_e32 v7, 1, v33
	ds_write_b16 v34, v7
	v_lshrrev_b32_e32 v7, 3, v6
	v_lshlrev_b32_e32 v6, 4, v6
	v_and_or_b32 v6, v6, s35, v0
	v_lshlrev_b32_e32 v6, 1, v6
	v_add_lshl_u32 v36, v6, v7, 1
	ds_read_u16 v35, v36
	s_waitcnt lgkmcnt(0)
	v_add_u16_e32 v6, 1, v35
	ds_write_b16 v36, v6
	s_waitcnt lgkmcnt(0)
	; wave barrier
	s_waitcnt lgkmcnt(0)
	ds_read2_b32 v[20:21], v24 offset1:1
	ds_read2_b32 v[18:19], v24 offset0:2 offset1:3
	ds_read2_b32 v[6:7], v24 offset0:4 offset1:5
	;; [unrolled: 1-line block ×3, first 2 shown]
	s_waitcnt lgkmcnt(3)
	v_add_u32_e32 v37, v21, v20
	s_waitcnt lgkmcnt(2)
	v_add3_u32 v37, v37, v18, v19
	s_waitcnt lgkmcnt(1)
	v_add3_u32 v37, v37, v6, v7
	;; [unrolled: 2-line block ×3, first 2 shown]
	s_nop 1
	v_mov_b32_dpp v37, v9 row_shr:1 row_mask:0xf bank_mask:0xf
	v_cndmask_b32_e64 v37, v37, 0, s[6:7]
	v_add_u32_e32 v9, v37, v9
	s_nop 1
	v_mov_b32_dpp v37, v9 row_shr:2 row_mask:0xf bank_mask:0xf
	v_cndmask_b32_e64 v37, 0, v37, s[8:9]
	v_add_u32_e32 v9, v9, v37
	;; [unrolled: 4-line block ×4, first 2 shown]
	s_and_saveexec_b64 s[22:23], s[14:15]
	s_cbranch_execz .LBB169_24
; %bb.23:                               ;   in Loop: Header=BB169_15 Depth=1
	ds_write_b32 v30, v9 offset:512
.LBB169_24:                             ;   in Loop: Header=BB169_15 Depth=1
	s_or_b64 exec, exec, s[22:23]
	ds_bpermute_b32 v9, v26, v9
	s_waitcnt lgkmcnt(0)
	; wave barrier
	s_waitcnt lgkmcnt(0)
	ds_read_b32 v37, v30 offset:512
	s_cmp_gt_u32 s34, 11
	v_cndmask_b32_e64 v9, v9, 0, s[16:17]
	s_waitcnt lgkmcnt(0)
	v_lshl_add_u32 v9, v37, 16, v9
	v_add_u32_e32 v20, v9, v20
	v_add_u32_e32 v21, v20, v21
	ds_write2_b32 v24, v9, v20 offset1:1
	v_add_u32_e32 v9, v21, v18
	v_add_u32_e32 v18, v9, v19
	;; [unrolled: 1-line block ×5, first 2 shown]
	ds_write2_b32 v24, v21, v9 offset0:2 offset1:3
	ds_write2_b32 v24, v18, v6 offset0:4 offset1:5
	;; [unrolled: 1-line block ×3, first 2 shown]
	s_waitcnt lgkmcnt(0)
	; wave barrier
	s_waitcnt lgkmcnt(0)
	ds_read_u16 v6, v34
	ds_read_u16 v7, v36
	v_mov_b32_e32 v20, v31
	s_waitcnt lgkmcnt(1)
	v_add_u32_sdwa v18, v6, v33 dst_sel:DWORD dst_unused:UNUSED_PAD src0_sel:DWORD src1_sel:WORD_0
	s_waitcnt lgkmcnt(0)
	v_add_u32_sdwa v19, v7, v35 dst_sel:DWORD dst_unused:UNUSED_PAD src0_sel:DWORD src1_sel:WORD_0
	s_cbranch_scc0 .LBB169_14
; %bb.25:
                                        ; implicit-def: $vgpr8_vgpr9
                                        ; implicit-def: $sgpr34
                                        ; implicit-def: $vgpr31
.LBB169_26:
	v_lshlrev_b32_e32 v6, 1, v18
	s_waitcnt lgkmcnt(0)
	; wave barrier
	ds_write_b16 v6, v20
	v_lshlrev_b32_e32 v6, 1, v19
	ds_write_b16 v6, v32
	s_waitcnt lgkmcnt(0)
	; wave barrier
	s_waitcnt lgkmcnt(0)
	v_lshlrev_b32_e32 v6, 3, v18
	v_lshlrev_b32_e32 v7, 3, v19
	ds_read_b32 v18, v25
	s_waitcnt lgkmcnt(0)
	; wave barrier
	s_waitcnt lgkmcnt(0)
	ds_write_b64 v6, v[16:17]
	ds_write_b64 v7, v[14:15]
	s_waitcnt lgkmcnt(0)
	; wave barrier
	s_waitcnt lgkmcnt(0)
	ds_read2_b64 v[6:9], v13 offset1:1
	v_xor_b32_e32 v14, 0x80008000, v18
	s_branch .LBB169_42
.LBB169_27:
                                        ; implicit-def: $vgpr8_vgpr9
                                        ; implicit-def: $vgpr14
	s_cbranch_execz .LBB169_42
; %bb.28:
	v_xor_b32_e32 v20, 0x7fff7fff, v27
	v_and_b32_e32 v18, 14, v28
	s_mov_b32 s35, 0
	v_mov_b32_e32 v19, 0
	s_movk_i32 s34, 0x70
	s_branch .LBB169_30
.LBB169_29:                             ;   in Loop: Header=BB169_30 Depth=1
	v_lshlrev_b32_e32 v2, 1, v14
	s_waitcnt lgkmcnt(0)
	; wave barrier
	ds_write_b16 v2, v20
	v_lshlrev_b32_e32 v2, 1, v15
	ds_write_b16 v2, v21
	v_lshlrev_b32_e32 v2, 3, v14
	s_waitcnt lgkmcnt(0)
	; wave barrier
	s_waitcnt lgkmcnt(0)
	ds_read_b32 v20, v25
	s_waitcnt lgkmcnt(0)
	; wave barrier
	s_waitcnt lgkmcnt(0)
	ds_write_b64 v2, v[8:9]
	v_lshlrev_b32_e32 v2, 3, v15
	ds_write_b64 v2, v[6:7]
	s_waitcnt lgkmcnt(0)
	; wave barrier
	s_waitcnt lgkmcnt(0)
	ds_read2_b64 v[2:5], v13 offset1:1
	s_add_i32 s35, s35, 4
	s_waitcnt lgkmcnt(0)
	; wave barrier
	s_waitcnt lgkmcnt(0)
	s_cbranch_execz .LBB169_41
.LBB169_30:                             ; =>This Loop Header: Depth=1
                                        ;     Child Loop BB169_33 Depth 2
	s_waitcnt lgkmcnt(0)
	v_pk_mov_b32 v[6:7], v[4:5], v[4:5] op_sel:[0,1]
	v_pk_mov_b32 v[8:9], v[2:3], v[2:3] op_sel:[0,1]
	s_and_saveexec_b64 s[22:23], s[4:5]
	s_cbranch_execz .LBB169_37
; %bb.31:                               ;   in Loop: Header=BB169_30 Depth=1
	s_mov_b32 s36, 0
	s_mov_b64 s[24:25], 0
	v_pk_mov_b32 v[2:3], v[0:1], v[0:1] op_sel:[0,1]
	s_branch .LBB169_33
.LBB169_32:                             ;   in Loop: Header=BB169_33 Depth=2
	s_or_b64 exec, exec, s[28:29]
	s_add_i32 s36, s36, 2
	v_cmp_eq_u32_e32 vcc, s36, v18
	v_add_u32_e32 v3, 32, v3
	s_or_b64 s[24:25], vcc, s[24:25]
	v_add_u32_e32 v2, 32, v2
	s_andn2_b64 exec, exec, s[24:25]
	s_cbranch_execz .LBB169_37
.LBB169_33:                             ;   Parent Loop BB169_30 Depth=1
                                        ; =>  This Inner Loop Header: Depth=2
	s_or_b32 s26, s36, 1
	v_cmp_le_u32_e64 s[26:27], s26, 7
	v_cmp_le_u32_e64 s[38:39], s36, 7
	s_and_saveexec_b64 s[28:29], s[38:39]
	s_cbranch_execz .LBB169_35
; %bb.34:                               ;   in Loop: Header=BB169_33 Depth=2
	v_lshlrev_b32_e32 v4, 2, v2
	ds_write_b32 v4, v19
.LBB169_35:                             ;   in Loop: Header=BB169_33 Depth=2
	s_or_b64 exec, exec, s[28:29]
	s_and_saveexec_b64 s[28:29], s[26:27]
	s_cbranch_execz .LBB169_32
; %bb.36:                               ;   in Loop: Header=BB169_33 Depth=2
	v_lshlrev_b32_e32 v4, 2, v3
	ds_write_b32 v4, v19
	s_branch .LBB169_32
.LBB169_37:                             ;   in Loop: Header=BB169_30 Depth=1
	s_or_b64 exec, exec, s[22:23]
	s_sub_i32 s22, 16, s35
	s_min_u32 s22, s33, s22
	s_lshl_b32 s22, -1, s22
	s_not_b32 s22, s22
	v_lshrrev_b32_sdwa v2, s35, v20 dst_sel:DWORD dst_unused:UNUSED_PAD src0_sel:DWORD src1_sel:WORD_0
	v_and_b32_e32 v2, s22, v2
	v_lshrrev_b32_e32 v3, 3, v2
	v_lshlrev_b32_e32 v2, 4, v2
	v_and_or_b32 v2, v2, s34, v0
	v_lshlrev_b32_e32 v2, 1, v2
	v_add_lshl_u32 v28, v2, v3, 1
	ds_read_u16 v27, v28
	v_lshrrev_b32_e32 v21, 16, v20
	v_lshrrev_b32_e32 v2, s35, v21
	v_and_b32_e32 v2, s22, v2
	s_waitcnt lgkmcnt(0)
	v_add_u16_e32 v3, 1, v27
	ds_write_b16 v28, v3
	v_lshrrev_b32_e32 v3, 3, v2
	v_lshlrev_b32_e32 v2, 4, v2
	v_and_or_b32 v2, v2, s34, v0
	v_lshlrev_b32_e32 v2, 1, v2
	v_add_lshl_u32 v30, v2, v3, 1
	ds_read_u16 v29, v30
	s_waitcnt lgkmcnt(0)
	v_add_u16_e32 v2, 1, v29
	ds_write_b16 v30, v2
	s_waitcnt lgkmcnt(0)
	; wave barrier
	s_waitcnt lgkmcnt(0)
	ds_read2_b32 v[16:17], v24 offset1:1
	ds_read2_b32 v[14:15], v24 offset0:2 offset1:3
	ds_read2_b32 v[2:3], v24 offset0:4 offset1:5
	;; [unrolled: 1-line block ×3, first 2 shown]
	s_waitcnt lgkmcnt(3)
	v_add_u32_e32 v31, v17, v16
	s_waitcnt lgkmcnt(2)
	v_add3_u32 v31, v31, v14, v15
	s_waitcnt lgkmcnt(1)
	v_add3_u32 v31, v31, v2, v3
	;; [unrolled: 2-line block ×3, first 2 shown]
	s_nop 1
	v_mov_b32_dpp v31, v5 row_shr:1 row_mask:0xf bank_mask:0xf
	v_cndmask_b32_e64 v31, v31, 0, s[6:7]
	v_add_u32_e32 v5, v31, v5
	s_nop 1
	v_mov_b32_dpp v31, v5 row_shr:2 row_mask:0xf bank_mask:0xf
	v_cndmask_b32_e64 v31, 0, v31, s[8:9]
	v_add_u32_e32 v5, v5, v31
	;; [unrolled: 4-line block ×4, first 2 shown]
	s_and_saveexec_b64 s[22:23], s[14:15]
	s_cbranch_execz .LBB169_39
; %bb.38:                               ;   in Loop: Header=BB169_30 Depth=1
	ds_write_b32 v19, v5 offset:512
.LBB169_39:                             ;   in Loop: Header=BB169_30 Depth=1
	s_or_b64 exec, exec, s[22:23]
	ds_bpermute_b32 v5, v26, v5
	s_waitcnt lgkmcnt(0)
	; wave barrier
	s_waitcnt lgkmcnt(0)
	ds_read_b32 v31, v19 offset:512
	s_cmp_gt_u32 s35, 11
	v_cndmask_b32_e64 v5, v5, 0, s[16:17]
	s_waitcnt lgkmcnt(0)
	v_lshl_add_u32 v5, v31, 16, v5
	v_add_u32_e32 v16, v5, v16
	v_add_u32_e32 v17, v16, v17
	ds_write2_b32 v24, v5, v16 offset1:1
	v_add_u32_e32 v5, v17, v14
	v_add_u32_e32 v14, v5, v15
	;; [unrolled: 1-line block ×5, first 2 shown]
	ds_write2_b32 v24, v17, v5 offset0:2 offset1:3
	ds_write2_b32 v24, v14, v2 offset0:4 offset1:5
	;; [unrolled: 1-line block ×3, first 2 shown]
	s_waitcnt lgkmcnt(0)
	; wave barrier
	s_waitcnt lgkmcnt(0)
	ds_read_u16 v2, v28
	ds_read_u16 v3, v30
	v_mov_b32_e32 v16, v20
	s_waitcnt lgkmcnt(1)
	v_add_u32_sdwa v14, v2, v27 dst_sel:DWORD dst_unused:UNUSED_PAD src0_sel:DWORD src1_sel:WORD_0
	s_waitcnt lgkmcnt(0)
	v_add_u32_sdwa v15, v3, v29 dst_sel:DWORD dst_unused:UNUSED_PAD src0_sel:DWORD src1_sel:WORD_0
	s_cbranch_scc0 .LBB169_29
; %bb.40:
                                        ; implicit-def: $vgpr4_vgpr5
                                        ; implicit-def: $sgpr35
                                        ; implicit-def: $vgpr20
.LBB169_41:
	v_lshlrev_b32_e32 v0, 1, v14
	s_waitcnt lgkmcnt(0)
	; wave barrier
	ds_write_b16 v0, v16
	v_lshlrev_b32_e32 v0, 1, v15
	ds_write_b16 v0, v21
	s_waitcnt lgkmcnt(0)
	; wave barrier
	s_waitcnt lgkmcnt(0)
	v_lshlrev_b32_e32 v0, 3, v14
	ds_read_b32 v2, v25
	v_lshlrev_b32_e32 v1, 3, v15
	s_waitcnt lgkmcnt(0)
	; wave barrier
	s_waitcnt lgkmcnt(0)
	ds_write_b64 v0, v[8:9]
	ds_write_b64 v1, v[6:7]
	s_waitcnt lgkmcnt(0)
	; wave barrier
	s_waitcnt lgkmcnt(0)
	ds_read2_b64 v[6:9], v13 offset1:1
	v_xor_b32_e32 v14, 0x7fff7fff, v2
.LBB169_42:
	s_waitcnt lgkmcnt(0)
	; wave barrier
	s_waitcnt lgkmcnt(0)
	ds_write_b32 v11, v14
	s_waitcnt lgkmcnt(0)
	; wave barrier
	s_waitcnt lgkmcnt(0)
	ds_read_u16 v2, v22 offset:32
	v_mov_b32_e32 v11, 0
	v_lshlrev_b64 v[0:1], 1, v[10:11]
	v_mov_b32_e32 v3, s21
	v_add_co_u32_e32 v0, vcc, s19, v0
	v_addc_co_u32_e32 v1, vcc, v3, v1, vcc
	s_and_saveexec_b64 s[4:5], s[0:1]
	s_cbranch_execz .LBB169_44
; %bb.43:
	ds_read_u16 v3, v22
	s_waitcnt lgkmcnt(0)
	global_store_short v[0:1], v3, off
.LBB169_44:
	s_or_b64 exec, exec, s[4:5]
	s_and_saveexec_b64 s[4:5], s[2:3]
	s_cbranch_execz .LBB169_46
; %bb.45:
	s_lshl_b32 s6, s18, 4
	s_mov_b32 s7, 0
	s_lshl_b64 s[6:7], s[6:7], 1
	v_mov_b32_e32 v3, s7
	v_add_co_u32_e32 v0, vcc, s6, v0
	v_addc_co_u32_e32 v1, vcc, v1, v3, vcc
	s_waitcnt lgkmcnt(0)
	global_store_short v[0:1], v2, off
.LBB169_46:
	s_or_b64 exec, exec, s[4:5]
	s_waitcnt lgkmcnt(0)
	; wave barrier
	s_waitcnt lgkmcnt(0)
	ds_write2_b64 v13, v[6:7], v[8:9] offset1:1
	s_waitcnt lgkmcnt(0)
	; wave barrier
	s_waitcnt lgkmcnt(0)
	ds_read_b64 v[0:1], v23 offset:128
	v_mov_b32_e32 v13, 0
	v_lshlrev_b64 v[2:3], 3, v[12:13]
	v_mov_b32_e32 v4, s31
	v_add_co_u32_e32 v2, vcc, s30, v2
	v_addc_co_u32_e32 v3, vcc, v4, v3, vcc
	s_and_saveexec_b64 s[4:5], s[0:1]
	s_cbranch_execz .LBB169_48
; %bb.47:
	ds_read_b64 v[4:5], v23
	s_waitcnt lgkmcnt(0)
	global_store_dwordx2 v[2:3], v[4:5], off
.LBB169_48:
	s_or_b64 exec, exec, s[4:5]
	s_and_saveexec_b64 s[0:1], s[2:3]
	s_cbranch_execz .LBB169_50
; %bb.49:
	s_lshl_b32 s0, s20, 4
	s_mov_b32 s1, 0
	s_lshl_b64 s[0:1], s[0:1], 3
	v_mov_b32_e32 v4, s1
	v_add_co_u32_e32 v2, vcc, s0, v2
	v_addc_co_u32_e32 v3, vcc, v3, v4, vcc
	s_waitcnt lgkmcnt(0)
	global_store_dwordx2 v[2:3], v[0:1], off
.LBB169_50:
	s_endpgm
	.section	.rodata,"a",@progbits
	.p2align	6, 0x0
	.amdhsa_kernel _ZN2at6native18radixSortKVInPlaceILi2ELin1ELi16ELi2EsljEEvNS_4cuda6detail10TensorInfoIT3_T5_EES6_S6_S6_NS4_IT4_S6_EES6_b
		.amdhsa_group_segment_fixed_size 528
		.amdhsa_private_segment_fixed_size 0
		.amdhsa_kernarg_size 712
		.amdhsa_user_sgpr_count 6
		.amdhsa_user_sgpr_private_segment_buffer 1
		.amdhsa_user_sgpr_dispatch_ptr 0
		.amdhsa_user_sgpr_queue_ptr 0
		.amdhsa_user_sgpr_kernarg_segment_ptr 1
		.amdhsa_user_sgpr_dispatch_id 0
		.amdhsa_user_sgpr_flat_scratch_init 0
		.amdhsa_user_sgpr_kernarg_preload_length 0
		.amdhsa_user_sgpr_kernarg_preload_offset 0
		.amdhsa_user_sgpr_private_segment_size 0
		.amdhsa_uses_dynamic_stack 0
		.amdhsa_system_sgpr_private_segment_wavefront_offset 0
		.amdhsa_system_sgpr_workgroup_id_x 1
		.amdhsa_system_sgpr_workgroup_id_y 1
		.amdhsa_system_sgpr_workgroup_id_z 1
		.amdhsa_system_sgpr_workgroup_info 0
		.amdhsa_system_vgpr_workitem_id 0
		.amdhsa_next_free_vgpr 38
		.amdhsa_next_free_sgpr 40
		.amdhsa_accum_offset 40
		.amdhsa_reserve_vcc 1
		.amdhsa_reserve_flat_scratch 0
		.amdhsa_float_round_mode_32 0
		.amdhsa_float_round_mode_16_64 0
		.amdhsa_float_denorm_mode_32 3
		.amdhsa_float_denorm_mode_16_64 3
		.amdhsa_dx10_clamp 1
		.amdhsa_ieee_mode 1
		.amdhsa_fp16_overflow 0
		.amdhsa_tg_split 0
		.amdhsa_exception_fp_ieee_invalid_op 0
		.amdhsa_exception_fp_denorm_src 0
		.amdhsa_exception_fp_ieee_div_zero 0
		.amdhsa_exception_fp_ieee_overflow 0
		.amdhsa_exception_fp_ieee_underflow 0
		.amdhsa_exception_fp_ieee_inexact 0
		.amdhsa_exception_int_div_zero 0
	.end_amdhsa_kernel
	.section	.text._ZN2at6native18radixSortKVInPlaceILi2ELin1ELi16ELi2EsljEEvNS_4cuda6detail10TensorInfoIT3_T5_EES6_S6_S6_NS4_IT4_S6_EES6_b,"axG",@progbits,_ZN2at6native18radixSortKVInPlaceILi2ELin1ELi16ELi2EsljEEvNS_4cuda6detail10TensorInfoIT3_T5_EES6_S6_S6_NS4_IT4_S6_EES6_b,comdat
.Lfunc_end169:
	.size	_ZN2at6native18radixSortKVInPlaceILi2ELin1ELi16ELi2EsljEEvNS_4cuda6detail10TensorInfoIT3_T5_EES6_S6_S6_NS4_IT4_S6_EES6_b, .Lfunc_end169-_ZN2at6native18radixSortKVInPlaceILi2ELin1ELi16ELi2EsljEEvNS_4cuda6detail10TensorInfoIT3_T5_EES6_S6_S6_NS4_IT4_S6_EES6_b
                                        ; -- End function
	.section	.AMDGPU.csdata,"",@progbits
; Kernel info:
; codeLenInByte = 3152
; NumSgprs: 44
; NumVgprs: 38
; NumAgprs: 0
; TotalNumVgprs: 38
; ScratchSize: 0
; MemoryBound: 0
; FloatMode: 240
; IeeeMode: 1
; LDSByteSize: 528 bytes/workgroup (compile time only)
; SGPRBlocks: 5
; VGPRBlocks: 4
; NumSGPRsForWavesPerEU: 44
; NumVGPRsForWavesPerEU: 38
; AccumOffset: 40
; Occupancy: 8
; WaveLimiterHint : 1
; COMPUTE_PGM_RSRC2:SCRATCH_EN: 0
; COMPUTE_PGM_RSRC2:USER_SGPR: 6
; COMPUTE_PGM_RSRC2:TRAP_HANDLER: 0
; COMPUTE_PGM_RSRC2:TGID_X_EN: 1
; COMPUTE_PGM_RSRC2:TGID_Y_EN: 1
; COMPUTE_PGM_RSRC2:TGID_Z_EN: 1
; COMPUTE_PGM_RSRC2:TIDIG_COMP_CNT: 0
; COMPUTE_PGM_RSRC3_GFX90A:ACCUM_OFFSET: 9
; COMPUTE_PGM_RSRC3_GFX90A:TG_SPLIT: 0
	.section	.text._ZN2at6native18radixSortKVInPlaceILin1ELin1ELi512ELi8EsljEEvNS_4cuda6detail10TensorInfoIT3_T5_EES6_S6_S6_NS4_IT4_S6_EES6_b,"axG",@progbits,_ZN2at6native18radixSortKVInPlaceILin1ELin1ELi512ELi8EsljEEvNS_4cuda6detail10TensorInfoIT3_T5_EES6_S6_S6_NS4_IT4_S6_EES6_b,comdat
	.protected	_ZN2at6native18radixSortKVInPlaceILin1ELin1ELi512ELi8EsljEEvNS_4cuda6detail10TensorInfoIT3_T5_EES6_S6_S6_NS4_IT4_S6_EES6_b ; -- Begin function _ZN2at6native18radixSortKVInPlaceILin1ELin1ELi512ELi8EsljEEvNS_4cuda6detail10TensorInfoIT3_T5_EES6_S6_S6_NS4_IT4_S6_EES6_b
	.globl	_ZN2at6native18radixSortKVInPlaceILin1ELin1ELi512ELi8EsljEEvNS_4cuda6detail10TensorInfoIT3_T5_EES6_S6_S6_NS4_IT4_S6_EES6_b
	.p2align	8
	.type	_ZN2at6native18radixSortKVInPlaceILin1ELin1ELi512ELi8EsljEEvNS_4cuda6detail10TensorInfoIT3_T5_EES6_S6_S6_NS4_IT4_S6_EES6_b,@function
_ZN2at6native18radixSortKVInPlaceILin1ELin1ELi512ELi8EsljEEvNS_4cuda6detail10TensorInfoIT3_T5_EES6_S6_S6_NS4_IT4_S6_EES6_b: ; @_ZN2at6native18radixSortKVInPlaceILin1ELin1ELi512ELi8EsljEEvNS_4cuda6detail10TensorInfoIT3_T5_EES6_S6_S6_NS4_IT4_S6_EES6_b
; %bb.0:
	s_load_dwordx2 s[0:1], s[4:5], 0x1c8
	s_load_dwordx4 s[48:51], s[4:5], 0xd8
	s_add_u32 s54, s4, 0x1c8
	s_addc_u32 s55, s5, 0
	s_waitcnt lgkmcnt(0)
	s_mul_i32 s1, s1, s8
	s_add_i32 s1, s1, s7
	s_mul_i32 s0, s1, s0
	s_add_i32 s20, s0, s6
	s_cmp_ge_u32 s20, s48
	s_cbranch_scc1 .LBB170_149
; %bb.1:
	s_load_dword s2, s[4:5], 0xd0
	s_mov_b32 s1, 0
	s_mov_b32 s0, s20
	s_waitcnt lgkmcnt(0)
	s_cmp_lt_i32 s2, 2
	s_cbranch_scc1 .LBB170_4
; %bb.2:
	s_add_i32 s0, s2, -1
	s_add_i32 s6, s2, 1
	s_lshl_b64 s[2:3], s[0:1], 2
	s_add_u32 s0, s2, s4
	s_addc_u32 s3, s3, s5
	s_add_u32 s2, s0, 8
	s_addc_u32 s3, s3, 0
	s_mov_b32 s0, s20
.LBB170_3:                              ; =>This Inner Loop Header: Depth=1
	s_load_dword s7, s[2:3], 0x0
	s_load_dword s9, s[2:3], 0x64
	s_mov_b32 s8, s0
	s_waitcnt lgkmcnt(0)
	v_cvt_f32_u32_e32 v1, s7
	s_sub_i32 s0, 0, s7
	v_rcp_iflag_f32_e32 v1, v1
	v_mul_f32_e32 v1, 0x4f7ffffe, v1
	v_cvt_u32_f32_e32 v1, v1
	v_readfirstlane_b32 s10, v1
	s_mul_i32 s0, s0, s10
	s_mul_hi_u32 s0, s10, s0
	s_add_i32 s10, s10, s0
	s_mul_hi_u32 s0, s8, s10
	s_mul_i32 s10, s0, s7
	s_sub_i32 s10, s8, s10
	s_add_i32 s11, s0, 1
	s_sub_i32 s12, s10, s7
	s_cmp_ge_u32 s10, s7
	s_cselect_b32 s0, s11, s0
	s_cselect_b32 s10, s12, s10
	s_add_i32 s11, s0, 1
	s_cmp_ge_u32 s10, s7
	s_cselect_b32 s0, s11, s0
	s_mul_i32 s7, s0, s7
	s_sub_i32 s7, s8, s7
	s_mul_i32 s7, s9, s7
	s_add_i32 s6, s6, -1
	s_add_i32 s1, s7, s1
	s_add_u32 s2, s2, -4
	s_addc_u32 s3, s3, -1
	s_cmp_gt_u32 s6, 2
	s_cbranch_scc1 .LBB170_3
.LBB170_4:
	s_load_dword s2, s[4:5], 0x1b8
	s_mov_b32 s17, 0
	s_waitcnt lgkmcnt(0)
	s_cmp_lt_i32 s2, 2
	s_cbranch_scc1 .LBB170_7
; %bb.5:
	s_add_i32 s16, s2, -1
	s_add_i32 s6, s2, 1
	s_lshl_b64 s[2:3], s[16:17], 2
	s_add_u32 s2, s2, s4
	s_addc_u32 s3, s3, s5
	s_add_u32 s2, s2, 0xf0
	s_addc_u32 s3, s3, 0
.LBB170_6:                              ; =>This Inner Loop Header: Depth=1
	s_load_dword s7, s[2:3], 0x0
	s_load_dword s9, s[2:3], 0x64
	s_mov_b32 s8, s20
	s_waitcnt lgkmcnt(0)
	v_cvt_f32_u32_e32 v1, s7
	s_sub_i32 s10, 0, s7
	v_rcp_iflag_f32_e32 v1, v1
	v_mul_f32_e32 v1, 0x4f7ffffe, v1
	v_cvt_u32_f32_e32 v1, v1
	v_readfirstlane_b32 s11, v1
	s_mul_i32 s10, s10, s11
	s_mul_hi_u32 s10, s11, s10
	s_add_i32 s11, s11, s10
	s_mul_hi_u32 s10, s20, s11
	s_mul_i32 s11, s10, s7
	s_sub_i32 s11, s20, s11
	s_add_i32 s12, s10, 1
	s_sub_i32 s13, s11, s7
	s_cmp_ge_u32 s11, s7
	s_cselect_b32 s10, s12, s10
	s_cselect_b32 s11, s13, s11
	s_add_i32 s12, s10, 1
	s_cmp_ge_u32 s11, s7
	s_cselect_b32 s20, s12, s10
	s_mul_i32 s7, s20, s7
	s_sub_i32 s7, s8, s7
	s_mul_i32 s7, s9, s7
	s_add_i32 s6, s6, -1
	s_add_i32 s17, s7, s17
	s_add_u32 s2, s2, -4
	s_addc_u32 s3, s3, -1
	s_cmp_gt_u32 s6, 2
	s_cbranch_scc1 .LBB170_6
.LBB170_7:
	s_load_dword s2, s[4:5], 0x6c
	s_load_dwordx2 s[52:53], s[4:5], 0x1c0
	s_mov_b32 s8, 0x8000
	v_and_b32_e32 v46, 0x3ff, v0
	v_mul_lo_u32 v42, v46, s50
	s_waitcnt lgkmcnt(0)
	s_mul_i32 s0, s2, s0
	s_add_i32 s0, s0, s1
	s_bitcmp1_b32 s53, 0
	s_load_dwordx2 s[2:3], s[4:5], 0x0
	s_cselect_b64 s[34:35], -1, 0
	s_and_b64 s[6:7], s[34:35], exec
	s_cselect_b32 s6, s8, 0x7fff
	s_mov_b32 s1, 0
	s_pack_ll_b32_b16 s8, s6, s6
	s_lshl_b64 s[0:1], s[0:1], 1
	s_mov_b32 s9, s8
	s_waitcnt lgkmcnt(0)
	s_add_u32 s33, s2, s0
	s_mov_b32 s10, s8
	s_mov_b32 s11, s8
	v_pk_mov_b32 v[2:3], s[8:9], s[8:9] op_sel:[0,1]
	s_addc_u32 s48, s3, s1
	v_cmp_gt_u32_e64 s[0:1], s49, v46
	v_pk_mov_b32 v[4:5], s[10:11], s[10:11] op_sel:[0,1]
	v_mov_b32_e32 v6, s6
	s_and_saveexec_b64 s[2:3], s[0:1]
	s_cbranch_execz .LBB170_9
; %bb.8:
	v_mov_b32_e32 v43, 0
	v_lshlrev_b64 v[2:3], 1, v[42:43]
	v_mov_b32_e32 v1, s48
	v_add_co_u32_e32 v2, vcc, s33, v2
	v_addc_co_u32_e32 v3, vcc, v1, v3, vcc
	global_load_ushort v6, v[2:3], off
	s_mov_b32 s6, 0xffff
	v_mov_b32_e32 v1, s8
	v_mov_b32_e32 v3, s8
	;; [unrolled: 1-line block ×4, first 2 shown]
	s_waitcnt vmcnt(0)
	v_bfi_b32 v2, s6, v6, v1
.LBB170_9:
	s_or_b64 exec, exec, s[2:3]
	v_add_u32_e32 v1, 0x200, v46
	v_cmp_gt_u32_e64 s[2:3], s49, v1
	s_and_saveexec_b64 s[6:7], s[2:3]
	s_cbranch_execz .LBB170_11
; %bb.10:
	v_mul_lo_u32 v8, v1, s50
	v_mov_b32_e32 v9, 0
	v_lshlrev_b64 v[8:9], 1, v[8:9]
	v_mov_b32_e32 v7, s48
	v_add_co_u32_e32 v8, vcc, s33, v8
	v_addc_co_u32_e32 v9, vcc, v7, v9, vcc
	global_load_ushort v7, v[8:9], off
	s_mov_b32 s8, 0x5040100
	s_waitcnt vmcnt(0)
	v_perm_b32 v2, v7, v2, s8
.LBB170_11:
	s_or_b64 exec, exec, s[6:7]
	v_or_b32_e32 v22, 0x400, v46
	v_cmp_gt_u32_e64 s[44:45], s49, v22
	s_and_saveexec_b64 s[6:7], s[44:45]
	s_cbranch_execz .LBB170_13
; %bb.12:
	v_mul_lo_u32 v8, v22, s50
	v_mov_b32_e32 v9, 0
	v_lshlrev_b64 v[8:9], 1, v[8:9]
	v_mov_b32_e32 v7, s48
	v_add_co_u32_e32 v8, vcc, s33, v8
	v_addc_co_u32_e32 v9, vcc, v7, v9, vcc
	global_load_ushort v7, v[8:9], off
	s_mov_b32 s8, 0xffff
	s_waitcnt vmcnt(0)
	v_bfi_b32 v3, s8, v7, v3
.LBB170_13:
	s_or_b64 exec, exec, s[6:7]
	v_add_u32_e32 v23, 0x600, v46
	v_cmp_gt_u32_e64 s[6:7], s49, v23
	s_and_saveexec_b64 s[8:9], s[6:7]
	s_cbranch_execz .LBB170_15
; %bb.14:
	v_mul_lo_u32 v8, v23, s50
	v_mov_b32_e32 v9, 0
	v_lshlrev_b64 v[8:9], 1, v[8:9]
	v_mov_b32_e32 v7, s48
	v_add_co_u32_e32 v8, vcc, s33, v8
	v_addc_co_u32_e32 v9, vcc, v7, v9, vcc
	global_load_ushort v7, v[8:9], off
	s_mov_b32 s10, 0x5040100
	s_waitcnt vmcnt(0)
	v_perm_b32 v3, v7, v3, s10
.LBB170_15:
	s_or_b64 exec, exec, s[8:9]
	v_or_b32_e32 v24, 0x800, v46
	v_cmp_gt_u32_e64 s[8:9], s49, v24
	s_and_saveexec_b64 s[10:11], s[8:9]
	s_cbranch_execz .LBB170_17
; %bb.16:
	v_mul_lo_u32 v8, v24, s50
	v_mov_b32_e32 v9, 0
	v_lshlrev_b64 v[8:9], 1, v[8:9]
	v_mov_b32_e32 v7, s48
	v_add_co_u32_e32 v8, vcc, s33, v8
	v_addc_co_u32_e32 v9, vcc, v7, v9, vcc
	global_load_ushort v7, v[8:9], off
	s_mov_b32 s12, 0xffff
	s_waitcnt vmcnt(0)
	v_bfi_b32 v4, s12, v7, v4
.LBB170_17:
	s_or_b64 exec, exec, s[10:11]
	v_add_u32_e32 v25, 0xa00, v46
	v_cmp_gt_u32_e64 s[10:11], s49, v25
	s_and_saveexec_b64 s[12:13], s[10:11]
	s_cbranch_execz .LBB170_19
; %bb.18:
	v_mul_lo_u32 v8, v25, s50
	v_mov_b32_e32 v9, 0
	v_lshlrev_b64 v[8:9], 1, v[8:9]
	v_mov_b32_e32 v7, s48
	v_add_co_u32_e32 v8, vcc, s33, v8
	v_addc_co_u32_e32 v9, vcc, v7, v9, vcc
	global_load_ushort v7, v[8:9], off
	s_mov_b32 s14, 0x5040100
	s_waitcnt vmcnt(0)
	v_perm_b32 v4, v7, v4, s14
.LBB170_19:
	s_or_b64 exec, exec, s[12:13]
	s_load_dwordx2 s[18:19], s[4:5], 0xe8
	v_or_b32_e32 v26, 0xc00, v46
	v_cmp_gt_u32_e64 s[12:13], s49, v26
	s_and_saveexec_b64 s[14:15], s[12:13]
	s_cbranch_execz .LBB170_21
; %bb.20:
	v_mul_lo_u32 v8, v26, s50
	v_mov_b32_e32 v9, 0
	v_lshlrev_b64 v[8:9], 1, v[8:9]
	v_mov_b32_e32 v7, s48
	v_add_co_u32_e32 v8, vcc, s33, v8
	v_addc_co_u32_e32 v9, vcc, v7, v9, vcc
	global_load_ushort v7, v[8:9], off
	s_mov_b32 s16, 0xffff
	s_waitcnt vmcnt(0)
	v_bfi_b32 v5, s16, v7, v5
.LBB170_21:
	s_or_b64 exec, exec, s[14:15]
	s_load_dword s16, s[4:5], 0x154
	v_add_u32_e32 v27, 0xe00, v46
	v_cmp_gt_u32_e64 s[14:15], s49, v27
	s_and_saveexec_b64 s[4:5], s[14:15]
	s_cbranch_execz .LBB170_23
; %bb.22:
	v_mul_lo_u32 v8, v27, s50
	v_mov_b32_e32 v9, 0
	v_lshlrev_b64 v[8:9], 1, v[8:9]
	v_mov_b32_e32 v7, s48
	v_add_co_u32_e32 v8, vcc, s33, v8
	v_addc_co_u32_e32 v9, vcc, v7, v9, vcc
	global_load_ushort v7, v[8:9], off
	s_mov_b32 s21, 0x5040100
	s_waitcnt vmcnt(0)
	v_perm_b32 v5, v7, v5, s21
.LBB170_23:
	s_or_b64 exec, exec, s[4:5]
	v_lshrrev_b32_e32 v36, 5, v46
	v_and_b32_e32 v7, 30, v36
	v_add_lshl_u32 v47, v7, v46, 1
	v_lshrrev_b32_e32 v35, 5, v1
	ds_write_b16 v47, v6
	v_and_b32_e32 v6, 62, v35
	v_add_lshl_u32 v43, v6, v46, 1
	v_lshrrev_b32_e32 v34, 5, v22
	ds_write_b16_d16_hi v43, v2 offset:1024
	v_and_b32_e32 v2, 62, v34
	v_lshrrev_b32_e32 v33, 5, v23
	v_add_lshl_u32 v48, v2, v46, 1
	v_and_b32_e32 v2, 0x7e, v33
	v_lshrrev_b32_e32 v32, 5, v24
	v_add_lshl_u32 v49, v2, v46, 1
	;; [unrolled: 3-line block ×6, first 2 shown]
	v_lshlrev_b32_e32 v62, 3, v46
	v_and_b32_e32 v2, 0xfe, v30
	s_waitcnt lgkmcnt(0)
	s_mul_i32 s4, s16, s20
	v_add_lshl_u32 v54, v2, v62, 1
	s_add_i32 s16, s4, s17
	s_mov_b32 s17, 0
	ds_write_b16 v48, v3 offset:2048
	ds_write_b16_d16_hi v49, v3 offset:3072
	ds_write_b16 v50, v4 offset:4096
	ds_write_b16_d16_hi v51, v4 offset:5120
	ds_write_b16 v52, v5 offset:6144
	ds_write_b16_d16_hi v53, v5 offset:7168
	s_waitcnt lgkmcnt(0)
	s_barrier
	ds_read_b128 v[18:21], v54
	s_lshl_b64 s[4:5], s[16:17], 3
	s_add_u32 s49, s18, s4
	s_mov_b32 s16, s17
	s_addc_u32 s51, s19, s5
	s_mov_b32 s18, s17
	s_mov_b32 s19, s17
	;; [unrolled: 1-line block ×14, first 2 shown]
	v_pk_mov_b32 v[2:3], s[16:17], s[16:17] op_sel:[0,1]
	v_pk_mov_b32 v[4:5], s[18:19], s[18:19] op_sel:[0,1]
	;; [unrolled: 1-line block ×8, first 2 shown]
	v_pk_mov_b32 v[2:3], 0, 0
	v_mul_lo_u32 v44, v46, s52
	s_waitcnt lgkmcnt(0)
	s_barrier
	s_and_saveexec_b64 s[4:5], s[0:1]
	s_cbranch_execnz .LBB170_78
; %bb.24:
	s_or_b64 exec, exec, s[4:5]
	s_and_saveexec_b64 s[4:5], s[2:3]
	s_cbranch_execnz .LBB170_79
.LBB170_25:
	s_or_b64 exec, exec, s[4:5]
	s_and_saveexec_b64 s[4:5], s[44:45]
	s_cbranch_execnz .LBB170_80
.LBB170_26:
	s_or_b64 exec, exec, s[4:5]
	s_and_saveexec_b64 s[4:5], s[6:7]
	s_cbranch_execnz .LBB170_81
.LBB170_27:
	s_or_b64 exec, exec, s[4:5]
	s_and_saveexec_b64 s[4:5], s[8:9]
	s_cbranch_execnz .LBB170_82
.LBB170_28:
	s_or_b64 exec, exec, s[4:5]
	s_and_saveexec_b64 s[4:5], s[10:11]
	s_cbranch_execnz .LBB170_83
.LBB170_29:
	s_or_b64 exec, exec, s[4:5]
	s_and_saveexec_b64 s[4:5], s[12:13]
	s_cbranch_execnz .LBB170_84
.LBB170_30:
	s_or_b64 exec, exec, s[4:5]
	s_xor_b64 s[4:5], s[34:35], -1
	s_and_saveexec_b64 s[16:17], s[14:15]
	s_cbranch_execz .LBB170_32
.LBB170_31:
	v_mul_lo_u32 v16, v27, s52
	v_mov_b32_e32 v17, 0
	v_lshlrev_b64 v[16:17], 3, v[16:17]
	v_mov_b32_e32 v1, s51
	v_add_co_u32_e32 v16, vcc, s49, v16
	v_addc_co_u32_e32 v17, vcc, v1, v17, vcc
	global_load_dwordx2 v[16:17], v[16:17], off
.LBB170_32:
	s_or_b64 exec, exec, s[16:17]
	v_add_lshl_u32 v55, v36, v46, 3
	v_add_lshl_u32 v45, v35, v46, 3
	;; [unrolled: 1-line block ×9, first 2 shown]
	s_waitcnt vmcnt(0)
	ds_write_b64 v55, v[2:3]
	ds_write_b64 v45, v[4:5] offset:4096
	ds_write_b64 v56, v[6:7] offset:8192
	;; [unrolled: 1-line block ×7, first 2 shown]
	s_waitcnt lgkmcnt(0)
	s_barrier
	ds_read2_b64 v[14:17], v63 offset1:1
	ds_read2_b64 v[10:13], v63 offset0:2 offset1:3
	ds_read2_b64 v[6:9], v63 offset0:4 offset1:5
	ds_read2_b64 v[2:5], v63 offset0:6 offset1:7
	v_mbcnt_lo_u32_b32 v1, -1, 0
	v_mbcnt_hi_u32_b32 v65, -1, v1
	v_and_b32_e32 v67, 0x3c0, v46
	v_add_u32_e32 v1, v65, v67
	v_and_b32_e32 v66, 0x1e00, v62
	v_lshlrev_b32_e32 v22, 3, v1
	v_lshlrev_b32_e32 v73, 4, v1
	v_or_b32_e32 v1, v65, v66
	v_lshlrev_b32_e32 v72, 1, v1
	s_and_b64 vcc, exec, s[4:5]
	v_bfe_u32 v68, v0, 10, 10
	v_bfe_u32 v69, v0, 20, 10
	v_lshlrev_b32_e32 v71, 3, v22
	v_lshlrev_b32_e32 v70, 3, v1
	;; [unrolled: 1-line block ×3, first 2 shown]
	s_waitcnt lgkmcnt(0)
	s_barrier
	s_cbranch_vccz .LBB170_85
; %bb.33:
	s_movk_i32 s4, 0x8000
	v_xor_b32_e32 v0, 0xffff8000, v18
	v_xor_b32_sdwa v1, v18, s4 dst_sel:DWORD dst_unused:UNUSED_PAD src0_sel:WORD_1 src1_sel:DWORD
	v_xor_b32_e32 v22, 0xffff8000, v19
	v_xor_b32_sdwa v23, v19, s4 dst_sel:DWORD dst_unused:UNUSED_PAD src0_sel:WORD_1 src1_sel:DWORD
	;; [unrolled: 2-line block ×4, first 2 shown]
	s_mov_b32 s4, 0x5040100
	v_perm_b32 v25, v27, v25, s4
	v_perm_b32 v24, v26, v24, s4
	;; [unrolled: 1-line block ×4, first 2 shown]
	ds_write_b128 v73, v[22:25]
	; wave barrier
	ds_read_u16 v84, v72
	ds_read_u16 v83, v72 offset:128
	ds_read_u16 v82, v72 offset:256
	;; [unrolled: 1-line block ×7, first 2 shown]
	s_waitcnt lgkmcnt(0)
	s_barrier
	ds_write2_b64 v71, v[14:15], v[16:17] offset1:1
	ds_write2_b64 v71, v[10:11], v[12:13] offset0:2 offset1:3
	ds_write2_b64 v71, v[6:7], v[8:9] offset0:4 offset1:5
	;; [unrolled: 1-line block ×3, first 2 shown]
	; wave barrier
	ds_read2st64_b64 v[34:37], v70 offset1:1
	ds_read2st64_b64 v[30:33], v70 offset0:2 offset1:3
	ds_read2st64_b64 v[26:29], v70 offset0:4 offset1:5
	;; [unrolled: 1-line block ×3, first 2 shown]
	s_waitcnt lgkmcnt(0)
	s_barrier
	s_load_dword s16, s[54:55], 0xc
	s_getpc_b64 s[4:5]
	s_add_u32 s4, s4, _ZN7rocprim17ROCPRIM_400000_NS16block_radix_sortIsLj512ELj8ElLj1ELj1ELj0ELNS0_26block_radix_rank_algorithmE1ELNS0_18block_padding_hintE2ELNS0_4arch9wavefront6targetE1EE19radix_bits_per_passE@rel32@lo+4
	s_addc_u32 s5, s5, _ZN7rocprim17ROCPRIM_400000_NS16block_radix_sortIsLj512ELj8ElLj1ELj1ELj0ELNS0_26block_radix_rank_algorithmE1ELNS0_18block_padding_hintE2ELNS0_4arch9wavefront6targetE1EE19radix_bits_per_passE@rel32@hi+12
	s_load_dword s46, s[4:5], 0x0
	s_waitcnt lgkmcnt(0)
	s_lshr_b32 s4, s16, 16
	s_and_b32 s5, s16, 0xffff
	v_mad_u32_u24 v0, v69, s4, v68
	v_mad_u64_u32 v[0:1], s[4:5], v0, s5, v[46:47]
	s_min_u32 s4, s46, 16
	s_lshl_b32 s4, -1, s4
	s_not_b32 s16, s4
	v_and_b32_sdwa v38, s16, v84 dst_sel:DWORD dst_unused:UNUSED_PAD src0_sel:DWORD src1_sel:WORD_0
	v_lshrrev_b32_e32 v74, 6, v0
	v_lshlrev_b32_e32 v1, 3, v38
	v_add_lshl_u32 v87, v74, v1, 2
	v_and_b32_e32 v1, 1, v38
	v_add_co_u32_e32 v39, vcc, -1, v1
	v_addc_co_u32_e64 v40, s[4:5], 0, -1, vcc
	v_cmp_ne_u32_e32 vcc, 0, v1
	v_xor_b32_e32 v1, vcc_hi, v40
	v_mov_b32_e32 v0, 0
	v_and_b32_e32 v40, exec_hi, v1
	v_lshlrev_b32_e32 v1, 30, v38
	v_xor_b32_e32 v39, vcc_lo, v39
	v_cmp_gt_i64_e32 vcc, 0, v[0:1]
	v_not_b32_e32 v1, v1
	v_ashrrev_i32_e32 v1, 31, v1
	v_and_b32_e32 v39, exec_lo, v39
	v_xor_b32_e32 v41, vcc_hi, v1
	v_xor_b32_e32 v1, vcc_lo, v1
	v_and_b32_e32 v39, v39, v1
	v_lshlrev_b32_e32 v1, 29, v38
	v_cmp_gt_i64_e32 vcc, 0, v[0:1]
	v_not_b32_e32 v1, v1
	v_ashrrev_i32_e32 v1, 31, v1
	v_and_b32_e32 v40, v40, v41
	v_xor_b32_e32 v41, vcc_hi, v1
	v_xor_b32_e32 v1, vcc_lo, v1
	v_and_b32_e32 v39, v39, v1
	v_lshlrev_b32_e32 v1, 28, v38
	v_cmp_gt_i64_e32 vcc, 0, v[0:1]
	v_not_b32_e32 v1, v1
	v_ashrrev_i32_e32 v1, 31, v1
	v_and_b32_e32 v40, v40, v41
	;; [unrolled: 8-line block ×5, first 2 shown]
	v_xor_b32_e32 v41, vcc_hi, v1
	v_xor_b32_e32 v1, vcc_lo, v1
	v_and_b32_e32 v40, v40, v41
	v_and_b32_e32 v41, v39, v1
	v_lshlrev_b32_e32 v1, 24, v38
	v_cmp_gt_i64_e32 vcc, 0, v[0:1]
	v_not_b32_e32 v1, v1
	v_ashrrev_i32_e32 v1, 31, v1
	v_xor_b32_e32 v38, vcc_hi, v1
	v_xor_b32_e32 v1, vcc_lo, v1
	v_and_b32_e32 v39, v40, v38
	v_and_b32_e32 v38, v41, v1
	v_mbcnt_lo_u32_b32 v1, v38, 0
	v_mbcnt_hi_u32_b32 v88, v39, v1
	v_cmp_eq_u32_e32 vcc, 0, v88
	v_cmp_ne_u64_e64 s[4:5], 0, v[38:39]
	s_and_b64 s[18:19], s[4:5], vcc
	ds_write2_b32 v64, v0, v0 offset0:8 offset1:9
	ds_write2_b32 v64, v0, v0 offset0:10 offset1:11
	s_waitcnt lgkmcnt(0)
	s_barrier
	s_waitcnt lgkmcnt(0)
	; wave barrier
	s_and_saveexec_b64 s[4:5], s[18:19]
	s_cbranch_execz .LBB170_35
; %bb.34:
	v_bcnt_u32_b32 v1, v38, 0
	v_bcnt_u32_b32 v1, v39, v1
	ds_write_b32 v87, v1 offset:32
.LBB170_35:
	s_or_b64 exec, exec, s[4:5]
	v_and_b32_sdwa v38, s16, v83 dst_sel:DWORD dst_unused:UNUSED_PAD src0_sel:DWORD src1_sel:WORD_0
	v_lshlrev_b32_e32 v1, 3, v38
	v_add_lshl_u32 v90, v74, v1, 2
	v_and_b32_e32 v1, 1, v38
	v_add_co_u32_e32 v39, vcc, -1, v1
	v_addc_co_u32_e64 v40, s[4:5], 0, -1, vcc
	v_cmp_ne_u32_e32 vcc, 0, v1
	v_xor_b32_e32 v1, vcc_hi, v40
	v_and_b32_e32 v40, exec_hi, v1
	v_lshlrev_b32_e32 v1, 30, v38
	v_xor_b32_e32 v39, vcc_lo, v39
	v_cmp_gt_i64_e32 vcc, 0, v[0:1]
	v_not_b32_e32 v1, v1
	v_ashrrev_i32_e32 v1, 31, v1
	v_and_b32_e32 v39, exec_lo, v39
	v_xor_b32_e32 v41, vcc_hi, v1
	v_xor_b32_e32 v1, vcc_lo, v1
	v_and_b32_e32 v39, v39, v1
	v_lshlrev_b32_e32 v1, 29, v38
	v_cmp_gt_i64_e32 vcc, 0, v[0:1]
	v_not_b32_e32 v1, v1
	v_ashrrev_i32_e32 v1, 31, v1
	v_and_b32_e32 v40, v40, v41
	v_xor_b32_e32 v41, vcc_hi, v1
	v_xor_b32_e32 v1, vcc_lo, v1
	v_and_b32_e32 v39, v39, v1
	v_lshlrev_b32_e32 v1, 28, v38
	v_cmp_gt_i64_e32 vcc, 0, v[0:1]
	v_not_b32_e32 v1, v1
	v_ashrrev_i32_e32 v1, 31, v1
	v_and_b32_e32 v40, v40, v41
	v_xor_b32_e32 v41, vcc_hi, v1
	v_xor_b32_e32 v1, vcc_lo, v1
	v_and_b32_e32 v39, v39, v1
	v_lshlrev_b32_e32 v1, 27, v38
	v_cmp_gt_i64_e32 vcc, 0, v[0:1]
	v_not_b32_e32 v1, v1
	v_ashrrev_i32_e32 v1, 31, v1
	v_and_b32_e32 v40, v40, v41
	v_xor_b32_e32 v41, vcc_hi, v1
	v_xor_b32_e32 v1, vcc_lo, v1
	v_and_b32_e32 v39, v39, v1
	v_lshlrev_b32_e32 v1, 26, v38
	v_cmp_gt_i64_e32 vcc, 0, v[0:1]
	v_not_b32_e32 v1, v1
	v_ashrrev_i32_e32 v1, 31, v1
	v_and_b32_e32 v40, v40, v41
	v_xor_b32_e32 v41, vcc_hi, v1
	v_xor_b32_e32 v1, vcc_lo, v1
	v_and_b32_e32 v39, v39, v1
	v_lshlrev_b32_e32 v1, 25, v38
	v_cmp_gt_i64_e32 vcc, 0, v[0:1]
	v_not_b32_e32 v1, v1
	v_ashrrev_i32_e32 v1, 31, v1
	v_and_b32_e32 v40, v40, v41
	v_xor_b32_e32 v41, vcc_hi, v1
	v_xor_b32_e32 v1, vcc_lo, v1
	v_and_b32_e32 v39, v39, v1
	v_lshlrev_b32_e32 v1, 24, v38
	v_cmp_gt_i64_e32 vcc, 0, v[0:1]
	v_not_b32_e32 v0, v1
	v_ashrrev_i32_e32 v0, 31, v0
	v_xor_b32_e32 v1, vcc_hi, v0
	v_xor_b32_e32 v0, vcc_lo, v0
	; wave barrier
	ds_read_b32 v89, v90 offset:32
	v_and_b32_e32 v40, v40, v41
	v_and_b32_e32 v0, v39, v0
	;; [unrolled: 1-line block ×3, first 2 shown]
	v_mbcnt_lo_u32_b32 v38, v0, 0
	v_mbcnt_hi_u32_b32 v91, v1, v38
	v_cmp_eq_u32_e32 vcc, 0, v91
	v_cmp_ne_u64_e64 s[4:5], 0, v[0:1]
	s_and_b64 s[18:19], s[4:5], vcc
	; wave barrier
	s_and_saveexec_b64 s[4:5], s[18:19]
	s_cbranch_execz .LBB170_37
; %bb.36:
	v_bcnt_u32_b32 v0, v0, 0
	v_bcnt_u32_b32 v0, v1, v0
	s_waitcnt lgkmcnt(0)
	v_add_u32_e32 v0, v89, v0
	ds_write_b32 v90, v0 offset:32
.LBB170_37:
	s_or_b64 exec, exec, s[4:5]
	v_and_b32_sdwa v38, s16, v82 dst_sel:DWORD dst_unused:UNUSED_PAD src0_sel:DWORD src1_sel:WORD_0
	v_and_b32_e32 v1, 1, v38
	v_add_co_u32_e32 v39, vcc, -1, v1
	v_addc_co_u32_e64 v40, s[4:5], 0, -1, vcc
	v_cmp_ne_u32_e32 vcc, 0, v1
	v_lshlrev_b32_e32 v0, 3, v38
	v_xor_b32_e32 v1, vcc_hi, v40
	v_add_lshl_u32 v93, v74, v0, 2
	v_mov_b32_e32 v0, 0
	v_and_b32_e32 v40, exec_hi, v1
	v_lshlrev_b32_e32 v1, 30, v38
	v_xor_b32_e32 v39, vcc_lo, v39
	v_cmp_gt_i64_e32 vcc, 0, v[0:1]
	v_not_b32_e32 v1, v1
	v_ashrrev_i32_e32 v1, 31, v1
	v_and_b32_e32 v39, exec_lo, v39
	v_xor_b32_e32 v41, vcc_hi, v1
	v_xor_b32_e32 v1, vcc_lo, v1
	v_and_b32_e32 v39, v39, v1
	v_lshlrev_b32_e32 v1, 29, v38
	v_cmp_gt_i64_e32 vcc, 0, v[0:1]
	v_not_b32_e32 v1, v1
	v_ashrrev_i32_e32 v1, 31, v1
	v_and_b32_e32 v40, v40, v41
	v_xor_b32_e32 v41, vcc_hi, v1
	v_xor_b32_e32 v1, vcc_lo, v1
	v_and_b32_e32 v39, v39, v1
	v_lshlrev_b32_e32 v1, 28, v38
	v_cmp_gt_i64_e32 vcc, 0, v[0:1]
	v_not_b32_e32 v1, v1
	v_ashrrev_i32_e32 v1, 31, v1
	v_and_b32_e32 v40, v40, v41
	;; [unrolled: 8-line block ×5, first 2 shown]
	v_xor_b32_e32 v41, vcc_hi, v1
	v_xor_b32_e32 v1, vcc_lo, v1
	v_and_b32_e32 v40, v40, v41
	v_and_b32_e32 v41, v39, v1
	v_lshlrev_b32_e32 v1, 24, v38
	v_cmp_gt_i64_e32 vcc, 0, v[0:1]
	v_not_b32_e32 v1, v1
	v_ashrrev_i32_e32 v1, 31, v1
	v_xor_b32_e32 v38, vcc_hi, v1
	v_xor_b32_e32 v1, vcc_lo, v1
	; wave barrier
	ds_read_b32 v92, v93 offset:32
	v_and_b32_e32 v39, v40, v38
	v_and_b32_e32 v38, v41, v1
	v_mbcnt_lo_u32_b32 v1, v38, 0
	v_mbcnt_hi_u32_b32 v94, v39, v1
	v_cmp_eq_u32_e32 vcc, 0, v94
	v_cmp_ne_u64_e64 s[4:5], 0, v[38:39]
	s_and_b64 s[18:19], s[4:5], vcc
	; wave barrier
	s_and_saveexec_b64 s[4:5], s[18:19]
	s_cbranch_execz .LBB170_39
; %bb.38:
	v_bcnt_u32_b32 v1, v38, 0
	v_bcnt_u32_b32 v1, v39, v1
	s_waitcnt lgkmcnt(0)
	v_add_u32_e32 v1, v92, v1
	ds_write_b32 v93, v1 offset:32
.LBB170_39:
	s_or_b64 exec, exec, s[4:5]
	v_and_b32_sdwa v38, s16, v81 dst_sel:DWORD dst_unused:UNUSED_PAD src0_sel:DWORD src1_sel:WORD_0
	v_lshlrev_b32_e32 v1, 3, v38
	v_add_lshl_u32 v96, v74, v1, 2
	v_and_b32_e32 v1, 1, v38
	v_add_co_u32_e32 v39, vcc, -1, v1
	v_addc_co_u32_e64 v40, s[4:5], 0, -1, vcc
	v_cmp_ne_u32_e32 vcc, 0, v1
	v_xor_b32_e32 v1, vcc_hi, v40
	v_and_b32_e32 v40, exec_hi, v1
	v_lshlrev_b32_e32 v1, 30, v38
	v_xor_b32_e32 v39, vcc_lo, v39
	v_cmp_gt_i64_e32 vcc, 0, v[0:1]
	v_not_b32_e32 v1, v1
	v_ashrrev_i32_e32 v1, 31, v1
	v_and_b32_e32 v39, exec_lo, v39
	v_xor_b32_e32 v41, vcc_hi, v1
	v_xor_b32_e32 v1, vcc_lo, v1
	v_and_b32_e32 v39, v39, v1
	v_lshlrev_b32_e32 v1, 29, v38
	v_cmp_gt_i64_e32 vcc, 0, v[0:1]
	v_not_b32_e32 v1, v1
	v_ashrrev_i32_e32 v1, 31, v1
	v_and_b32_e32 v40, v40, v41
	v_xor_b32_e32 v41, vcc_hi, v1
	v_xor_b32_e32 v1, vcc_lo, v1
	v_and_b32_e32 v39, v39, v1
	v_lshlrev_b32_e32 v1, 28, v38
	v_cmp_gt_i64_e32 vcc, 0, v[0:1]
	v_not_b32_e32 v1, v1
	v_ashrrev_i32_e32 v1, 31, v1
	v_and_b32_e32 v40, v40, v41
	v_xor_b32_e32 v41, vcc_hi, v1
	v_xor_b32_e32 v1, vcc_lo, v1
	v_and_b32_e32 v39, v39, v1
	v_lshlrev_b32_e32 v1, 27, v38
	v_cmp_gt_i64_e32 vcc, 0, v[0:1]
	v_not_b32_e32 v1, v1
	v_ashrrev_i32_e32 v1, 31, v1
	v_and_b32_e32 v40, v40, v41
	v_xor_b32_e32 v41, vcc_hi, v1
	v_xor_b32_e32 v1, vcc_lo, v1
	v_and_b32_e32 v39, v39, v1
	v_lshlrev_b32_e32 v1, 26, v38
	v_cmp_gt_i64_e32 vcc, 0, v[0:1]
	v_not_b32_e32 v1, v1
	v_ashrrev_i32_e32 v1, 31, v1
	v_and_b32_e32 v40, v40, v41
	v_xor_b32_e32 v41, vcc_hi, v1
	v_xor_b32_e32 v1, vcc_lo, v1
	v_and_b32_e32 v39, v39, v1
	v_lshlrev_b32_e32 v1, 25, v38
	v_cmp_gt_i64_e32 vcc, 0, v[0:1]
	v_not_b32_e32 v1, v1
	v_ashrrev_i32_e32 v1, 31, v1
	v_and_b32_e32 v40, v40, v41
	v_xor_b32_e32 v41, vcc_hi, v1
	v_xor_b32_e32 v1, vcc_lo, v1
	v_and_b32_e32 v39, v39, v1
	v_lshlrev_b32_e32 v1, 24, v38
	v_cmp_gt_i64_e32 vcc, 0, v[0:1]
	v_not_b32_e32 v0, v1
	v_ashrrev_i32_e32 v0, 31, v0
	v_xor_b32_e32 v1, vcc_hi, v0
	v_xor_b32_e32 v0, vcc_lo, v0
	; wave barrier
	ds_read_b32 v95, v96 offset:32
	v_and_b32_e32 v40, v40, v41
	v_and_b32_e32 v0, v39, v0
	;; [unrolled: 1-line block ×3, first 2 shown]
	v_mbcnt_lo_u32_b32 v38, v0, 0
	v_mbcnt_hi_u32_b32 v97, v1, v38
	v_cmp_eq_u32_e32 vcc, 0, v97
	v_cmp_ne_u64_e64 s[4:5], 0, v[0:1]
	s_and_b64 s[18:19], s[4:5], vcc
	; wave barrier
	s_and_saveexec_b64 s[4:5], s[18:19]
	s_cbranch_execz .LBB170_41
; %bb.40:
	v_bcnt_u32_b32 v0, v0, 0
	v_bcnt_u32_b32 v0, v1, v0
	s_waitcnt lgkmcnt(0)
	v_add_u32_e32 v0, v95, v0
	ds_write_b32 v96, v0 offset:32
.LBB170_41:
	s_or_b64 exec, exec, s[4:5]
	v_and_b32_sdwa v38, s16, v80 dst_sel:DWORD dst_unused:UNUSED_PAD src0_sel:DWORD src1_sel:WORD_0
	v_and_b32_e32 v1, 1, v38
	v_add_co_u32_e32 v39, vcc, -1, v1
	v_addc_co_u32_e64 v40, s[4:5], 0, -1, vcc
	v_cmp_ne_u32_e32 vcc, 0, v1
	v_lshlrev_b32_e32 v0, 3, v38
	v_xor_b32_e32 v1, vcc_hi, v40
	v_add_lshl_u32 v99, v74, v0, 2
	v_mov_b32_e32 v0, 0
	v_and_b32_e32 v40, exec_hi, v1
	v_lshlrev_b32_e32 v1, 30, v38
	v_xor_b32_e32 v39, vcc_lo, v39
	v_cmp_gt_i64_e32 vcc, 0, v[0:1]
	v_not_b32_e32 v1, v1
	v_ashrrev_i32_e32 v1, 31, v1
	v_and_b32_e32 v39, exec_lo, v39
	v_xor_b32_e32 v41, vcc_hi, v1
	v_xor_b32_e32 v1, vcc_lo, v1
	v_and_b32_e32 v39, v39, v1
	v_lshlrev_b32_e32 v1, 29, v38
	v_cmp_gt_i64_e32 vcc, 0, v[0:1]
	v_not_b32_e32 v1, v1
	v_ashrrev_i32_e32 v1, 31, v1
	v_and_b32_e32 v40, v40, v41
	v_xor_b32_e32 v41, vcc_hi, v1
	v_xor_b32_e32 v1, vcc_lo, v1
	v_and_b32_e32 v39, v39, v1
	v_lshlrev_b32_e32 v1, 28, v38
	v_cmp_gt_i64_e32 vcc, 0, v[0:1]
	v_not_b32_e32 v1, v1
	v_ashrrev_i32_e32 v1, 31, v1
	v_and_b32_e32 v40, v40, v41
	;; [unrolled: 8-line block ×5, first 2 shown]
	v_xor_b32_e32 v41, vcc_hi, v1
	v_xor_b32_e32 v1, vcc_lo, v1
	v_and_b32_e32 v40, v40, v41
	v_and_b32_e32 v41, v39, v1
	v_lshlrev_b32_e32 v1, 24, v38
	v_cmp_gt_i64_e32 vcc, 0, v[0:1]
	v_not_b32_e32 v1, v1
	v_ashrrev_i32_e32 v1, 31, v1
	v_xor_b32_e32 v38, vcc_hi, v1
	v_xor_b32_e32 v1, vcc_lo, v1
	; wave barrier
	ds_read_b32 v98, v99 offset:32
	v_and_b32_e32 v39, v40, v38
	v_and_b32_e32 v38, v41, v1
	v_mbcnt_lo_u32_b32 v1, v38, 0
	v_mbcnt_hi_u32_b32 v100, v39, v1
	v_cmp_eq_u32_e32 vcc, 0, v100
	v_cmp_ne_u64_e64 s[4:5], 0, v[38:39]
	s_and_b64 s[18:19], s[4:5], vcc
	; wave barrier
	s_and_saveexec_b64 s[4:5], s[18:19]
	s_cbranch_execz .LBB170_43
; %bb.42:
	v_bcnt_u32_b32 v1, v38, 0
	v_bcnt_u32_b32 v1, v39, v1
	s_waitcnt lgkmcnt(0)
	v_add_u32_e32 v1, v98, v1
	ds_write_b32 v99, v1 offset:32
.LBB170_43:
	s_or_b64 exec, exec, s[4:5]
	v_and_b32_sdwa v38, s16, v79 dst_sel:DWORD dst_unused:UNUSED_PAD src0_sel:DWORD src1_sel:WORD_0
	v_lshlrev_b32_e32 v1, 3, v38
	v_add_lshl_u32 v102, v74, v1, 2
	v_and_b32_e32 v1, 1, v38
	v_add_co_u32_e32 v39, vcc, -1, v1
	v_addc_co_u32_e64 v40, s[4:5], 0, -1, vcc
	v_cmp_ne_u32_e32 vcc, 0, v1
	v_xor_b32_e32 v1, vcc_hi, v40
	v_and_b32_e32 v40, exec_hi, v1
	v_lshlrev_b32_e32 v1, 30, v38
	v_xor_b32_e32 v39, vcc_lo, v39
	v_cmp_gt_i64_e32 vcc, 0, v[0:1]
	v_not_b32_e32 v1, v1
	v_ashrrev_i32_e32 v1, 31, v1
	v_and_b32_e32 v39, exec_lo, v39
	v_xor_b32_e32 v41, vcc_hi, v1
	v_xor_b32_e32 v1, vcc_lo, v1
	v_and_b32_e32 v39, v39, v1
	v_lshlrev_b32_e32 v1, 29, v38
	v_cmp_gt_i64_e32 vcc, 0, v[0:1]
	v_not_b32_e32 v1, v1
	v_ashrrev_i32_e32 v1, 31, v1
	v_and_b32_e32 v40, v40, v41
	v_xor_b32_e32 v41, vcc_hi, v1
	v_xor_b32_e32 v1, vcc_lo, v1
	v_and_b32_e32 v39, v39, v1
	v_lshlrev_b32_e32 v1, 28, v38
	v_cmp_gt_i64_e32 vcc, 0, v[0:1]
	v_not_b32_e32 v1, v1
	v_ashrrev_i32_e32 v1, 31, v1
	v_and_b32_e32 v40, v40, v41
	;; [unrolled: 8-line block ×5, first 2 shown]
	v_xor_b32_e32 v41, vcc_hi, v1
	v_xor_b32_e32 v1, vcc_lo, v1
	v_and_b32_e32 v39, v39, v1
	v_lshlrev_b32_e32 v1, 24, v38
	v_cmp_gt_i64_e32 vcc, 0, v[0:1]
	v_not_b32_e32 v0, v1
	v_ashrrev_i32_e32 v0, 31, v0
	v_xor_b32_e32 v1, vcc_hi, v0
	v_xor_b32_e32 v0, vcc_lo, v0
	; wave barrier
	ds_read_b32 v101, v102 offset:32
	v_and_b32_e32 v40, v40, v41
	v_and_b32_e32 v0, v39, v0
	;; [unrolled: 1-line block ×3, first 2 shown]
	v_mbcnt_lo_u32_b32 v38, v0, 0
	v_mbcnt_hi_u32_b32 v103, v1, v38
	v_cmp_eq_u32_e32 vcc, 0, v103
	v_cmp_ne_u64_e64 s[4:5], 0, v[0:1]
	s_and_b64 s[18:19], s[4:5], vcc
	; wave barrier
	s_and_saveexec_b64 s[4:5], s[18:19]
	s_cbranch_execz .LBB170_45
; %bb.44:
	v_bcnt_u32_b32 v0, v0, 0
	v_bcnt_u32_b32 v0, v1, v0
	s_waitcnt lgkmcnt(0)
	v_add_u32_e32 v0, v101, v0
	ds_write_b32 v102, v0 offset:32
.LBB170_45:
	s_or_b64 exec, exec, s[4:5]
	v_and_b32_sdwa v38, s16, v78 dst_sel:DWORD dst_unused:UNUSED_PAD src0_sel:DWORD src1_sel:WORD_0
	v_and_b32_e32 v1, 1, v38
	v_add_co_u32_e32 v39, vcc, -1, v1
	v_addc_co_u32_e64 v40, s[4:5], 0, -1, vcc
	v_cmp_ne_u32_e32 vcc, 0, v1
	v_lshlrev_b32_e32 v0, 3, v38
	v_xor_b32_e32 v1, vcc_hi, v40
	v_add_lshl_u32 v105, v74, v0, 2
	v_mov_b32_e32 v0, 0
	v_and_b32_e32 v40, exec_hi, v1
	v_lshlrev_b32_e32 v1, 30, v38
	v_xor_b32_e32 v39, vcc_lo, v39
	v_cmp_gt_i64_e32 vcc, 0, v[0:1]
	v_not_b32_e32 v1, v1
	v_ashrrev_i32_e32 v1, 31, v1
	v_and_b32_e32 v39, exec_lo, v39
	v_xor_b32_e32 v41, vcc_hi, v1
	v_xor_b32_e32 v1, vcc_lo, v1
	v_and_b32_e32 v39, v39, v1
	v_lshlrev_b32_e32 v1, 29, v38
	v_cmp_gt_i64_e32 vcc, 0, v[0:1]
	v_not_b32_e32 v1, v1
	v_ashrrev_i32_e32 v1, 31, v1
	v_and_b32_e32 v40, v40, v41
	v_xor_b32_e32 v41, vcc_hi, v1
	v_xor_b32_e32 v1, vcc_lo, v1
	v_and_b32_e32 v39, v39, v1
	v_lshlrev_b32_e32 v1, 28, v38
	v_cmp_gt_i64_e32 vcc, 0, v[0:1]
	v_not_b32_e32 v1, v1
	v_ashrrev_i32_e32 v1, 31, v1
	v_and_b32_e32 v40, v40, v41
	;; [unrolled: 8-line block ×5, first 2 shown]
	v_xor_b32_e32 v41, vcc_hi, v1
	v_xor_b32_e32 v1, vcc_lo, v1
	v_and_b32_e32 v40, v40, v41
	v_and_b32_e32 v41, v39, v1
	v_lshlrev_b32_e32 v1, 24, v38
	v_cmp_gt_i64_e32 vcc, 0, v[0:1]
	v_not_b32_e32 v1, v1
	v_ashrrev_i32_e32 v1, 31, v1
	v_xor_b32_e32 v38, vcc_hi, v1
	v_xor_b32_e32 v1, vcc_lo, v1
	; wave barrier
	ds_read_b32 v104, v105 offset:32
	v_and_b32_e32 v39, v40, v38
	v_and_b32_e32 v38, v41, v1
	v_mbcnt_lo_u32_b32 v1, v38, 0
	v_mbcnt_hi_u32_b32 v106, v39, v1
	v_cmp_eq_u32_e32 vcc, 0, v106
	v_cmp_ne_u64_e64 s[4:5], 0, v[38:39]
	s_and_b64 s[18:19], s[4:5], vcc
	; wave barrier
	s_and_saveexec_b64 s[4:5], s[18:19]
	s_cbranch_execz .LBB170_47
; %bb.46:
	v_bcnt_u32_b32 v1, v38, 0
	v_bcnt_u32_b32 v1, v39, v1
	s_waitcnt lgkmcnt(0)
	v_add_u32_e32 v1, v104, v1
	ds_write_b32 v105, v1 offset:32
.LBB170_47:
	s_or_b64 exec, exec, s[4:5]
	v_and_b32_sdwa v38, s16, v77 dst_sel:DWORD dst_unused:UNUSED_PAD src0_sel:DWORD src1_sel:WORD_0
	v_lshlrev_b32_e32 v1, 3, v38
	v_add_lshl_u32 v108, v74, v1, 2
	v_and_b32_e32 v1, 1, v38
	v_add_co_u32_e32 v39, vcc, -1, v1
	v_addc_co_u32_e64 v40, s[4:5], 0, -1, vcc
	v_cmp_ne_u32_e32 vcc, 0, v1
	v_xor_b32_e32 v1, vcc_hi, v40
	v_and_b32_e32 v40, exec_hi, v1
	v_lshlrev_b32_e32 v1, 30, v38
	v_xor_b32_e32 v39, vcc_lo, v39
	v_cmp_gt_i64_e32 vcc, 0, v[0:1]
	v_not_b32_e32 v1, v1
	v_ashrrev_i32_e32 v1, 31, v1
	v_and_b32_e32 v39, exec_lo, v39
	v_xor_b32_e32 v41, vcc_hi, v1
	v_xor_b32_e32 v1, vcc_lo, v1
	v_and_b32_e32 v39, v39, v1
	v_lshlrev_b32_e32 v1, 29, v38
	v_cmp_gt_i64_e32 vcc, 0, v[0:1]
	v_not_b32_e32 v1, v1
	v_ashrrev_i32_e32 v1, 31, v1
	v_and_b32_e32 v40, v40, v41
	v_xor_b32_e32 v41, vcc_hi, v1
	v_xor_b32_e32 v1, vcc_lo, v1
	v_and_b32_e32 v39, v39, v1
	v_lshlrev_b32_e32 v1, 28, v38
	v_cmp_gt_i64_e32 vcc, 0, v[0:1]
	v_not_b32_e32 v1, v1
	v_ashrrev_i32_e32 v1, 31, v1
	v_and_b32_e32 v40, v40, v41
	;; [unrolled: 8-line block ×5, first 2 shown]
	v_xor_b32_e32 v41, vcc_hi, v1
	v_xor_b32_e32 v1, vcc_lo, v1
	v_and_b32_e32 v39, v39, v1
	v_lshlrev_b32_e32 v1, 24, v38
	v_cmp_gt_i64_e32 vcc, 0, v[0:1]
	v_not_b32_e32 v0, v1
	v_ashrrev_i32_e32 v0, 31, v0
	v_xor_b32_e32 v1, vcc_hi, v0
	v_xor_b32_e32 v0, vcc_lo, v0
	; wave barrier
	ds_read_b32 v107, v108 offset:32
	v_and_b32_e32 v40, v40, v41
	v_and_b32_e32 v0, v39, v0
	;; [unrolled: 1-line block ×3, first 2 shown]
	v_mbcnt_lo_u32_b32 v38, v0, 0
	v_mbcnt_hi_u32_b32 v109, v1, v38
	v_cmp_eq_u32_e32 vcc, 0, v109
	v_cmp_ne_u64_e64 s[4:5], 0, v[0:1]
	v_add_u32_e32 v75, 32, v64
	v_lshrrev_b32_e32 v76, 6, v46
	v_min_u32_e32 v85, 0x1c0, v67
	s_and_b64 s[16:17], s[4:5], vcc
	; wave barrier
	s_and_saveexec_b64 s[4:5], s[16:17]
	s_cbranch_execz .LBB170_49
; %bb.48:
	v_bcnt_u32_b32 v0, v0, 0
	v_bcnt_u32_b32 v0, v1, v0
	s_waitcnt lgkmcnt(0)
	v_add_u32_e32 v0, v107, v0
	ds_write_b32 v108, v0 offset:32
.LBB170_49:
	s_or_b64 exec, exec, s[4:5]
	; wave barrier
	s_waitcnt lgkmcnt(0)
	s_barrier
	ds_read2_b32 v[38:39], v64 offset0:8 offset1:9
	ds_read2_b32 v[40:41], v75 offset0:2 offset1:3
	v_and_b32_e32 v1, 16, v65
	v_cmp_eq_u32_e32 vcc, 0, v1
	v_or_b32_e32 v1, 63, v85
	v_cmp_eq_u32_e64 s[16:17], v1, v46
	s_waitcnt lgkmcnt(1)
	v_add_u32_e32 v1, v39, v38
	v_and_b32_e32 v0, 15, v65
	s_waitcnt lgkmcnt(0)
	v_add3_u32 v1, v1, v40, v41
	v_cmp_eq_u32_e64 s[24:25], 0, v0
	v_cmp_lt_u32_e64 s[26:27], 1, v0
	v_mov_b32_dpp v41, v1 row_shr:1 row_mask:0xf bank_mask:0xf
	v_cndmask_b32_e64 v41, v41, 0, s[24:25]
	v_add_u32_e32 v1, v41, v1
	v_cmp_lt_u32_e64 s[30:31], 3, v0
	v_cmp_lt_u32_e64 s[34:35], 7, v0
	v_mov_b32_dpp v41, v1 row_shr:2 row_mask:0xf bank_mask:0xf
	v_cndmask_b32_e64 v41, 0, v41, s[26:27]
	v_add_u32_e32 v1, v1, v41
	v_bfe_i32 v86, v65, 4, 1
	v_cmp_lt_u32_e64 s[36:37], 31, v65
	v_mov_b32_dpp v41, v1 row_shr:4 row_mask:0xf bank_mask:0xf
	v_cndmask_b32_e64 v41, 0, v41, s[30:31]
	v_add_u32_e32 v1, v1, v41
	v_lshlrev_b32_e32 v76, 2, v76
	s_nop 0
	v_mov_b32_dpp v41, v1 row_shr:8 row_mask:0xf bank_mask:0xf
	v_cndmask_b32_e64 v0, 0, v41, s[34:35]
	v_add_u32_e32 v0, v1, v0
	s_nop 1
	v_mov_b32_dpp v1, v0 row_bcast:15 row_mask:0xf bank_mask:0xf
	v_and_b32_e32 v1, v86, v1
	v_add_u32_e32 v0, v0, v1
	s_nop 1
	v_mov_b32_dpp v1, v0 row_bcast:31 row_mask:0xf bank_mask:0xf
	v_cndmask_b32_e64 v1, 0, v1, s[36:37]
	v_add_u32_e32 v1, v0, v1
	s_and_saveexec_b64 s[4:5], s[16:17]
	s_cbranch_execz .LBB170_51
; %bb.50:
	ds_write_b32 v76, v1
.LBB170_51:
	s_or_b64 exec, exec, s[4:5]
	v_and_b32_e32 v0, 7, v65
	v_cmp_gt_u32_e64 s[28:29], 8, v46
	v_lshlrev_b32_e32 v41, 2, v46
	v_cmp_eq_u32_e64 s[22:23], 0, v0
	v_cmp_lt_u32_e64 s[20:21], 1, v0
	v_cmp_lt_u32_e64 s[18:19], 3, v0
	s_waitcnt lgkmcnt(0)
	s_barrier
	s_and_saveexec_b64 s[4:5], s[28:29]
	s_cbranch_execz .LBB170_53
; %bb.52:
	ds_read_b32 v0, v41
	s_waitcnt lgkmcnt(0)
	s_nop 0
	v_mov_b32_dpp v85, v0 row_shr:1 row_mask:0xf bank_mask:0xf
	v_cndmask_b32_e64 v85, v85, 0, s[22:23]
	v_add_u32_e32 v0, v85, v0
	s_nop 1
	v_mov_b32_dpp v85, v0 row_shr:2 row_mask:0xf bank_mask:0xf
	v_cndmask_b32_e64 v85, 0, v85, s[20:21]
	v_add_u32_e32 v0, v0, v85
	;; [unrolled: 4-line block ×3, first 2 shown]
	ds_write_b32 v41, v0
.LBB170_53:
	s_or_b64 exec, exec, s[4:5]
	v_cmp_lt_u32_e64 s[38:39], 63, v46
	v_add_u32_e32 v85, -4, v76
	v_mov_b32_e32 v0, 0
	v_mov_b32_e32 v110, 0
	s_waitcnt lgkmcnt(0)
	s_barrier
	s_and_saveexec_b64 s[4:5], s[38:39]
	s_cbranch_execz .LBB170_55
; %bb.54:
	ds_read_b32 v110, v85
.LBB170_55:
	s_or_b64 exec, exec, s[4:5]
	v_add_u32_e32 v86, -1, v65
	v_and_b32_e32 v111, 64, v65
	v_cmp_lt_i32_e64 s[4:5], v86, v111
	v_cndmask_b32_e64 v86, v86, v65, s[4:5]
	v_lshlrev_b32_e32 v86, 2, v86
	s_waitcnt lgkmcnt(0)
	v_add_u32_e32 v1, v110, v1
	ds_bpermute_b32 v1, v86, v1
	v_cmp_eq_u32_e64 s[40:41], 0, v65
	v_cmp_eq_u32_e64 s[42:43], 0, v46
	v_and_or_b32 v111, v65, 63, v66
	v_lshlrev_b32_e32 v112, 1, v111
	s_waitcnt lgkmcnt(0)
	v_cndmask_b32_e64 v1, v1, v110, s[40:41]
	v_cndmask_b32_e64 v1, v1, 0, s[42:43]
	v_add_u32_e32 v38, v1, v38
	v_add_u32_e32 v39, v38, v39
	;; [unrolled: 1-line block ×3, first 2 shown]
	ds_write2_b32 v64, v1, v38 offset0:8 offset1:9
	ds_write2_b32 v75, v39, v40 offset0:2 offset1:3
	s_waitcnt lgkmcnt(0)
	s_barrier
	ds_read_b32 v1, v87 offset:32
	ds_read_b32 v38, v90 offset:32
	;; [unrolled: 1-line block ×8, first 2 shown]
	s_waitcnt lgkmcnt(7)
	v_add_u32_e32 v1, v1, v88
	s_waitcnt lgkmcnt(6)
	v_add3_u32 v38, v91, v89, v38
	s_waitcnt lgkmcnt(4)
	v_add3_u32 v88, v97, v95, v40
	v_lshlrev_b32_e32 v40, 1, v1
	v_add3_u32 v39, v94, v92, v39
	s_waitcnt lgkmcnt(0)
	s_barrier
	ds_write_b16 v40, v84
	v_lshlrev_b32_e32 v40, 1, v38
	ds_write_b16 v40, v83
	v_lshlrev_b32_e32 v40, 1, v39
	v_add3_u32 v87, v100, v98, v87
	ds_write_b16 v40, v82
	v_lshlrev_b32_e32 v40, 1, v88
	v_add3_u32 v89, v103, v101, v90
	;; [unrolled: 3-line block ×4, first 2 shown]
	ds_write_b16 v40, v79
	v_lshlrev_b32_e32 v40, 1, v90
	ds_write_b16 v40, v78
	v_lshlrev_b32_e32 v40, 1, v91
	v_lshlrev_b32_e32 v1, 3, v1
	ds_write_b16 v40, v77
	s_waitcnt lgkmcnt(0)
	s_barrier
	ds_read_u16 v83, v112
	ds_read_u16 v82, v112 offset:128
	ds_read_u16 v81, v112 offset:256
	;; [unrolled: 1-line block ×7, first 2 shown]
	s_waitcnt lgkmcnt(0)
	s_barrier
	ds_write_b64 v1, v[34:35]
	v_lshlrev_b32_e32 v1, 3, v38
	ds_write_b64 v1, v[36:37]
	v_lshlrev_b32_e32 v1, 3, v39
	;; [unrolled: 2-line block ×4, first 2 shown]
	s_min_u32 s4, s46, 8
	ds_write_b64 v1, v[26:27]
	v_lshlrev_b32_e32 v1, 3, v89
	s_lshl_b32 s4, -1, s4
	ds_write_b64 v1, v[28:29]
	v_lshlrev_b32_e32 v1, 3, v90
	s_not_b32 s53, s4
	ds_write_b64 v1, v[22:23]
	v_lshlrev_b32_e32 v1, 3, v91
	v_and_b32_sdwa v38, v83, s53 dst_sel:DWORD dst_unused:UNUSED_PAD src0_sel:BYTE_1 src1_sel:DWORD
	ds_write_b64 v1, v[24:25]
	v_lshlrev_b32_e32 v1, 3, v38
	v_add_lshl_u32 v84, v1, v74, 2
	v_and_b32_e32 v1, 1, v38
	v_add_co_u32_e64 v39, s[4:5], -1, v1
	v_addc_co_u32_e64 v87, s[4:5], 0, -1, s[4:5]
	v_cmp_ne_u32_e64 s[4:5], 0, v1
	v_xor_b32_e32 v1, s5, v87
	v_and_b32_e32 v87, exec_hi, v1
	v_lshlrev_b32_e32 v1, 30, v38
	v_xor_b32_e32 v39, s4, v39
	v_cmp_gt_i64_e64 s[4:5], 0, v[0:1]
	v_not_b32_e32 v1, v1
	v_ashrrev_i32_e32 v1, 31, v1
	v_and_b32_e32 v39, exec_lo, v39
	v_xor_b32_e32 v88, s5, v1
	v_xor_b32_e32 v1, s4, v1
	v_and_b32_e32 v39, v39, v1
	v_lshlrev_b32_e32 v1, 29, v38
	v_cmp_gt_i64_e64 s[4:5], 0, v[0:1]
	v_not_b32_e32 v1, v1
	v_ashrrev_i32_e32 v1, 31, v1
	v_and_b32_e32 v87, v87, v88
	v_xor_b32_e32 v88, s5, v1
	v_xor_b32_e32 v1, s4, v1
	v_and_b32_e32 v39, v39, v1
	v_lshlrev_b32_e32 v1, 28, v38
	v_cmp_gt_i64_e64 s[4:5], 0, v[0:1]
	v_not_b32_e32 v1, v1
	v_ashrrev_i32_e32 v1, 31, v1
	v_and_b32_e32 v87, v87, v88
	;; [unrolled: 8-line block ×5, first 2 shown]
	v_xor_b32_e32 v88, s5, v1
	v_xor_b32_e32 v1, s4, v1
	v_lshlrev_b32_e32 v111, 3, v111
	v_and_b32_e32 v39, v39, v1
	v_lshlrev_b32_e32 v1, 24, v38
	s_waitcnt lgkmcnt(0)
	s_barrier
	ds_read2st64_b64 v[34:37], v111 offset1:1
	ds_read2st64_b64 v[30:33], v111 offset0:2 offset1:3
	ds_read2st64_b64 v[26:29], v111 offset0:4 offset1:5
	;; [unrolled: 1-line block ×3, first 2 shown]
	s_waitcnt lgkmcnt(0)
	s_barrier
	ds_write2_b32 v64, v0, v0 offset0:8 offset1:9
	ds_write2_b32 v75, v0, v0 offset0:2 offset1:3
	v_cmp_gt_i64_e64 s[4:5], 0, v[0:1]
	v_not_b32_e32 v0, v1
	v_ashrrev_i32_e32 v0, 31, v0
	v_xor_b32_e32 v1, s5, v0
	v_xor_b32_e32 v0, s4, v0
	v_and_b32_e32 v87, v87, v88
	v_and_b32_e32 v0, v39, v0
	;; [unrolled: 1-line block ×3, first 2 shown]
	v_mbcnt_lo_u32_b32 v38, v0, 0
	v_mbcnt_hi_u32_b32 v87, v1, v38
	v_cmp_eq_u32_e64 s[4:5], 0, v87
	v_cmp_ne_u64_e64 s[46:47], 0, v[0:1]
	s_and_b64 s[46:47], s[46:47], s[4:5]
	s_waitcnt lgkmcnt(0)
	s_barrier
	s_waitcnt lgkmcnt(0)
	; wave barrier
	s_and_saveexec_b64 s[4:5], s[46:47]
	s_cbranch_execz .LBB170_57
; %bb.56:
	v_bcnt_u32_b32 v0, v0, 0
	v_bcnt_u32_b32 v0, v1, v0
	ds_write_b32 v84, v0 offset:32
.LBB170_57:
	s_or_b64 exec, exec, s[4:5]
	v_and_b32_sdwa v38, v82, s53 dst_sel:DWORD dst_unused:UNUSED_PAD src0_sel:BYTE_1 src1_sel:DWORD
	v_and_b32_e32 v1, 1, v38
	v_add_co_u32_e64 v39, s[4:5], -1, v1
	v_addc_co_u32_e64 v90, s[4:5], 0, -1, s[4:5]
	v_cmp_ne_u32_e64 s[4:5], 0, v1
	v_lshlrev_b32_e32 v0, 3, v38
	v_xor_b32_e32 v1, s5, v90
	v_add_lshl_u32 v89, v0, v74, 2
	v_mov_b32_e32 v0, 0
	v_and_b32_e32 v90, exec_hi, v1
	v_lshlrev_b32_e32 v1, 30, v38
	v_xor_b32_e32 v39, s4, v39
	v_cmp_gt_i64_e64 s[4:5], 0, v[0:1]
	v_not_b32_e32 v1, v1
	v_ashrrev_i32_e32 v1, 31, v1
	v_and_b32_e32 v39, exec_lo, v39
	v_xor_b32_e32 v91, s5, v1
	v_xor_b32_e32 v1, s4, v1
	v_and_b32_e32 v39, v39, v1
	v_lshlrev_b32_e32 v1, 29, v38
	v_cmp_gt_i64_e64 s[4:5], 0, v[0:1]
	v_not_b32_e32 v1, v1
	v_ashrrev_i32_e32 v1, 31, v1
	v_and_b32_e32 v90, v90, v91
	v_xor_b32_e32 v91, s5, v1
	v_xor_b32_e32 v1, s4, v1
	v_and_b32_e32 v39, v39, v1
	v_lshlrev_b32_e32 v1, 28, v38
	v_cmp_gt_i64_e64 s[4:5], 0, v[0:1]
	v_not_b32_e32 v1, v1
	v_ashrrev_i32_e32 v1, 31, v1
	v_and_b32_e32 v90, v90, v91
	;; [unrolled: 8-line block ×5, first 2 shown]
	v_xor_b32_e32 v91, s5, v1
	v_xor_b32_e32 v1, s4, v1
	v_and_b32_e32 v90, v90, v91
	v_and_b32_e32 v91, v39, v1
	v_lshlrev_b32_e32 v1, 24, v38
	v_cmp_gt_i64_e64 s[4:5], 0, v[0:1]
	v_not_b32_e32 v1, v1
	v_ashrrev_i32_e32 v1, 31, v1
	v_xor_b32_e32 v38, s5, v1
	v_xor_b32_e32 v1, s4, v1
	; wave barrier
	ds_read_b32 v88, v89 offset:32
	v_and_b32_e32 v39, v90, v38
	v_and_b32_e32 v38, v91, v1
	v_mbcnt_lo_u32_b32 v1, v38, 0
	v_mbcnt_hi_u32_b32 v90, v39, v1
	v_cmp_eq_u32_e64 s[4:5], 0, v90
	v_cmp_ne_u64_e64 s[46:47], 0, v[38:39]
	s_and_b64 s[46:47], s[46:47], s[4:5]
	; wave barrier
	s_and_saveexec_b64 s[4:5], s[46:47]
	s_cbranch_execz .LBB170_59
; %bb.58:
	v_bcnt_u32_b32 v1, v38, 0
	v_bcnt_u32_b32 v1, v39, v1
	s_waitcnt lgkmcnt(0)
	v_add_u32_e32 v1, v88, v1
	ds_write_b32 v89, v1 offset:32
.LBB170_59:
	s_or_b64 exec, exec, s[4:5]
	v_and_b32_sdwa v38, v81, s53 dst_sel:DWORD dst_unused:UNUSED_PAD src0_sel:BYTE_1 src1_sel:DWORD
	v_lshlrev_b32_e32 v1, 3, v38
	v_add_lshl_u32 v92, v1, v74, 2
	v_and_b32_e32 v1, 1, v38
	v_add_co_u32_e64 v39, s[4:5], -1, v1
	v_addc_co_u32_e64 v93, s[4:5], 0, -1, s[4:5]
	v_cmp_ne_u32_e64 s[4:5], 0, v1
	v_xor_b32_e32 v1, s5, v93
	v_and_b32_e32 v93, exec_hi, v1
	v_lshlrev_b32_e32 v1, 30, v38
	v_xor_b32_e32 v39, s4, v39
	v_cmp_gt_i64_e64 s[4:5], 0, v[0:1]
	v_not_b32_e32 v1, v1
	v_ashrrev_i32_e32 v1, 31, v1
	v_and_b32_e32 v39, exec_lo, v39
	v_xor_b32_e32 v94, s5, v1
	v_xor_b32_e32 v1, s4, v1
	v_and_b32_e32 v39, v39, v1
	v_lshlrev_b32_e32 v1, 29, v38
	v_cmp_gt_i64_e64 s[4:5], 0, v[0:1]
	v_not_b32_e32 v1, v1
	v_ashrrev_i32_e32 v1, 31, v1
	v_and_b32_e32 v93, v93, v94
	v_xor_b32_e32 v94, s5, v1
	v_xor_b32_e32 v1, s4, v1
	v_and_b32_e32 v39, v39, v1
	v_lshlrev_b32_e32 v1, 28, v38
	v_cmp_gt_i64_e64 s[4:5], 0, v[0:1]
	v_not_b32_e32 v1, v1
	v_ashrrev_i32_e32 v1, 31, v1
	v_and_b32_e32 v93, v93, v94
	;; [unrolled: 8-line block ×5, first 2 shown]
	v_xor_b32_e32 v94, s5, v1
	v_xor_b32_e32 v1, s4, v1
	v_and_b32_e32 v39, v39, v1
	v_lshlrev_b32_e32 v1, 24, v38
	v_cmp_gt_i64_e64 s[4:5], 0, v[0:1]
	v_not_b32_e32 v0, v1
	v_ashrrev_i32_e32 v0, 31, v0
	v_xor_b32_e32 v1, s5, v0
	v_xor_b32_e32 v0, s4, v0
	; wave barrier
	ds_read_b32 v91, v92 offset:32
	v_and_b32_e32 v93, v93, v94
	v_and_b32_e32 v0, v39, v0
	;; [unrolled: 1-line block ×3, first 2 shown]
	v_mbcnt_lo_u32_b32 v38, v0, 0
	v_mbcnt_hi_u32_b32 v93, v1, v38
	v_cmp_eq_u32_e64 s[4:5], 0, v93
	v_cmp_ne_u64_e64 s[46:47], 0, v[0:1]
	s_and_b64 s[46:47], s[46:47], s[4:5]
	; wave barrier
	s_and_saveexec_b64 s[4:5], s[46:47]
	s_cbranch_execz .LBB170_61
; %bb.60:
	v_bcnt_u32_b32 v0, v0, 0
	v_bcnt_u32_b32 v0, v1, v0
	s_waitcnt lgkmcnt(0)
	v_add_u32_e32 v0, v91, v0
	ds_write_b32 v92, v0 offset:32
.LBB170_61:
	s_or_b64 exec, exec, s[4:5]
	v_and_b32_sdwa v38, v80, s53 dst_sel:DWORD dst_unused:UNUSED_PAD src0_sel:BYTE_1 src1_sel:DWORD
	v_and_b32_e32 v1, 1, v38
	v_add_co_u32_e64 v39, s[4:5], -1, v1
	v_addc_co_u32_e64 v96, s[4:5], 0, -1, s[4:5]
	v_cmp_ne_u32_e64 s[4:5], 0, v1
	v_lshlrev_b32_e32 v0, 3, v38
	v_xor_b32_e32 v1, s5, v96
	v_add_lshl_u32 v95, v0, v74, 2
	v_mov_b32_e32 v0, 0
	v_and_b32_e32 v96, exec_hi, v1
	v_lshlrev_b32_e32 v1, 30, v38
	v_xor_b32_e32 v39, s4, v39
	v_cmp_gt_i64_e64 s[4:5], 0, v[0:1]
	v_not_b32_e32 v1, v1
	v_ashrrev_i32_e32 v1, 31, v1
	v_and_b32_e32 v39, exec_lo, v39
	v_xor_b32_e32 v97, s5, v1
	v_xor_b32_e32 v1, s4, v1
	v_and_b32_e32 v39, v39, v1
	v_lshlrev_b32_e32 v1, 29, v38
	v_cmp_gt_i64_e64 s[4:5], 0, v[0:1]
	v_not_b32_e32 v1, v1
	v_ashrrev_i32_e32 v1, 31, v1
	v_and_b32_e32 v96, v96, v97
	v_xor_b32_e32 v97, s5, v1
	v_xor_b32_e32 v1, s4, v1
	v_and_b32_e32 v39, v39, v1
	v_lshlrev_b32_e32 v1, 28, v38
	v_cmp_gt_i64_e64 s[4:5], 0, v[0:1]
	v_not_b32_e32 v1, v1
	v_ashrrev_i32_e32 v1, 31, v1
	v_and_b32_e32 v96, v96, v97
	;; [unrolled: 8-line block ×5, first 2 shown]
	v_xor_b32_e32 v97, s5, v1
	v_xor_b32_e32 v1, s4, v1
	v_and_b32_e32 v96, v96, v97
	v_and_b32_e32 v97, v39, v1
	v_lshlrev_b32_e32 v1, 24, v38
	v_cmp_gt_i64_e64 s[4:5], 0, v[0:1]
	v_not_b32_e32 v1, v1
	v_ashrrev_i32_e32 v1, 31, v1
	v_xor_b32_e32 v38, s5, v1
	v_xor_b32_e32 v1, s4, v1
	; wave barrier
	ds_read_b32 v94, v95 offset:32
	v_and_b32_e32 v39, v96, v38
	v_and_b32_e32 v38, v97, v1
	v_mbcnt_lo_u32_b32 v1, v38, 0
	v_mbcnt_hi_u32_b32 v96, v39, v1
	v_cmp_eq_u32_e64 s[4:5], 0, v96
	v_cmp_ne_u64_e64 s[46:47], 0, v[38:39]
	s_and_b64 s[46:47], s[46:47], s[4:5]
	; wave barrier
	s_and_saveexec_b64 s[4:5], s[46:47]
	s_cbranch_execz .LBB170_63
; %bb.62:
	v_bcnt_u32_b32 v1, v38, 0
	v_bcnt_u32_b32 v1, v39, v1
	s_waitcnt lgkmcnt(0)
	v_add_u32_e32 v1, v94, v1
	ds_write_b32 v95, v1 offset:32
.LBB170_63:
	s_or_b64 exec, exec, s[4:5]
	v_and_b32_sdwa v38, v79, s53 dst_sel:DWORD dst_unused:UNUSED_PAD src0_sel:BYTE_1 src1_sel:DWORD
	v_lshlrev_b32_e32 v1, 3, v38
	v_add_lshl_u32 v98, v1, v74, 2
	v_and_b32_e32 v1, 1, v38
	v_add_co_u32_e64 v39, s[4:5], -1, v1
	v_addc_co_u32_e64 v99, s[4:5], 0, -1, s[4:5]
	v_cmp_ne_u32_e64 s[4:5], 0, v1
	v_xor_b32_e32 v1, s5, v99
	v_and_b32_e32 v99, exec_hi, v1
	v_lshlrev_b32_e32 v1, 30, v38
	v_xor_b32_e32 v39, s4, v39
	v_cmp_gt_i64_e64 s[4:5], 0, v[0:1]
	v_not_b32_e32 v1, v1
	v_ashrrev_i32_e32 v1, 31, v1
	v_and_b32_e32 v39, exec_lo, v39
	v_xor_b32_e32 v100, s5, v1
	v_xor_b32_e32 v1, s4, v1
	v_and_b32_e32 v39, v39, v1
	v_lshlrev_b32_e32 v1, 29, v38
	v_cmp_gt_i64_e64 s[4:5], 0, v[0:1]
	v_not_b32_e32 v1, v1
	v_ashrrev_i32_e32 v1, 31, v1
	v_and_b32_e32 v99, v99, v100
	v_xor_b32_e32 v100, s5, v1
	v_xor_b32_e32 v1, s4, v1
	v_and_b32_e32 v39, v39, v1
	v_lshlrev_b32_e32 v1, 28, v38
	v_cmp_gt_i64_e64 s[4:5], 0, v[0:1]
	v_not_b32_e32 v1, v1
	v_ashrrev_i32_e32 v1, 31, v1
	v_and_b32_e32 v99, v99, v100
	;; [unrolled: 8-line block ×5, first 2 shown]
	v_xor_b32_e32 v100, s5, v1
	v_xor_b32_e32 v1, s4, v1
	v_and_b32_e32 v39, v39, v1
	v_lshlrev_b32_e32 v1, 24, v38
	v_cmp_gt_i64_e64 s[4:5], 0, v[0:1]
	v_not_b32_e32 v0, v1
	v_ashrrev_i32_e32 v0, 31, v0
	v_xor_b32_e32 v1, s5, v0
	v_xor_b32_e32 v0, s4, v0
	; wave barrier
	ds_read_b32 v97, v98 offset:32
	v_and_b32_e32 v99, v99, v100
	v_and_b32_e32 v0, v39, v0
	;; [unrolled: 1-line block ×3, first 2 shown]
	v_mbcnt_lo_u32_b32 v38, v0, 0
	v_mbcnt_hi_u32_b32 v99, v1, v38
	v_cmp_eq_u32_e64 s[4:5], 0, v99
	v_cmp_ne_u64_e64 s[46:47], 0, v[0:1]
	s_and_b64 s[46:47], s[46:47], s[4:5]
	; wave barrier
	s_and_saveexec_b64 s[4:5], s[46:47]
	s_cbranch_execz .LBB170_65
; %bb.64:
	v_bcnt_u32_b32 v0, v0, 0
	v_bcnt_u32_b32 v0, v1, v0
	s_waitcnt lgkmcnt(0)
	v_add_u32_e32 v0, v97, v0
	ds_write_b32 v98, v0 offset:32
.LBB170_65:
	s_or_b64 exec, exec, s[4:5]
	v_and_b32_sdwa v38, v78, s53 dst_sel:DWORD dst_unused:UNUSED_PAD src0_sel:BYTE_1 src1_sel:DWORD
	v_and_b32_e32 v1, 1, v38
	v_add_co_u32_e64 v39, s[4:5], -1, v1
	v_addc_co_u32_e64 v102, s[4:5], 0, -1, s[4:5]
	v_cmp_ne_u32_e64 s[4:5], 0, v1
	v_lshlrev_b32_e32 v0, 3, v38
	v_xor_b32_e32 v1, s5, v102
	v_add_lshl_u32 v101, v0, v74, 2
	v_mov_b32_e32 v0, 0
	v_and_b32_e32 v102, exec_hi, v1
	v_lshlrev_b32_e32 v1, 30, v38
	v_xor_b32_e32 v39, s4, v39
	v_cmp_gt_i64_e64 s[4:5], 0, v[0:1]
	v_not_b32_e32 v1, v1
	v_ashrrev_i32_e32 v1, 31, v1
	v_and_b32_e32 v39, exec_lo, v39
	v_xor_b32_e32 v103, s5, v1
	v_xor_b32_e32 v1, s4, v1
	v_and_b32_e32 v39, v39, v1
	v_lshlrev_b32_e32 v1, 29, v38
	v_cmp_gt_i64_e64 s[4:5], 0, v[0:1]
	v_not_b32_e32 v1, v1
	v_ashrrev_i32_e32 v1, 31, v1
	v_and_b32_e32 v102, v102, v103
	v_xor_b32_e32 v103, s5, v1
	v_xor_b32_e32 v1, s4, v1
	v_and_b32_e32 v39, v39, v1
	v_lshlrev_b32_e32 v1, 28, v38
	v_cmp_gt_i64_e64 s[4:5], 0, v[0:1]
	v_not_b32_e32 v1, v1
	v_ashrrev_i32_e32 v1, 31, v1
	v_and_b32_e32 v102, v102, v103
	;; [unrolled: 8-line block ×5, first 2 shown]
	v_xor_b32_e32 v103, s5, v1
	v_xor_b32_e32 v1, s4, v1
	v_and_b32_e32 v102, v102, v103
	v_and_b32_e32 v103, v39, v1
	v_lshlrev_b32_e32 v1, 24, v38
	v_cmp_gt_i64_e64 s[4:5], 0, v[0:1]
	v_not_b32_e32 v1, v1
	v_ashrrev_i32_e32 v1, 31, v1
	v_xor_b32_e32 v38, s5, v1
	v_xor_b32_e32 v1, s4, v1
	; wave barrier
	ds_read_b32 v100, v101 offset:32
	v_and_b32_e32 v39, v102, v38
	v_and_b32_e32 v38, v103, v1
	v_mbcnt_lo_u32_b32 v1, v38, 0
	v_mbcnt_hi_u32_b32 v102, v39, v1
	v_cmp_eq_u32_e64 s[4:5], 0, v102
	v_cmp_ne_u64_e64 s[46:47], 0, v[38:39]
	s_and_b64 s[46:47], s[46:47], s[4:5]
	; wave barrier
	s_and_saveexec_b64 s[4:5], s[46:47]
	s_cbranch_execz .LBB170_67
; %bb.66:
	v_bcnt_u32_b32 v1, v38, 0
	v_bcnt_u32_b32 v1, v39, v1
	s_waitcnt lgkmcnt(0)
	v_add_u32_e32 v1, v100, v1
	ds_write_b32 v101, v1 offset:32
.LBB170_67:
	s_or_b64 exec, exec, s[4:5]
	v_and_b32_sdwa v38, v77, s53 dst_sel:DWORD dst_unused:UNUSED_PAD src0_sel:BYTE_1 src1_sel:DWORD
	v_lshlrev_b32_e32 v1, 3, v38
	v_add_lshl_u32 v104, v1, v74, 2
	v_and_b32_e32 v1, 1, v38
	v_add_co_u32_e64 v39, s[4:5], -1, v1
	v_addc_co_u32_e64 v105, s[4:5], 0, -1, s[4:5]
	v_cmp_ne_u32_e64 s[4:5], 0, v1
	v_xor_b32_e32 v1, s5, v105
	v_and_b32_e32 v105, exec_hi, v1
	v_lshlrev_b32_e32 v1, 30, v38
	v_xor_b32_e32 v39, s4, v39
	v_cmp_gt_i64_e64 s[4:5], 0, v[0:1]
	v_not_b32_e32 v1, v1
	v_ashrrev_i32_e32 v1, 31, v1
	v_and_b32_e32 v39, exec_lo, v39
	v_xor_b32_e32 v106, s5, v1
	v_xor_b32_e32 v1, s4, v1
	v_and_b32_e32 v39, v39, v1
	v_lshlrev_b32_e32 v1, 29, v38
	v_cmp_gt_i64_e64 s[4:5], 0, v[0:1]
	v_not_b32_e32 v1, v1
	v_ashrrev_i32_e32 v1, 31, v1
	v_and_b32_e32 v105, v105, v106
	v_xor_b32_e32 v106, s5, v1
	v_xor_b32_e32 v1, s4, v1
	v_and_b32_e32 v39, v39, v1
	v_lshlrev_b32_e32 v1, 28, v38
	v_cmp_gt_i64_e64 s[4:5], 0, v[0:1]
	v_not_b32_e32 v1, v1
	v_ashrrev_i32_e32 v1, 31, v1
	v_and_b32_e32 v105, v105, v106
	;; [unrolled: 8-line block ×5, first 2 shown]
	v_xor_b32_e32 v106, s5, v1
	v_xor_b32_e32 v1, s4, v1
	v_and_b32_e32 v39, v39, v1
	v_lshlrev_b32_e32 v1, 24, v38
	v_cmp_gt_i64_e64 s[4:5], 0, v[0:1]
	v_not_b32_e32 v0, v1
	v_ashrrev_i32_e32 v0, 31, v0
	v_xor_b32_e32 v1, s5, v0
	v_xor_b32_e32 v0, s4, v0
	; wave barrier
	ds_read_b32 v103, v104 offset:32
	v_and_b32_e32 v105, v105, v106
	v_and_b32_e32 v0, v39, v0
	;; [unrolled: 1-line block ×3, first 2 shown]
	v_mbcnt_lo_u32_b32 v38, v0, 0
	v_mbcnt_hi_u32_b32 v105, v1, v38
	v_cmp_eq_u32_e64 s[4:5], 0, v105
	v_cmp_ne_u64_e64 s[46:47], 0, v[0:1]
	s_and_b64 s[46:47], s[46:47], s[4:5]
	; wave barrier
	s_and_saveexec_b64 s[4:5], s[46:47]
	s_cbranch_execz .LBB170_69
; %bb.68:
	v_bcnt_u32_b32 v0, v0, 0
	v_bcnt_u32_b32 v0, v1, v0
	s_waitcnt lgkmcnt(0)
	v_add_u32_e32 v0, v103, v0
	ds_write_b32 v104, v0 offset:32
.LBB170_69:
	s_or_b64 exec, exec, s[4:5]
	v_and_b32_sdwa v38, v40, s53 dst_sel:DWORD dst_unused:UNUSED_PAD src0_sel:BYTE_1 src1_sel:DWORD
	v_and_b32_e32 v1, 1, v38
	v_add_co_u32_e64 v39, s[4:5], -1, v1
	v_addc_co_u32_e64 v107, s[4:5], 0, -1, s[4:5]
	v_cmp_ne_u32_e64 s[4:5], 0, v1
	v_lshlrev_b32_e32 v0, 3, v38
	v_xor_b32_e32 v1, s5, v107
	v_add_lshl_u32 v106, v0, v74, 2
	v_mov_b32_e32 v0, 0
	v_and_b32_e32 v107, exec_hi, v1
	v_lshlrev_b32_e32 v1, 30, v38
	v_xor_b32_e32 v39, s4, v39
	v_cmp_gt_i64_e64 s[4:5], 0, v[0:1]
	v_not_b32_e32 v1, v1
	v_ashrrev_i32_e32 v1, 31, v1
	v_and_b32_e32 v39, exec_lo, v39
	v_xor_b32_e32 v108, s5, v1
	v_xor_b32_e32 v1, s4, v1
	v_and_b32_e32 v39, v39, v1
	v_lshlrev_b32_e32 v1, 29, v38
	v_cmp_gt_i64_e64 s[4:5], 0, v[0:1]
	v_not_b32_e32 v1, v1
	v_ashrrev_i32_e32 v1, 31, v1
	v_and_b32_e32 v107, v107, v108
	v_xor_b32_e32 v108, s5, v1
	v_xor_b32_e32 v1, s4, v1
	v_and_b32_e32 v39, v39, v1
	v_lshlrev_b32_e32 v1, 28, v38
	v_cmp_gt_i64_e64 s[4:5], 0, v[0:1]
	v_not_b32_e32 v1, v1
	v_ashrrev_i32_e32 v1, 31, v1
	v_and_b32_e32 v107, v107, v108
	;; [unrolled: 8-line block ×5, first 2 shown]
	v_xor_b32_e32 v108, s5, v1
	v_xor_b32_e32 v1, s4, v1
	v_and_b32_e32 v39, v39, v1
	v_lshlrev_b32_e32 v1, 24, v38
	v_cmp_gt_i64_e64 s[4:5], 0, v[0:1]
	v_not_b32_e32 v0, v1
	v_ashrrev_i32_e32 v0, 31, v0
	v_xor_b32_e32 v1, s5, v0
	v_xor_b32_e32 v0, s4, v0
	; wave barrier
	ds_read_b32 v74, v106 offset:32
	v_and_b32_e32 v107, v107, v108
	v_and_b32_e32 v0, v39, v0
	;; [unrolled: 1-line block ×3, first 2 shown]
	v_mbcnt_lo_u32_b32 v38, v0, 0
	v_mbcnt_hi_u32_b32 v107, v1, v38
	v_cmp_eq_u32_e64 s[4:5], 0, v107
	v_cmp_ne_u64_e64 s[46:47], 0, v[0:1]
	s_and_b64 s[46:47], s[46:47], s[4:5]
	; wave barrier
	s_and_saveexec_b64 s[4:5], s[46:47]
	s_cbranch_execz .LBB170_71
; %bb.70:
	v_bcnt_u32_b32 v0, v0, 0
	v_bcnt_u32_b32 v0, v1, v0
	s_waitcnt lgkmcnt(0)
	v_add_u32_e32 v0, v74, v0
	ds_write_b32 v106, v0 offset:32
.LBB170_71:
	s_or_b64 exec, exec, s[4:5]
	; wave barrier
	s_waitcnt lgkmcnt(0)
	s_barrier
	ds_read2_b32 v[38:39], v64 offset0:8 offset1:9
	ds_read2_b32 v[0:1], v75 offset0:2 offset1:3
	s_waitcnt lgkmcnt(1)
	v_add_u32_e32 v108, v39, v38
	s_waitcnt lgkmcnt(0)
	v_add3_u32 v1, v108, v0, v1
	s_nop 1
	v_mov_b32_dpp v108, v1 row_shr:1 row_mask:0xf bank_mask:0xf
	v_cndmask_b32_e64 v108, v108, 0, s[24:25]
	v_add_u32_e32 v1, v108, v1
	s_nop 1
	v_mov_b32_dpp v108, v1 row_shr:2 row_mask:0xf bank_mask:0xf
	v_cndmask_b32_e64 v108, 0, v108, s[26:27]
	v_add_u32_e32 v1, v1, v108
	;; [unrolled: 4-line block ×4, first 2 shown]
	s_nop 1
	v_mov_b32_dpp v108, v1 row_bcast:15 row_mask:0xf bank_mask:0xf
	v_cndmask_b32_e64 v108, v108, 0, vcc
	v_add_u32_e32 v1, v1, v108
	s_nop 1
	v_mov_b32_dpp v108, v1 row_bcast:31 row_mask:0xf bank_mask:0xf
	v_cndmask_b32_e64 v108, 0, v108, s[36:37]
	v_add_u32_e32 v1, v1, v108
	s_and_saveexec_b64 s[4:5], s[16:17]
	s_cbranch_execz .LBB170_73
; %bb.72:
	ds_write_b32 v76, v1
.LBB170_73:
	s_or_b64 exec, exec, s[4:5]
	s_waitcnt lgkmcnt(0)
	s_barrier
	s_and_saveexec_b64 s[4:5], s[28:29]
	s_cbranch_execz .LBB170_75
; %bb.74:
	ds_read_b32 v76, v41
	s_waitcnt lgkmcnt(0)
	s_nop 0
	v_mov_b32_dpp v108, v76 row_shr:1 row_mask:0xf bank_mask:0xf
	v_cndmask_b32_e64 v108, v108, 0, s[22:23]
	v_add_u32_e32 v76, v108, v76
	s_nop 1
	v_mov_b32_dpp v108, v76 row_shr:2 row_mask:0xf bank_mask:0xf
	v_cndmask_b32_e64 v108, 0, v108, s[20:21]
	v_add_u32_e32 v76, v76, v108
	;; [unrolled: 4-line block ×3, first 2 shown]
	ds_write_b32 v41, v76
.LBB170_75:
	s_or_b64 exec, exec, s[4:5]
	v_mov_b32_e32 v41, 0
	s_waitcnt lgkmcnt(0)
	s_barrier
	s_and_saveexec_b64 s[4:5], s[38:39]
	s_cbranch_execz .LBB170_77
; %bb.76:
	ds_read_b32 v41, v85
.LBB170_77:
	s_or_b64 exec, exec, s[4:5]
	s_waitcnt lgkmcnt(0)
	v_add_u32_e32 v1, v41, v1
	ds_bpermute_b32 v1, v86, v1
	s_waitcnt lgkmcnt(0)
	v_cndmask_b32_e64 v1, v1, v41, s[40:41]
	v_cndmask_b32_e64 v1, v1, 0, s[42:43]
	v_add_u32_e32 v38, v1, v38
	v_add_u32_e32 v39, v38, v39
	;; [unrolled: 1-line block ×3, first 2 shown]
	ds_write2_b32 v64, v1, v38 offset0:8 offset1:9
	ds_write2_b32 v75, v39, v0 offset0:2 offset1:3
	s_waitcnt lgkmcnt(0)
	s_barrier
	ds_read_b32 v0, v106 offset:32
	ds_read_b32 v1, v104 offset:32
	;; [unrolled: 1-line block ×4, first 2 shown]
	s_waitcnt lgkmcnt(3)
	v_add3_u32 v0, v107, v74, v0
	s_waitcnt lgkmcnt(2)
	v_add3_u32 v1, v105, v103, v1
	;; [unrolled: 2-line block ×3, first 2 shown]
	ds_read_b32 v38, v95 offset:32
	ds_read_b32 v41, v92 offset:32
	;; [unrolled: 1-line block ×4, first 2 shown]
	s_waitcnt lgkmcnt(0)
	s_barrier
	v_add3_u32 v41, v93, v91, v41
	v_add3_u32 v75, v90, v88, v75
	v_add_u32_e32 v76, v76, v87
	v_lshlrev_b32_e32 v84, 1, v76
	ds_write_b16 v84, v83
	v_lshlrev_b32_e32 v83, 1, v75
	v_add3_u32 v38, v96, v94, v38
	ds_write_b16 v83, v82
	v_lshlrev_b32_e32 v82, 1, v41
	v_add3_u32 v39, v99, v97, v39
	ds_write_b16 v82, v81
	v_lshlrev_b32_e32 v81, 1, v38
	ds_write_b16 v81, v80
	v_lshlrev_b32_e32 v80, 1, v39
	;; [unrolled: 2-line block ×6, first 2 shown]
	v_lshlrev_b32_e32 v76, 3, v76
	v_lshlrev_b32_e32 v80, 3, v62
	s_waitcnt lgkmcnt(0)
	s_barrier
	v_lshlrev_b32_e32 v75, 3, v75
	v_lshlrev_b32_e32 v77, 3, v41
	;; [unrolled: 1-line block ×4, first 2 shown]
	ds_read_b128 v[38:41], v40
	v_lshlrev_b32_e32 v74, 3, v74
	v_lshlrev_b32_e32 v1, 3, v1
	v_lshlrev_b32_e32 v0, 3, v0
	s_waitcnt lgkmcnt(0)
	s_barrier
	ds_write_b64 v76, v[34:35]
	ds_write_b64 v75, v[36:37]
	;; [unrolled: 1-line block ×8, first 2 shown]
	s_waitcnt lgkmcnt(0)
	s_barrier
	ds_read2_b64 v[22:25], v80 offset1:1
	ds_read2_b64 v[26:29], v80 offset0:2 offset1:3
	ds_read2_b64 v[30:33], v80 offset0:4 offset1:5
	;; [unrolled: 1-line block ×3, first 2 shown]
	v_xor_b32_e32 v38, 0x80008000, v38
	v_xor_b32_e32 v39, 0x80008000, v39
	v_xor_b32_e32 v40, 0x80008000, v40
	v_xor_b32_e32 v41, 0x80008000, v41
	s_branch .LBB170_131
.LBB170_78:
	v_mov_b32_e32 v45, 0
	v_lshlrev_b64 v[2:3], 3, v[44:45]
	v_mov_b32_e32 v4, s51
	v_add_co_u32_e32 v2, vcc, s49, v2
	v_addc_co_u32_e32 v3, vcc, v4, v3, vcc
	global_load_dwordx2 v[2:3], v[2:3], off
	v_mov_b32_e32 v4, v45
	v_mov_b32_e32 v5, v45
	;; [unrolled: 1-line block ×14, first 2 shown]
	s_or_b64 exec, exec, s[4:5]
	s_and_saveexec_b64 s[4:5], s[2:3]
	s_cbranch_execz .LBB170_25
.LBB170_79:
	v_mul_lo_u32 v4, v1, s52
	v_mov_b32_e32 v5, 0
	v_lshlrev_b64 v[4:5], 3, v[4:5]
	v_mov_b32_e32 v1, s51
	v_add_co_u32_e32 v4, vcc, s49, v4
	v_addc_co_u32_e32 v5, vcc, v1, v5, vcc
	global_load_dwordx2 v[4:5], v[4:5], off
	s_or_b64 exec, exec, s[4:5]
	s_and_saveexec_b64 s[4:5], s[44:45]
	s_cbranch_execz .LBB170_26
.LBB170_80:
	v_mul_lo_u32 v6, v22, s52
	v_mov_b32_e32 v7, 0
	v_lshlrev_b64 v[6:7], 3, v[6:7]
	v_mov_b32_e32 v1, s51
	v_add_co_u32_e32 v6, vcc, s49, v6
	v_addc_co_u32_e32 v7, vcc, v1, v7, vcc
	global_load_dwordx2 v[6:7], v[6:7], off
	s_or_b64 exec, exec, s[4:5]
	s_and_saveexec_b64 s[4:5], s[6:7]
	s_cbranch_execz .LBB170_27
.LBB170_81:
	v_mul_lo_u32 v8, v23, s52
	v_mov_b32_e32 v9, 0
	v_lshlrev_b64 v[8:9], 3, v[8:9]
	v_mov_b32_e32 v1, s51
	v_add_co_u32_e32 v8, vcc, s49, v8
	v_addc_co_u32_e32 v9, vcc, v1, v9, vcc
	global_load_dwordx2 v[8:9], v[8:9], off
	s_or_b64 exec, exec, s[4:5]
	s_and_saveexec_b64 s[4:5], s[8:9]
	s_cbranch_execz .LBB170_28
.LBB170_82:
	v_mul_lo_u32 v10, v24, s52
	v_mov_b32_e32 v11, 0
	v_lshlrev_b64 v[10:11], 3, v[10:11]
	v_mov_b32_e32 v1, s51
	v_add_co_u32_e32 v10, vcc, s49, v10
	v_addc_co_u32_e32 v11, vcc, v1, v11, vcc
	global_load_dwordx2 v[10:11], v[10:11], off
	s_or_b64 exec, exec, s[4:5]
	s_and_saveexec_b64 s[4:5], s[10:11]
	s_cbranch_execz .LBB170_29
.LBB170_83:
	v_mul_lo_u32 v12, v25, s52
	v_mov_b32_e32 v13, 0
	v_lshlrev_b64 v[12:13], 3, v[12:13]
	v_mov_b32_e32 v1, s51
	v_add_co_u32_e32 v12, vcc, s49, v12
	v_addc_co_u32_e32 v13, vcc, v1, v13, vcc
	global_load_dwordx2 v[12:13], v[12:13], off
	s_or_b64 exec, exec, s[4:5]
	s_and_saveexec_b64 s[4:5], s[12:13]
	s_cbranch_execz .LBB170_30
.LBB170_84:
	v_mul_lo_u32 v14, v26, s52
	v_mov_b32_e32 v15, 0
	v_lshlrev_b64 v[14:15], 3, v[14:15]
	v_mov_b32_e32 v1, s51
	v_add_co_u32_e32 v14, vcc, s49, v14
	v_addc_co_u32_e32 v15, vcc, v1, v15, vcc
	global_load_dwordx2 v[14:15], v[14:15], off
	s_or_b64 exec, exec, s[4:5]
	s_xor_b64 s[4:5], s[34:35], -1
	s_and_saveexec_b64 s[16:17], s[14:15]
	s_cbranch_execnz .LBB170_31
	s_branch .LBB170_32
.LBB170_85:
                                        ; implicit-def: $vgpr41
                                        ; implicit-def: $vgpr36_vgpr37
                                        ; implicit-def: $vgpr32_vgpr33
                                        ; implicit-def: $vgpr28_vgpr29
                                        ; implicit-def: $vgpr24_vgpr25
	s_cbranch_execz .LBB170_131
; %bb.86:
	s_movk_i32 s4, 0x7fff
	v_xor_b32_e32 v0, 0x7fff, v18
	v_xor_b32_sdwa v1, v18, s4 dst_sel:DWORD dst_unused:UNUSED_PAD src0_sel:WORD_1 src1_sel:DWORD
	v_xor_b32_e32 v18, 0x7fff, v19
	v_xor_b32_sdwa v19, v19, s4 dst_sel:DWORD dst_unused:UNUSED_PAD src0_sel:WORD_1 src1_sel:DWORD
	s_waitcnt lgkmcnt(3)
	v_xor_b32_e32 v22, 0x7fff, v20
	v_xor_b32_sdwa v20, v20, s4 dst_sel:DWORD dst_unused:UNUSED_PAD src0_sel:WORD_1 src1_sel:DWORD
	v_xor_b32_e32 v23, 0x7fff, v21
	v_xor_b32_sdwa v21, v21, s4 dst_sel:DWORD dst_unused:UNUSED_PAD src0_sel:WORD_1 src1_sel:DWORD
	s_mov_b32 s4, 0x5040100
	v_perm_b32 v21, v21, v23, s4
	v_perm_b32 v20, v20, v22, s4
	;; [unrolled: 1-line block ×4, first 2 shown]
	ds_write_b128 v73, v[18:21]
	; wave barrier
	s_waitcnt lgkmcnt(2)
	ds_read_u16 v32, v72
	ds_read_u16 v31, v72 offset:128
	ds_read_u16 v30, v72 offset:256
	;; [unrolled: 1-line block ×7, first 2 shown]
	s_waitcnt lgkmcnt(0)
	s_barrier
	ds_write2_b64 v71, v[14:15], v[16:17] offset1:1
	ds_write2_b64 v71, v[10:11], v[12:13] offset0:2 offset1:3
	ds_write2_b64 v71, v[6:7], v[8:9] offset0:4 offset1:5
	;; [unrolled: 1-line block ×3, first 2 shown]
	; wave barrier
	ds_read2st64_b64 v[12:15], v70 offset1:1
	ds_read2st64_b64 v[8:11], v70 offset0:2 offset1:3
	ds_read2st64_b64 v[4:7], v70 offset0:4 offset1:5
	;; [unrolled: 1-line block ×3, first 2 shown]
	s_waitcnt lgkmcnt(0)
	s_barrier
	s_load_dword s16, s[54:55], 0xc
	s_getpc_b64 s[4:5]
	s_add_u32 s4, s4, _ZN7rocprim17ROCPRIM_400000_NS16block_radix_sortIsLj512ELj8ElLj1ELj1ELj0ELNS0_26block_radix_rank_algorithmE1ELNS0_18block_padding_hintE2ELNS0_4arch9wavefront6targetE1EE19radix_bits_per_passE@rel32@lo+4
	s_addc_u32 s5, s5, _ZN7rocprim17ROCPRIM_400000_NS16block_radix_sortIsLj512ELj8ElLj1ELj1ELj0ELNS0_26block_radix_rank_algorithmE1ELNS0_18block_padding_hintE2ELNS0_4arch9wavefront6targetE1EE19radix_bits_per_passE@rel32@hi+12
	s_load_dword s46, s[4:5], 0x0
	s_waitcnt lgkmcnt(0)
	s_lshr_b32 s4, s16, 16
	s_and_b32 s5, s16, 0xffff
	v_mad_u32_u24 v16, v69, s4, v68
	v_mad_u64_u32 v[16:17], s[4:5], v16, s5, v[46:47]
	s_min_u32 s4, s46, 16
	s_lshl_b32 s4, -1, s4
	s_not_b32 s16, s4
	v_and_b32_sdwa v18, s16, v32 dst_sel:DWORD dst_unused:UNUSED_PAD src0_sel:DWORD src1_sel:WORD_0
	v_lshrrev_b32_e32 v22, 6, v16
	v_lshlrev_b32_e32 v17, 3, v18
	v_add_lshl_u32 v35, v22, v17, 2
	v_and_b32_e32 v17, 1, v18
	v_add_co_u32_e32 v19, vcc, -1, v17
	v_addc_co_u32_e64 v20, s[4:5], 0, -1, vcc
	v_cmp_ne_u32_e32 vcc, 0, v17
	v_xor_b32_e32 v17, vcc_hi, v20
	v_mov_b32_e32 v16, 0
	v_and_b32_e32 v20, exec_hi, v17
	v_lshlrev_b32_e32 v17, 30, v18
	v_xor_b32_e32 v19, vcc_lo, v19
	v_cmp_gt_i64_e32 vcc, 0, v[16:17]
	v_not_b32_e32 v17, v17
	v_ashrrev_i32_e32 v17, 31, v17
	v_and_b32_e32 v19, exec_lo, v19
	v_xor_b32_e32 v21, vcc_hi, v17
	v_xor_b32_e32 v17, vcc_lo, v17
	v_and_b32_e32 v19, v19, v17
	v_lshlrev_b32_e32 v17, 29, v18
	v_cmp_gt_i64_e32 vcc, 0, v[16:17]
	v_not_b32_e32 v17, v17
	v_ashrrev_i32_e32 v17, 31, v17
	v_and_b32_e32 v20, v20, v21
	v_xor_b32_e32 v21, vcc_hi, v17
	v_xor_b32_e32 v17, vcc_lo, v17
	v_and_b32_e32 v19, v19, v17
	v_lshlrev_b32_e32 v17, 28, v18
	v_cmp_gt_i64_e32 vcc, 0, v[16:17]
	v_not_b32_e32 v17, v17
	v_ashrrev_i32_e32 v17, 31, v17
	v_and_b32_e32 v20, v20, v21
	;; [unrolled: 8-line block ×5, first 2 shown]
	v_xor_b32_e32 v21, vcc_hi, v17
	v_xor_b32_e32 v17, vcc_lo, v17
	v_and_b32_e32 v20, v20, v21
	v_and_b32_e32 v21, v19, v17
	v_lshlrev_b32_e32 v17, 24, v18
	v_cmp_gt_i64_e32 vcc, 0, v[16:17]
	v_not_b32_e32 v17, v17
	v_ashrrev_i32_e32 v17, 31, v17
	v_xor_b32_e32 v18, vcc_hi, v17
	v_xor_b32_e32 v17, vcc_lo, v17
	v_and_b32_e32 v19, v20, v18
	v_and_b32_e32 v18, v21, v17
	v_mbcnt_lo_u32_b32 v17, v18, 0
	v_mbcnt_hi_u32_b32 v36, v19, v17
	v_cmp_eq_u32_e32 vcc, 0, v36
	v_cmp_ne_u64_e64 s[4:5], 0, v[18:19]
	s_and_b64 s[18:19], s[4:5], vcc
	ds_write2_b32 v64, v16, v16 offset0:8 offset1:9
	ds_write2_b32 v64, v16, v16 offset0:10 offset1:11
	s_waitcnt lgkmcnt(0)
	s_barrier
	s_waitcnt lgkmcnt(0)
	; wave barrier
	s_and_saveexec_b64 s[4:5], s[18:19]
	s_cbranch_execz .LBB170_88
; %bb.87:
	v_bcnt_u32_b32 v17, v18, 0
	v_bcnt_u32_b32 v17, v19, v17
	ds_write_b32 v35, v17 offset:32
.LBB170_88:
	s_or_b64 exec, exec, s[4:5]
	v_and_b32_sdwa v18, s16, v31 dst_sel:DWORD dst_unused:UNUSED_PAD src0_sel:DWORD src1_sel:WORD_0
	v_lshlrev_b32_e32 v17, 3, v18
	v_add_lshl_u32 v38, v22, v17, 2
	v_and_b32_e32 v17, 1, v18
	v_add_co_u32_e32 v19, vcc, -1, v17
	v_addc_co_u32_e64 v20, s[4:5], 0, -1, vcc
	v_cmp_ne_u32_e32 vcc, 0, v17
	v_xor_b32_e32 v17, vcc_hi, v20
	v_and_b32_e32 v20, exec_hi, v17
	v_lshlrev_b32_e32 v17, 30, v18
	v_xor_b32_e32 v19, vcc_lo, v19
	v_cmp_gt_i64_e32 vcc, 0, v[16:17]
	v_not_b32_e32 v17, v17
	v_ashrrev_i32_e32 v17, 31, v17
	v_and_b32_e32 v19, exec_lo, v19
	v_xor_b32_e32 v21, vcc_hi, v17
	v_xor_b32_e32 v17, vcc_lo, v17
	v_and_b32_e32 v19, v19, v17
	v_lshlrev_b32_e32 v17, 29, v18
	v_cmp_gt_i64_e32 vcc, 0, v[16:17]
	v_not_b32_e32 v17, v17
	v_ashrrev_i32_e32 v17, 31, v17
	v_and_b32_e32 v20, v20, v21
	v_xor_b32_e32 v21, vcc_hi, v17
	v_xor_b32_e32 v17, vcc_lo, v17
	v_and_b32_e32 v19, v19, v17
	v_lshlrev_b32_e32 v17, 28, v18
	v_cmp_gt_i64_e32 vcc, 0, v[16:17]
	v_not_b32_e32 v17, v17
	v_ashrrev_i32_e32 v17, 31, v17
	v_and_b32_e32 v20, v20, v21
	;; [unrolled: 8-line block ×5, first 2 shown]
	v_xor_b32_e32 v21, vcc_hi, v17
	v_xor_b32_e32 v17, vcc_lo, v17
	v_and_b32_e32 v19, v19, v17
	v_lshlrev_b32_e32 v17, 24, v18
	v_cmp_gt_i64_e32 vcc, 0, v[16:17]
	v_not_b32_e32 v16, v17
	v_ashrrev_i32_e32 v16, 31, v16
	v_xor_b32_e32 v17, vcc_hi, v16
	v_xor_b32_e32 v16, vcc_lo, v16
	; wave barrier
	ds_read_b32 v37, v38 offset:32
	v_and_b32_e32 v20, v20, v21
	v_and_b32_e32 v16, v19, v16
	;; [unrolled: 1-line block ×3, first 2 shown]
	v_mbcnt_lo_u32_b32 v18, v16, 0
	v_mbcnt_hi_u32_b32 v39, v17, v18
	v_cmp_eq_u32_e32 vcc, 0, v39
	v_cmp_ne_u64_e64 s[4:5], 0, v[16:17]
	s_and_b64 s[18:19], s[4:5], vcc
	; wave barrier
	s_and_saveexec_b64 s[4:5], s[18:19]
	s_cbranch_execz .LBB170_90
; %bb.89:
	v_bcnt_u32_b32 v16, v16, 0
	v_bcnt_u32_b32 v16, v17, v16
	s_waitcnt lgkmcnt(0)
	v_add_u32_e32 v16, v37, v16
	ds_write_b32 v38, v16 offset:32
.LBB170_90:
	s_or_b64 exec, exec, s[4:5]
	v_and_b32_sdwa v18, s16, v30 dst_sel:DWORD dst_unused:UNUSED_PAD src0_sel:DWORD src1_sel:WORD_0
	v_and_b32_e32 v17, 1, v18
	v_add_co_u32_e32 v19, vcc, -1, v17
	v_addc_co_u32_e64 v20, s[4:5], 0, -1, vcc
	v_cmp_ne_u32_e32 vcc, 0, v17
	v_lshlrev_b32_e32 v16, 3, v18
	v_xor_b32_e32 v17, vcc_hi, v20
	v_add_lshl_u32 v41, v22, v16, 2
	v_mov_b32_e32 v16, 0
	v_and_b32_e32 v20, exec_hi, v17
	v_lshlrev_b32_e32 v17, 30, v18
	v_xor_b32_e32 v19, vcc_lo, v19
	v_cmp_gt_i64_e32 vcc, 0, v[16:17]
	v_not_b32_e32 v17, v17
	v_ashrrev_i32_e32 v17, 31, v17
	v_and_b32_e32 v19, exec_lo, v19
	v_xor_b32_e32 v21, vcc_hi, v17
	v_xor_b32_e32 v17, vcc_lo, v17
	v_and_b32_e32 v19, v19, v17
	v_lshlrev_b32_e32 v17, 29, v18
	v_cmp_gt_i64_e32 vcc, 0, v[16:17]
	v_not_b32_e32 v17, v17
	v_ashrrev_i32_e32 v17, 31, v17
	v_and_b32_e32 v20, v20, v21
	v_xor_b32_e32 v21, vcc_hi, v17
	v_xor_b32_e32 v17, vcc_lo, v17
	v_and_b32_e32 v19, v19, v17
	v_lshlrev_b32_e32 v17, 28, v18
	v_cmp_gt_i64_e32 vcc, 0, v[16:17]
	v_not_b32_e32 v17, v17
	v_ashrrev_i32_e32 v17, 31, v17
	v_and_b32_e32 v20, v20, v21
	;; [unrolled: 8-line block ×5, first 2 shown]
	v_xor_b32_e32 v21, vcc_hi, v17
	v_xor_b32_e32 v17, vcc_lo, v17
	v_and_b32_e32 v20, v20, v21
	v_and_b32_e32 v21, v19, v17
	v_lshlrev_b32_e32 v17, 24, v18
	v_cmp_gt_i64_e32 vcc, 0, v[16:17]
	v_not_b32_e32 v17, v17
	v_ashrrev_i32_e32 v17, 31, v17
	v_xor_b32_e32 v18, vcc_hi, v17
	v_xor_b32_e32 v17, vcc_lo, v17
	; wave barrier
	ds_read_b32 v40, v41 offset:32
	v_and_b32_e32 v19, v20, v18
	v_and_b32_e32 v18, v21, v17
	v_mbcnt_lo_u32_b32 v17, v18, 0
	v_mbcnt_hi_u32_b32 v68, v19, v17
	v_cmp_eq_u32_e32 vcc, 0, v68
	v_cmp_ne_u64_e64 s[4:5], 0, v[18:19]
	s_and_b64 s[18:19], s[4:5], vcc
	; wave barrier
	s_and_saveexec_b64 s[4:5], s[18:19]
	s_cbranch_execz .LBB170_92
; %bb.91:
	v_bcnt_u32_b32 v17, v18, 0
	v_bcnt_u32_b32 v17, v19, v17
	s_waitcnt lgkmcnt(0)
	v_add_u32_e32 v17, v40, v17
	ds_write_b32 v41, v17 offset:32
.LBB170_92:
	s_or_b64 exec, exec, s[4:5]
	v_and_b32_sdwa v18, s16, v29 dst_sel:DWORD dst_unused:UNUSED_PAD src0_sel:DWORD src1_sel:WORD_0
	v_lshlrev_b32_e32 v17, 3, v18
	v_add_lshl_u32 v70, v22, v17, 2
	v_and_b32_e32 v17, 1, v18
	v_add_co_u32_e32 v19, vcc, -1, v17
	v_addc_co_u32_e64 v20, s[4:5], 0, -1, vcc
	v_cmp_ne_u32_e32 vcc, 0, v17
	v_xor_b32_e32 v17, vcc_hi, v20
	v_and_b32_e32 v20, exec_hi, v17
	v_lshlrev_b32_e32 v17, 30, v18
	v_xor_b32_e32 v19, vcc_lo, v19
	v_cmp_gt_i64_e32 vcc, 0, v[16:17]
	v_not_b32_e32 v17, v17
	v_ashrrev_i32_e32 v17, 31, v17
	v_and_b32_e32 v19, exec_lo, v19
	v_xor_b32_e32 v21, vcc_hi, v17
	v_xor_b32_e32 v17, vcc_lo, v17
	v_and_b32_e32 v19, v19, v17
	v_lshlrev_b32_e32 v17, 29, v18
	v_cmp_gt_i64_e32 vcc, 0, v[16:17]
	v_not_b32_e32 v17, v17
	v_ashrrev_i32_e32 v17, 31, v17
	v_and_b32_e32 v20, v20, v21
	v_xor_b32_e32 v21, vcc_hi, v17
	v_xor_b32_e32 v17, vcc_lo, v17
	v_and_b32_e32 v19, v19, v17
	v_lshlrev_b32_e32 v17, 28, v18
	v_cmp_gt_i64_e32 vcc, 0, v[16:17]
	v_not_b32_e32 v17, v17
	v_ashrrev_i32_e32 v17, 31, v17
	v_and_b32_e32 v20, v20, v21
	;; [unrolled: 8-line block ×5, first 2 shown]
	v_xor_b32_e32 v21, vcc_hi, v17
	v_xor_b32_e32 v17, vcc_lo, v17
	v_and_b32_e32 v19, v19, v17
	v_lshlrev_b32_e32 v17, 24, v18
	v_cmp_gt_i64_e32 vcc, 0, v[16:17]
	v_not_b32_e32 v16, v17
	v_ashrrev_i32_e32 v16, 31, v16
	v_xor_b32_e32 v17, vcc_hi, v16
	v_xor_b32_e32 v16, vcc_lo, v16
	; wave barrier
	ds_read_b32 v69, v70 offset:32
	v_and_b32_e32 v20, v20, v21
	v_and_b32_e32 v16, v19, v16
	;; [unrolled: 1-line block ×3, first 2 shown]
	v_mbcnt_lo_u32_b32 v18, v16, 0
	v_mbcnt_hi_u32_b32 v71, v17, v18
	v_cmp_eq_u32_e32 vcc, 0, v71
	v_cmp_ne_u64_e64 s[4:5], 0, v[16:17]
	s_and_b64 s[18:19], s[4:5], vcc
	; wave barrier
	s_and_saveexec_b64 s[4:5], s[18:19]
	s_cbranch_execz .LBB170_94
; %bb.93:
	v_bcnt_u32_b32 v16, v16, 0
	v_bcnt_u32_b32 v16, v17, v16
	s_waitcnt lgkmcnt(0)
	v_add_u32_e32 v16, v69, v16
	ds_write_b32 v70, v16 offset:32
.LBB170_94:
	s_or_b64 exec, exec, s[4:5]
	v_and_b32_sdwa v18, s16, v28 dst_sel:DWORD dst_unused:UNUSED_PAD src0_sel:DWORD src1_sel:WORD_0
	v_and_b32_e32 v17, 1, v18
	v_add_co_u32_e32 v19, vcc, -1, v17
	v_addc_co_u32_e64 v20, s[4:5], 0, -1, vcc
	v_cmp_ne_u32_e32 vcc, 0, v17
	v_lshlrev_b32_e32 v16, 3, v18
	v_xor_b32_e32 v17, vcc_hi, v20
	v_add_lshl_u32 v73, v22, v16, 2
	v_mov_b32_e32 v16, 0
	v_and_b32_e32 v20, exec_hi, v17
	v_lshlrev_b32_e32 v17, 30, v18
	v_xor_b32_e32 v19, vcc_lo, v19
	v_cmp_gt_i64_e32 vcc, 0, v[16:17]
	v_not_b32_e32 v17, v17
	v_ashrrev_i32_e32 v17, 31, v17
	v_and_b32_e32 v19, exec_lo, v19
	v_xor_b32_e32 v21, vcc_hi, v17
	v_xor_b32_e32 v17, vcc_lo, v17
	v_and_b32_e32 v19, v19, v17
	v_lshlrev_b32_e32 v17, 29, v18
	v_cmp_gt_i64_e32 vcc, 0, v[16:17]
	v_not_b32_e32 v17, v17
	v_ashrrev_i32_e32 v17, 31, v17
	v_and_b32_e32 v20, v20, v21
	v_xor_b32_e32 v21, vcc_hi, v17
	v_xor_b32_e32 v17, vcc_lo, v17
	v_and_b32_e32 v19, v19, v17
	v_lshlrev_b32_e32 v17, 28, v18
	v_cmp_gt_i64_e32 vcc, 0, v[16:17]
	v_not_b32_e32 v17, v17
	v_ashrrev_i32_e32 v17, 31, v17
	v_and_b32_e32 v20, v20, v21
	;; [unrolled: 8-line block ×5, first 2 shown]
	v_xor_b32_e32 v21, vcc_hi, v17
	v_xor_b32_e32 v17, vcc_lo, v17
	v_and_b32_e32 v20, v20, v21
	v_and_b32_e32 v21, v19, v17
	v_lshlrev_b32_e32 v17, 24, v18
	v_cmp_gt_i64_e32 vcc, 0, v[16:17]
	v_not_b32_e32 v17, v17
	v_ashrrev_i32_e32 v17, 31, v17
	v_xor_b32_e32 v18, vcc_hi, v17
	v_xor_b32_e32 v17, vcc_lo, v17
	; wave barrier
	ds_read_b32 v72, v73 offset:32
	v_and_b32_e32 v19, v20, v18
	v_and_b32_e32 v18, v21, v17
	v_mbcnt_lo_u32_b32 v17, v18, 0
	v_mbcnt_hi_u32_b32 v74, v19, v17
	v_cmp_eq_u32_e32 vcc, 0, v74
	v_cmp_ne_u64_e64 s[4:5], 0, v[18:19]
	s_and_b64 s[18:19], s[4:5], vcc
	; wave barrier
	s_and_saveexec_b64 s[4:5], s[18:19]
	s_cbranch_execz .LBB170_96
; %bb.95:
	v_bcnt_u32_b32 v17, v18, 0
	v_bcnt_u32_b32 v17, v19, v17
	s_waitcnt lgkmcnt(0)
	v_add_u32_e32 v17, v72, v17
	ds_write_b32 v73, v17 offset:32
.LBB170_96:
	s_or_b64 exec, exec, s[4:5]
	v_and_b32_sdwa v18, s16, v27 dst_sel:DWORD dst_unused:UNUSED_PAD src0_sel:DWORD src1_sel:WORD_0
	v_lshlrev_b32_e32 v17, 3, v18
	v_add_lshl_u32 v76, v22, v17, 2
	v_and_b32_e32 v17, 1, v18
	v_add_co_u32_e32 v19, vcc, -1, v17
	v_addc_co_u32_e64 v20, s[4:5], 0, -1, vcc
	v_cmp_ne_u32_e32 vcc, 0, v17
	v_xor_b32_e32 v17, vcc_hi, v20
	v_and_b32_e32 v20, exec_hi, v17
	v_lshlrev_b32_e32 v17, 30, v18
	v_xor_b32_e32 v19, vcc_lo, v19
	v_cmp_gt_i64_e32 vcc, 0, v[16:17]
	v_not_b32_e32 v17, v17
	v_ashrrev_i32_e32 v17, 31, v17
	v_and_b32_e32 v19, exec_lo, v19
	v_xor_b32_e32 v21, vcc_hi, v17
	v_xor_b32_e32 v17, vcc_lo, v17
	v_and_b32_e32 v19, v19, v17
	v_lshlrev_b32_e32 v17, 29, v18
	v_cmp_gt_i64_e32 vcc, 0, v[16:17]
	v_not_b32_e32 v17, v17
	v_ashrrev_i32_e32 v17, 31, v17
	v_and_b32_e32 v20, v20, v21
	v_xor_b32_e32 v21, vcc_hi, v17
	v_xor_b32_e32 v17, vcc_lo, v17
	v_and_b32_e32 v19, v19, v17
	v_lshlrev_b32_e32 v17, 28, v18
	v_cmp_gt_i64_e32 vcc, 0, v[16:17]
	v_not_b32_e32 v17, v17
	v_ashrrev_i32_e32 v17, 31, v17
	v_and_b32_e32 v20, v20, v21
	;; [unrolled: 8-line block ×5, first 2 shown]
	v_xor_b32_e32 v21, vcc_hi, v17
	v_xor_b32_e32 v17, vcc_lo, v17
	v_and_b32_e32 v19, v19, v17
	v_lshlrev_b32_e32 v17, 24, v18
	v_cmp_gt_i64_e32 vcc, 0, v[16:17]
	v_not_b32_e32 v16, v17
	v_ashrrev_i32_e32 v16, 31, v16
	v_xor_b32_e32 v17, vcc_hi, v16
	v_xor_b32_e32 v16, vcc_lo, v16
	; wave barrier
	ds_read_b32 v75, v76 offset:32
	v_and_b32_e32 v20, v20, v21
	v_and_b32_e32 v16, v19, v16
	;; [unrolled: 1-line block ×3, first 2 shown]
	v_mbcnt_lo_u32_b32 v18, v16, 0
	v_mbcnt_hi_u32_b32 v77, v17, v18
	v_cmp_eq_u32_e32 vcc, 0, v77
	v_cmp_ne_u64_e64 s[4:5], 0, v[16:17]
	s_and_b64 s[18:19], s[4:5], vcc
	; wave barrier
	s_and_saveexec_b64 s[4:5], s[18:19]
	s_cbranch_execz .LBB170_98
; %bb.97:
	v_bcnt_u32_b32 v16, v16, 0
	v_bcnt_u32_b32 v16, v17, v16
	s_waitcnt lgkmcnt(0)
	v_add_u32_e32 v16, v75, v16
	ds_write_b32 v76, v16 offset:32
.LBB170_98:
	s_or_b64 exec, exec, s[4:5]
	v_and_b32_sdwa v18, s16, v26 dst_sel:DWORD dst_unused:UNUSED_PAD src0_sel:DWORD src1_sel:WORD_0
	v_and_b32_e32 v17, 1, v18
	v_add_co_u32_e32 v19, vcc, -1, v17
	v_addc_co_u32_e64 v20, s[4:5], 0, -1, vcc
	v_cmp_ne_u32_e32 vcc, 0, v17
	v_lshlrev_b32_e32 v16, 3, v18
	v_xor_b32_e32 v17, vcc_hi, v20
	v_add_lshl_u32 v79, v22, v16, 2
	v_mov_b32_e32 v16, 0
	v_and_b32_e32 v20, exec_hi, v17
	v_lshlrev_b32_e32 v17, 30, v18
	v_xor_b32_e32 v19, vcc_lo, v19
	v_cmp_gt_i64_e32 vcc, 0, v[16:17]
	v_not_b32_e32 v17, v17
	v_ashrrev_i32_e32 v17, 31, v17
	v_and_b32_e32 v19, exec_lo, v19
	v_xor_b32_e32 v21, vcc_hi, v17
	v_xor_b32_e32 v17, vcc_lo, v17
	v_and_b32_e32 v19, v19, v17
	v_lshlrev_b32_e32 v17, 29, v18
	v_cmp_gt_i64_e32 vcc, 0, v[16:17]
	v_not_b32_e32 v17, v17
	v_ashrrev_i32_e32 v17, 31, v17
	v_and_b32_e32 v20, v20, v21
	v_xor_b32_e32 v21, vcc_hi, v17
	v_xor_b32_e32 v17, vcc_lo, v17
	v_and_b32_e32 v19, v19, v17
	v_lshlrev_b32_e32 v17, 28, v18
	v_cmp_gt_i64_e32 vcc, 0, v[16:17]
	v_not_b32_e32 v17, v17
	v_ashrrev_i32_e32 v17, 31, v17
	v_and_b32_e32 v20, v20, v21
	;; [unrolled: 8-line block ×5, first 2 shown]
	v_xor_b32_e32 v21, vcc_hi, v17
	v_xor_b32_e32 v17, vcc_lo, v17
	v_and_b32_e32 v20, v20, v21
	v_and_b32_e32 v21, v19, v17
	v_lshlrev_b32_e32 v17, 24, v18
	v_cmp_gt_i64_e32 vcc, 0, v[16:17]
	v_not_b32_e32 v17, v17
	v_ashrrev_i32_e32 v17, 31, v17
	v_xor_b32_e32 v18, vcc_hi, v17
	v_xor_b32_e32 v17, vcc_lo, v17
	; wave barrier
	ds_read_b32 v78, v79 offset:32
	v_and_b32_e32 v19, v20, v18
	v_and_b32_e32 v18, v21, v17
	v_mbcnt_lo_u32_b32 v17, v18, 0
	v_mbcnt_hi_u32_b32 v80, v19, v17
	v_cmp_eq_u32_e32 vcc, 0, v80
	v_cmp_ne_u64_e64 s[4:5], 0, v[18:19]
	s_and_b64 s[18:19], s[4:5], vcc
	; wave barrier
	s_and_saveexec_b64 s[4:5], s[18:19]
	s_cbranch_execz .LBB170_100
; %bb.99:
	v_bcnt_u32_b32 v17, v18, 0
	v_bcnt_u32_b32 v17, v19, v17
	s_waitcnt lgkmcnt(0)
	v_add_u32_e32 v17, v78, v17
	ds_write_b32 v79, v17 offset:32
.LBB170_100:
	s_or_b64 exec, exec, s[4:5]
	v_and_b32_sdwa v18, s16, v25 dst_sel:DWORD dst_unused:UNUSED_PAD src0_sel:DWORD src1_sel:WORD_0
	v_lshlrev_b32_e32 v17, 3, v18
	v_add_lshl_u32 v81, v22, v17, 2
	v_and_b32_e32 v17, 1, v18
	v_add_co_u32_e32 v19, vcc, -1, v17
	v_addc_co_u32_e64 v20, s[4:5], 0, -1, vcc
	v_cmp_ne_u32_e32 vcc, 0, v17
	v_xor_b32_e32 v17, vcc_hi, v20
	v_and_b32_e32 v20, exec_hi, v17
	v_lshlrev_b32_e32 v17, 30, v18
	v_xor_b32_e32 v19, vcc_lo, v19
	v_cmp_gt_i64_e32 vcc, 0, v[16:17]
	v_not_b32_e32 v17, v17
	v_ashrrev_i32_e32 v17, 31, v17
	v_and_b32_e32 v19, exec_lo, v19
	v_xor_b32_e32 v21, vcc_hi, v17
	v_xor_b32_e32 v17, vcc_lo, v17
	v_and_b32_e32 v19, v19, v17
	v_lshlrev_b32_e32 v17, 29, v18
	v_cmp_gt_i64_e32 vcc, 0, v[16:17]
	v_not_b32_e32 v17, v17
	v_ashrrev_i32_e32 v17, 31, v17
	v_and_b32_e32 v20, v20, v21
	v_xor_b32_e32 v21, vcc_hi, v17
	v_xor_b32_e32 v17, vcc_lo, v17
	v_and_b32_e32 v19, v19, v17
	v_lshlrev_b32_e32 v17, 28, v18
	v_cmp_gt_i64_e32 vcc, 0, v[16:17]
	v_not_b32_e32 v17, v17
	v_ashrrev_i32_e32 v17, 31, v17
	v_and_b32_e32 v20, v20, v21
	;; [unrolled: 8-line block ×5, first 2 shown]
	v_xor_b32_e32 v21, vcc_hi, v17
	v_xor_b32_e32 v17, vcc_lo, v17
	v_and_b32_e32 v19, v19, v17
	v_lshlrev_b32_e32 v17, 24, v18
	v_cmp_gt_i64_e32 vcc, 0, v[16:17]
	v_not_b32_e32 v16, v17
	v_ashrrev_i32_e32 v16, 31, v16
	v_xor_b32_e32 v17, vcc_hi, v16
	v_xor_b32_e32 v16, vcc_lo, v16
	v_min_u32_e32 v33, 0x1c0, v67
	; wave barrier
	ds_read_b32 v67, v81 offset:32
	v_and_b32_e32 v20, v20, v21
	v_and_b32_e32 v16, v19, v16
	;; [unrolled: 1-line block ×3, first 2 shown]
	v_mbcnt_lo_u32_b32 v18, v16, 0
	v_mbcnt_hi_u32_b32 v82, v17, v18
	v_cmp_eq_u32_e32 vcc, 0, v82
	v_cmp_ne_u64_e64 s[4:5], 0, v[16:17]
	v_add_u32_e32 v23, 32, v64
	v_lshrrev_b32_e32 v24, 6, v46
	s_and_b64 s[16:17], s[4:5], vcc
	; wave barrier
	s_and_saveexec_b64 s[4:5], s[16:17]
	s_cbranch_execz .LBB170_102
; %bb.101:
	v_bcnt_u32_b32 v16, v16, 0
	v_bcnt_u32_b32 v16, v17, v16
	s_waitcnt lgkmcnt(0)
	v_add_u32_e32 v16, v67, v16
	ds_write_b32 v81, v16 offset:32
.LBB170_102:
	s_or_b64 exec, exec, s[4:5]
	; wave barrier
	s_waitcnt lgkmcnt(0)
	s_barrier
	ds_read2_b32 v[18:19], v64 offset0:8 offset1:9
	ds_read2_b32 v[20:21], v23 offset0:2 offset1:3
	v_and_b32_e32 v17, 16, v65
	v_cmp_eq_u32_e32 vcc, 0, v17
	v_or_b32_e32 v17, 63, v33
	v_cmp_eq_u32_e64 s[16:17], v17, v46
	s_waitcnt lgkmcnt(1)
	v_add_u32_e32 v17, v19, v18
	v_and_b32_e32 v16, 15, v65
	s_waitcnt lgkmcnt(0)
	v_add3_u32 v17, v17, v20, v21
	v_cmp_eq_u32_e64 s[24:25], 0, v16
	v_cmp_lt_u32_e64 s[26:27], 1, v16
	v_mov_b32_dpp v21, v17 row_shr:1 row_mask:0xf bank_mask:0xf
	v_cndmask_b32_e64 v21, v21, 0, s[24:25]
	v_add_u32_e32 v17, v21, v17
	v_cmp_lt_u32_e64 s[30:31], 3, v16
	v_cmp_lt_u32_e64 s[34:35], 7, v16
	v_mov_b32_dpp v21, v17 row_shr:2 row_mask:0xf bank_mask:0xf
	v_cndmask_b32_e64 v21, 0, v21, s[26:27]
	v_add_u32_e32 v17, v17, v21
	v_bfe_i32 v34, v65, 4, 1
	v_cmp_lt_u32_e64 s[36:37], 31, v65
	v_mov_b32_dpp v21, v17 row_shr:4 row_mask:0xf bank_mask:0xf
	v_cndmask_b32_e64 v21, 0, v21, s[30:31]
	v_add_u32_e32 v17, v17, v21
	v_lshlrev_b32_e32 v24, 2, v24
	s_nop 0
	v_mov_b32_dpp v21, v17 row_shr:8 row_mask:0xf bank_mask:0xf
	v_cndmask_b32_e64 v16, 0, v21, s[34:35]
	v_add_u32_e32 v16, v17, v16
	s_nop 1
	v_mov_b32_dpp v17, v16 row_bcast:15 row_mask:0xf bank_mask:0xf
	v_and_b32_e32 v17, v34, v17
	v_add_u32_e32 v16, v16, v17
	s_nop 1
	v_mov_b32_dpp v17, v16 row_bcast:31 row_mask:0xf bank_mask:0xf
	v_cndmask_b32_e64 v17, 0, v17, s[36:37]
	v_add_u32_e32 v17, v16, v17
	s_and_saveexec_b64 s[4:5], s[16:17]
	s_cbranch_execz .LBB170_104
; %bb.103:
	ds_write_b32 v24, v17
.LBB170_104:
	s_or_b64 exec, exec, s[4:5]
	v_and_b32_e32 v16, 7, v65
	v_cmp_gt_u32_e64 s[28:29], 8, v46
	v_lshlrev_b32_e32 v21, 2, v46
	v_cmp_eq_u32_e64 s[22:23], 0, v16
	v_cmp_lt_u32_e64 s[20:21], 1, v16
	v_cmp_lt_u32_e64 s[18:19], 3, v16
	s_waitcnt lgkmcnt(0)
	s_barrier
	s_and_saveexec_b64 s[4:5], s[28:29]
	s_cbranch_execz .LBB170_106
; %bb.105:
	ds_read_b32 v16, v21
	s_waitcnt lgkmcnt(0)
	s_nop 0
	v_mov_b32_dpp v33, v16 row_shr:1 row_mask:0xf bank_mask:0xf
	v_cndmask_b32_e64 v33, v33, 0, s[22:23]
	v_add_u32_e32 v16, v33, v16
	s_nop 1
	v_mov_b32_dpp v33, v16 row_shr:2 row_mask:0xf bank_mask:0xf
	v_cndmask_b32_e64 v33, 0, v33, s[20:21]
	v_add_u32_e32 v16, v16, v33
	;; [unrolled: 4-line block ×3, first 2 shown]
	ds_write_b32 v21, v16
.LBB170_106:
	s_or_b64 exec, exec, s[4:5]
	v_cmp_lt_u32_e64 s[38:39], 63, v46
	v_add_u32_e32 v33, -4, v24
	v_mov_b32_e32 v16, 0
	v_mov_b32_e32 v83, 0
	s_waitcnt lgkmcnt(0)
	s_barrier
	s_and_saveexec_b64 s[4:5], s[38:39]
	s_cbranch_execz .LBB170_108
; %bb.107:
	ds_read_b32 v83, v33
.LBB170_108:
	s_or_b64 exec, exec, s[4:5]
	v_add_u32_e32 v34, -1, v65
	v_and_b32_e32 v84, 64, v65
	v_cmp_lt_i32_e64 s[4:5], v34, v84
	v_cndmask_b32_e64 v34, v34, v65, s[4:5]
	v_lshlrev_b32_e32 v34, 2, v34
	s_waitcnt lgkmcnt(0)
	v_add_u32_e32 v17, v83, v17
	ds_bpermute_b32 v17, v34, v17
	v_cmp_eq_u32_e64 s[40:41], 0, v65
	v_cmp_eq_u32_e64 s[42:43], 0, v46
	s_min_u32 s4, s46, 8
	v_and_or_b32 v66, v65, 63, v66
	s_waitcnt lgkmcnt(0)
	v_cndmask_b32_e64 v17, v17, v83, s[40:41]
	v_cndmask_b32_e64 v17, v17, 0, s[42:43]
	v_add_u32_e32 v18, v17, v18
	v_add_u32_e32 v19, v18, v19
	;; [unrolled: 1-line block ×3, first 2 shown]
	ds_write2_b32 v64, v17, v18 offset0:8 offset1:9
	ds_write2_b32 v23, v19, v20 offset0:2 offset1:3
	s_waitcnt lgkmcnt(0)
	s_barrier
	ds_read_b32 v17, v35 offset:32
	ds_read_b32 v18, v38 offset:32
	ds_read_b32 v19, v41 offset:32
	ds_read_b32 v20, v70 offset:32
	ds_read_b32 v35, v73 offset:32
	ds_read_b32 v38, v76 offset:32
	ds_read_b32 v41, v79 offset:32
	ds_read_b32 v46, v81 offset:32
	s_waitcnt lgkmcnt(7)
	v_add_u32_e32 v17, v17, v36
	s_waitcnt lgkmcnt(6)
	v_add3_u32 v18, v39, v37, v18
	s_waitcnt lgkmcnt(4)
	v_add3_u32 v36, v71, v69, v20
	v_lshlrev_b32_e32 v20, 1, v17
	v_add3_u32 v19, v68, v40, v19
	s_waitcnt lgkmcnt(0)
	s_barrier
	ds_write_b16 v20, v32
	v_lshlrev_b32_e32 v20, 1, v18
	ds_write_b16 v20, v31
	v_lshlrev_b32_e32 v20, 1, v19
	v_add3_u32 v35, v74, v72, v35
	ds_write_b16 v20, v30
	v_lshlrev_b32_e32 v20, 1, v36
	v_add3_u32 v37, v77, v75, v38
	ds_write_b16 v20, v29
	v_lshlrev_b32_e32 v20, 1, v35
	v_add3_u32 v38, v80, v78, v41
	ds_write_b16 v20, v28
	v_lshlrev_b32_e32 v20, 1, v37
	v_add3_u32 v39, v82, v67, v46
	ds_write_b16 v20, v27
	v_lshlrev_b32_e32 v20, 1, v38
	s_lshl_b32 s4, -1, s4
	v_lshlrev_b32_e32 v84, 1, v66
	ds_write_b16 v20, v26
	v_lshlrev_b32_e32 v20, 1, v39
	v_lshlrev_b32_e32 v17, 3, v17
	s_not_b32 s53, s4
	ds_write_b16 v20, v25
	s_waitcnt lgkmcnt(0)
	s_barrier
	ds_read_u16 v31, v84
	ds_read_u16 v30, v84 offset:128
	ds_read_u16 v29, v84 offset:256
	;; [unrolled: 1-line block ×7, first 2 shown]
	s_waitcnt lgkmcnt(0)
	s_barrier
	ds_write_b64 v17, v[12:13]
	v_lshlrev_b32_e32 v12, 3, v18
	v_and_b32_sdwa v18, v31, s53 dst_sel:DWORD dst_unused:UNUSED_PAD src0_sel:BYTE_1 src1_sel:DWORD
	v_lshlrev_b32_e32 v17, 3, v18
	ds_write_b64 v12, v[14:15]
	v_lshlrev_b32_e32 v12, 3, v19
	v_add_lshl_u32 v32, v17, v22, 2
	v_and_b32_e32 v17, 1, v18
	ds_write_b64 v12, v[8:9]
	v_lshlrev_b32_e32 v8, 3, v36
	v_add_co_u32_e64 v19, s[4:5], -1, v17
	ds_write_b64 v8, v[10:11]
	v_lshlrev_b32_e32 v8, 3, v35
	v_addc_co_u32_e64 v35, s[4:5], 0, -1, s[4:5]
	v_cmp_ne_u32_e64 s[4:5], 0, v17
	v_xor_b32_e32 v17, s5, v35
	v_and_b32_e32 v35, exec_hi, v17
	v_lshlrev_b32_e32 v17, 30, v18
	v_xor_b32_e32 v19, s4, v19
	v_cmp_gt_i64_e64 s[4:5], 0, v[16:17]
	v_not_b32_e32 v17, v17
	v_ashrrev_i32_e32 v17, 31, v17
	v_and_b32_e32 v19, exec_lo, v19
	v_xor_b32_e32 v36, s5, v17
	v_xor_b32_e32 v17, s4, v17
	v_and_b32_e32 v19, v19, v17
	v_lshlrev_b32_e32 v17, 29, v18
	v_cmp_gt_i64_e64 s[4:5], 0, v[16:17]
	v_not_b32_e32 v17, v17
	v_ashrrev_i32_e32 v17, 31, v17
	v_and_b32_e32 v35, v35, v36
	v_xor_b32_e32 v36, s5, v17
	v_xor_b32_e32 v17, s4, v17
	v_and_b32_e32 v19, v19, v17
	v_lshlrev_b32_e32 v17, 28, v18
	v_cmp_gt_i64_e64 s[4:5], 0, v[16:17]
	v_not_b32_e32 v17, v17
	v_ashrrev_i32_e32 v17, 31, v17
	v_and_b32_e32 v35, v35, v36
	;; [unrolled: 8-line block ×4, first 2 shown]
	v_xor_b32_e32 v36, s5, v17
	v_xor_b32_e32 v17, s4, v17
	v_and_b32_e32 v19, v19, v17
	v_lshlrev_b32_e32 v17, 25, v18
	v_cmp_gt_i64_e64 s[4:5], 0, v[16:17]
	v_not_b32_e32 v17, v17
	ds_write_b64 v8, v[4:5]
	v_lshlrev_b32_e32 v4, 3, v37
	v_ashrrev_i32_e32 v17, 31, v17
	ds_write_b64 v4, v[6:7]
	v_lshlrev_b32_e32 v4, 3, v38
	v_and_b32_e32 v35, v35, v36
	v_xor_b32_e32 v36, s5, v17
	v_xor_b32_e32 v17, s4, v17
	v_lshlrev_b32_e32 v66, 3, v66
	ds_write_b64 v4, v[0:1]
	v_lshlrev_b32_e32 v0, 3, v39
	v_and_b32_e32 v19, v19, v17
	v_lshlrev_b32_e32 v17, 24, v18
	ds_write_b64 v0, v[2:3]
	s_waitcnt lgkmcnt(0)
	s_barrier
	ds_read2st64_b64 v[12:15], v66 offset1:1
	ds_read2st64_b64 v[8:11], v66 offset0:2 offset1:3
	ds_read2st64_b64 v[4:7], v66 offset0:4 offset1:5
	;; [unrolled: 1-line block ×3, first 2 shown]
	s_waitcnt lgkmcnt(0)
	s_barrier
	ds_write2_b32 v64, v16, v16 offset0:8 offset1:9
	ds_write2_b32 v23, v16, v16 offset0:2 offset1:3
	v_cmp_gt_i64_e64 s[4:5], 0, v[16:17]
	v_not_b32_e32 v16, v17
	v_ashrrev_i32_e32 v16, 31, v16
	v_xor_b32_e32 v17, s5, v16
	v_xor_b32_e32 v16, s4, v16
	v_and_b32_e32 v35, v35, v36
	v_and_b32_e32 v16, v19, v16
	;; [unrolled: 1-line block ×3, first 2 shown]
	v_mbcnt_lo_u32_b32 v18, v16, 0
	v_mbcnt_hi_u32_b32 v35, v17, v18
	v_cmp_eq_u32_e64 s[4:5], 0, v35
	v_cmp_ne_u64_e64 s[46:47], 0, v[16:17]
	s_and_b64 s[46:47], s[46:47], s[4:5]
	s_waitcnt lgkmcnt(0)
	s_barrier
	s_waitcnt lgkmcnt(0)
	; wave barrier
	s_and_saveexec_b64 s[4:5], s[46:47]
	s_cbranch_execz .LBB170_110
; %bb.109:
	v_bcnt_u32_b32 v16, v16, 0
	v_bcnt_u32_b32 v16, v17, v16
	ds_write_b32 v32, v16 offset:32
.LBB170_110:
	s_or_b64 exec, exec, s[4:5]
	v_and_b32_sdwa v18, v30, s53 dst_sel:DWORD dst_unused:UNUSED_PAD src0_sel:BYTE_1 src1_sel:DWORD
	v_and_b32_e32 v17, 1, v18
	v_add_co_u32_e64 v19, s[4:5], -1, v17
	v_addc_co_u32_e64 v38, s[4:5], 0, -1, s[4:5]
	v_cmp_ne_u32_e64 s[4:5], 0, v17
	v_lshlrev_b32_e32 v16, 3, v18
	v_xor_b32_e32 v17, s5, v38
	v_add_lshl_u32 v37, v16, v22, 2
	v_mov_b32_e32 v16, 0
	v_and_b32_e32 v38, exec_hi, v17
	v_lshlrev_b32_e32 v17, 30, v18
	v_xor_b32_e32 v19, s4, v19
	v_cmp_gt_i64_e64 s[4:5], 0, v[16:17]
	v_not_b32_e32 v17, v17
	v_ashrrev_i32_e32 v17, 31, v17
	v_and_b32_e32 v19, exec_lo, v19
	v_xor_b32_e32 v39, s5, v17
	v_xor_b32_e32 v17, s4, v17
	v_and_b32_e32 v19, v19, v17
	v_lshlrev_b32_e32 v17, 29, v18
	v_cmp_gt_i64_e64 s[4:5], 0, v[16:17]
	v_not_b32_e32 v17, v17
	v_ashrrev_i32_e32 v17, 31, v17
	v_and_b32_e32 v38, v38, v39
	v_xor_b32_e32 v39, s5, v17
	v_xor_b32_e32 v17, s4, v17
	v_and_b32_e32 v19, v19, v17
	v_lshlrev_b32_e32 v17, 28, v18
	v_cmp_gt_i64_e64 s[4:5], 0, v[16:17]
	v_not_b32_e32 v17, v17
	v_ashrrev_i32_e32 v17, 31, v17
	v_and_b32_e32 v38, v38, v39
	;; [unrolled: 8-line block ×5, first 2 shown]
	v_xor_b32_e32 v39, s5, v17
	v_xor_b32_e32 v17, s4, v17
	v_and_b32_e32 v38, v38, v39
	v_and_b32_e32 v39, v19, v17
	v_lshlrev_b32_e32 v17, 24, v18
	v_cmp_gt_i64_e64 s[4:5], 0, v[16:17]
	v_not_b32_e32 v17, v17
	v_ashrrev_i32_e32 v17, 31, v17
	v_xor_b32_e32 v18, s5, v17
	v_xor_b32_e32 v17, s4, v17
	; wave barrier
	ds_read_b32 v36, v37 offset:32
	v_and_b32_e32 v19, v38, v18
	v_and_b32_e32 v18, v39, v17
	v_mbcnt_lo_u32_b32 v17, v18, 0
	v_mbcnt_hi_u32_b32 v38, v19, v17
	v_cmp_eq_u32_e64 s[4:5], 0, v38
	v_cmp_ne_u64_e64 s[46:47], 0, v[18:19]
	s_and_b64 s[46:47], s[46:47], s[4:5]
	; wave barrier
	s_and_saveexec_b64 s[4:5], s[46:47]
	s_cbranch_execz .LBB170_112
; %bb.111:
	v_bcnt_u32_b32 v17, v18, 0
	v_bcnt_u32_b32 v17, v19, v17
	s_waitcnt lgkmcnt(0)
	v_add_u32_e32 v17, v36, v17
	ds_write_b32 v37, v17 offset:32
.LBB170_112:
	s_or_b64 exec, exec, s[4:5]
	v_and_b32_sdwa v18, v29, s53 dst_sel:DWORD dst_unused:UNUSED_PAD src0_sel:BYTE_1 src1_sel:DWORD
	v_lshlrev_b32_e32 v17, 3, v18
	v_add_lshl_u32 v40, v17, v22, 2
	v_and_b32_e32 v17, 1, v18
	v_add_co_u32_e64 v19, s[4:5], -1, v17
	v_addc_co_u32_e64 v41, s[4:5], 0, -1, s[4:5]
	v_cmp_ne_u32_e64 s[4:5], 0, v17
	v_xor_b32_e32 v17, s5, v41
	v_and_b32_e32 v41, exec_hi, v17
	v_lshlrev_b32_e32 v17, 30, v18
	v_xor_b32_e32 v19, s4, v19
	v_cmp_gt_i64_e64 s[4:5], 0, v[16:17]
	v_not_b32_e32 v17, v17
	v_ashrrev_i32_e32 v17, 31, v17
	v_and_b32_e32 v19, exec_lo, v19
	v_xor_b32_e32 v46, s5, v17
	v_xor_b32_e32 v17, s4, v17
	v_and_b32_e32 v19, v19, v17
	v_lshlrev_b32_e32 v17, 29, v18
	v_cmp_gt_i64_e64 s[4:5], 0, v[16:17]
	v_not_b32_e32 v17, v17
	v_ashrrev_i32_e32 v17, 31, v17
	v_and_b32_e32 v41, v41, v46
	v_xor_b32_e32 v46, s5, v17
	v_xor_b32_e32 v17, s4, v17
	v_and_b32_e32 v19, v19, v17
	v_lshlrev_b32_e32 v17, 28, v18
	v_cmp_gt_i64_e64 s[4:5], 0, v[16:17]
	v_not_b32_e32 v17, v17
	v_ashrrev_i32_e32 v17, 31, v17
	v_and_b32_e32 v41, v41, v46
	;; [unrolled: 8-line block ×5, first 2 shown]
	v_xor_b32_e32 v46, s5, v17
	v_xor_b32_e32 v17, s4, v17
	v_and_b32_e32 v19, v19, v17
	v_lshlrev_b32_e32 v17, 24, v18
	v_cmp_gt_i64_e64 s[4:5], 0, v[16:17]
	v_not_b32_e32 v16, v17
	v_ashrrev_i32_e32 v16, 31, v16
	v_xor_b32_e32 v17, s5, v16
	v_xor_b32_e32 v16, s4, v16
	; wave barrier
	ds_read_b32 v39, v40 offset:32
	v_and_b32_e32 v41, v41, v46
	v_and_b32_e32 v16, v19, v16
	;; [unrolled: 1-line block ×3, first 2 shown]
	v_mbcnt_lo_u32_b32 v18, v16, 0
	v_mbcnt_hi_u32_b32 v41, v17, v18
	v_cmp_eq_u32_e64 s[4:5], 0, v41
	v_cmp_ne_u64_e64 s[46:47], 0, v[16:17]
	s_and_b64 s[46:47], s[46:47], s[4:5]
	; wave barrier
	s_and_saveexec_b64 s[4:5], s[46:47]
	s_cbranch_execz .LBB170_114
; %bb.113:
	v_bcnt_u32_b32 v16, v16, 0
	v_bcnt_u32_b32 v16, v17, v16
	s_waitcnt lgkmcnt(0)
	v_add_u32_e32 v16, v39, v16
	ds_write_b32 v40, v16 offset:32
.LBB170_114:
	s_or_b64 exec, exec, s[4:5]
	v_and_b32_sdwa v18, v28, s53 dst_sel:DWORD dst_unused:UNUSED_PAD src0_sel:BYTE_1 src1_sel:DWORD
	v_and_b32_e32 v17, 1, v18
	v_add_co_u32_e64 v19, s[4:5], -1, v17
	v_addc_co_u32_e64 v66, s[4:5], 0, -1, s[4:5]
	v_cmp_ne_u32_e64 s[4:5], 0, v17
	v_lshlrev_b32_e32 v16, 3, v18
	v_xor_b32_e32 v17, s5, v66
	v_add_lshl_u32 v65, v16, v22, 2
	v_mov_b32_e32 v16, 0
	v_and_b32_e32 v66, exec_hi, v17
	v_lshlrev_b32_e32 v17, 30, v18
	v_xor_b32_e32 v19, s4, v19
	v_cmp_gt_i64_e64 s[4:5], 0, v[16:17]
	v_not_b32_e32 v17, v17
	v_ashrrev_i32_e32 v17, 31, v17
	v_and_b32_e32 v19, exec_lo, v19
	v_xor_b32_e32 v67, s5, v17
	v_xor_b32_e32 v17, s4, v17
	v_and_b32_e32 v19, v19, v17
	v_lshlrev_b32_e32 v17, 29, v18
	v_cmp_gt_i64_e64 s[4:5], 0, v[16:17]
	v_not_b32_e32 v17, v17
	v_ashrrev_i32_e32 v17, 31, v17
	v_and_b32_e32 v66, v66, v67
	v_xor_b32_e32 v67, s5, v17
	v_xor_b32_e32 v17, s4, v17
	v_and_b32_e32 v19, v19, v17
	v_lshlrev_b32_e32 v17, 28, v18
	v_cmp_gt_i64_e64 s[4:5], 0, v[16:17]
	v_not_b32_e32 v17, v17
	v_ashrrev_i32_e32 v17, 31, v17
	v_and_b32_e32 v66, v66, v67
	;; [unrolled: 8-line block ×5, first 2 shown]
	v_xor_b32_e32 v67, s5, v17
	v_xor_b32_e32 v17, s4, v17
	v_and_b32_e32 v66, v66, v67
	v_and_b32_e32 v67, v19, v17
	v_lshlrev_b32_e32 v17, 24, v18
	v_cmp_gt_i64_e64 s[4:5], 0, v[16:17]
	v_not_b32_e32 v17, v17
	v_ashrrev_i32_e32 v17, 31, v17
	v_xor_b32_e32 v18, s5, v17
	v_xor_b32_e32 v17, s4, v17
	; wave barrier
	ds_read_b32 v46, v65 offset:32
	v_and_b32_e32 v19, v66, v18
	v_and_b32_e32 v18, v67, v17
	v_mbcnt_lo_u32_b32 v17, v18, 0
	v_mbcnt_hi_u32_b32 v66, v19, v17
	v_cmp_eq_u32_e64 s[4:5], 0, v66
	v_cmp_ne_u64_e64 s[46:47], 0, v[18:19]
	s_and_b64 s[46:47], s[46:47], s[4:5]
	; wave barrier
	s_and_saveexec_b64 s[4:5], s[46:47]
	s_cbranch_execz .LBB170_116
; %bb.115:
	v_bcnt_u32_b32 v17, v18, 0
	v_bcnt_u32_b32 v17, v19, v17
	s_waitcnt lgkmcnt(0)
	v_add_u32_e32 v17, v46, v17
	ds_write_b32 v65, v17 offset:32
.LBB170_116:
	s_or_b64 exec, exec, s[4:5]
	v_and_b32_sdwa v18, v27, s53 dst_sel:DWORD dst_unused:UNUSED_PAD src0_sel:BYTE_1 src1_sel:DWORD
	v_lshlrev_b32_e32 v17, 3, v18
	v_add_lshl_u32 v68, v17, v22, 2
	v_and_b32_e32 v17, 1, v18
	v_add_co_u32_e64 v19, s[4:5], -1, v17
	v_addc_co_u32_e64 v69, s[4:5], 0, -1, s[4:5]
	v_cmp_ne_u32_e64 s[4:5], 0, v17
	v_xor_b32_e32 v17, s5, v69
	v_and_b32_e32 v69, exec_hi, v17
	v_lshlrev_b32_e32 v17, 30, v18
	v_xor_b32_e32 v19, s4, v19
	v_cmp_gt_i64_e64 s[4:5], 0, v[16:17]
	v_not_b32_e32 v17, v17
	v_ashrrev_i32_e32 v17, 31, v17
	v_and_b32_e32 v19, exec_lo, v19
	v_xor_b32_e32 v70, s5, v17
	v_xor_b32_e32 v17, s4, v17
	v_and_b32_e32 v19, v19, v17
	v_lshlrev_b32_e32 v17, 29, v18
	v_cmp_gt_i64_e64 s[4:5], 0, v[16:17]
	v_not_b32_e32 v17, v17
	v_ashrrev_i32_e32 v17, 31, v17
	v_and_b32_e32 v69, v69, v70
	v_xor_b32_e32 v70, s5, v17
	v_xor_b32_e32 v17, s4, v17
	v_and_b32_e32 v19, v19, v17
	v_lshlrev_b32_e32 v17, 28, v18
	v_cmp_gt_i64_e64 s[4:5], 0, v[16:17]
	v_not_b32_e32 v17, v17
	v_ashrrev_i32_e32 v17, 31, v17
	v_and_b32_e32 v69, v69, v70
	;; [unrolled: 8-line block ×5, first 2 shown]
	v_xor_b32_e32 v70, s5, v17
	v_xor_b32_e32 v17, s4, v17
	v_and_b32_e32 v19, v19, v17
	v_lshlrev_b32_e32 v17, 24, v18
	v_cmp_gt_i64_e64 s[4:5], 0, v[16:17]
	v_not_b32_e32 v16, v17
	v_ashrrev_i32_e32 v16, 31, v16
	v_xor_b32_e32 v17, s5, v16
	v_xor_b32_e32 v16, s4, v16
	; wave barrier
	ds_read_b32 v67, v68 offset:32
	v_and_b32_e32 v69, v69, v70
	v_and_b32_e32 v16, v19, v16
	;; [unrolled: 1-line block ×3, first 2 shown]
	v_mbcnt_lo_u32_b32 v18, v16, 0
	v_mbcnt_hi_u32_b32 v69, v17, v18
	v_cmp_eq_u32_e64 s[4:5], 0, v69
	v_cmp_ne_u64_e64 s[46:47], 0, v[16:17]
	s_and_b64 s[46:47], s[46:47], s[4:5]
	; wave barrier
	s_and_saveexec_b64 s[4:5], s[46:47]
	s_cbranch_execz .LBB170_118
; %bb.117:
	v_bcnt_u32_b32 v16, v16, 0
	v_bcnt_u32_b32 v16, v17, v16
	s_waitcnt lgkmcnt(0)
	v_add_u32_e32 v16, v67, v16
	ds_write_b32 v68, v16 offset:32
.LBB170_118:
	s_or_b64 exec, exec, s[4:5]
	v_and_b32_sdwa v18, v26, s53 dst_sel:DWORD dst_unused:UNUSED_PAD src0_sel:BYTE_1 src1_sel:DWORD
	v_and_b32_e32 v17, 1, v18
	v_add_co_u32_e64 v19, s[4:5], -1, v17
	v_addc_co_u32_e64 v72, s[4:5], 0, -1, s[4:5]
	v_cmp_ne_u32_e64 s[4:5], 0, v17
	v_lshlrev_b32_e32 v16, 3, v18
	v_xor_b32_e32 v17, s5, v72
	v_add_lshl_u32 v71, v16, v22, 2
	v_mov_b32_e32 v16, 0
	v_and_b32_e32 v72, exec_hi, v17
	v_lshlrev_b32_e32 v17, 30, v18
	v_xor_b32_e32 v19, s4, v19
	v_cmp_gt_i64_e64 s[4:5], 0, v[16:17]
	v_not_b32_e32 v17, v17
	v_ashrrev_i32_e32 v17, 31, v17
	v_and_b32_e32 v19, exec_lo, v19
	v_xor_b32_e32 v73, s5, v17
	v_xor_b32_e32 v17, s4, v17
	v_and_b32_e32 v19, v19, v17
	v_lshlrev_b32_e32 v17, 29, v18
	v_cmp_gt_i64_e64 s[4:5], 0, v[16:17]
	v_not_b32_e32 v17, v17
	v_ashrrev_i32_e32 v17, 31, v17
	v_and_b32_e32 v72, v72, v73
	v_xor_b32_e32 v73, s5, v17
	v_xor_b32_e32 v17, s4, v17
	v_and_b32_e32 v19, v19, v17
	v_lshlrev_b32_e32 v17, 28, v18
	v_cmp_gt_i64_e64 s[4:5], 0, v[16:17]
	v_not_b32_e32 v17, v17
	v_ashrrev_i32_e32 v17, 31, v17
	v_and_b32_e32 v72, v72, v73
	;; [unrolled: 8-line block ×5, first 2 shown]
	v_xor_b32_e32 v73, s5, v17
	v_xor_b32_e32 v17, s4, v17
	v_and_b32_e32 v72, v72, v73
	v_and_b32_e32 v73, v19, v17
	v_lshlrev_b32_e32 v17, 24, v18
	v_cmp_gt_i64_e64 s[4:5], 0, v[16:17]
	v_not_b32_e32 v17, v17
	v_ashrrev_i32_e32 v17, 31, v17
	v_xor_b32_e32 v18, s5, v17
	v_xor_b32_e32 v17, s4, v17
	; wave barrier
	ds_read_b32 v70, v71 offset:32
	v_and_b32_e32 v19, v72, v18
	v_and_b32_e32 v18, v73, v17
	v_mbcnt_lo_u32_b32 v17, v18, 0
	v_mbcnt_hi_u32_b32 v72, v19, v17
	v_cmp_eq_u32_e64 s[4:5], 0, v72
	v_cmp_ne_u64_e64 s[46:47], 0, v[18:19]
	s_and_b64 s[46:47], s[46:47], s[4:5]
	; wave barrier
	s_and_saveexec_b64 s[4:5], s[46:47]
	s_cbranch_execz .LBB170_120
; %bb.119:
	v_bcnt_u32_b32 v17, v18, 0
	v_bcnt_u32_b32 v17, v19, v17
	s_waitcnt lgkmcnt(0)
	v_add_u32_e32 v17, v70, v17
	ds_write_b32 v71, v17 offset:32
.LBB170_120:
	s_or_b64 exec, exec, s[4:5]
	v_and_b32_sdwa v18, v25, s53 dst_sel:DWORD dst_unused:UNUSED_PAD src0_sel:BYTE_1 src1_sel:DWORD
	v_lshlrev_b32_e32 v17, 3, v18
	v_add_lshl_u32 v74, v17, v22, 2
	v_and_b32_e32 v17, 1, v18
	v_add_co_u32_e64 v19, s[4:5], -1, v17
	v_addc_co_u32_e64 v75, s[4:5], 0, -1, s[4:5]
	v_cmp_ne_u32_e64 s[4:5], 0, v17
	v_xor_b32_e32 v17, s5, v75
	v_and_b32_e32 v75, exec_hi, v17
	v_lshlrev_b32_e32 v17, 30, v18
	v_xor_b32_e32 v19, s4, v19
	v_cmp_gt_i64_e64 s[4:5], 0, v[16:17]
	v_not_b32_e32 v17, v17
	v_ashrrev_i32_e32 v17, 31, v17
	v_and_b32_e32 v19, exec_lo, v19
	v_xor_b32_e32 v76, s5, v17
	v_xor_b32_e32 v17, s4, v17
	v_and_b32_e32 v19, v19, v17
	v_lshlrev_b32_e32 v17, 29, v18
	v_cmp_gt_i64_e64 s[4:5], 0, v[16:17]
	v_not_b32_e32 v17, v17
	v_ashrrev_i32_e32 v17, 31, v17
	v_and_b32_e32 v75, v75, v76
	v_xor_b32_e32 v76, s5, v17
	v_xor_b32_e32 v17, s4, v17
	v_and_b32_e32 v19, v19, v17
	v_lshlrev_b32_e32 v17, 28, v18
	v_cmp_gt_i64_e64 s[4:5], 0, v[16:17]
	v_not_b32_e32 v17, v17
	v_ashrrev_i32_e32 v17, 31, v17
	v_and_b32_e32 v75, v75, v76
	;; [unrolled: 8-line block ×5, first 2 shown]
	v_xor_b32_e32 v76, s5, v17
	v_xor_b32_e32 v17, s4, v17
	v_and_b32_e32 v19, v19, v17
	v_lshlrev_b32_e32 v17, 24, v18
	v_cmp_gt_i64_e64 s[4:5], 0, v[16:17]
	v_not_b32_e32 v16, v17
	v_ashrrev_i32_e32 v16, 31, v16
	v_xor_b32_e32 v17, s5, v16
	v_xor_b32_e32 v16, s4, v16
	; wave barrier
	ds_read_b32 v73, v74 offset:32
	v_and_b32_e32 v75, v75, v76
	v_and_b32_e32 v16, v19, v16
	;; [unrolled: 1-line block ×3, first 2 shown]
	v_mbcnt_lo_u32_b32 v18, v16, 0
	v_mbcnt_hi_u32_b32 v75, v17, v18
	v_cmp_eq_u32_e64 s[4:5], 0, v75
	v_cmp_ne_u64_e64 s[46:47], 0, v[16:17]
	s_and_b64 s[46:47], s[46:47], s[4:5]
	; wave barrier
	s_and_saveexec_b64 s[4:5], s[46:47]
	s_cbranch_execz .LBB170_122
; %bb.121:
	v_bcnt_u32_b32 v16, v16, 0
	v_bcnt_u32_b32 v16, v17, v16
	s_waitcnt lgkmcnt(0)
	v_add_u32_e32 v16, v73, v16
	ds_write_b32 v74, v16 offset:32
.LBB170_122:
	s_or_b64 exec, exec, s[4:5]
	v_and_b32_sdwa v18, v20, s53 dst_sel:DWORD dst_unused:UNUSED_PAD src0_sel:BYTE_1 src1_sel:DWORD
	v_and_b32_e32 v17, 1, v18
	v_add_co_u32_e64 v19, s[4:5], -1, v17
	v_addc_co_u32_e64 v77, s[4:5], 0, -1, s[4:5]
	v_cmp_ne_u32_e64 s[4:5], 0, v17
	v_lshlrev_b32_e32 v16, 3, v18
	v_xor_b32_e32 v17, s5, v77
	v_add_lshl_u32 v76, v16, v22, 2
	v_mov_b32_e32 v16, 0
	v_and_b32_e32 v77, exec_hi, v17
	v_lshlrev_b32_e32 v17, 30, v18
	v_xor_b32_e32 v19, s4, v19
	v_cmp_gt_i64_e64 s[4:5], 0, v[16:17]
	v_not_b32_e32 v17, v17
	v_ashrrev_i32_e32 v17, 31, v17
	v_and_b32_e32 v19, exec_lo, v19
	v_xor_b32_e32 v78, s5, v17
	v_xor_b32_e32 v17, s4, v17
	v_and_b32_e32 v19, v19, v17
	v_lshlrev_b32_e32 v17, 29, v18
	v_cmp_gt_i64_e64 s[4:5], 0, v[16:17]
	v_not_b32_e32 v17, v17
	v_ashrrev_i32_e32 v17, 31, v17
	v_and_b32_e32 v77, v77, v78
	v_xor_b32_e32 v78, s5, v17
	v_xor_b32_e32 v17, s4, v17
	v_and_b32_e32 v19, v19, v17
	v_lshlrev_b32_e32 v17, 28, v18
	v_cmp_gt_i64_e64 s[4:5], 0, v[16:17]
	v_not_b32_e32 v17, v17
	v_ashrrev_i32_e32 v17, 31, v17
	v_and_b32_e32 v77, v77, v78
	;; [unrolled: 8-line block ×5, first 2 shown]
	v_xor_b32_e32 v78, s5, v17
	v_xor_b32_e32 v17, s4, v17
	v_and_b32_e32 v19, v19, v17
	v_lshlrev_b32_e32 v17, 24, v18
	v_cmp_gt_i64_e64 s[4:5], 0, v[16:17]
	v_not_b32_e32 v16, v17
	v_ashrrev_i32_e32 v16, 31, v16
	v_xor_b32_e32 v17, s5, v16
	v_xor_b32_e32 v16, s4, v16
	; wave barrier
	ds_read_b32 v22, v76 offset:32
	v_and_b32_e32 v77, v77, v78
	v_and_b32_e32 v16, v19, v16
	;; [unrolled: 1-line block ×3, first 2 shown]
	v_mbcnt_lo_u32_b32 v18, v16, 0
	v_mbcnt_hi_u32_b32 v77, v17, v18
	v_cmp_eq_u32_e64 s[4:5], 0, v77
	v_cmp_ne_u64_e64 s[46:47], 0, v[16:17]
	s_and_b64 s[46:47], s[46:47], s[4:5]
	; wave barrier
	s_and_saveexec_b64 s[4:5], s[46:47]
	s_cbranch_execz .LBB170_124
; %bb.123:
	v_bcnt_u32_b32 v16, v16, 0
	v_bcnt_u32_b32 v16, v17, v16
	s_waitcnt lgkmcnt(0)
	v_add_u32_e32 v16, v22, v16
	ds_write_b32 v76, v16 offset:32
.LBB170_124:
	s_or_b64 exec, exec, s[4:5]
	; wave barrier
	s_waitcnt lgkmcnt(0)
	s_barrier
	ds_read2_b32 v[18:19], v64 offset0:8 offset1:9
	ds_read2_b32 v[16:17], v23 offset0:2 offset1:3
	s_waitcnt lgkmcnt(1)
	v_add_u32_e32 v78, v19, v18
	s_waitcnt lgkmcnt(0)
	v_add3_u32 v17, v78, v16, v17
	s_nop 1
	v_mov_b32_dpp v78, v17 row_shr:1 row_mask:0xf bank_mask:0xf
	v_cndmask_b32_e64 v78, v78, 0, s[24:25]
	v_add_u32_e32 v17, v78, v17
	s_nop 1
	v_mov_b32_dpp v78, v17 row_shr:2 row_mask:0xf bank_mask:0xf
	v_cndmask_b32_e64 v78, 0, v78, s[26:27]
	v_add_u32_e32 v17, v17, v78
	;; [unrolled: 4-line block ×4, first 2 shown]
	s_nop 1
	v_mov_b32_dpp v78, v17 row_bcast:15 row_mask:0xf bank_mask:0xf
	v_cndmask_b32_e64 v78, v78, 0, vcc
	v_add_u32_e32 v17, v17, v78
	s_nop 1
	v_mov_b32_dpp v78, v17 row_bcast:31 row_mask:0xf bank_mask:0xf
	v_cndmask_b32_e64 v78, 0, v78, s[36:37]
	v_add_u32_e32 v17, v17, v78
	s_and_saveexec_b64 s[4:5], s[16:17]
	s_cbranch_execz .LBB170_126
; %bb.125:
	ds_write_b32 v24, v17
.LBB170_126:
	s_or_b64 exec, exec, s[4:5]
	s_waitcnt lgkmcnt(0)
	s_barrier
	s_and_saveexec_b64 s[4:5], s[28:29]
	s_cbranch_execz .LBB170_128
; %bb.127:
	ds_read_b32 v24, v21
	s_waitcnt lgkmcnt(0)
	s_nop 0
	v_mov_b32_dpp v78, v24 row_shr:1 row_mask:0xf bank_mask:0xf
	v_cndmask_b32_e64 v78, v78, 0, s[22:23]
	v_add_u32_e32 v24, v78, v24
	s_nop 1
	v_mov_b32_dpp v78, v24 row_shr:2 row_mask:0xf bank_mask:0xf
	v_cndmask_b32_e64 v78, 0, v78, s[20:21]
	v_add_u32_e32 v24, v24, v78
	;; [unrolled: 4-line block ×3, first 2 shown]
	ds_write_b32 v21, v24
.LBB170_128:
	s_or_b64 exec, exec, s[4:5]
	v_mov_b32_e32 v21, 0
	s_waitcnt lgkmcnt(0)
	s_barrier
	s_and_saveexec_b64 s[4:5], s[38:39]
	s_cbranch_execz .LBB170_130
; %bb.129:
	ds_read_b32 v21, v33
.LBB170_130:
	s_or_b64 exec, exec, s[4:5]
	s_waitcnt lgkmcnt(0)
	v_add_u32_e32 v17, v21, v17
	ds_bpermute_b32 v17, v34, v17
	v_lshlrev_b32_e32 v34, 3, v62
	s_waitcnt lgkmcnt(0)
	v_cndmask_b32_e64 v17, v17, v21, s[40:41]
	v_cndmask_b32_e64 v17, v17, 0, s[42:43]
	v_add_u32_e32 v18, v17, v18
	v_add_u32_e32 v19, v18, v19
	;; [unrolled: 1-line block ×3, first 2 shown]
	ds_write2_b32 v64, v17, v18 offset0:8 offset1:9
	ds_write2_b32 v23, v19, v16 offset0:2 offset1:3
	s_waitcnt lgkmcnt(0)
	s_barrier
	ds_read_b32 v16, v76 offset:32
	ds_read_b32 v17, v74 offset:32
	;; [unrolled: 1-line block ×4, first 2 shown]
	s_waitcnt lgkmcnt(3)
	v_add3_u32 v16, v77, v22, v16
	ds_read_b32 v21, v65 offset:32
	ds_read_b32 v22, v40 offset:32
	;; [unrolled: 1-line block ×4, first 2 shown]
	s_waitcnt lgkmcnt(0)
	s_barrier
	v_add3_u32 v22, v41, v39, v22
	v_add3_u32 v23, v38, v36, v23
	v_add_u32_e32 v24, v24, v35
	v_lshlrev_b32_e32 v32, 1, v24
	ds_write_b16 v32, v31
	v_lshlrev_b32_e32 v31, 1, v23
	v_add3_u32 v21, v66, v46, v21
	ds_write_b16 v31, v30
	v_lshlrev_b32_e32 v30, 1, v22
	v_add3_u32 v19, v69, v67, v19
	;; [unrolled: 3-line block ×4, first 2 shown]
	ds_write_b16 v28, v27
	v_lshlrev_b32_e32 v27, 1, v18
	ds_write_b16 v27, v26
	v_lshlrev_b32_e32 v26, 1, v17
	;; [unrolled: 2-line block ×4, first 2 shown]
	v_lshlrev_b32_e32 v24, 3, v24
	v_lshlrev_b32_e32 v23, 3, v23
	;; [unrolled: 1-line block ×7, first 2 shown]
	s_waitcnt lgkmcnt(0)
	s_barrier
	v_lshlrev_b32_e32 v21, 3, v21
	ds_read_b128 v[16:19], v20
	s_waitcnt lgkmcnt(0)
	s_barrier
	ds_write_b64 v24, v[12:13]
	ds_write_b64 v23, v[14:15]
	ds_write_b64 v22, v[8:9]
	ds_write_b64 v21, v[10:11]
	ds_write_b64 v25, v[4:5]
	ds_write_b64 v26, v[6:7]
	ds_write_b64 v27, v[0:1]
	ds_write_b64 v28, v[2:3]
	s_waitcnt lgkmcnt(0)
	s_barrier
	ds_read2_b64 v[22:25], v34 offset1:1
	ds_read2_b64 v[26:29], v34 offset0:2 offset1:3
	ds_read2_b64 v[30:33], v34 offset0:4 offset1:5
	;; [unrolled: 1-line block ×3, first 2 shown]
	v_xor_b32_e32 v38, 0x7fff7fff, v16
	v_xor_b32_e32 v39, 0x7fff7fff, v17
	;; [unrolled: 1-line block ×4, first 2 shown]
.LBB170_131:
	s_waitcnt lgkmcnt(0)
	s_barrier
	ds_write_b128 v54, v[38:41]
	s_waitcnt lgkmcnt(0)
	s_barrier
	ds_read_u16 v8, v43 offset:1024
	ds_read_u16 v7, v48 offset:2048
	;; [unrolled: 1-line block ×7, first 2 shown]
	v_mov_b32_e32 v43, 0
	v_lshlrev_b64 v[0:1], 1, v[42:43]
	v_mov_b32_e32 v9, s48
	v_add_co_u32_e32 v0, vcc, s33, v0
	v_addc_co_u32_e32 v1, vcc, v9, v1, vcc
	s_and_saveexec_b64 s[4:5], s[0:1]
	s_cbranch_execnz .LBB170_150
; %bb.132:
	s_or_b64 exec, exec, s[4:5]
	s_and_saveexec_b64 s[4:5], s[2:3]
	s_cbranch_execnz .LBB170_151
.LBB170_133:
	s_or_b64 exec, exec, s[4:5]
	s_and_saveexec_b64 s[4:5], s[44:45]
	s_cbranch_execnz .LBB170_152
.LBB170_134:
	s_or_b64 exec, exec, s[4:5]
	s_and_saveexec_b64 s[4:5], s[6:7]
	s_cbranch_execnz .LBB170_153
.LBB170_135:
	s_or_b64 exec, exec, s[4:5]
	s_and_saveexec_b64 s[4:5], s[8:9]
	s_cbranch_execnz .LBB170_154
.LBB170_136:
	s_or_b64 exec, exec, s[4:5]
	s_and_saveexec_b64 s[4:5], s[10:11]
	s_cbranch_execnz .LBB170_155
.LBB170_137:
	s_or_b64 exec, exec, s[4:5]
	s_and_saveexec_b64 s[4:5], s[12:13]
	s_cbranch_execnz .LBB170_156
.LBB170_138:
	s_or_b64 exec, exec, s[4:5]
	s_and_saveexec_b64 s[4:5], s[14:15]
	s_cbranch_execz .LBB170_140
.LBB170_139:
	s_mul_i32 s16, s50, 0xe00
	s_mov_b32 s17, 0
	s_lshl_b64 s[16:17], s[16:17], 1
	s_waitcnt lgkmcnt(1)
	v_mov_b32_e32 v3, s17
	v_add_co_u32_e32 v0, vcc, s16, v0
	v_addc_co_u32_e32 v1, vcc, v1, v3, vcc
	s_waitcnt lgkmcnt(0)
	global_store_short v[0:1], v2, off
.LBB170_140:
	s_or_b64 exec, exec, s[4:5]
	s_waitcnt lgkmcnt(0)
	s_barrier
	ds_write2_b64 v63, v[22:23], v[24:25] offset1:1
	ds_write2_b64 v63, v[26:27], v[28:29] offset0:2 offset1:3
	ds_write2_b64 v63, v[30:31], v[32:33] offset0:4 offset1:5
	;; [unrolled: 1-line block ×3, first 2 shown]
	s_waitcnt lgkmcnt(0)
	s_barrier
	ds_read_b64 v[14:15], v45 offset:4096
	ds_read_b64 v[12:13], v56 offset:8192
	;; [unrolled: 1-line block ×7, first 2 shown]
	v_mov_b32_e32 v45, 0
	v_lshlrev_b64 v[2:3], 3, v[44:45]
	v_mov_b32_e32 v16, s51
	v_add_co_u32_e32 v2, vcc, s49, v2
	v_addc_co_u32_e32 v3, vcc, v16, v3, vcc
	s_and_saveexec_b64 s[4:5], s[0:1]
	s_cbranch_execnz .LBB170_157
; %bb.141:
	s_or_b64 exec, exec, s[4:5]
	s_and_saveexec_b64 s[0:1], s[2:3]
	s_cbranch_execnz .LBB170_158
.LBB170_142:
	s_or_b64 exec, exec, s[0:1]
	s_and_saveexec_b64 s[0:1], s[44:45]
	s_cbranch_execnz .LBB170_159
.LBB170_143:
	s_or_b64 exec, exec, s[0:1]
	s_and_saveexec_b64 s[0:1], s[6:7]
	s_cbranch_execnz .LBB170_160
.LBB170_144:
	s_or_b64 exec, exec, s[0:1]
	s_and_saveexec_b64 s[0:1], s[8:9]
	s_cbranch_execnz .LBB170_161
.LBB170_145:
	s_or_b64 exec, exec, s[0:1]
	s_and_saveexec_b64 s[0:1], s[10:11]
	s_cbranch_execnz .LBB170_162
.LBB170_146:
	s_or_b64 exec, exec, s[0:1]
	s_and_saveexec_b64 s[0:1], s[12:13]
	s_cbranch_execnz .LBB170_163
.LBB170_147:
	s_or_b64 exec, exec, s[0:1]
	s_and_saveexec_b64 s[0:1], s[14:15]
	s_cbranch_execz .LBB170_149
.LBB170_148:
	s_mul_i32 s0, s52, 0xe00
	s_mov_b32 s1, 0
	s_lshl_b64 s[0:1], s[0:1], 3
	s_waitcnt lgkmcnt(1)
	v_mov_b32_e32 v4, s1
	v_add_co_u32_e32 v2, vcc, s0, v2
	v_addc_co_u32_e32 v3, vcc, v3, v4, vcc
	s_waitcnt lgkmcnt(0)
	global_store_dwordx2 v[2:3], v[0:1], off
.LBB170_149:
	s_endpgm
.LBB170_150:
	ds_read_u16 v9, v47
	s_waitcnt lgkmcnt(0)
	global_store_short v[0:1], v9, off
	s_or_b64 exec, exec, s[4:5]
	s_and_saveexec_b64 s[4:5], s[2:3]
	s_cbranch_execz .LBB170_133
.LBB170_151:
	s_lshl_b32 s16, s50, 9
	s_mov_b32 s17, 0
	s_lshl_b64 s[16:17], s[16:17], 1
	v_mov_b32_e32 v9, s17
	v_add_co_u32_e32 v10, vcc, s16, v0
	v_addc_co_u32_e32 v11, vcc, v1, v9, vcc
	s_waitcnt lgkmcnt(6)
	global_store_short v[10:11], v8, off
	s_or_b64 exec, exec, s[4:5]
	s_and_saveexec_b64 s[4:5], s[44:45]
	s_cbranch_execz .LBB170_134
.LBB170_152:
	s_lshl_b32 s16, s50, 10
	s_mov_b32 s17, 0
	s_lshl_b64 s[16:17], s[16:17], 1
	v_mov_b32_e32 v9, s17
	s_waitcnt lgkmcnt(6)
	v_add_co_u32_e32 v8, vcc, s16, v0
	v_addc_co_u32_e32 v9, vcc, v1, v9, vcc
	s_waitcnt lgkmcnt(5)
	global_store_short v[8:9], v7, off
	s_or_b64 exec, exec, s[4:5]
	s_and_saveexec_b64 s[4:5], s[6:7]
	s_cbranch_execz .LBB170_135
.LBB170_153:
	s_mul_i32 s16, s50, 0x600
	s_mov_b32 s17, 0
	s_lshl_b64 s[16:17], s[16:17], 1
	s_waitcnt lgkmcnt(5)
	v_mov_b32_e32 v7, s17
	v_add_co_u32_e32 v8, vcc, s16, v0
	v_addc_co_u32_e32 v9, vcc, v1, v7, vcc
	s_waitcnt lgkmcnt(4)
	global_store_short v[8:9], v6, off
	s_or_b64 exec, exec, s[4:5]
	s_and_saveexec_b64 s[4:5], s[8:9]
	s_cbranch_execz .LBB170_136
.LBB170_154:
	s_lshl_b32 s16, s50, 11
	s_mov_b32 s17, 0
	s_lshl_b64 s[16:17], s[16:17], 1
	s_waitcnt lgkmcnt(5)
	v_mov_b32_e32 v7, s17
	s_waitcnt lgkmcnt(4)
	v_add_co_u32_e32 v6, vcc, s16, v0
	v_addc_co_u32_e32 v7, vcc, v1, v7, vcc
	s_waitcnt lgkmcnt(3)
	global_store_short v[6:7], v5, off
	s_or_b64 exec, exec, s[4:5]
	s_and_saveexec_b64 s[4:5], s[10:11]
	s_cbranch_execz .LBB170_137
.LBB170_155:
	s_mul_i32 s16, s50, 0xa00
	s_mov_b32 s17, 0
	s_lshl_b64 s[16:17], s[16:17], 1
	s_waitcnt lgkmcnt(3)
	v_mov_b32_e32 v5, s17
	v_add_co_u32_e32 v6, vcc, s16, v0
	v_addc_co_u32_e32 v7, vcc, v1, v5, vcc
	s_waitcnt lgkmcnt(2)
	global_store_short v[6:7], v4, off
	s_or_b64 exec, exec, s[4:5]
	s_and_saveexec_b64 s[4:5], s[12:13]
	s_cbranch_execz .LBB170_138
.LBB170_156:
	s_mul_i32 s16, s50, 0xc00
	s_mov_b32 s17, 0
	s_lshl_b64 s[16:17], s[16:17], 1
	s_waitcnt lgkmcnt(3)
	v_mov_b32_e32 v5, s17
	s_waitcnt lgkmcnt(2)
	v_add_co_u32_e32 v4, vcc, s16, v0
	v_addc_co_u32_e32 v5, vcc, v1, v5, vcc
	s_waitcnt lgkmcnt(1)
	global_store_short v[4:5], v3, off
	s_or_b64 exec, exec, s[4:5]
	s_and_saveexec_b64 s[4:5], s[14:15]
	s_cbranch_execnz .LBB170_139
	s_branch .LBB170_140
.LBB170_157:
	ds_read_b64 v[16:17], v55
	s_waitcnt lgkmcnt(0)
	global_store_dwordx2 v[2:3], v[16:17], off
	s_or_b64 exec, exec, s[4:5]
	s_and_saveexec_b64 s[0:1], s[2:3]
	s_cbranch_execz .LBB170_142
.LBB170_158:
	s_lshl_b32 s2, s52, 9
	s_mov_b32 s3, 0
	s_lshl_b64 s[2:3], s[2:3], 3
	v_mov_b32_e32 v17, s3
	v_add_co_u32_e32 v16, vcc, s2, v2
	v_addc_co_u32_e32 v17, vcc, v3, v17, vcc
	s_waitcnt lgkmcnt(6)
	global_store_dwordx2 v[16:17], v[14:15], off
	s_or_b64 exec, exec, s[0:1]
	s_and_saveexec_b64 s[0:1], s[44:45]
	s_cbranch_execz .LBB170_143
.LBB170_159:
	s_lshl_b32 s2, s52, 10
	s_mov_b32 s3, 0
	s_lshl_b64 s[2:3], s[2:3], 3
	s_waitcnt lgkmcnt(6)
	v_mov_b32_e32 v15, s3
	v_add_co_u32_e32 v14, vcc, s2, v2
	v_addc_co_u32_e32 v15, vcc, v3, v15, vcc
	s_waitcnt lgkmcnt(5)
	global_store_dwordx2 v[14:15], v[12:13], off
	s_or_b64 exec, exec, s[0:1]
	s_and_saveexec_b64 s[0:1], s[6:7]
	s_cbranch_execz .LBB170_144
.LBB170_160:
	s_mul_i32 s2, s52, 0x600
	s_mov_b32 s3, 0
	s_lshl_b64 s[2:3], s[2:3], 3
	s_waitcnt lgkmcnt(5)
	v_mov_b32_e32 v13, s3
	v_add_co_u32_e32 v12, vcc, s2, v2
	v_addc_co_u32_e32 v13, vcc, v3, v13, vcc
	s_waitcnt lgkmcnt(4)
	global_store_dwordx2 v[12:13], v[10:11], off
	s_or_b64 exec, exec, s[0:1]
	s_and_saveexec_b64 s[0:1], s[8:9]
	s_cbranch_execz .LBB170_145
.LBB170_161:
	s_lshl_b32 s2, s52, 11
	s_mov_b32 s3, 0
	s_lshl_b64 s[2:3], s[2:3], 3
	s_waitcnt lgkmcnt(4)
	v_mov_b32_e32 v11, s3
	v_add_co_u32_e32 v10, vcc, s2, v2
	v_addc_co_u32_e32 v11, vcc, v3, v11, vcc
	s_waitcnt lgkmcnt(3)
	global_store_dwordx2 v[10:11], v[8:9], off
	s_or_b64 exec, exec, s[0:1]
	s_and_saveexec_b64 s[0:1], s[10:11]
	s_cbranch_execz .LBB170_146
.LBB170_162:
	s_mul_i32 s2, s52, 0xa00
	s_mov_b32 s3, 0
	s_lshl_b64 s[2:3], s[2:3], 3
	s_waitcnt lgkmcnt(3)
	v_mov_b32_e32 v9, s3
	v_add_co_u32_e32 v8, vcc, s2, v2
	v_addc_co_u32_e32 v9, vcc, v3, v9, vcc
	s_waitcnt lgkmcnt(2)
	global_store_dwordx2 v[8:9], v[6:7], off
	s_or_b64 exec, exec, s[0:1]
	s_and_saveexec_b64 s[0:1], s[12:13]
	s_cbranch_execz .LBB170_147
.LBB170_163:
	s_mul_i32 s2, s52, 0xc00
	s_mov_b32 s3, 0
	s_lshl_b64 s[2:3], s[2:3], 3
	s_waitcnt lgkmcnt(2)
	v_mov_b32_e32 v7, s3
	v_add_co_u32_e32 v6, vcc, s2, v2
	v_addc_co_u32_e32 v7, vcc, v3, v7, vcc
	s_waitcnt lgkmcnt(1)
	global_store_dwordx2 v[6:7], v[4:5], off
	s_or_b64 exec, exec, s[0:1]
	s_and_saveexec_b64 s[0:1], s[14:15]
	s_cbranch_execnz .LBB170_148
	s_branch .LBB170_149
	.section	.rodata,"a",@progbits
	.p2align	6, 0x0
	.amdhsa_kernel _ZN2at6native18radixSortKVInPlaceILin1ELin1ELi512ELi8EsljEEvNS_4cuda6detail10TensorInfoIT3_T5_EES6_S6_S6_NS4_IT4_S6_EES6_b
		.amdhsa_group_segment_fixed_size 33792
		.amdhsa_private_segment_fixed_size 0
		.amdhsa_kernarg_size 712
		.amdhsa_user_sgpr_count 6
		.amdhsa_user_sgpr_private_segment_buffer 1
		.amdhsa_user_sgpr_dispatch_ptr 0
		.amdhsa_user_sgpr_queue_ptr 0
		.amdhsa_user_sgpr_kernarg_segment_ptr 1
		.amdhsa_user_sgpr_dispatch_id 0
		.amdhsa_user_sgpr_flat_scratch_init 0
		.amdhsa_user_sgpr_kernarg_preload_length 0
		.amdhsa_user_sgpr_kernarg_preload_offset 0
		.amdhsa_user_sgpr_private_segment_size 0
		.amdhsa_uses_dynamic_stack 0
		.amdhsa_system_sgpr_private_segment_wavefront_offset 0
		.amdhsa_system_sgpr_workgroup_id_x 1
		.amdhsa_system_sgpr_workgroup_id_y 1
		.amdhsa_system_sgpr_workgroup_id_z 1
		.amdhsa_system_sgpr_workgroup_info 0
		.amdhsa_system_vgpr_workitem_id 2
		.amdhsa_next_free_vgpr 113
		.amdhsa_next_free_sgpr 56
		.amdhsa_accum_offset 116
		.amdhsa_reserve_vcc 1
		.amdhsa_reserve_flat_scratch 0
		.amdhsa_float_round_mode_32 0
		.amdhsa_float_round_mode_16_64 0
		.amdhsa_float_denorm_mode_32 3
		.amdhsa_float_denorm_mode_16_64 3
		.amdhsa_dx10_clamp 1
		.amdhsa_ieee_mode 1
		.amdhsa_fp16_overflow 0
		.amdhsa_tg_split 0
		.amdhsa_exception_fp_ieee_invalid_op 0
		.amdhsa_exception_fp_denorm_src 0
		.amdhsa_exception_fp_ieee_div_zero 0
		.amdhsa_exception_fp_ieee_overflow 0
		.amdhsa_exception_fp_ieee_underflow 0
		.amdhsa_exception_fp_ieee_inexact 0
		.amdhsa_exception_int_div_zero 0
	.end_amdhsa_kernel
	.section	.text._ZN2at6native18radixSortKVInPlaceILin1ELin1ELi512ELi8EsljEEvNS_4cuda6detail10TensorInfoIT3_T5_EES6_S6_S6_NS4_IT4_S6_EES6_b,"axG",@progbits,_ZN2at6native18radixSortKVInPlaceILin1ELin1ELi512ELi8EsljEEvNS_4cuda6detail10TensorInfoIT3_T5_EES6_S6_S6_NS4_IT4_S6_EES6_b,comdat
.Lfunc_end170:
	.size	_ZN2at6native18radixSortKVInPlaceILin1ELin1ELi512ELi8EsljEEvNS_4cuda6detail10TensorInfoIT3_T5_EES6_S6_S6_NS4_IT4_S6_EES6_b, .Lfunc_end170-_ZN2at6native18radixSortKVInPlaceILin1ELin1ELi512ELi8EsljEEvNS_4cuda6detail10TensorInfoIT3_T5_EES6_S6_S6_NS4_IT4_S6_EES6_b
                                        ; -- End function
	.section	.AMDGPU.csdata,"",@progbits
; Kernel info:
; codeLenInByte = 20820
; NumSgprs: 60
; NumVgprs: 113
; NumAgprs: 0
; TotalNumVgprs: 113
; ScratchSize: 0
; MemoryBound: 0
; FloatMode: 240
; IeeeMode: 1
; LDSByteSize: 33792 bytes/workgroup (compile time only)
; SGPRBlocks: 7
; VGPRBlocks: 14
; NumSGPRsForWavesPerEU: 60
; NumVGPRsForWavesPerEU: 113
; AccumOffset: 116
; Occupancy: 2
; WaveLimiterHint : 1
; COMPUTE_PGM_RSRC2:SCRATCH_EN: 0
; COMPUTE_PGM_RSRC2:USER_SGPR: 6
; COMPUTE_PGM_RSRC2:TRAP_HANDLER: 0
; COMPUTE_PGM_RSRC2:TGID_X_EN: 1
; COMPUTE_PGM_RSRC2:TGID_Y_EN: 1
; COMPUTE_PGM_RSRC2:TGID_Z_EN: 1
; COMPUTE_PGM_RSRC2:TIDIG_COMP_CNT: 2
; COMPUTE_PGM_RSRC3_GFX90A:ACCUM_OFFSET: 28
; COMPUTE_PGM_RSRC3_GFX90A:TG_SPLIT: 0
	.section	.text._ZN2at6native18radixSortKVInPlaceILin1ELin1ELi256ELi8EsljEEvNS_4cuda6detail10TensorInfoIT3_T5_EES6_S6_S6_NS4_IT4_S6_EES6_b,"axG",@progbits,_ZN2at6native18radixSortKVInPlaceILin1ELin1ELi256ELi8EsljEEvNS_4cuda6detail10TensorInfoIT3_T5_EES6_S6_S6_NS4_IT4_S6_EES6_b,comdat
	.protected	_ZN2at6native18radixSortKVInPlaceILin1ELin1ELi256ELi8EsljEEvNS_4cuda6detail10TensorInfoIT3_T5_EES6_S6_S6_NS4_IT4_S6_EES6_b ; -- Begin function _ZN2at6native18radixSortKVInPlaceILin1ELin1ELi256ELi8EsljEEvNS_4cuda6detail10TensorInfoIT3_T5_EES6_S6_S6_NS4_IT4_S6_EES6_b
	.globl	_ZN2at6native18radixSortKVInPlaceILin1ELin1ELi256ELi8EsljEEvNS_4cuda6detail10TensorInfoIT3_T5_EES6_S6_S6_NS4_IT4_S6_EES6_b
	.p2align	8
	.type	_ZN2at6native18radixSortKVInPlaceILin1ELin1ELi256ELi8EsljEEvNS_4cuda6detail10TensorInfoIT3_T5_EES6_S6_S6_NS4_IT4_S6_EES6_b,@function
_ZN2at6native18radixSortKVInPlaceILin1ELin1ELi256ELi8EsljEEvNS_4cuda6detail10TensorInfoIT3_T5_EES6_S6_S6_NS4_IT4_S6_EES6_b: ; @_ZN2at6native18radixSortKVInPlaceILin1ELin1ELi256ELi8EsljEEvNS_4cuda6detail10TensorInfoIT3_T5_EES6_S6_S6_NS4_IT4_S6_EES6_b
; %bb.0:
	s_load_dwordx2 s[0:1], s[4:5], 0x1c8
	s_load_dwordx4 s[44:47], s[4:5], 0xd8
	s_add_u32 s50, s4, 0x1c8
	s_addc_u32 s51, s5, 0
	s_waitcnt lgkmcnt(0)
	s_mul_i32 s1, s1, s8
	s_add_i32 s1, s1, s7
	s_mul_i32 s0, s1, s0
	s_add_i32 s20, s0, s6
	s_cmp_ge_u32 s20, s44
	s_cbranch_scc1 .LBB171_149
; %bb.1:
	s_load_dword s2, s[4:5], 0xd0
	s_mov_b32 s1, 0
	s_mov_b32 s0, s20
	s_waitcnt lgkmcnt(0)
	s_cmp_lt_i32 s2, 2
	s_cbranch_scc1 .LBB171_4
; %bb.2:
	s_add_i32 s0, s2, -1
	s_add_i32 s6, s2, 1
	s_lshl_b64 s[2:3], s[0:1], 2
	s_add_u32 s0, s2, s4
	s_addc_u32 s3, s3, s5
	s_add_u32 s2, s0, 8
	s_addc_u32 s3, s3, 0
	s_mov_b32 s0, s20
.LBB171_3:                              ; =>This Inner Loop Header: Depth=1
	s_load_dword s7, s[2:3], 0x0
	s_load_dword s9, s[2:3], 0x64
	s_mov_b32 s8, s0
	s_waitcnt lgkmcnt(0)
	v_cvt_f32_u32_e32 v1, s7
	s_sub_i32 s0, 0, s7
	v_rcp_iflag_f32_e32 v1, v1
	v_mul_f32_e32 v1, 0x4f7ffffe, v1
	v_cvt_u32_f32_e32 v1, v1
	v_readfirstlane_b32 s10, v1
	s_mul_i32 s0, s0, s10
	s_mul_hi_u32 s0, s10, s0
	s_add_i32 s10, s10, s0
	s_mul_hi_u32 s0, s8, s10
	s_mul_i32 s10, s0, s7
	s_sub_i32 s10, s8, s10
	s_add_i32 s11, s0, 1
	s_sub_i32 s12, s10, s7
	s_cmp_ge_u32 s10, s7
	s_cselect_b32 s0, s11, s0
	s_cselect_b32 s10, s12, s10
	s_add_i32 s11, s0, 1
	s_cmp_ge_u32 s10, s7
	s_cselect_b32 s0, s11, s0
	s_mul_i32 s7, s0, s7
	s_sub_i32 s7, s8, s7
	s_mul_i32 s7, s9, s7
	s_add_i32 s6, s6, -1
	s_add_i32 s1, s7, s1
	s_add_u32 s2, s2, -4
	s_addc_u32 s3, s3, -1
	s_cmp_gt_u32 s6, 2
	s_cbranch_scc1 .LBB171_3
.LBB171_4:
	s_load_dword s2, s[4:5], 0x1b8
	s_mov_b32 s17, 0
	s_waitcnt lgkmcnt(0)
	s_cmp_lt_i32 s2, 2
	s_cbranch_scc1 .LBB171_7
; %bb.5:
	s_add_i32 s16, s2, -1
	s_add_i32 s6, s2, 1
	s_lshl_b64 s[2:3], s[16:17], 2
	s_add_u32 s2, s2, s4
	s_addc_u32 s3, s3, s5
	s_add_u32 s2, s2, 0xf0
	s_addc_u32 s3, s3, 0
.LBB171_6:                              ; =>This Inner Loop Header: Depth=1
	s_load_dword s7, s[2:3], 0x0
	s_load_dword s9, s[2:3], 0x64
	s_mov_b32 s8, s20
	s_waitcnt lgkmcnt(0)
	v_cvt_f32_u32_e32 v1, s7
	s_sub_i32 s10, 0, s7
	v_rcp_iflag_f32_e32 v1, v1
	v_mul_f32_e32 v1, 0x4f7ffffe, v1
	v_cvt_u32_f32_e32 v1, v1
	v_readfirstlane_b32 s11, v1
	s_mul_i32 s10, s10, s11
	s_mul_hi_u32 s10, s11, s10
	s_add_i32 s11, s11, s10
	s_mul_hi_u32 s10, s20, s11
	s_mul_i32 s11, s10, s7
	s_sub_i32 s11, s20, s11
	s_add_i32 s12, s10, 1
	s_sub_i32 s13, s11, s7
	s_cmp_ge_u32 s11, s7
	s_cselect_b32 s10, s12, s10
	s_cselect_b32 s11, s13, s11
	s_add_i32 s12, s10, 1
	s_cmp_ge_u32 s11, s7
	s_cselect_b32 s20, s12, s10
	s_mul_i32 s7, s20, s7
	s_sub_i32 s7, s8, s7
	s_mul_i32 s7, s9, s7
	s_add_i32 s6, s6, -1
	s_add_i32 s17, s7, s17
	s_add_u32 s2, s2, -4
	s_addc_u32 s3, s3, -1
	s_cmp_gt_u32 s6, 2
	s_cbranch_scc1 .LBB171_6
.LBB171_7:
	s_load_dword s2, s[4:5], 0x6c
	s_load_dwordx2 s[48:49], s[4:5], 0x1c0
	s_mov_b32 s8, 0x8000
	v_and_b32_e32 v46, 0x3ff, v0
	v_mul_lo_u32 v42, v46, s46
	s_waitcnt lgkmcnt(0)
	s_mul_i32 s0, s2, s0
	s_add_i32 s0, s0, s1
	s_bitcmp1_b32 s49, 0
	s_load_dwordx2 s[2:3], s[4:5], 0x0
	s_cselect_b64 s[34:35], -1, 0
	s_and_b64 s[6:7], s[34:35], exec
	s_cselect_b32 s6, s8, 0x7fff
	s_mov_b32 s1, 0
	s_pack_ll_b32_b16 s8, s6, s6
	s_lshl_b64 s[0:1], s[0:1], 1
	s_mov_b32 s9, s8
	s_waitcnt lgkmcnt(0)
	s_add_u32 s33, s2, s0
	s_mov_b32 s10, s8
	s_mov_b32 s11, s8
	v_pk_mov_b32 v[2:3], s[8:9], s[8:9] op_sel:[0,1]
	s_addc_u32 s47, s3, s1
	v_cmp_gt_u32_e64 s[0:1], s45, v46
	v_pk_mov_b32 v[4:5], s[10:11], s[10:11] op_sel:[0,1]
	v_mov_b32_e32 v6, s6
	s_and_saveexec_b64 s[2:3], s[0:1]
	s_cbranch_execz .LBB171_9
; %bb.8:
	v_mov_b32_e32 v43, 0
	v_lshlrev_b64 v[2:3], 1, v[42:43]
	v_mov_b32_e32 v1, s47
	v_add_co_u32_e32 v2, vcc, s33, v2
	v_addc_co_u32_e32 v3, vcc, v1, v3, vcc
	global_load_ushort v6, v[2:3], off
	s_mov_b32 s6, 0xffff
	v_mov_b32_e32 v1, s8
	v_mov_b32_e32 v3, s8
	;; [unrolled: 1-line block ×4, first 2 shown]
	s_waitcnt vmcnt(0)
	v_bfi_b32 v2, s6, v6, v1
.LBB171_9:
	s_or_b64 exec, exec, s[2:3]
	v_add_u32_e32 v1, 0x100, v46
	v_cmp_gt_u32_e64 s[2:3], s45, v1
	s_and_saveexec_b64 s[6:7], s[2:3]
	s_cbranch_execz .LBB171_11
; %bb.10:
	v_mul_lo_u32 v8, v1, s46
	v_mov_b32_e32 v9, 0
	v_lshlrev_b64 v[8:9], 1, v[8:9]
	v_mov_b32_e32 v7, s47
	v_add_co_u32_e32 v8, vcc, s33, v8
	v_addc_co_u32_e32 v9, vcc, v7, v9, vcc
	global_load_ushort v7, v[8:9], off
	s_mov_b32 s8, 0x5040100
	s_waitcnt vmcnt(0)
	v_perm_b32 v2, v7, v2, s8
.LBB171_11:
	s_or_b64 exec, exec, s[6:7]
	v_add_u32_e32 v22, 0x200, v46
	v_cmp_gt_u32_e64 s[42:43], s45, v22
	s_and_saveexec_b64 s[6:7], s[42:43]
	s_cbranch_execz .LBB171_13
; %bb.12:
	v_mul_lo_u32 v8, v22, s46
	v_mov_b32_e32 v9, 0
	v_lshlrev_b64 v[8:9], 1, v[8:9]
	v_mov_b32_e32 v7, s47
	v_add_co_u32_e32 v8, vcc, s33, v8
	v_addc_co_u32_e32 v9, vcc, v7, v9, vcc
	global_load_ushort v7, v[8:9], off
	s_mov_b32 s8, 0xffff
	s_waitcnt vmcnt(0)
	v_bfi_b32 v3, s8, v7, v3
.LBB171_13:
	s_or_b64 exec, exec, s[6:7]
	v_add_u32_e32 v23, 0x300, v46
	v_cmp_gt_u32_e64 s[6:7], s45, v23
	s_and_saveexec_b64 s[8:9], s[6:7]
	s_cbranch_execz .LBB171_15
; %bb.14:
	v_mul_lo_u32 v8, v23, s46
	v_mov_b32_e32 v9, 0
	v_lshlrev_b64 v[8:9], 1, v[8:9]
	v_mov_b32_e32 v7, s47
	v_add_co_u32_e32 v8, vcc, s33, v8
	v_addc_co_u32_e32 v9, vcc, v7, v9, vcc
	global_load_ushort v7, v[8:9], off
	s_mov_b32 s10, 0x5040100
	s_waitcnt vmcnt(0)
	v_perm_b32 v3, v7, v3, s10
.LBB171_15:
	s_or_b64 exec, exec, s[8:9]
	v_or_b32_e32 v24, 0x400, v46
	v_cmp_gt_u32_e64 s[8:9], s45, v24
	s_and_saveexec_b64 s[10:11], s[8:9]
	s_cbranch_execz .LBB171_17
; %bb.16:
	v_mul_lo_u32 v8, v24, s46
	v_mov_b32_e32 v9, 0
	v_lshlrev_b64 v[8:9], 1, v[8:9]
	v_mov_b32_e32 v7, s47
	v_add_co_u32_e32 v8, vcc, s33, v8
	v_addc_co_u32_e32 v9, vcc, v7, v9, vcc
	global_load_ushort v7, v[8:9], off
	s_mov_b32 s12, 0xffff
	s_waitcnt vmcnt(0)
	v_bfi_b32 v4, s12, v7, v4
.LBB171_17:
	s_or_b64 exec, exec, s[10:11]
	v_add_u32_e32 v25, 0x500, v46
	v_cmp_gt_u32_e64 s[10:11], s45, v25
	s_and_saveexec_b64 s[12:13], s[10:11]
	s_cbranch_execz .LBB171_19
; %bb.18:
	v_mul_lo_u32 v8, v25, s46
	v_mov_b32_e32 v9, 0
	v_lshlrev_b64 v[8:9], 1, v[8:9]
	v_mov_b32_e32 v7, s47
	v_add_co_u32_e32 v8, vcc, s33, v8
	v_addc_co_u32_e32 v9, vcc, v7, v9, vcc
	global_load_ushort v7, v[8:9], off
	s_mov_b32 s14, 0x5040100
	s_waitcnt vmcnt(0)
	v_perm_b32 v4, v7, v4, s14
.LBB171_19:
	s_or_b64 exec, exec, s[12:13]
	s_load_dwordx2 s[18:19], s[4:5], 0xe8
	v_add_u32_e32 v26, 0x600, v46
	v_cmp_gt_u32_e64 s[12:13], s45, v26
	s_and_saveexec_b64 s[14:15], s[12:13]
	s_cbranch_execz .LBB171_21
; %bb.20:
	v_mul_lo_u32 v8, v26, s46
	v_mov_b32_e32 v9, 0
	v_lshlrev_b64 v[8:9], 1, v[8:9]
	v_mov_b32_e32 v7, s47
	v_add_co_u32_e32 v8, vcc, s33, v8
	v_addc_co_u32_e32 v9, vcc, v7, v9, vcc
	global_load_ushort v7, v[8:9], off
	s_mov_b32 s16, 0xffff
	s_waitcnt vmcnt(0)
	v_bfi_b32 v5, s16, v7, v5
.LBB171_21:
	s_or_b64 exec, exec, s[14:15]
	s_load_dword s16, s[4:5], 0x154
	v_add_u32_e32 v27, 0x700, v46
	v_cmp_gt_u32_e64 s[14:15], s45, v27
	s_and_saveexec_b64 s[4:5], s[14:15]
	s_cbranch_execz .LBB171_23
; %bb.22:
	v_mul_lo_u32 v8, v27, s46
	v_mov_b32_e32 v9, 0
	v_lshlrev_b64 v[8:9], 1, v[8:9]
	v_mov_b32_e32 v7, s47
	v_add_co_u32_e32 v8, vcc, s33, v8
	v_addc_co_u32_e32 v9, vcc, v7, v9, vcc
	global_load_ushort v7, v[8:9], off
	s_mov_b32 s21, 0x5040100
	s_waitcnt vmcnt(0)
	v_perm_b32 v5, v7, v5, s21
.LBB171_23:
	s_or_b64 exec, exec, s[4:5]
	v_lshrrev_b32_e32 v36, 5, v46
	v_and_b32_e32 v7, 30, v36
	v_add_lshl_u32 v47, v7, v46, 1
	v_lshrrev_b32_e32 v35, 5, v1
	ds_write_b16 v47, v6
	v_and_b32_e32 v6, 62, v35
	v_add_lshl_u32 v43, v6, v46, 1
	v_lshrrev_b32_e32 v34, 5, v22
	ds_write_b16_d16_hi v43, v2 offset:512
	v_and_b32_e32 v2, 62, v34
	v_lshrrev_b32_e32 v33, 5, v23
	v_add_lshl_u32 v48, v2, v46, 1
	v_and_b32_e32 v2, 62, v33
	v_lshrrev_b32_e32 v32, 5, v24
	v_add_lshl_u32 v49, v2, v46, 1
	;; [unrolled: 3-line block ×6, first 2 shown]
	v_lshlrev_b32_e32 v62, 3, v46
	v_and_b32_e32 v2, 0xfe, v30
	s_waitcnt lgkmcnt(0)
	s_mul_i32 s4, s16, s20
	v_add_lshl_u32 v54, v2, v62, 1
	s_add_i32 s16, s4, s17
	s_mov_b32 s17, 0
	ds_write_b16 v48, v3 offset:1024
	ds_write_b16_d16_hi v49, v3 offset:1536
	ds_write_b16 v50, v4 offset:2048
	ds_write_b16_d16_hi v51, v4 offset:2560
	;; [unrolled: 2-line block ×3, first 2 shown]
	s_waitcnt lgkmcnt(0)
	s_barrier
	ds_read_b128 v[18:21], v54
	s_lshl_b64 s[4:5], s[16:17], 3
	s_add_u32 s49, s18, s4
	s_mov_b32 s16, s17
	s_addc_u32 s52, s19, s5
	s_mov_b32 s18, s17
	s_mov_b32 s19, s17
	;; [unrolled: 1-line block ×14, first 2 shown]
	v_pk_mov_b32 v[2:3], s[16:17], s[16:17] op_sel:[0,1]
	v_pk_mov_b32 v[4:5], s[18:19], s[18:19] op_sel:[0,1]
	;; [unrolled: 1-line block ×8, first 2 shown]
	v_pk_mov_b32 v[2:3], 0, 0
	v_mul_lo_u32 v44, v46, s48
	s_waitcnt lgkmcnt(0)
	s_barrier
	s_and_saveexec_b64 s[4:5], s[0:1]
	s_cbranch_execnz .LBB171_78
; %bb.24:
	s_or_b64 exec, exec, s[4:5]
	s_and_saveexec_b64 s[4:5], s[2:3]
	s_cbranch_execnz .LBB171_79
.LBB171_25:
	s_or_b64 exec, exec, s[4:5]
	s_and_saveexec_b64 s[4:5], s[42:43]
	s_cbranch_execnz .LBB171_80
.LBB171_26:
	s_or_b64 exec, exec, s[4:5]
	s_and_saveexec_b64 s[4:5], s[6:7]
	s_cbranch_execnz .LBB171_81
.LBB171_27:
	s_or_b64 exec, exec, s[4:5]
	s_and_saveexec_b64 s[4:5], s[8:9]
	s_cbranch_execnz .LBB171_82
.LBB171_28:
	s_or_b64 exec, exec, s[4:5]
	s_and_saveexec_b64 s[4:5], s[10:11]
	s_cbranch_execnz .LBB171_83
.LBB171_29:
	s_or_b64 exec, exec, s[4:5]
	s_and_saveexec_b64 s[4:5], s[12:13]
	s_cbranch_execnz .LBB171_84
.LBB171_30:
	s_or_b64 exec, exec, s[4:5]
	s_xor_b64 s[4:5], s[34:35], -1
	s_and_saveexec_b64 s[16:17], s[14:15]
	s_cbranch_execz .LBB171_32
.LBB171_31:
	v_mul_lo_u32 v16, v27, s48
	v_mov_b32_e32 v17, 0
	v_lshlrev_b64 v[16:17], 3, v[16:17]
	v_mov_b32_e32 v1, s52
	v_add_co_u32_e32 v16, vcc, s49, v16
	v_addc_co_u32_e32 v17, vcc, v1, v17, vcc
	global_load_dwordx2 v[16:17], v[16:17], off
.LBB171_32:
	s_or_b64 exec, exec, s[16:17]
	v_add_lshl_u32 v55, v36, v46, 3
	v_add_lshl_u32 v45, v35, v46, 3
	;; [unrolled: 1-line block ×9, first 2 shown]
	s_waitcnt vmcnt(0)
	ds_write_b64 v55, v[2:3]
	ds_write_b64 v45, v[4:5] offset:2048
	ds_write_b64 v56, v[6:7] offset:4096
	;; [unrolled: 1-line block ×7, first 2 shown]
	s_waitcnt lgkmcnt(0)
	s_barrier
	ds_read2_b64 v[14:17], v63 offset1:1
	ds_read2_b64 v[10:13], v63 offset0:2 offset1:3
	ds_read2_b64 v[6:9], v63 offset0:4 offset1:5
	ds_read2_b64 v[2:5], v63 offset0:6 offset1:7
	v_mbcnt_lo_u32_b32 v1, -1, 0
	v_mbcnt_hi_u32_b32 v65, -1, v1
	v_and_b32_e32 v67, 0x3c0, v46
	v_add_u32_e32 v1, v65, v67
	v_and_b32_e32 v66, 0x1e00, v62
	v_lshlrev_b32_e32 v22, 3, v1
	v_lshlrev_b32_e32 v73, 4, v1
	v_or_b32_e32 v1, v65, v66
	v_lshlrev_b32_e32 v72, 1, v1
	s_and_b64 vcc, exec, s[4:5]
	v_bfe_u32 v68, v0, 10, 10
	v_bfe_u32 v69, v0, 20, 10
	v_lshlrev_b32_e32 v71, 3, v22
	v_lshlrev_b32_e32 v70, 3, v1
	;; [unrolled: 1-line block ×3, first 2 shown]
	s_waitcnt lgkmcnt(0)
	s_barrier
	s_cbranch_vccz .LBB171_85
; %bb.33:
	s_movk_i32 s4, 0x8000
	v_xor_b32_e32 v0, 0xffff8000, v18
	v_xor_b32_sdwa v1, v18, s4 dst_sel:DWORD dst_unused:UNUSED_PAD src0_sel:WORD_1 src1_sel:DWORD
	v_xor_b32_e32 v22, 0xffff8000, v19
	v_xor_b32_sdwa v23, v19, s4 dst_sel:DWORD dst_unused:UNUSED_PAD src0_sel:WORD_1 src1_sel:DWORD
	;; [unrolled: 2-line block ×4, first 2 shown]
	s_mov_b32 s4, 0x5040100
	v_perm_b32 v25, v27, v25, s4
	v_perm_b32 v24, v26, v24, s4
	v_perm_b32 v23, v23, v22, s4
	v_perm_b32 v22, v1, v0, s4
	ds_write_b128 v73, v[22:25]
	; wave barrier
	ds_read_u16 v84, v72
	ds_read_u16 v83, v72 offset:128
	ds_read_u16 v82, v72 offset:256
	;; [unrolled: 1-line block ×7, first 2 shown]
	s_waitcnt lgkmcnt(0)
	s_barrier
	ds_write2_b64 v71, v[14:15], v[16:17] offset1:1
	ds_write2_b64 v71, v[10:11], v[12:13] offset0:2 offset1:3
	ds_write2_b64 v71, v[6:7], v[8:9] offset0:4 offset1:5
	;; [unrolled: 1-line block ×3, first 2 shown]
	; wave barrier
	ds_read2st64_b64 v[34:37], v70 offset1:1
	ds_read2st64_b64 v[30:33], v70 offset0:2 offset1:3
	ds_read2st64_b64 v[26:29], v70 offset0:4 offset1:5
	;; [unrolled: 1-line block ×3, first 2 shown]
	s_waitcnt lgkmcnt(0)
	s_barrier
	s_load_dword s16, s[50:51], 0xc
	s_getpc_b64 s[4:5]
	s_add_u32 s4, s4, _ZN7rocprim17ROCPRIM_400000_NS16block_radix_sortIsLj256ELj8ElLj1ELj1ELj0ELNS0_26block_radix_rank_algorithmE1ELNS0_18block_padding_hintE2ELNS0_4arch9wavefront6targetE1EE19radix_bits_per_passE@rel32@lo+4
	s_addc_u32 s5, s5, _ZN7rocprim17ROCPRIM_400000_NS16block_radix_sortIsLj256ELj8ElLj1ELj1ELj0ELNS0_26block_radix_rank_algorithmE1ELNS0_18block_padding_hintE2ELNS0_4arch9wavefront6targetE1EE19radix_bits_per_passE@rel32@hi+12
	s_load_dword s44, s[4:5], 0x0
	s_waitcnt lgkmcnt(0)
	s_lshr_b32 s4, s16, 16
	s_and_b32 s5, s16, 0xffff
	v_mad_u32_u24 v0, v69, s4, v68
	v_mad_u64_u32 v[0:1], s[4:5], v0, s5, v[46:47]
	s_min_u32 s4, s44, 16
	s_lshl_b32 s4, -1, s4
	s_not_b32 s16, s4
	v_and_b32_sdwa v38, s16, v84 dst_sel:DWORD dst_unused:UNUSED_PAD src0_sel:DWORD src1_sel:WORD_0
	v_lshrrev_b32_e32 v74, 6, v0
	v_lshlrev_b32_e32 v1, 2, v38
	v_add_lshl_u32 v87, v74, v1, 2
	v_and_b32_e32 v1, 1, v38
	v_add_co_u32_e32 v39, vcc, -1, v1
	v_addc_co_u32_e64 v40, s[4:5], 0, -1, vcc
	v_cmp_ne_u32_e32 vcc, 0, v1
	v_xor_b32_e32 v1, vcc_hi, v40
	v_mov_b32_e32 v0, 0
	v_and_b32_e32 v40, exec_hi, v1
	v_lshlrev_b32_e32 v1, 30, v38
	v_xor_b32_e32 v39, vcc_lo, v39
	v_cmp_gt_i64_e32 vcc, 0, v[0:1]
	v_not_b32_e32 v1, v1
	v_ashrrev_i32_e32 v1, 31, v1
	v_and_b32_e32 v39, exec_lo, v39
	v_xor_b32_e32 v41, vcc_hi, v1
	v_xor_b32_e32 v1, vcc_lo, v1
	v_and_b32_e32 v39, v39, v1
	v_lshlrev_b32_e32 v1, 29, v38
	v_cmp_gt_i64_e32 vcc, 0, v[0:1]
	v_not_b32_e32 v1, v1
	v_ashrrev_i32_e32 v1, 31, v1
	v_and_b32_e32 v40, v40, v41
	v_xor_b32_e32 v41, vcc_hi, v1
	v_xor_b32_e32 v1, vcc_lo, v1
	v_and_b32_e32 v39, v39, v1
	v_lshlrev_b32_e32 v1, 28, v38
	v_cmp_gt_i64_e32 vcc, 0, v[0:1]
	v_not_b32_e32 v1, v1
	v_ashrrev_i32_e32 v1, 31, v1
	v_and_b32_e32 v40, v40, v41
	;; [unrolled: 8-line block ×5, first 2 shown]
	v_xor_b32_e32 v41, vcc_hi, v1
	v_xor_b32_e32 v1, vcc_lo, v1
	v_and_b32_e32 v40, v40, v41
	v_and_b32_e32 v41, v39, v1
	v_lshlrev_b32_e32 v1, 24, v38
	v_cmp_gt_i64_e32 vcc, 0, v[0:1]
	v_not_b32_e32 v1, v1
	v_ashrrev_i32_e32 v1, 31, v1
	v_xor_b32_e32 v38, vcc_hi, v1
	v_xor_b32_e32 v1, vcc_lo, v1
	v_and_b32_e32 v39, v40, v38
	v_and_b32_e32 v38, v41, v1
	v_mbcnt_lo_u32_b32 v1, v38, 0
	v_mbcnt_hi_u32_b32 v88, v39, v1
	v_cmp_eq_u32_e32 vcc, 0, v88
	v_cmp_ne_u64_e64 s[4:5], 0, v[38:39]
	s_and_b64 s[18:19], s[4:5], vcc
	ds_write2_b32 v64, v0, v0 offset0:4 offset1:5
	ds_write2_b32 v64, v0, v0 offset0:6 offset1:7
	s_waitcnt lgkmcnt(0)
	s_barrier
	s_waitcnt lgkmcnt(0)
	; wave barrier
	s_and_saveexec_b64 s[4:5], s[18:19]
	s_cbranch_execz .LBB171_35
; %bb.34:
	v_bcnt_u32_b32 v1, v38, 0
	v_bcnt_u32_b32 v1, v39, v1
	ds_write_b32 v87, v1 offset:16
.LBB171_35:
	s_or_b64 exec, exec, s[4:5]
	v_and_b32_sdwa v38, s16, v83 dst_sel:DWORD dst_unused:UNUSED_PAD src0_sel:DWORD src1_sel:WORD_0
	v_lshlrev_b32_e32 v1, 2, v38
	v_add_lshl_u32 v90, v74, v1, 2
	v_and_b32_e32 v1, 1, v38
	v_add_co_u32_e32 v39, vcc, -1, v1
	v_addc_co_u32_e64 v40, s[4:5], 0, -1, vcc
	v_cmp_ne_u32_e32 vcc, 0, v1
	v_xor_b32_e32 v1, vcc_hi, v40
	v_and_b32_e32 v40, exec_hi, v1
	v_lshlrev_b32_e32 v1, 30, v38
	v_xor_b32_e32 v39, vcc_lo, v39
	v_cmp_gt_i64_e32 vcc, 0, v[0:1]
	v_not_b32_e32 v1, v1
	v_ashrrev_i32_e32 v1, 31, v1
	v_and_b32_e32 v39, exec_lo, v39
	v_xor_b32_e32 v41, vcc_hi, v1
	v_xor_b32_e32 v1, vcc_lo, v1
	v_and_b32_e32 v39, v39, v1
	v_lshlrev_b32_e32 v1, 29, v38
	v_cmp_gt_i64_e32 vcc, 0, v[0:1]
	v_not_b32_e32 v1, v1
	v_ashrrev_i32_e32 v1, 31, v1
	v_and_b32_e32 v40, v40, v41
	v_xor_b32_e32 v41, vcc_hi, v1
	v_xor_b32_e32 v1, vcc_lo, v1
	v_and_b32_e32 v39, v39, v1
	v_lshlrev_b32_e32 v1, 28, v38
	v_cmp_gt_i64_e32 vcc, 0, v[0:1]
	v_not_b32_e32 v1, v1
	v_ashrrev_i32_e32 v1, 31, v1
	v_and_b32_e32 v40, v40, v41
	;; [unrolled: 8-line block ×5, first 2 shown]
	v_xor_b32_e32 v41, vcc_hi, v1
	v_xor_b32_e32 v1, vcc_lo, v1
	v_and_b32_e32 v39, v39, v1
	v_lshlrev_b32_e32 v1, 24, v38
	v_cmp_gt_i64_e32 vcc, 0, v[0:1]
	v_not_b32_e32 v0, v1
	v_ashrrev_i32_e32 v0, 31, v0
	v_xor_b32_e32 v1, vcc_hi, v0
	v_xor_b32_e32 v0, vcc_lo, v0
	; wave barrier
	ds_read_b32 v89, v90 offset:16
	v_and_b32_e32 v40, v40, v41
	v_and_b32_e32 v0, v39, v0
	v_and_b32_e32 v1, v40, v1
	v_mbcnt_lo_u32_b32 v38, v0, 0
	v_mbcnt_hi_u32_b32 v91, v1, v38
	v_cmp_eq_u32_e32 vcc, 0, v91
	v_cmp_ne_u64_e64 s[4:5], 0, v[0:1]
	s_and_b64 s[18:19], s[4:5], vcc
	; wave barrier
	s_and_saveexec_b64 s[4:5], s[18:19]
	s_cbranch_execz .LBB171_37
; %bb.36:
	v_bcnt_u32_b32 v0, v0, 0
	v_bcnt_u32_b32 v0, v1, v0
	s_waitcnt lgkmcnt(0)
	v_add_u32_e32 v0, v89, v0
	ds_write_b32 v90, v0 offset:16
.LBB171_37:
	s_or_b64 exec, exec, s[4:5]
	v_and_b32_sdwa v38, s16, v82 dst_sel:DWORD dst_unused:UNUSED_PAD src0_sel:DWORD src1_sel:WORD_0
	v_and_b32_e32 v1, 1, v38
	v_add_co_u32_e32 v39, vcc, -1, v1
	v_addc_co_u32_e64 v40, s[4:5], 0, -1, vcc
	v_cmp_ne_u32_e32 vcc, 0, v1
	v_lshlrev_b32_e32 v0, 2, v38
	v_xor_b32_e32 v1, vcc_hi, v40
	v_add_lshl_u32 v93, v74, v0, 2
	v_mov_b32_e32 v0, 0
	v_and_b32_e32 v40, exec_hi, v1
	v_lshlrev_b32_e32 v1, 30, v38
	v_xor_b32_e32 v39, vcc_lo, v39
	v_cmp_gt_i64_e32 vcc, 0, v[0:1]
	v_not_b32_e32 v1, v1
	v_ashrrev_i32_e32 v1, 31, v1
	v_and_b32_e32 v39, exec_lo, v39
	v_xor_b32_e32 v41, vcc_hi, v1
	v_xor_b32_e32 v1, vcc_lo, v1
	v_and_b32_e32 v39, v39, v1
	v_lshlrev_b32_e32 v1, 29, v38
	v_cmp_gt_i64_e32 vcc, 0, v[0:1]
	v_not_b32_e32 v1, v1
	v_ashrrev_i32_e32 v1, 31, v1
	v_and_b32_e32 v40, v40, v41
	v_xor_b32_e32 v41, vcc_hi, v1
	v_xor_b32_e32 v1, vcc_lo, v1
	v_and_b32_e32 v39, v39, v1
	v_lshlrev_b32_e32 v1, 28, v38
	v_cmp_gt_i64_e32 vcc, 0, v[0:1]
	v_not_b32_e32 v1, v1
	v_ashrrev_i32_e32 v1, 31, v1
	v_and_b32_e32 v40, v40, v41
	;; [unrolled: 8-line block ×5, first 2 shown]
	v_xor_b32_e32 v41, vcc_hi, v1
	v_xor_b32_e32 v1, vcc_lo, v1
	v_and_b32_e32 v40, v40, v41
	v_and_b32_e32 v41, v39, v1
	v_lshlrev_b32_e32 v1, 24, v38
	v_cmp_gt_i64_e32 vcc, 0, v[0:1]
	v_not_b32_e32 v1, v1
	v_ashrrev_i32_e32 v1, 31, v1
	v_xor_b32_e32 v38, vcc_hi, v1
	v_xor_b32_e32 v1, vcc_lo, v1
	; wave barrier
	ds_read_b32 v92, v93 offset:16
	v_and_b32_e32 v39, v40, v38
	v_and_b32_e32 v38, v41, v1
	v_mbcnt_lo_u32_b32 v1, v38, 0
	v_mbcnt_hi_u32_b32 v94, v39, v1
	v_cmp_eq_u32_e32 vcc, 0, v94
	v_cmp_ne_u64_e64 s[4:5], 0, v[38:39]
	s_and_b64 s[18:19], s[4:5], vcc
	; wave barrier
	s_and_saveexec_b64 s[4:5], s[18:19]
	s_cbranch_execz .LBB171_39
; %bb.38:
	v_bcnt_u32_b32 v1, v38, 0
	v_bcnt_u32_b32 v1, v39, v1
	s_waitcnt lgkmcnt(0)
	v_add_u32_e32 v1, v92, v1
	ds_write_b32 v93, v1 offset:16
.LBB171_39:
	s_or_b64 exec, exec, s[4:5]
	v_and_b32_sdwa v38, s16, v81 dst_sel:DWORD dst_unused:UNUSED_PAD src0_sel:DWORD src1_sel:WORD_0
	v_lshlrev_b32_e32 v1, 2, v38
	v_add_lshl_u32 v96, v74, v1, 2
	v_and_b32_e32 v1, 1, v38
	v_add_co_u32_e32 v39, vcc, -1, v1
	v_addc_co_u32_e64 v40, s[4:5], 0, -1, vcc
	v_cmp_ne_u32_e32 vcc, 0, v1
	v_xor_b32_e32 v1, vcc_hi, v40
	v_and_b32_e32 v40, exec_hi, v1
	v_lshlrev_b32_e32 v1, 30, v38
	v_xor_b32_e32 v39, vcc_lo, v39
	v_cmp_gt_i64_e32 vcc, 0, v[0:1]
	v_not_b32_e32 v1, v1
	v_ashrrev_i32_e32 v1, 31, v1
	v_and_b32_e32 v39, exec_lo, v39
	v_xor_b32_e32 v41, vcc_hi, v1
	v_xor_b32_e32 v1, vcc_lo, v1
	v_and_b32_e32 v39, v39, v1
	v_lshlrev_b32_e32 v1, 29, v38
	v_cmp_gt_i64_e32 vcc, 0, v[0:1]
	v_not_b32_e32 v1, v1
	v_ashrrev_i32_e32 v1, 31, v1
	v_and_b32_e32 v40, v40, v41
	v_xor_b32_e32 v41, vcc_hi, v1
	v_xor_b32_e32 v1, vcc_lo, v1
	v_and_b32_e32 v39, v39, v1
	v_lshlrev_b32_e32 v1, 28, v38
	v_cmp_gt_i64_e32 vcc, 0, v[0:1]
	v_not_b32_e32 v1, v1
	v_ashrrev_i32_e32 v1, 31, v1
	v_and_b32_e32 v40, v40, v41
	;; [unrolled: 8-line block ×5, first 2 shown]
	v_xor_b32_e32 v41, vcc_hi, v1
	v_xor_b32_e32 v1, vcc_lo, v1
	v_and_b32_e32 v39, v39, v1
	v_lshlrev_b32_e32 v1, 24, v38
	v_cmp_gt_i64_e32 vcc, 0, v[0:1]
	v_not_b32_e32 v0, v1
	v_ashrrev_i32_e32 v0, 31, v0
	v_xor_b32_e32 v1, vcc_hi, v0
	v_xor_b32_e32 v0, vcc_lo, v0
	; wave barrier
	ds_read_b32 v95, v96 offset:16
	v_and_b32_e32 v40, v40, v41
	v_and_b32_e32 v0, v39, v0
	;; [unrolled: 1-line block ×3, first 2 shown]
	v_mbcnt_lo_u32_b32 v38, v0, 0
	v_mbcnt_hi_u32_b32 v97, v1, v38
	v_cmp_eq_u32_e32 vcc, 0, v97
	v_cmp_ne_u64_e64 s[4:5], 0, v[0:1]
	s_and_b64 s[18:19], s[4:5], vcc
	; wave barrier
	s_and_saveexec_b64 s[4:5], s[18:19]
	s_cbranch_execz .LBB171_41
; %bb.40:
	v_bcnt_u32_b32 v0, v0, 0
	v_bcnt_u32_b32 v0, v1, v0
	s_waitcnt lgkmcnt(0)
	v_add_u32_e32 v0, v95, v0
	ds_write_b32 v96, v0 offset:16
.LBB171_41:
	s_or_b64 exec, exec, s[4:5]
	v_and_b32_sdwa v38, s16, v80 dst_sel:DWORD dst_unused:UNUSED_PAD src0_sel:DWORD src1_sel:WORD_0
	v_and_b32_e32 v1, 1, v38
	v_add_co_u32_e32 v39, vcc, -1, v1
	v_addc_co_u32_e64 v40, s[4:5], 0, -1, vcc
	v_cmp_ne_u32_e32 vcc, 0, v1
	v_lshlrev_b32_e32 v0, 2, v38
	v_xor_b32_e32 v1, vcc_hi, v40
	v_add_lshl_u32 v99, v74, v0, 2
	v_mov_b32_e32 v0, 0
	v_and_b32_e32 v40, exec_hi, v1
	v_lshlrev_b32_e32 v1, 30, v38
	v_xor_b32_e32 v39, vcc_lo, v39
	v_cmp_gt_i64_e32 vcc, 0, v[0:1]
	v_not_b32_e32 v1, v1
	v_ashrrev_i32_e32 v1, 31, v1
	v_and_b32_e32 v39, exec_lo, v39
	v_xor_b32_e32 v41, vcc_hi, v1
	v_xor_b32_e32 v1, vcc_lo, v1
	v_and_b32_e32 v39, v39, v1
	v_lshlrev_b32_e32 v1, 29, v38
	v_cmp_gt_i64_e32 vcc, 0, v[0:1]
	v_not_b32_e32 v1, v1
	v_ashrrev_i32_e32 v1, 31, v1
	v_and_b32_e32 v40, v40, v41
	v_xor_b32_e32 v41, vcc_hi, v1
	v_xor_b32_e32 v1, vcc_lo, v1
	v_and_b32_e32 v39, v39, v1
	v_lshlrev_b32_e32 v1, 28, v38
	v_cmp_gt_i64_e32 vcc, 0, v[0:1]
	v_not_b32_e32 v1, v1
	v_ashrrev_i32_e32 v1, 31, v1
	v_and_b32_e32 v40, v40, v41
	;; [unrolled: 8-line block ×5, first 2 shown]
	v_xor_b32_e32 v41, vcc_hi, v1
	v_xor_b32_e32 v1, vcc_lo, v1
	v_and_b32_e32 v40, v40, v41
	v_and_b32_e32 v41, v39, v1
	v_lshlrev_b32_e32 v1, 24, v38
	v_cmp_gt_i64_e32 vcc, 0, v[0:1]
	v_not_b32_e32 v1, v1
	v_ashrrev_i32_e32 v1, 31, v1
	v_xor_b32_e32 v38, vcc_hi, v1
	v_xor_b32_e32 v1, vcc_lo, v1
	; wave barrier
	ds_read_b32 v98, v99 offset:16
	v_and_b32_e32 v39, v40, v38
	v_and_b32_e32 v38, v41, v1
	v_mbcnt_lo_u32_b32 v1, v38, 0
	v_mbcnt_hi_u32_b32 v100, v39, v1
	v_cmp_eq_u32_e32 vcc, 0, v100
	v_cmp_ne_u64_e64 s[4:5], 0, v[38:39]
	s_and_b64 s[18:19], s[4:5], vcc
	; wave barrier
	s_and_saveexec_b64 s[4:5], s[18:19]
	s_cbranch_execz .LBB171_43
; %bb.42:
	v_bcnt_u32_b32 v1, v38, 0
	v_bcnt_u32_b32 v1, v39, v1
	s_waitcnt lgkmcnt(0)
	v_add_u32_e32 v1, v98, v1
	ds_write_b32 v99, v1 offset:16
.LBB171_43:
	s_or_b64 exec, exec, s[4:5]
	v_and_b32_sdwa v38, s16, v79 dst_sel:DWORD dst_unused:UNUSED_PAD src0_sel:DWORD src1_sel:WORD_0
	v_lshlrev_b32_e32 v1, 2, v38
	v_add_lshl_u32 v102, v74, v1, 2
	v_and_b32_e32 v1, 1, v38
	v_add_co_u32_e32 v39, vcc, -1, v1
	v_addc_co_u32_e64 v40, s[4:5], 0, -1, vcc
	v_cmp_ne_u32_e32 vcc, 0, v1
	v_xor_b32_e32 v1, vcc_hi, v40
	v_and_b32_e32 v40, exec_hi, v1
	v_lshlrev_b32_e32 v1, 30, v38
	v_xor_b32_e32 v39, vcc_lo, v39
	v_cmp_gt_i64_e32 vcc, 0, v[0:1]
	v_not_b32_e32 v1, v1
	v_ashrrev_i32_e32 v1, 31, v1
	v_and_b32_e32 v39, exec_lo, v39
	v_xor_b32_e32 v41, vcc_hi, v1
	v_xor_b32_e32 v1, vcc_lo, v1
	v_and_b32_e32 v39, v39, v1
	v_lshlrev_b32_e32 v1, 29, v38
	v_cmp_gt_i64_e32 vcc, 0, v[0:1]
	v_not_b32_e32 v1, v1
	v_ashrrev_i32_e32 v1, 31, v1
	v_and_b32_e32 v40, v40, v41
	v_xor_b32_e32 v41, vcc_hi, v1
	v_xor_b32_e32 v1, vcc_lo, v1
	v_and_b32_e32 v39, v39, v1
	v_lshlrev_b32_e32 v1, 28, v38
	v_cmp_gt_i64_e32 vcc, 0, v[0:1]
	v_not_b32_e32 v1, v1
	v_ashrrev_i32_e32 v1, 31, v1
	v_and_b32_e32 v40, v40, v41
	;; [unrolled: 8-line block ×5, first 2 shown]
	v_xor_b32_e32 v41, vcc_hi, v1
	v_xor_b32_e32 v1, vcc_lo, v1
	v_and_b32_e32 v39, v39, v1
	v_lshlrev_b32_e32 v1, 24, v38
	v_cmp_gt_i64_e32 vcc, 0, v[0:1]
	v_not_b32_e32 v0, v1
	v_ashrrev_i32_e32 v0, 31, v0
	v_xor_b32_e32 v1, vcc_hi, v0
	v_xor_b32_e32 v0, vcc_lo, v0
	; wave barrier
	ds_read_b32 v101, v102 offset:16
	v_and_b32_e32 v40, v40, v41
	v_and_b32_e32 v0, v39, v0
	;; [unrolled: 1-line block ×3, first 2 shown]
	v_mbcnt_lo_u32_b32 v38, v0, 0
	v_mbcnt_hi_u32_b32 v103, v1, v38
	v_cmp_eq_u32_e32 vcc, 0, v103
	v_cmp_ne_u64_e64 s[4:5], 0, v[0:1]
	s_and_b64 s[18:19], s[4:5], vcc
	; wave barrier
	s_and_saveexec_b64 s[4:5], s[18:19]
	s_cbranch_execz .LBB171_45
; %bb.44:
	v_bcnt_u32_b32 v0, v0, 0
	v_bcnt_u32_b32 v0, v1, v0
	s_waitcnt lgkmcnt(0)
	v_add_u32_e32 v0, v101, v0
	ds_write_b32 v102, v0 offset:16
.LBB171_45:
	s_or_b64 exec, exec, s[4:5]
	v_and_b32_sdwa v38, s16, v78 dst_sel:DWORD dst_unused:UNUSED_PAD src0_sel:DWORD src1_sel:WORD_0
	v_and_b32_e32 v1, 1, v38
	v_add_co_u32_e32 v39, vcc, -1, v1
	v_addc_co_u32_e64 v40, s[4:5], 0, -1, vcc
	v_cmp_ne_u32_e32 vcc, 0, v1
	v_lshlrev_b32_e32 v0, 2, v38
	v_xor_b32_e32 v1, vcc_hi, v40
	v_add_lshl_u32 v105, v74, v0, 2
	v_mov_b32_e32 v0, 0
	v_and_b32_e32 v40, exec_hi, v1
	v_lshlrev_b32_e32 v1, 30, v38
	v_xor_b32_e32 v39, vcc_lo, v39
	v_cmp_gt_i64_e32 vcc, 0, v[0:1]
	v_not_b32_e32 v1, v1
	v_ashrrev_i32_e32 v1, 31, v1
	v_and_b32_e32 v39, exec_lo, v39
	v_xor_b32_e32 v41, vcc_hi, v1
	v_xor_b32_e32 v1, vcc_lo, v1
	v_and_b32_e32 v39, v39, v1
	v_lshlrev_b32_e32 v1, 29, v38
	v_cmp_gt_i64_e32 vcc, 0, v[0:1]
	v_not_b32_e32 v1, v1
	v_ashrrev_i32_e32 v1, 31, v1
	v_and_b32_e32 v40, v40, v41
	v_xor_b32_e32 v41, vcc_hi, v1
	v_xor_b32_e32 v1, vcc_lo, v1
	v_and_b32_e32 v39, v39, v1
	v_lshlrev_b32_e32 v1, 28, v38
	v_cmp_gt_i64_e32 vcc, 0, v[0:1]
	v_not_b32_e32 v1, v1
	v_ashrrev_i32_e32 v1, 31, v1
	v_and_b32_e32 v40, v40, v41
	;; [unrolled: 8-line block ×5, first 2 shown]
	v_xor_b32_e32 v41, vcc_hi, v1
	v_xor_b32_e32 v1, vcc_lo, v1
	v_and_b32_e32 v40, v40, v41
	v_and_b32_e32 v41, v39, v1
	v_lshlrev_b32_e32 v1, 24, v38
	v_cmp_gt_i64_e32 vcc, 0, v[0:1]
	v_not_b32_e32 v1, v1
	v_ashrrev_i32_e32 v1, 31, v1
	v_xor_b32_e32 v38, vcc_hi, v1
	v_xor_b32_e32 v1, vcc_lo, v1
	; wave barrier
	ds_read_b32 v104, v105 offset:16
	v_and_b32_e32 v39, v40, v38
	v_and_b32_e32 v38, v41, v1
	v_mbcnt_lo_u32_b32 v1, v38, 0
	v_mbcnt_hi_u32_b32 v106, v39, v1
	v_cmp_eq_u32_e32 vcc, 0, v106
	v_cmp_ne_u64_e64 s[4:5], 0, v[38:39]
	s_and_b64 s[18:19], s[4:5], vcc
	; wave barrier
	s_and_saveexec_b64 s[4:5], s[18:19]
	s_cbranch_execz .LBB171_47
; %bb.46:
	v_bcnt_u32_b32 v1, v38, 0
	v_bcnt_u32_b32 v1, v39, v1
	s_waitcnt lgkmcnt(0)
	v_add_u32_e32 v1, v104, v1
	ds_write_b32 v105, v1 offset:16
.LBB171_47:
	s_or_b64 exec, exec, s[4:5]
	v_and_b32_sdwa v38, s16, v77 dst_sel:DWORD dst_unused:UNUSED_PAD src0_sel:DWORD src1_sel:WORD_0
	v_lshlrev_b32_e32 v1, 2, v38
	v_add_lshl_u32 v108, v74, v1, 2
	v_and_b32_e32 v1, 1, v38
	v_add_co_u32_e32 v39, vcc, -1, v1
	v_addc_co_u32_e64 v40, s[4:5], 0, -1, vcc
	v_cmp_ne_u32_e32 vcc, 0, v1
	v_xor_b32_e32 v1, vcc_hi, v40
	v_and_b32_e32 v40, exec_hi, v1
	v_lshlrev_b32_e32 v1, 30, v38
	v_xor_b32_e32 v39, vcc_lo, v39
	v_cmp_gt_i64_e32 vcc, 0, v[0:1]
	v_not_b32_e32 v1, v1
	v_ashrrev_i32_e32 v1, 31, v1
	v_and_b32_e32 v39, exec_lo, v39
	v_xor_b32_e32 v41, vcc_hi, v1
	v_xor_b32_e32 v1, vcc_lo, v1
	v_and_b32_e32 v39, v39, v1
	v_lshlrev_b32_e32 v1, 29, v38
	v_cmp_gt_i64_e32 vcc, 0, v[0:1]
	v_not_b32_e32 v1, v1
	v_ashrrev_i32_e32 v1, 31, v1
	v_and_b32_e32 v40, v40, v41
	v_xor_b32_e32 v41, vcc_hi, v1
	v_xor_b32_e32 v1, vcc_lo, v1
	v_and_b32_e32 v39, v39, v1
	v_lshlrev_b32_e32 v1, 28, v38
	v_cmp_gt_i64_e32 vcc, 0, v[0:1]
	v_not_b32_e32 v1, v1
	v_ashrrev_i32_e32 v1, 31, v1
	v_and_b32_e32 v40, v40, v41
	;; [unrolled: 8-line block ×5, first 2 shown]
	v_xor_b32_e32 v41, vcc_hi, v1
	v_xor_b32_e32 v1, vcc_lo, v1
	v_and_b32_e32 v39, v39, v1
	v_lshlrev_b32_e32 v1, 24, v38
	v_cmp_gt_i64_e32 vcc, 0, v[0:1]
	v_not_b32_e32 v0, v1
	v_ashrrev_i32_e32 v0, 31, v0
	v_xor_b32_e32 v1, vcc_hi, v0
	v_xor_b32_e32 v0, vcc_lo, v0
	; wave barrier
	ds_read_b32 v107, v108 offset:16
	v_and_b32_e32 v40, v40, v41
	v_and_b32_e32 v0, v39, v0
	;; [unrolled: 1-line block ×3, first 2 shown]
	v_mbcnt_lo_u32_b32 v38, v0, 0
	v_mbcnt_hi_u32_b32 v109, v1, v38
	v_cmp_eq_u32_e32 vcc, 0, v109
	v_cmp_ne_u64_e64 s[4:5], 0, v[0:1]
	v_add_u32_e32 v75, 16, v64
	v_lshrrev_b32_e32 v76, 6, v46
	v_min_u32_e32 v85, 0xc0, v67
	s_and_b64 s[16:17], s[4:5], vcc
	; wave barrier
	s_and_saveexec_b64 s[4:5], s[16:17]
	s_cbranch_execz .LBB171_49
; %bb.48:
	v_bcnt_u32_b32 v0, v0, 0
	v_bcnt_u32_b32 v0, v1, v0
	s_waitcnt lgkmcnt(0)
	v_add_u32_e32 v0, v107, v0
	ds_write_b32 v108, v0 offset:16
.LBB171_49:
	s_or_b64 exec, exec, s[4:5]
	; wave barrier
	s_waitcnt lgkmcnt(0)
	s_barrier
	ds_read2_b32 v[38:39], v64 offset0:4 offset1:5
	ds_read2_b32 v[40:41], v75 offset0:2 offset1:3
	v_and_b32_e32 v1, 16, v65
	v_cmp_eq_u32_e32 vcc, 0, v1
	v_or_b32_e32 v1, 63, v85
	v_cmp_eq_u32_e64 s[16:17], v1, v46
	s_waitcnt lgkmcnt(1)
	v_add_u32_e32 v1, v39, v38
	v_and_b32_e32 v0, 15, v65
	s_waitcnt lgkmcnt(0)
	v_add3_u32 v1, v1, v40, v41
	v_cmp_eq_u32_e64 s[22:23], 0, v0
	v_cmp_lt_u32_e64 s[24:25], 1, v0
	v_mov_b32_dpp v41, v1 row_shr:1 row_mask:0xf bank_mask:0xf
	v_cndmask_b32_e64 v41, v41, 0, s[22:23]
	v_add_u32_e32 v1, v41, v1
	v_cmp_lt_u32_e64 s[28:29], 3, v0
	v_cmp_lt_u32_e64 s[30:31], 7, v0
	v_mov_b32_dpp v41, v1 row_shr:2 row_mask:0xf bank_mask:0xf
	v_cndmask_b32_e64 v41, 0, v41, s[24:25]
	v_add_u32_e32 v1, v1, v41
	v_bfe_i32 v86, v65, 4, 1
	v_cmp_lt_u32_e64 s[34:35], 31, v65
	v_mov_b32_dpp v41, v1 row_shr:4 row_mask:0xf bank_mask:0xf
	v_cndmask_b32_e64 v41, 0, v41, s[28:29]
	v_add_u32_e32 v1, v1, v41
	v_lshlrev_b32_e32 v76, 2, v76
	s_nop 0
	v_mov_b32_dpp v41, v1 row_shr:8 row_mask:0xf bank_mask:0xf
	v_cndmask_b32_e64 v0, 0, v41, s[30:31]
	v_add_u32_e32 v0, v1, v0
	s_nop 1
	v_mov_b32_dpp v1, v0 row_bcast:15 row_mask:0xf bank_mask:0xf
	v_and_b32_e32 v1, v86, v1
	v_add_u32_e32 v0, v0, v1
	s_nop 1
	v_mov_b32_dpp v1, v0 row_bcast:31 row_mask:0xf bank_mask:0xf
	v_cndmask_b32_e64 v1, 0, v1, s[34:35]
	v_add_u32_e32 v1, v0, v1
	s_and_saveexec_b64 s[4:5], s[16:17]
	s_cbranch_execz .LBB171_51
; %bb.50:
	ds_write_b32 v76, v1
.LBB171_51:
	s_or_b64 exec, exec, s[4:5]
	v_and_b32_e32 v0, 3, v65
	v_cmp_gt_u32_e64 s[26:27], 4, v46
	v_lshlrev_b32_e32 v41, 2, v46
	v_cmp_eq_u32_e64 s[20:21], 0, v0
	v_cmp_lt_u32_e64 s[18:19], 1, v0
	s_waitcnt lgkmcnt(0)
	s_barrier
	s_and_saveexec_b64 s[4:5], s[26:27]
	s_cbranch_execz .LBB171_53
; %bb.52:
	ds_read_b32 v0, v41
	s_waitcnt lgkmcnt(0)
	s_nop 0
	v_mov_b32_dpp v85, v0 row_shr:1 row_mask:0xf bank_mask:0xf
	v_cndmask_b32_e64 v85, v85, 0, s[20:21]
	v_add_u32_e32 v0, v85, v0
	s_nop 1
	v_mov_b32_dpp v85, v0 row_shr:2 row_mask:0xf bank_mask:0xf
	v_cndmask_b32_e64 v85, 0, v85, s[18:19]
	v_add_u32_e32 v0, v0, v85
	ds_write_b32 v41, v0
.LBB171_53:
	s_or_b64 exec, exec, s[4:5]
	v_cmp_lt_u32_e64 s[36:37], 63, v46
	v_add_u32_e32 v85, -4, v76
	v_mov_b32_e32 v0, 0
	v_mov_b32_e32 v110, 0
	s_waitcnt lgkmcnt(0)
	s_barrier
	s_and_saveexec_b64 s[4:5], s[36:37]
	s_cbranch_execz .LBB171_55
; %bb.54:
	ds_read_b32 v110, v85
.LBB171_55:
	s_or_b64 exec, exec, s[4:5]
	v_add_u32_e32 v86, -1, v65
	v_and_b32_e32 v111, 64, v65
	v_cmp_lt_i32_e64 s[4:5], v86, v111
	v_cndmask_b32_e64 v86, v86, v65, s[4:5]
	v_lshlrev_b32_e32 v86, 2, v86
	s_waitcnt lgkmcnt(0)
	v_add_u32_e32 v1, v110, v1
	ds_bpermute_b32 v1, v86, v1
	v_cmp_eq_u32_e64 s[38:39], 0, v65
	v_cmp_eq_u32_e64 s[40:41], 0, v46
	v_and_or_b32 v111, v65, 63, v66
	v_lshlrev_b32_e32 v112, 1, v111
	s_waitcnt lgkmcnt(0)
	v_cndmask_b32_e64 v1, v1, v110, s[38:39]
	v_cndmask_b32_e64 v1, v1, 0, s[40:41]
	v_add_u32_e32 v38, v1, v38
	v_add_u32_e32 v39, v38, v39
	;; [unrolled: 1-line block ×3, first 2 shown]
	ds_write2_b32 v64, v1, v38 offset0:4 offset1:5
	ds_write2_b32 v75, v39, v40 offset0:2 offset1:3
	s_waitcnt lgkmcnt(0)
	s_barrier
	ds_read_b32 v1, v87 offset:16
	ds_read_b32 v38, v90 offset:16
	;; [unrolled: 1-line block ×8, first 2 shown]
	s_waitcnt lgkmcnt(7)
	v_add_u32_e32 v1, v1, v88
	s_waitcnt lgkmcnt(6)
	v_add3_u32 v38, v91, v89, v38
	s_waitcnt lgkmcnt(4)
	v_add3_u32 v88, v97, v95, v40
	v_lshlrev_b32_e32 v40, 1, v1
	v_add3_u32 v39, v94, v92, v39
	s_waitcnt lgkmcnt(0)
	s_barrier
	ds_write_b16 v40, v84
	v_lshlrev_b32_e32 v40, 1, v38
	ds_write_b16 v40, v83
	v_lshlrev_b32_e32 v40, 1, v39
	v_add3_u32 v87, v100, v98, v87
	ds_write_b16 v40, v82
	v_lshlrev_b32_e32 v40, 1, v88
	v_add3_u32 v89, v103, v101, v90
	;; [unrolled: 3-line block ×4, first 2 shown]
	ds_write_b16 v40, v79
	v_lshlrev_b32_e32 v40, 1, v90
	ds_write_b16 v40, v78
	v_lshlrev_b32_e32 v40, 1, v91
	v_lshlrev_b32_e32 v1, 3, v1
	ds_write_b16 v40, v77
	s_waitcnt lgkmcnt(0)
	s_barrier
	ds_read_u16 v83, v112
	ds_read_u16 v82, v112 offset:128
	ds_read_u16 v81, v112 offset:256
	ds_read_u16 v80, v112 offset:384
	ds_read_u16 v79, v112 offset:512
	ds_read_u16 v78, v112 offset:640
	ds_read_u16 v77, v112 offset:768
	ds_read_u16 v40, v112 offset:896
	s_waitcnt lgkmcnt(0)
	s_barrier
	ds_write_b64 v1, v[34:35]
	v_lshlrev_b32_e32 v1, 3, v38
	ds_write_b64 v1, v[36:37]
	v_lshlrev_b32_e32 v1, 3, v39
	;; [unrolled: 2-line block ×4, first 2 shown]
	s_min_u32 s4, s44, 8
	ds_write_b64 v1, v[26:27]
	v_lshlrev_b32_e32 v1, 3, v89
	s_lshl_b32 s4, -1, s4
	ds_write_b64 v1, v[28:29]
	v_lshlrev_b32_e32 v1, 3, v90
	s_not_b32 s53, s4
	ds_write_b64 v1, v[22:23]
	v_lshlrev_b32_e32 v1, 3, v91
	v_and_b32_sdwa v38, v83, s53 dst_sel:DWORD dst_unused:UNUSED_PAD src0_sel:BYTE_1 src1_sel:DWORD
	ds_write_b64 v1, v[24:25]
	v_lshlrev_b32_e32 v1, 2, v38
	v_add_lshl_u32 v84, v1, v74, 2
	v_and_b32_e32 v1, 1, v38
	v_add_co_u32_e64 v39, s[4:5], -1, v1
	v_addc_co_u32_e64 v87, s[4:5], 0, -1, s[4:5]
	v_cmp_ne_u32_e64 s[4:5], 0, v1
	v_xor_b32_e32 v1, s5, v87
	v_and_b32_e32 v87, exec_hi, v1
	v_lshlrev_b32_e32 v1, 30, v38
	v_xor_b32_e32 v39, s4, v39
	v_cmp_gt_i64_e64 s[4:5], 0, v[0:1]
	v_not_b32_e32 v1, v1
	v_ashrrev_i32_e32 v1, 31, v1
	v_and_b32_e32 v39, exec_lo, v39
	v_xor_b32_e32 v88, s5, v1
	v_xor_b32_e32 v1, s4, v1
	v_and_b32_e32 v39, v39, v1
	v_lshlrev_b32_e32 v1, 29, v38
	v_cmp_gt_i64_e64 s[4:5], 0, v[0:1]
	v_not_b32_e32 v1, v1
	v_ashrrev_i32_e32 v1, 31, v1
	v_and_b32_e32 v87, v87, v88
	v_xor_b32_e32 v88, s5, v1
	v_xor_b32_e32 v1, s4, v1
	v_and_b32_e32 v39, v39, v1
	v_lshlrev_b32_e32 v1, 28, v38
	v_cmp_gt_i64_e64 s[4:5], 0, v[0:1]
	v_not_b32_e32 v1, v1
	v_ashrrev_i32_e32 v1, 31, v1
	v_and_b32_e32 v87, v87, v88
	;; [unrolled: 8-line block ×5, first 2 shown]
	v_xor_b32_e32 v88, s5, v1
	v_xor_b32_e32 v1, s4, v1
	v_lshlrev_b32_e32 v111, 3, v111
	v_and_b32_e32 v39, v39, v1
	v_lshlrev_b32_e32 v1, 24, v38
	s_waitcnt lgkmcnt(0)
	s_barrier
	ds_read2st64_b64 v[34:37], v111 offset1:1
	ds_read2st64_b64 v[30:33], v111 offset0:2 offset1:3
	ds_read2st64_b64 v[26:29], v111 offset0:4 offset1:5
	;; [unrolled: 1-line block ×3, first 2 shown]
	s_waitcnt lgkmcnt(0)
	s_barrier
	ds_write2_b32 v64, v0, v0 offset0:4 offset1:5
	ds_write2_b32 v75, v0, v0 offset0:2 offset1:3
	v_cmp_gt_i64_e64 s[4:5], 0, v[0:1]
	v_not_b32_e32 v0, v1
	v_ashrrev_i32_e32 v0, 31, v0
	v_xor_b32_e32 v1, s5, v0
	v_xor_b32_e32 v0, s4, v0
	v_and_b32_e32 v87, v87, v88
	v_and_b32_e32 v0, v39, v0
	;; [unrolled: 1-line block ×3, first 2 shown]
	v_mbcnt_lo_u32_b32 v38, v0, 0
	v_mbcnt_hi_u32_b32 v87, v1, v38
	v_cmp_eq_u32_e64 s[4:5], 0, v87
	v_cmp_ne_u64_e64 s[44:45], 0, v[0:1]
	s_and_b64 s[44:45], s[44:45], s[4:5]
	s_waitcnt lgkmcnt(0)
	s_barrier
	s_waitcnt lgkmcnt(0)
	; wave barrier
	s_and_saveexec_b64 s[4:5], s[44:45]
	s_cbranch_execz .LBB171_57
; %bb.56:
	v_bcnt_u32_b32 v0, v0, 0
	v_bcnt_u32_b32 v0, v1, v0
	ds_write_b32 v84, v0 offset:16
.LBB171_57:
	s_or_b64 exec, exec, s[4:5]
	v_and_b32_sdwa v38, v82, s53 dst_sel:DWORD dst_unused:UNUSED_PAD src0_sel:BYTE_1 src1_sel:DWORD
	v_and_b32_e32 v1, 1, v38
	v_add_co_u32_e64 v39, s[4:5], -1, v1
	v_addc_co_u32_e64 v90, s[4:5], 0, -1, s[4:5]
	v_cmp_ne_u32_e64 s[4:5], 0, v1
	v_lshlrev_b32_e32 v0, 2, v38
	v_xor_b32_e32 v1, s5, v90
	v_add_lshl_u32 v89, v0, v74, 2
	v_mov_b32_e32 v0, 0
	v_and_b32_e32 v90, exec_hi, v1
	v_lshlrev_b32_e32 v1, 30, v38
	v_xor_b32_e32 v39, s4, v39
	v_cmp_gt_i64_e64 s[4:5], 0, v[0:1]
	v_not_b32_e32 v1, v1
	v_ashrrev_i32_e32 v1, 31, v1
	v_and_b32_e32 v39, exec_lo, v39
	v_xor_b32_e32 v91, s5, v1
	v_xor_b32_e32 v1, s4, v1
	v_and_b32_e32 v39, v39, v1
	v_lshlrev_b32_e32 v1, 29, v38
	v_cmp_gt_i64_e64 s[4:5], 0, v[0:1]
	v_not_b32_e32 v1, v1
	v_ashrrev_i32_e32 v1, 31, v1
	v_and_b32_e32 v90, v90, v91
	v_xor_b32_e32 v91, s5, v1
	v_xor_b32_e32 v1, s4, v1
	v_and_b32_e32 v39, v39, v1
	v_lshlrev_b32_e32 v1, 28, v38
	v_cmp_gt_i64_e64 s[4:5], 0, v[0:1]
	v_not_b32_e32 v1, v1
	v_ashrrev_i32_e32 v1, 31, v1
	v_and_b32_e32 v90, v90, v91
	;; [unrolled: 8-line block ×5, first 2 shown]
	v_xor_b32_e32 v91, s5, v1
	v_xor_b32_e32 v1, s4, v1
	v_and_b32_e32 v90, v90, v91
	v_and_b32_e32 v91, v39, v1
	v_lshlrev_b32_e32 v1, 24, v38
	v_cmp_gt_i64_e64 s[4:5], 0, v[0:1]
	v_not_b32_e32 v1, v1
	v_ashrrev_i32_e32 v1, 31, v1
	v_xor_b32_e32 v38, s5, v1
	v_xor_b32_e32 v1, s4, v1
	; wave barrier
	ds_read_b32 v88, v89 offset:16
	v_and_b32_e32 v39, v90, v38
	v_and_b32_e32 v38, v91, v1
	v_mbcnt_lo_u32_b32 v1, v38, 0
	v_mbcnt_hi_u32_b32 v90, v39, v1
	v_cmp_eq_u32_e64 s[4:5], 0, v90
	v_cmp_ne_u64_e64 s[44:45], 0, v[38:39]
	s_and_b64 s[44:45], s[44:45], s[4:5]
	; wave barrier
	s_and_saveexec_b64 s[4:5], s[44:45]
	s_cbranch_execz .LBB171_59
; %bb.58:
	v_bcnt_u32_b32 v1, v38, 0
	v_bcnt_u32_b32 v1, v39, v1
	s_waitcnt lgkmcnt(0)
	v_add_u32_e32 v1, v88, v1
	ds_write_b32 v89, v1 offset:16
.LBB171_59:
	s_or_b64 exec, exec, s[4:5]
	v_and_b32_sdwa v38, v81, s53 dst_sel:DWORD dst_unused:UNUSED_PAD src0_sel:BYTE_1 src1_sel:DWORD
	v_lshlrev_b32_e32 v1, 2, v38
	v_add_lshl_u32 v92, v1, v74, 2
	v_and_b32_e32 v1, 1, v38
	v_add_co_u32_e64 v39, s[4:5], -1, v1
	v_addc_co_u32_e64 v93, s[4:5], 0, -1, s[4:5]
	v_cmp_ne_u32_e64 s[4:5], 0, v1
	v_xor_b32_e32 v1, s5, v93
	v_and_b32_e32 v93, exec_hi, v1
	v_lshlrev_b32_e32 v1, 30, v38
	v_xor_b32_e32 v39, s4, v39
	v_cmp_gt_i64_e64 s[4:5], 0, v[0:1]
	v_not_b32_e32 v1, v1
	v_ashrrev_i32_e32 v1, 31, v1
	v_and_b32_e32 v39, exec_lo, v39
	v_xor_b32_e32 v94, s5, v1
	v_xor_b32_e32 v1, s4, v1
	v_and_b32_e32 v39, v39, v1
	v_lshlrev_b32_e32 v1, 29, v38
	v_cmp_gt_i64_e64 s[4:5], 0, v[0:1]
	v_not_b32_e32 v1, v1
	v_ashrrev_i32_e32 v1, 31, v1
	v_and_b32_e32 v93, v93, v94
	v_xor_b32_e32 v94, s5, v1
	v_xor_b32_e32 v1, s4, v1
	v_and_b32_e32 v39, v39, v1
	v_lshlrev_b32_e32 v1, 28, v38
	v_cmp_gt_i64_e64 s[4:5], 0, v[0:1]
	v_not_b32_e32 v1, v1
	v_ashrrev_i32_e32 v1, 31, v1
	v_and_b32_e32 v93, v93, v94
	;; [unrolled: 8-line block ×5, first 2 shown]
	v_xor_b32_e32 v94, s5, v1
	v_xor_b32_e32 v1, s4, v1
	v_and_b32_e32 v39, v39, v1
	v_lshlrev_b32_e32 v1, 24, v38
	v_cmp_gt_i64_e64 s[4:5], 0, v[0:1]
	v_not_b32_e32 v0, v1
	v_ashrrev_i32_e32 v0, 31, v0
	v_xor_b32_e32 v1, s5, v0
	v_xor_b32_e32 v0, s4, v0
	; wave barrier
	ds_read_b32 v91, v92 offset:16
	v_and_b32_e32 v93, v93, v94
	v_and_b32_e32 v0, v39, v0
	;; [unrolled: 1-line block ×3, first 2 shown]
	v_mbcnt_lo_u32_b32 v38, v0, 0
	v_mbcnt_hi_u32_b32 v93, v1, v38
	v_cmp_eq_u32_e64 s[4:5], 0, v93
	v_cmp_ne_u64_e64 s[44:45], 0, v[0:1]
	s_and_b64 s[44:45], s[44:45], s[4:5]
	; wave barrier
	s_and_saveexec_b64 s[4:5], s[44:45]
	s_cbranch_execz .LBB171_61
; %bb.60:
	v_bcnt_u32_b32 v0, v0, 0
	v_bcnt_u32_b32 v0, v1, v0
	s_waitcnt lgkmcnt(0)
	v_add_u32_e32 v0, v91, v0
	ds_write_b32 v92, v0 offset:16
.LBB171_61:
	s_or_b64 exec, exec, s[4:5]
	v_and_b32_sdwa v38, v80, s53 dst_sel:DWORD dst_unused:UNUSED_PAD src0_sel:BYTE_1 src1_sel:DWORD
	v_and_b32_e32 v1, 1, v38
	v_add_co_u32_e64 v39, s[4:5], -1, v1
	v_addc_co_u32_e64 v96, s[4:5], 0, -1, s[4:5]
	v_cmp_ne_u32_e64 s[4:5], 0, v1
	v_lshlrev_b32_e32 v0, 2, v38
	v_xor_b32_e32 v1, s5, v96
	v_add_lshl_u32 v95, v0, v74, 2
	v_mov_b32_e32 v0, 0
	v_and_b32_e32 v96, exec_hi, v1
	v_lshlrev_b32_e32 v1, 30, v38
	v_xor_b32_e32 v39, s4, v39
	v_cmp_gt_i64_e64 s[4:5], 0, v[0:1]
	v_not_b32_e32 v1, v1
	v_ashrrev_i32_e32 v1, 31, v1
	v_and_b32_e32 v39, exec_lo, v39
	v_xor_b32_e32 v97, s5, v1
	v_xor_b32_e32 v1, s4, v1
	v_and_b32_e32 v39, v39, v1
	v_lshlrev_b32_e32 v1, 29, v38
	v_cmp_gt_i64_e64 s[4:5], 0, v[0:1]
	v_not_b32_e32 v1, v1
	v_ashrrev_i32_e32 v1, 31, v1
	v_and_b32_e32 v96, v96, v97
	v_xor_b32_e32 v97, s5, v1
	v_xor_b32_e32 v1, s4, v1
	v_and_b32_e32 v39, v39, v1
	v_lshlrev_b32_e32 v1, 28, v38
	v_cmp_gt_i64_e64 s[4:5], 0, v[0:1]
	v_not_b32_e32 v1, v1
	v_ashrrev_i32_e32 v1, 31, v1
	v_and_b32_e32 v96, v96, v97
	;; [unrolled: 8-line block ×5, first 2 shown]
	v_xor_b32_e32 v97, s5, v1
	v_xor_b32_e32 v1, s4, v1
	v_and_b32_e32 v96, v96, v97
	v_and_b32_e32 v97, v39, v1
	v_lshlrev_b32_e32 v1, 24, v38
	v_cmp_gt_i64_e64 s[4:5], 0, v[0:1]
	v_not_b32_e32 v1, v1
	v_ashrrev_i32_e32 v1, 31, v1
	v_xor_b32_e32 v38, s5, v1
	v_xor_b32_e32 v1, s4, v1
	; wave barrier
	ds_read_b32 v94, v95 offset:16
	v_and_b32_e32 v39, v96, v38
	v_and_b32_e32 v38, v97, v1
	v_mbcnt_lo_u32_b32 v1, v38, 0
	v_mbcnt_hi_u32_b32 v96, v39, v1
	v_cmp_eq_u32_e64 s[4:5], 0, v96
	v_cmp_ne_u64_e64 s[44:45], 0, v[38:39]
	s_and_b64 s[44:45], s[44:45], s[4:5]
	; wave barrier
	s_and_saveexec_b64 s[4:5], s[44:45]
	s_cbranch_execz .LBB171_63
; %bb.62:
	v_bcnt_u32_b32 v1, v38, 0
	v_bcnt_u32_b32 v1, v39, v1
	s_waitcnt lgkmcnt(0)
	v_add_u32_e32 v1, v94, v1
	ds_write_b32 v95, v1 offset:16
.LBB171_63:
	s_or_b64 exec, exec, s[4:5]
	v_and_b32_sdwa v38, v79, s53 dst_sel:DWORD dst_unused:UNUSED_PAD src0_sel:BYTE_1 src1_sel:DWORD
	v_lshlrev_b32_e32 v1, 2, v38
	v_add_lshl_u32 v98, v1, v74, 2
	v_and_b32_e32 v1, 1, v38
	v_add_co_u32_e64 v39, s[4:5], -1, v1
	v_addc_co_u32_e64 v99, s[4:5], 0, -1, s[4:5]
	v_cmp_ne_u32_e64 s[4:5], 0, v1
	v_xor_b32_e32 v1, s5, v99
	v_and_b32_e32 v99, exec_hi, v1
	v_lshlrev_b32_e32 v1, 30, v38
	v_xor_b32_e32 v39, s4, v39
	v_cmp_gt_i64_e64 s[4:5], 0, v[0:1]
	v_not_b32_e32 v1, v1
	v_ashrrev_i32_e32 v1, 31, v1
	v_and_b32_e32 v39, exec_lo, v39
	v_xor_b32_e32 v100, s5, v1
	v_xor_b32_e32 v1, s4, v1
	v_and_b32_e32 v39, v39, v1
	v_lshlrev_b32_e32 v1, 29, v38
	v_cmp_gt_i64_e64 s[4:5], 0, v[0:1]
	v_not_b32_e32 v1, v1
	v_ashrrev_i32_e32 v1, 31, v1
	v_and_b32_e32 v99, v99, v100
	v_xor_b32_e32 v100, s5, v1
	v_xor_b32_e32 v1, s4, v1
	v_and_b32_e32 v39, v39, v1
	v_lshlrev_b32_e32 v1, 28, v38
	v_cmp_gt_i64_e64 s[4:5], 0, v[0:1]
	v_not_b32_e32 v1, v1
	v_ashrrev_i32_e32 v1, 31, v1
	v_and_b32_e32 v99, v99, v100
	v_xor_b32_e32 v100, s5, v1
	v_xor_b32_e32 v1, s4, v1
	v_and_b32_e32 v39, v39, v1
	v_lshlrev_b32_e32 v1, 27, v38
	v_cmp_gt_i64_e64 s[4:5], 0, v[0:1]
	v_not_b32_e32 v1, v1
	v_ashrrev_i32_e32 v1, 31, v1
	v_and_b32_e32 v99, v99, v100
	v_xor_b32_e32 v100, s5, v1
	v_xor_b32_e32 v1, s4, v1
	v_and_b32_e32 v39, v39, v1
	v_lshlrev_b32_e32 v1, 26, v38
	v_cmp_gt_i64_e64 s[4:5], 0, v[0:1]
	v_not_b32_e32 v1, v1
	v_ashrrev_i32_e32 v1, 31, v1
	v_and_b32_e32 v99, v99, v100
	v_xor_b32_e32 v100, s5, v1
	v_xor_b32_e32 v1, s4, v1
	v_and_b32_e32 v39, v39, v1
	v_lshlrev_b32_e32 v1, 25, v38
	v_cmp_gt_i64_e64 s[4:5], 0, v[0:1]
	v_not_b32_e32 v1, v1
	v_ashrrev_i32_e32 v1, 31, v1
	v_and_b32_e32 v99, v99, v100
	v_xor_b32_e32 v100, s5, v1
	v_xor_b32_e32 v1, s4, v1
	v_and_b32_e32 v39, v39, v1
	v_lshlrev_b32_e32 v1, 24, v38
	v_cmp_gt_i64_e64 s[4:5], 0, v[0:1]
	v_not_b32_e32 v0, v1
	v_ashrrev_i32_e32 v0, 31, v0
	v_xor_b32_e32 v1, s5, v0
	v_xor_b32_e32 v0, s4, v0
	; wave barrier
	ds_read_b32 v97, v98 offset:16
	v_and_b32_e32 v99, v99, v100
	v_and_b32_e32 v0, v39, v0
	;; [unrolled: 1-line block ×3, first 2 shown]
	v_mbcnt_lo_u32_b32 v38, v0, 0
	v_mbcnt_hi_u32_b32 v99, v1, v38
	v_cmp_eq_u32_e64 s[4:5], 0, v99
	v_cmp_ne_u64_e64 s[44:45], 0, v[0:1]
	s_and_b64 s[44:45], s[44:45], s[4:5]
	; wave barrier
	s_and_saveexec_b64 s[4:5], s[44:45]
	s_cbranch_execz .LBB171_65
; %bb.64:
	v_bcnt_u32_b32 v0, v0, 0
	v_bcnt_u32_b32 v0, v1, v0
	s_waitcnt lgkmcnt(0)
	v_add_u32_e32 v0, v97, v0
	ds_write_b32 v98, v0 offset:16
.LBB171_65:
	s_or_b64 exec, exec, s[4:5]
	v_and_b32_sdwa v38, v78, s53 dst_sel:DWORD dst_unused:UNUSED_PAD src0_sel:BYTE_1 src1_sel:DWORD
	v_and_b32_e32 v1, 1, v38
	v_add_co_u32_e64 v39, s[4:5], -1, v1
	v_addc_co_u32_e64 v102, s[4:5], 0, -1, s[4:5]
	v_cmp_ne_u32_e64 s[4:5], 0, v1
	v_lshlrev_b32_e32 v0, 2, v38
	v_xor_b32_e32 v1, s5, v102
	v_add_lshl_u32 v101, v0, v74, 2
	v_mov_b32_e32 v0, 0
	v_and_b32_e32 v102, exec_hi, v1
	v_lshlrev_b32_e32 v1, 30, v38
	v_xor_b32_e32 v39, s4, v39
	v_cmp_gt_i64_e64 s[4:5], 0, v[0:1]
	v_not_b32_e32 v1, v1
	v_ashrrev_i32_e32 v1, 31, v1
	v_and_b32_e32 v39, exec_lo, v39
	v_xor_b32_e32 v103, s5, v1
	v_xor_b32_e32 v1, s4, v1
	v_and_b32_e32 v39, v39, v1
	v_lshlrev_b32_e32 v1, 29, v38
	v_cmp_gt_i64_e64 s[4:5], 0, v[0:1]
	v_not_b32_e32 v1, v1
	v_ashrrev_i32_e32 v1, 31, v1
	v_and_b32_e32 v102, v102, v103
	v_xor_b32_e32 v103, s5, v1
	v_xor_b32_e32 v1, s4, v1
	v_and_b32_e32 v39, v39, v1
	v_lshlrev_b32_e32 v1, 28, v38
	v_cmp_gt_i64_e64 s[4:5], 0, v[0:1]
	v_not_b32_e32 v1, v1
	v_ashrrev_i32_e32 v1, 31, v1
	v_and_b32_e32 v102, v102, v103
	;; [unrolled: 8-line block ×5, first 2 shown]
	v_xor_b32_e32 v103, s5, v1
	v_xor_b32_e32 v1, s4, v1
	v_and_b32_e32 v102, v102, v103
	v_and_b32_e32 v103, v39, v1
	v_lshlrev_b32_e32 v1, 24, v38
	v_cmp_gt_i64_e64 s[4:5], 0, v[0:1]
	v_not_b32_e32 v1, v1
	v_ashrrev_i32_e32 v1, 31, v1
	v_xor_b32_e32 v38, s5, v1
	v_xor_b32_e32 v1, s4, v1
	; wave barrier
	ds_read_b32 v100, v101 offset:16
	v_and_b32_e32 v39, v102, v38
	v_and_b32_e32 v38, v103, v1
	v_mbcnt_lo_u32_b32 v1, v38, 0
	v_mbcnt_hi_u32_b32 v102, v39, v1
	v_cmp_eq_u32_e64 s[4:5], 0, v102
	v_cmp_ne_u64_e64 s[44:45], 0, v[38:39]
	s_and_b64 s[44:45], s[44:45], s[4:5]
	; wave barrier
	s_and_saveexec_b64 s[4:5], s[44:45]
	s_cbranch_execz .LBB171_67
; %bb.66:
	v_bcnt_u32_b32 v1, v38, 0
	v_bcnt_u32_b32 v1, v39, v1
	s_waitcnt lgkmcnt(0)
	v_add_u32_e32 v1, v100, v1
	ds_write_b32 v101, v1 offset:16
.LBB171_67:
	s_or_b64 exec, exec, s[4:5]
	v_and_b32_sdwa v38, v77, s53 dst_sel:DWORD dst_unused:UNUSED_PAD src0_sel:BYTE_1 src1_sel:DWORD
	v_lshlrev_b32_e32 v1, 2, v38
	v_add_lshl_u32 v104, v1, v74, 2
	v_and_b32_e32 v1, 1, v38
	v_add_co_u32_e64 v39, s[4:5], -1, v1
	v_addc_co_u32_e64 v105, s[4:5], 0, -1, s[4:5]
	v_cmp_ne_u32_e64 s[4:5], 0, v1
	v_xor_b32_e32 v1, s5, v105
	v_and_b32_e32 v105, exec_hi, v1
	v_lshlrev_b32_e32 v1, 30, v38
	v_xor_b32_e32 v39, s4, v39
	v_cmp_gt_i64_e64 s[4:5], 0, v[0:1]
	v_not_b32_e32 v1, v1
	v_ashrrev_i32_e32 v1, 31, v1
	v_and_b32_e32 v39, exec_lo, v39
	v_xor_b32_e32 v106, s5, v1
	v_xor_b32_e32 v1, s4, v1
	v_and_b32_e32 v39, v39, v1
	v_lshlrev_b32_e32 v1, 29, v38
	v_cmp_gt_i64_e64 s[4:5], 0, v[0:1]
	v_not_b32_e32 v1, v1
	v_ashrrev_i32_e32 v1, 31, v1
	v_and_b32_e32 v105, v105, v106
	v_xor_b32_e32 v106, s5, v1
	v_xor_b32_e32 v1, s4, v1
	v_and_b32_e32 v39, v39, v1
	v_lshlrev_b32_e32 v1, 28, v38
	v_cmp_gt_i64_e64 s[4:5], 0, v[0:1]
	v_not_b32_e32 v1, v1
	v_ashrrev_i32_e32 v1, 31, v1
	v_and_b32_e32 v105, v105, v106
	;; [unrolled: 8-line block ×5, first 2 shown]
	v_xor_b32_e32 v106, s5, v1
	v_xor_b32_e32 v1, s4, v1
	v_and_b32_e32 v39, v39, v1
	v_lshlrev_b32_e32 v1, 24, v38
	v_cmp_gt_i64_e64 s[4:5], 0, v[0:1]
	v_not_b32_e32 v0, v1
	v_ashrrev_i32_e32 v0, 31, v0
	v_xor_b32_e32 v1, s5, v0
	v_xor_b32_e32 v0, s4, v0
	; wave barrier
	ds_read_b32 v103, v104 offset:16
	v_and_b32_e32 v105, v105, v106
	v_and_b32_e32 v0, v39, v0
	;; [unrolled: 1-line block ×3, first 2 shown]
	v_mbcnt_lo_u32_b32 v38, v0, 0
	v_mbcnt_hi_u32_b32 v105, v1, v38
	v_cmp_eq_u32_e64 s[4:5], 0, v105
	v_cmp_ne_u64_e64 s[44:45], 0, v[0:1]
	s_and_b64 s[44:45], s[44:45], s[4:5]
	; wave barrier
	s_and_saveexec_b64 s[4:5], s[44:45]
	s_cbranch_execz .LBB171_69
; %bb.68:
	v_bcnt_u32_b32 v0, v0, 0
	v_bcnt_u32_b32 v0, v1, v0
	s_waitcnt lgkmcnt(0)
	v_add_u32_e32 v0, v103, v0
	ds_write_b32 v104, v0 offset:16
.LBB171_69:
	s_or_b64 exec, exec, s[4:5]
	v_and_b32_sdwa v38, v40, s53 dst_sel:DWORD dst_unused:UNUSED_PAD src0_sel:BYTE_1 src1_sel:DWORD
	v_and_b32_e32 v1, 1, v38
	v_add_co_u32_e64 v39, s[4:5], -1, v1
	v_addc_co_u32_e64 v107, s[4:5], 0, -1, s[4:5]
	v_cmp_ne_u32_e64 s[4:5], 0, v1
	v_lshlrev_b32_e32 v0, 2, v38
	v_xor_b32_e32 v1, s5, v107
	v_add_lshl_u32 v106, v0, v74, 2
	v_mov_b32_e32 v0, 0
	v_and_b32_e32 v107, exec_hi, v1
	v_lshlrev_b32_e32 v1, 30, v38
	v_xor_b32_e32 v39, s4, v39
	v_cmp_gt_i64_e64 s[4:5], 0, v[0:1]
	v_not_b32_e32 v1, v1
	v_ashrrev_i32_e32 v1, 31, v1
	v_and_b32_e32 v39, exec_lo, v39
	v_xor_b32_e32 v108, s5, v1
	v_xor_b32_e32 v1, s4, v1
	v_and_b32_e32 v39, v39, v1
	v_lshlrev_b32_e32 v1, 29, v38
	v_cmp_gt_i64_e64 s[4:5], 0, v[0:1]
	v_not_b32_e32 v1, v1
	v_ashrrev_i32_e32 v1, 31, v1
	v_and_b32_e32 v107, v107, v108
	v_xor_b32_e32 v108, s5, v1
	v_xor_b32_e32 v1, s4, v1
	v_and_b32_e32 v39, v39, v1
	v_lshlrev_b32_e32 v1, 28, v38
	v_cmp_gt_i64_e64 s[4:5], 0, v[0:1]
	v_not_b32_e32 v1, v1
	v_ashrrev_i32_e32 v1, 31, v1
	v_and_b32_e32 v107, v107, v108
	;; [unrolled: 8-line block ×5, first 2 shown]
	v_xor_b32_e32 v108, s5, v1
	v_xor_b32_e32 v1, s4, v1
	v_and_b32_e32 v39, v39, v1
	v_lshlrev_b32_e32 v1, 24, v38
	v_cmp_gt_i64_e64 s[4:5], 0, v[0:1]
	v_not_b32_e32 v0, v1
	v_ashrrev_i32_e32 v0, 31, v0
	v_xor_b32_e32 v1, s5, v0
	v_xor_b32_e32 v0, s4, v0
	; wave barrier
	ds_read_b32 v74, v106 offset:16
	v_and_b32_e32 v107, v107, v108
	v_and_b32_e32 v0, v39, v0
	;; [unrolled: 1-line block ×3, first 2 shown]
	v_mbcnt_lo_u32_b32 v38, v0, 0
	v_mbcnt_hi_u32_b32 v107, v1, v38
	v_cmp_eq_u32_e64 s[4:5], 0, v107
	v_cmp_ne_u64_e64 s[44:45], 0, v[0:1]
	s_and_b64 s[44:45], s[44:45], s[4:5]
	; wave barrier
	s_and_saveexec_b64 s[4:5], s[44:45]
	s_cbranch_execz .LBB171_71
; %bb.70:
	v_bcnt_u32_b32 v0, v0, 0
	v_bcnt_u32_b32 v0, v1, v0
	s_waitcnt lgkmcnt(0)
	v_add_u32_e32 v0, v74, v0
	ds_write_b32 v106, v0 offset:16
.LBB171_71:
	s_or_b64 exec, exec, s[4:5]
	; wave barrier
	s_waitcnt lgkmcnt(0)
	s_barrier
	ds_read2_b32 v[38:39], v64 offset0:4 offset1:5
	ds_read2_b32 v[0:1], v75 offset0:2 offset1:3
	s_waitcnt lgkmcnt(1)
	v_add_u32_e32 v108, v39, v38
	s_waitcnt lgkmcnt(0)
	v_add3_u32 v1, v108, v0, v1
	s_nop 1
	v_mov_b32_dpp v108, v1 row_shr:1 row_mask:0xf bank_mask:0xf
	v_cndmask_b32_e64 v108, v108, 0, s[22:23]
	v_add_u32_e32 v1, v108, v1
	s_nop 1
	v_mov_b32_dpp v108, v1 row_shr:2 row_mask:0xf bank_mask:0xf
	v_cndmask_b32_e64 v108, 0, v108, s[24:25]
	v_add_u32_e32 v1, v1, v108
	;; [unrolled: 4-line block ×4, first 2 shown]
	s_nop 1
	v_mov_b32_dpp v108, v1 row_bcast:15 row_mask:0xf bank_mask:0xf
	v_cndmask_b32_e64 v108, v108, 0, vcc
	v_add_u32_e32 v1, v1, v108
	s_nop 1
	v_mov_b32_dpp v108, v1 row_bcast:31 row_mask:0xf bank_mask:0xf
	v_cndmask_b32_e64 v108, 0, v108, s[34:35]
	v_add_u32_e32 v1, v1, v108
	s_and_saveexec_b64 s[4:5], s[16:17]
	s_cbranch_execz .LBB171_73
; %bb.72:
	ds_write_b32 v76, v1
.LBB171_73:
	s_or_b64 exec, exec, s[4:5]
	s_waitcnt lgkmcnt(0)
	s_barrier
	s_and_saveexec_b64 s[4:5], s[26:27]
	s_cbranch_execz .LBB171_75
; %bb.74:
	ds_read_b32 v76, v41
	s_waitcnt lgkmcnt(0)
	s_nop 0
	v_mov_b32_dpp v108, v76 row_shr:1 row_mask:0xf bank_mask:0xf
	v_cndmask_b32_e64 v108, v108, 0, s[20:21]
	v_add_u32_e32 v76, v108, v76
	s_nop 1
	v_mov_b32_dpp v108, v76 row_shr:2 row_mask:0xf bank_mask:0xf
	v_cndmask_b32_e64 v108, 0, v108, s[18:19]
	v_add_u32_e32 v76, v76, v108
	ds_write_b32 v41, v76
.LBB171_75:
	s_or_b64 exec, exec, s[4:5]
	v_mov_b32_e32 v41, 0
	s_waitcnt lgkmcnt(0)
	s_barrier
	s_and_saveexec_b64 s[4:5], s[36:37]
	s_cbranch_execz .LBB171_77
; %bb.76:
	ds_read_b32 v41, v85
.LBB171_77:
	s_or_b64 exec, exec, s[4:5]
	s_waitcnt lgkmcnt(0)
	v_add_u32_e32 v1, v41, v1
	ds_bpermute_b32 v1, v86, v1
	s_waitcnt lgkmcnt(0)
	v_cndmask_b32_e64 v1, v1, v41, s[38:39]
	v_cndmask_b32_e64 v1, v1, 0, s[40:41]
	v_add_u32_e32 v38, v1, v38
	v_add_u32_e32 v39, v38, v39
	;; [unrolled: 1-line block ×3, first 2 shown]
	ds_write2_b32 v64, v1, v38 offset0:4 offset1:5
	ds_write2_b32 v75, v39, v0 offset0:2 offset1:3
	s_waitcnt lgkmcnt(0)
	s_barrier
	ds_read_b32 v0, v106 offset:16
	ds_read_b32 v1, v104 offset:16
	;; [unrolled: 1-line block ×4, first 2 shown]
	s_waitcnt lgkmcnt(3)
	v_add3_u32 v0, v107, v74, v0
	s_waitcnt lgkmcnt(2)
	v_add3_u32 v1, v105, v103, v1
	;; [unrolled: 2-line block ×3, first 2 shown]
	ds_read_b32 v38, v95 offset:16
	ds_read_b32 v41, v92 offset:16
	;; [unrolled: 1-line block ×4, first 2 shown]
	s_waitcnt lgkmcnt(0)
	s_barrier
	v_add3_u32 v41, v93, v91, v41
	v_add3_u32 v75, v90, v88, v75
	v_add_u32_e32 v76, v76, v87
	v_lshlrev_b32_e32 v84, 1, v76
	ds_write_b16 v84, v83
	v_lshlrev_b32_e32 v83, 1, v75
	v_add3_u32 v38, v96, v94, v38
	ds_write_b16 v83, v82
	v_lshlrev_b32_e32 v82, 1, v41
	v_add3_u32 v39, v99, v97, v39
	ds_write_b16 v82, v81
	v_lshlrev_b32_e32 v81, 1, v38
	ds_write_b16 v81, v80
	v_lshlrev_b32_e32 v80, 1, v39
	;; [unrolled: 2-line block ×6, first 2 shown]
	v_lshlrev_b32_e32 v76, 3, v76
	v_lshlrev_b32_e32 v80, 3, v62
	s_waitcnt lgkmcnt(0)
	s_barrier
	v_lshlrev_b32_e32 v75, 3, v75
	v_lshlrev_b32_e32 v77, 3, v41
	;; [unrolled: 1-line block ×4, first 2 shown]
	ds_read_b128 v[38:41], v40
	v_lshlrev_b32_e32 v74, 3, v74
	v_lshlrev_b32_e32 v1, 3, v1
	;; [unrolled: 1-line block ×3, first 2 shown]
	s_waitcnt lgkmcnt(0)
	s_barrier
	ds_write_b64 v76, v[34:35]
	ds_write_b64 v75, v[36:37]
	;; [unrolled: 1-line block ×8, first 2 shown]
	s_waitcnt lgkmcnt(0)
	s_barrier
	ds_read2_b64 v[22:25], v80 offset1:1
	ds_read2_b64 v[26:29], v80 offset0:2 offset1:3
	ds_read2_b64 v[30:33], v80 offset0:4 offset1:5
	;; [unrolled: 1-line block ×3, first 2 shown]
	v_xor_b32_e32 v38, 0x80008000, v38
	v_xor_b32_e32 v39, 0x80008000, v39
	;; [unrolled: 1-line block ×4, first 2 shown]
	s_branch .LBB171_131
.LBB171_78:
	v_mov_b32_e32 v45, 0
	v_lshlrev_b64 v[2:3], 3, v[44:45]
	v_mov_b32_e32 v4, s52
	v_add_co_u32_e32 v2, vcc, s49, v2
	v_addc_co_u32_e32 v3, vcc, v4, v3, vcc
	global_load_dwordx2 v[2:3], v[2:3], off
	v_mov_b32_e32 v4, v45
	v_mov_b32_e32 v5, v45
	;; [unrolled: 1-line block ×14, first 2 shown]
	s_or_b64 exec, exec, s[4:5]
	s_and_saveexec_b64 s[4:5], s[2:3]
	s_cbranch_execz .LBB171_25
.LBB171_79:
	v_mul_lo_u32 v4, v1, s48
	v_mov_b32_e32 v5, 0
	v_lshlrev_b64 v[4:5], 3, v[4:5]
	v_mov_b32_e32 v1, s52
	v_add_co_u32_e32 v4, vcc, s49, v4
	v_addc_co_u32_e32 v5, vcc, v1, v5, vcc
	global_load_dwordx2 v[4:5], v[4:5], off
	s_or_b64 exec, exec, s[4:5]
	s_and_saveexec_b64 s[4:5], s[42:43]
	s_cbranch_execz .LBB171_26
.LBB171_80:
	v_mul_lo_u32 v6, v22, s48
	v_mov_b32_e32 v7, 0
	v_lshlrev_b64 v[6:7], 3, v[6:7]
	v_mov_b32_e32 v1, s52
	v_add_co_u32_e32 v6, vcc, s49, v6
	v_addc_co_u32_e32 v7, vcc, v1, v7, vcc
	global_load_dwordx2 v[6:7], v[6:7], off
	s_or_b64 exec, exec, s[4:5]
	s_and_saveexec_b64 s[4:5], s[6:7]
	s_cbranch_execz .LBB171_27
.LBB171_81:
	v_mul_lo_u32 v8, v23, s48
	v_mov_b32_e32 v9, 0
	v_lshlrev_b64 v[8:9], 3, v[8:9]
	v_mov_b32_e32 v1, s52
	v_add_co_u32_e32 v8, vcc, s49, v8
	v_addc_co_u32_e32 v9, vcc, v1, v9, vcc
	global_load_dwordx2 v[8:9], v[8:9], off
	s_or_b64 exec, exec, s[4:5]
	s_and_saveexec_b64 s[4:5], s[8:9]
	s_cbranch_execz .LBB171_28
.LBB171_82:
	v_mul_lo_u32 v10, v24, s48
	v_mov_b32_e32 v11, 0
	v_lshlrev_b64 v[10:11], 3, v[10:11]
	v_mov_b32_e32 v1, s52
	v_add_co_u32_e32 v10, vcc, s49, v10
	v_addc_co_u32_e32 v11, vcc, v1, v11, vcc
	global_load_dwordx2 v[10:11], v[10:11], off
	s_or_b64 exec, exec, s[4:5]
	s_and_saveexec_b64 s[4:5], s[10:11]
	s_cbranch_execz .LBB171_29
.LBB171_83:
	v_mul_lo_u32 v12, v25, s48
	v_mov_b32_e32 v13, 0
	v_lshlrev_b64 v[12:13], 3, v[12:13]
	v_mov_b32_e32 v1, s52
	v_add_co_u32_e32 v12, vcc, s49, v12
	v_addc_co_u32_e32 v13, vcc, v1, v13, vcc
	global_load_dwordx2 v[12:13], v[12:13], off
	s_or_b64 exec, exec, s[4:5]
	s_and_saveexec_b64 s[4:5], s[12:13]
	s_cbranch_execz .LBB171_30
.LBB171_84:
	v_mul_lo_u32 v14, v26, s48
	v_mov_b32_e32 v15, 0
	v_lshlrev_b64 v[14:15], 3, v[14:15]
	v_mov_b32_e32 v1, s52
	v_add_co_u32_e32 v14, vcc, s49, v14
	v_addc_co_u32_e32 v15, vcc, v1, v15, vcc
	global_load_dwordx2 v[14:15], v[14:15], off
	s_or_b64 exec, exec, s[4:5]
	s_xor_b64 s[4:5], s[34:35], -1
	s_and_saveexec_b64 s[16:17], s[14:15]
	s_cbranch_execnz .LBB171_31
	s_branch .LBB171_32
.LBB171_85:
                                        ; implicit-def: $vgpr41
                                        ; implicit-def: $vgpr36_vgpr37
                                        ; implicit-def: $vgpr32_vgpr33
                                        ; implicit-def: $vgpr28_vgpr29
                                        ; implicit-def: $vgpr24_vgpr25
	s_cbranch_execz .LBB171_131
; %bb.86:
	s_movk_i32 s4, 0x7fff
	v_xor_b32_e32 v0, 0x7fff, v18
	v_xor_b32_sdwa v1, v18, s4 dst_sel:DWORD dst_unused:UNUSED_PAD src0_sel:WORD_1 src1_sel:DWORD
	v_xor_b32_e32 v18, 0x7fff, v19
	v_xor_b32_sdwa v19, v19, s4 dst_sel:DWORD dst_unused:UNUSED_PAD src0_sel:WORD_1 src1_sel:DWORD
	s_waitcnt lgkmcnt(3)
	v_xor_b32_e32 v22, 0x7fff, v20
	v_xor_b32_sdwa v20, v20, s4 dst_sel:DWORD dst_unused:UNUSED_PAD src0_sel:WORD_1 src1_sel:DWORD
	v_xor_b32_e32 v23, 0x7fff, v21
	v_xor_b32_sdwa v21, v21, s4 dst_sel:DWORD dst_unused:UNUSED_PAD src0_sel:WORD_1 src1_sel:DWORD
	s_mov_b32 s4, 0x5040100
	v_perm_b32 v21, v21, v23, s4
	v_perm_b32 v20, v20, v22, s4
	;; [unrolled: 1-line block ×4, first 2 shown]
	ds_write_b128 v73, v[18:21]
	; wave barrier
	s_waitcnt lgkmcnt(2)
	ds_read_u16 v32, v72
	ds_read_u16 v31, v72 offset:128
	ds_read_u16 v30, v72 offset:256
	;; [unrolled: 1-line block ×7, first 2 shown]
	s_waitcnt lgkmcnt(0)
	s_barrier
	ds_write2_b64 v71, v[14:15], v[16:17] offset1:1
	ds_write2_b64 v71, v[10:11], v[12:13] offset0:2 offset1:3
	ds_write2_b64 v71, v[6:7], v[8:9] offset0:4 offset1:5
	;; [unrolled: 1-line block ×3, first 2 shown]
	; wave barrier
	ds_read2st64_b64 v[12:15], v70 offset1:1
	ds_read2st64_b64 v[8:11], v70 offset0:2 offset1:3
	ds_read2st64_b64 v[4:7], v70 offset0:4 offset1:5
	;; [unrolled: 1-line block ×3, first 2 shown]
	s_waitcnt lgkmcnt(0)
	s_barrier
	s_load_dword s16, s[50:51], 0xc
	s_getpc_b64 s[4:5]
	s_add_u32 s4, s4, _ZN7rocprim17ROCPRIM_400000_NS16block_radix_sortIsLj256ELj8ElLj1ELj1ELj0ELNS0_26block_radix_rank_algorithmE1ELNS0_18block_padding_hintE2ELNS0_4arch9wavefront6targetE1EE19radix_bits_per_passE@rel32@lo+4
	s_addc_u32 s5, s5, _ZN7rocprim17ROCPRIM_400000_NS16block_radix_sortIsLj256ELj8ElLj1ELj1ELj0ELNS0_26block_radix_rank_algorithmE1ELNS0_18block_padding_hintE2ELNS0_4arch9wavefront6targetE1EE19radix_bits_per_passE@rel32@hi+12
	s_load_dword s44, s[4:5], 0x0
	s_waitcnt lgkmcnt(0)
	s_lshr_b32 s4, s16, 16
	s_and_b32 s5, s16, 0xffff
	v_mad_u32_u24 v16, v69, s4, v68
	v_mad_u64_u32 v[16:17], s[4:5], v16, s5, v[46:47]
	s_min_u32 s4, s44, 16
	s_lshl_b32 s4, -1, s4
	s_not_b32 s16, s4
	v_and_b32_sdwa v18, s16, v32 dst_sel:DWORD dst_unused:UNUSED_PAD src0_sel:DWORD src1_sel:WORD_0
	v_lshrrev_b32_e32 v22, 6, v16
	v_lshlrev_b32_e32 v17, 2, v18
	v_add_lshl_u32 v35, v22, v17, 2
	v_and_b32_e32 v17, 1, v18
	v_add_co_u32_e32 v19, vcc, -1, v17
	v_addc_co_u32_e64 v20, s[4:5], 0, -1, vcc
	v_cmp_ne_u32_e32 vcc, 0, v17
	v_xor_b32_e32 v17, vcc_hi, v20
	v_mov_b32_e32 v16, 0
	v_and_b32_e32 v20, exec_hi, v17
	v_lshlrev_b32_e32 v17, 30, v18
	v_xor_b32_e32 v19, vcc_lo, v19
	v_cmp_gt_i64_e32 vcc, 0, v[16:17]
	v_not_b32_e32 v17, v17
	v_ashrrev_i32_e32 v17, 31, v17
	v_and_b32_e32 v19, exec_lo, v19
	v_xor_b32_e32 v21, vcc_hi, v17
	v_xor_b32_e32 v17, vcc_lo, v17
	v_and_b32_e32 v19, v19, v17
	v_lshlrev_b32_e32 v17, 29, v18
	v_cmp_gt_i64_e32 vcc, 0, v[16:17]
	v_not_b32_e32 v17, v17
	v_ashrrev_i32_e32 v17, 31, v17
	v_and_b32_e32 v20, v20, v21
	v_xor_b32_e32 v21, vcc_hi, v17
	v_xor_b32_e32 v17, vcc_lo, v17
	v_and_b32_e32 v19, v19, v17
	v_lshlrev_b32_e32 v17, 28, v18
	v_cmp_gt_i64_e32 vcc, 0, v[16:17]
	v_not_b32_e32 v17, v17
	v_ashrrev_i32_e32 v17, 31, v17
	v_and_b32_e32 v20, v20, v21
	v_xor_b32_e32 v21, vcc_hi, v17
	v_xor_b32_e32 v17, vcc_lo, v17
	v_and_b32_e32 v19, v19, v17
	v_lshlrev_b32_e32 v17, 27, v18
	v_cmp_gt_i64_e32 vcc, 0, v[16:17]
	v_not_b32_e32 v17, v17
	v_ashrrev_i32_e32 v17, 31, v17
	v_and_b32_e32 v20, v20, v21
	v_xor_b32_e32 v21, vcc_hi, v17
	v_xor_b32_e32 v17, vcc_lo, v17
	v_and_b32_e32 v19, v19, v17
	v_lshlrev_b32_e32 v17, 26, v18
	v_cmp_gt_i64_e32 vcc, 0, v[16:17]
	v_not_b32_e32 v17, v17
	v_ashrrev_i32_e32 v17, 31, v17
	v_and_b32_e32 v20, v20, v21
	v_xor_b32_e32 v21, vcc_hi, v17
	v_xor_b32_e32 v17, vcc_lo, v17
	v_and_b32_e32 v19, v19, v17
	v_lshlrev_b32_e32 v17, 25, v18
	v_cmp_gt_i64_e32 vcc, 0, v[16:17]
	v_not_b32_e32 v17, v17
	v_ashrrev_i32_e32 v17, 31, v17
	v_and_b32_e32 v20, v20, v21
	v_xor_b32_e32 v21, vcc_hi, v17
	v_xor_b32_e32 v17, vcc_lo, v17
	v_and_b32_e32 v20, v20, v21
	v_and_b32_e32 v21, v19, v17
	v_lshlrev_b32_e32 v17, 24, v18
	v_cmp_gt_i64_e32 vcc, 0, v[16:17]
	v_not_b32_e32 v17, v17
	v_ashrrev_i32_e32 v17, 31, v17
	v_xor_b32_e32 v18, vcc_hi, v17
	v_xor_b32_e32 v17, vcc_lo, v17
	v_and_b32_e32 v19, v20, v18
	v_and_b32_e32 v18, v21, v17
	v_mbcnt_lo_u32_b32 v17, v18, 0
	v_mbcnt_hi_u32_b32 v36, v19, v17
	v_cmp_eq_u32_e32 vcc, 0, v36
	v_cmp_ne_u64_e64 s[4:5], 0, v[18:19]
	s_and_b64 s[18:19], s[4:5], vcc
	ds_write2_b32 v64, v16, v16 offset0:4 offset1:5
	ds_write2_b32 v64, v16, v16 offset0:6 offset1:7
	s_waitcnt lgkmcnt(0)
	s_barrier
	s_waitcnt lgkmcnt(0)
	; wave barrier
	s_and_saveexec_b64 s[4:5], s[18:19]
	s_cbranch_execz .LBB171_88
; %bb.87:
	v_bcnt_u32_b32 v17, v18, 0
	v_bcnt_u32_b32 v17, v19, v17
	ds_write_b32 v35, v17 offset:16
.LBB171_88:
	s_or_b64 exec, exec, s[4:5]
	v_and_b32_sdwa v18, s16, v31 dst_sel:DWORD dst_unused:UNUSED_PAD src0_sel:DWORD src1_sel:WORD_0
	v_lshlrev_b32_e32 v17, 2, v18
	v_add_lshl_u32 v38, v22, v17, 2
	v_and_b32_e32 v17, 1, v18
	v_add_co_u32_e32 v19, vcc, -1, v17
	v_addc_co_u32_e64 v20, s[4:5], 0, -1, vcc
	v_cmp_ne_u32_e32 vcc, 0, v17
	v_xor_b32_e32 v17, vcc_hi, v20
	v_and_b32_e32 v20, exec_hi, v17
	v_lshlrev_b32_e32 v17, 30, v18
	v_xor_b32_e32 v19, vcc_lo, v19
	v_cmp_gt_i64_e32 vcc, 0, v[16:17]
	v_not_b32_e32 v17, v17
	v_ashrrev_i32_e32 v17, 31, v17
	v_and_b32_e32 v19, exec_lo, v19
	v_xor_b32_e32 v21, vcc_hi, v17
	v_xor_b32_e32 v17, vcc_lo, v17
	v_and_b32_e32 v19, v19, v17
	v_lshlrev_b32_e32 v17, 29, v18
	v_cmp_gt_i64_e32 vcc, 0, v[16:17]
	v_not_b32_e32 v17, v17
	v_ashrrev_i32_e32 v17, 31, v17
	v_and_b32_e32 v20, v20, v21
	v_xor_b32_e32 v21, vcc_hi, v17
	v_xor_b32_e32 v17, vcc_lo, v17
	v_and_b32_e32 v19, v19, v17
	v_lshlrev_b32_e32 v17, 28, v18
	v_cmp_gt_i64_e32 vcc, 0, v[16:17]
	v_not_b32_e32 v17, v17
	v_ashrrev_i32_e32 v17, 31, v17
	v_and_b32_e32 v20, v20, v21
	v_xor_b32_e32 v21, vcc_hi, v17
	v_xor_b32_e32 v17, vcc_lo, v17
	v_and_b32_e32 v19, v19, v17
	v_lshlrev_b32_e32 v17, 27, v18
	v_cmp_gt_i64_e32 vcc, 0, v[16:17]
	v_not_b32_e32 v17, v17
	v_ashrrev_i32_e32 v17, 31, v17
	v_and_b32_e32 v20, v20, v21
	v_xor_b32_e32 v21, vcc_hi, v17
	v_xor_b32_e32 v17, vcc_lo, v17
	v_and_b32_e32 v19, v19, v17
	v_lshlrev_b32_e32 v17, 26, v18
	v_cmp_gt_i64_e32 vcc, 0, v[16:17]
	v_not_b32_e32 v17, v17
	v_ashrrev_i32_e32 v17, 31, v17
	v_and_b32_e32 v20, v20, v21
	v_xor_b32_e32 v21, vcc_hi, v17
	v_xor_b32_e32 v17, vcc_lo, v17
	v_and_b32_e32 v19, v19, v17
	v_lshlrev_b32_e32 v17, 25, v18
	v_cmp_gt_i64_e32 vcc, 0, v[16:17]
	v_not_b32_e32 v17, v17
	v_ashrrev_i32_e32 v17, 31, v17
	v_and_b32_e32 v20, v20, v21
	v_xor_b32_e32 v21, vcc_hi, v17
	v_xor_b32_e32 v17, vcc_lo, v17
	v_and_b32_e32 v19, v19, v17
	v_lshlrev_b32_e32 v17, 24, v18
	v_cmp_gt_i64_e32 vcc, 0, v[16:17]
	v_not_b32_e32 v16, v17
	v_ashrrev_i32_e32 v16, 31, v16
	v_xor_b32_e32 v17, vcc_hi, v16
	v_xor_b32_e32 v16, vcc_lo, v16
	; wave barrier
	ds_read_b32 v37, v38 offset:16
	v_and_b32_e32 v20, v20, v21
	v_and_b32_e32 v16, v19, v16
	;; [unrolled: 1-line block ×3, first 2 shown]
	v_mbcnt_lo_u32_b32 v18, v16, 0
	v_mbcnt_hi_u32_b32 v39, v17, v18
	v_cmp_eq_u32_e32 vcc, 0, v39
	v_cmp_ne_u64_e64 s[4:5], 0, v[16:17]
	s_and_b64 s[18:19], s[4:5], vcc
	; wave barrier
	s_and_saveexec_b64 s[4:5], s[18:19]
	s_cbranch_execz .LBB171_90
; %bb.89:
	v_bcnt_u32_b32 v16, v16, 0
	v_bcnt_u32_b32 v16, v17, v16
	s_waitcnt lgkmcnt(0)
	v_add_u32_e32 v16, v37, v16
	ds_write_b32 v38, v16 offset:16
.LBB171_90:
	s_or_b64 exec, exec, s[4:5]
	v_and_b32_sdwa v18, s16, v30 dst_sel:DWORD dst_unused:UNUSED_PAD src0_sel:DWORD src1_sel:WORD_0
	v_and_b32_e32 v17, 1, v18
	v_add_co_u32_e32 v19, vcc, -1, v17
	v_addc_co_u32_e64 v20, s[4:5], 0, -1, vcc
	v_cmp_ne_u32_e32 vcc, 0, v17
	v_lshlrev_b32_e32 v16, 2, v18
	v_xor_b32_e32 v17, vcc_hi, v20
	v_add_lshl_u32 v41, v22, v16, 2
	v_mov_b32_e32 v16, 0
	v_and_b32_e32 v20, exec_hi, v17
	v_lshlrev_b32_e32 v17, 30, v18
	v_xor_b32_e32 v19, vcc_lo, v19
	v_cmp_gt_i64_e32 vcc, 0, v[16:17]
	v_not_b32_e32 v17, v17
	v_ashrrev_i32_e32 v17, 31, v17
	v_and_b32_e32 v19, exec_lo, v19
	v_xor_b32_e32 v21, vcc_hi, v17
	v_xor_b32_e32 v17, vcc_lo, v17
	v_and_b32_e32 v19, v19, v17
	v_lshlrev_b32_e32 v17, 29, v18
	v_cmp_gt_i64_e32 vcc, 0, v[16:17]
	v_not_b32_e32 v17, v17
	v_ashrrev_i32_e32 v17, 31, v17
	v_and_b32_e32 v20, v20, v21
	v_xor_b32_e32 v21, vcc_hi, v17
	v_xor_b32_e32 v17, vcc_lo, v17
	v_and_b32_e32 v19, v19, v17
	v_lshlrev_b32_e32 v17, 28, v18
	v_cmp_gt_i64_e32 vcc, 0, v[16:17]
	v_not_b32_e32 v17, v17
	v_ashrrev_i32_e32 v17, 31, v17
	v_and_b32_e32 v20, v20, v21
	;; [unrolled: 8-line block ×5, first 2 shown]
	v_xor_b32_e32 v21, vcc_hi, v17
	v_xor_b32_e32 v17, vcc_lo, v17
	v_and_b32_e32 v20, v20, v21
	v_and_b32_e32 v21, v19, v17
	v_lshlrev_b32_e32 v17, 24, v18
	v_cmp_gt_i64_e32 vcc, 0, v[16:17]
	v_not_b32_e32 v17, v17
	v_ashrrev_i32_e32 v17, 31, v17
	v_xor_b32_e32 v18, vcc_hi, v17
	v_xor_b32_e32 v17, vcc_lo, v17
	; wave barrier
	ds_read_b32 v40, v41 offset:16
	v_and_b32_e32 v19, v20, v18
	v_and_b32_e32 v18, v21, v17
	v_mbcnt_lo_u32_b32 v17, v18, 0
	v_mbcnt_hi_u32_b32 v68, v19, v17
	v_cmp_eq_u32_e32 vcc, 0, v68
	v_cmp_ne_u64_e64 s[4:5], 0, v[18:19]
	s_and_b64 s[18:19], s[4:5], vcc
	; wave barrier
	s_and_saveexec_b64 s[4:5], s[18:19]
	s_cbranch_execz .LBB171_92
; %bb.91:
	v_bcnt_u32_b32 v17, v18, 0
	v_bcnt_u32_b32 v17, v19, v17
	s_waitcnt lgkmcnt(0)
	v_add_u32_e32 v17, v40, v17
	ds_write_b32 v41, v17 offset:16
.LBB171_92:
	s_or_b64 exec, exec, s[4:5]
	v_and_b32_sdwa v18, s16, v29 dst_sel:DWORD dst_unused:UNUSED_PAD src0_sel:DWORD src1_sel:WORD_0
	v_lshlrev_b32_e32 v17, 2, v18
	v_add_lshl_u32 v70, v22, v17, 2
	v_and_b32_e32 v17, 1, v18
	v_add_co_u32_e32 v19, vcc, -1, v17
	v_addc_co_u32_e64 v20, s[4:5], 0, -1, vcc
	v_cmp_ne_u32_e32 vcc, 0, v17
	v_xor_b32_e32 v17, vcc_hi, v20
	v_and_b32_e32 v20, exec_hi, v17
	v_lshlrev_b32_e32 v17, 30, v18
	v_xor_b32_e32 v19, vcc_lo, v19
	v_cmp_gt_i64_e32 vcc, 0, v[16:17]
	v_not_b32_e32 v17, v17
	v_ashrrev_i32_e32 v17, 31, v17
	v_and_b32_e32 v19, exec_lo, v19
	v_xor_b32_e32 v21, vcc_hi, v17
	v_xor_b32_e32 v17, vcc_lo, v17
	v_and_b32_e32 v19, v19, v17
	v_lshlrev_b32_e32 v17, 29, v18
	v_cmp_gt_i64_e32 vcc, 0, v[16:17]
	v_not_b32_e32 v17, v17
	v_ashrrev_i32_e32 v17, 31, v17
	v_and_b32_e32 v20, v20, v21
	v_xor_b32_e32 v21, vcc_hi, v17
	v_xor_b32_e32 v17, vcc_lo, v17
	v_and_b32_e32 v19, v19, v17
	v_lshlrev_b32_e32 v17, 28, v18
	v_cmp_gt_i64_e32 vcc, 0, v[16:17]
	v_not_b32_e32 v17, v17
	v_ashrrev_i32_e32 v17, 31, v17
	v_and_b32_e32 v20, v20, v21
	;; [unrolled: 8-line block ×5, first 2 shown]
	v_xor_b32_e32 v21, vcc_hi, v17
	v_xor_b32_e32 v17, vcc_lo, v17
	v_and_b32_e32 v19, v19, v17
	v_lshlrev_b32_e32 v17, 24, v18
	v_cmp_gt_i64_e32 vcc, 0, v[16:17]
	v_not_b32_e32 v16, v17
	v_ashrrev_i32_e32 v16, 31, v16
	v_xor_b32_e32 v17, vcc_hi, v16
	v_xor_b32_e32 v16, vcc_lo, v16
	; wave barrier
	ds_read_b32 v69, v70 offset:16
	v_and_b32_e32 v20, v20, v21
	v_and_b32_e32 v16, v19, v16
	;; [unrolled: 1-line block ×3, first 2 shown]
	v_mbcnt_lo_u32_b32 v18, v16, 0
	v_mbcnt_hi_u32_b32 v71, v17, v18
	v_cmp_eq_u32_e32 vcc, 0, v71
	v_cmp_ne_u64_e64 s[4:5], 0, v[16:17]
	s_and_b64 s[18:19], s[4:5], vcc
	; wave barrier
	s_and_saveexec_b64 s[4:5], s[18:19]
	s_cbranch_execz .LBB171_94
; %bb.93:
	v_bcnt_u32_b32 v16, v16, 0
	v_bcnt_u32_b32 v16, v17, v16
	s_waitcnt lgkmcnt(0)
	v_add_u32_e32 v16, v69, v16
	ds_write_b32 v70, v16 offset:16
.LBB171_94:
	s_or_b64 exec, exec, s[4:5]
	v_and_b32_sdwa v18, s16, v28 dst_sel:DWORD dst_unused:UNUSED_PAD src0_sel:DWORD src1_sel:WORD_0
	v_and_b32_e32 v17, 1, v18
	v_add_co_u32_e32 v19, vcc, -1, v17
	v_addc_co_u32_e64 v20, s[4:5], 0, -1, vcc
	v_cmp_ne_u32_e32 vcc, 0, v17
	v_lshlrev_b32_e32 v16, 2, v18
	v_xor_b32_e32 v17, vcc_hi, v20
	v_add_lshl_u32 v73, v22, v16, 2
	v_mov_b32_e32 v16, 0
	v_and_b32_e32 v20, exec_hi, v17
	v_lshlrev_b32_e32 v17, 30, v18
	v_xor_b32_e32 v19, vcc_lo, v19
	v_cmp_gt_i64_e32 vcc, 0, v[16:17]
	v_not_b32_e32 v17, v17
	v_ashrrev_i32_e32 v17, 31, v17
	v_and_b32_e32 v19, exec_lo, v19
	v_xor_b32_e32 v21, vcc_hi, v17
	v_xor_b32_e32 v17, vcc_lo, v17
	v_and_b32_e32 v19, v19, v17
	v_lshlrev_b32_e32 v17, 29, v18
	v_cmp_gt_i64_e32 vcc, 0, v[16:17]
	v_not_b32_e32 v17, v17
	v_ashrrev_i32_e32 v17, 31, v17
	v_and_b32_e32 v20, v20, v21
	v_xor_b32_e32 v21, vcc_hi, v17
	v_xor_b32_e32 v17, vcc_lo, v17
	v_and_b32_e32 v19, v19, v17
	v_lshlrev_b32_e32 v17, 28, v18
	v_cmp_gt_i64_e32 vcc, 0, v[16:17]
	v_not_b32_e32 v17, v17
	v_ashrrev_i32_e32 v17, 31, v17
	v_and_b32_e32 v20, v20, v21
	v_xor_b32_e32 v21, vcc_hi, v17
	v_xor_b32_e32 v17, vcc_lo, v17
	v_and_b32_e32 v19, v19, v17
	v_lshlrev_b32_e32 v17, 27, v18
	v_cmp_gt_i64_e32 vcc, 0, v[16:17]
	v_not_b32_e32 v17, v17
	v_ashrrev_i32_e32 v17, 31, v17
	v_and_b32_e32 v20, v20, v21
	v_xor_b32_e32 v21, vcc_hi, v17
	v_xor_b32_e32 v17, vcc_lo, v17
	v_and_b32_e32 v19, v19, v17
	v_lshlrev_b32_e32 v17, 26, v18
	v_cmp_gt_i64_e32 vcc, 0, v[16:17]
	v_not_b32_e32 v17, v17
	v_ashrrev_i32_e32 v17, 31, v17
	v_and_b32_e32 v20, v20, v21
	v_xor_b32_e32 v21, vcc_hi, v17
	v_xor_b32_e32 v17, vcc_lo, v17
	v_and_b32_e32 v19, v19, v17
	v_lshlrev_b32_e32 v17, 25, v18
	v_cmp_gt_i64_e32 vcc, 0, v[16:17]
	v_not_b32_e32 v17, v17
	v_ashrrev_i32_e32 v17, 31, v17
	v_and_b32_e32 v20, v20, v21
	v_xor_b32_e32 v21, vcc_hi, v17
	v_xor_b32_e32 v17, vcc_lo, v17
	v_and_b32_e32 v20, v20, v21
	v_and_b32_e32 v21, v19, v17
	v_lshlrev_b32_e32 v17, 24, v18
	v_cmp_gt_i64_e32 vcc, 0, v[16:17]
	v_not_b32_e32 v17, v17
	v_ashrrev_i32_e32 v17, 31, v17
	v_xor_b32_e32 v18, vcc_hi, v17
	v_xor_b32_e32 v17, vcc_lo, v17
	; wave barrier
	ds_read_b32 v72, v73 offset:16
	v_and_b32_e32 v19, v20, v18
	v_and_b32_e32 v18, v21, v17
	v_mbcnt_lo_u32_b32 v17, v18, 0
	v_mbcnt_hi_u32_b32 v74, v19, v17
	v_cmp_eq_u32_e32 vcc, 0, v74
	v_cmp_ne_u64_e64 s[4:5], 0, v[18:19]
	s_and_b64 s[18:19], s[4:5], vcc
	; wave barrier
	s_and_saveexec_b64 s[4:5], s[18:19]
	s_cbranch_execz .LBB171_96
; %bb.95:
	v_bcnt_u32_b32 v17, v18, 0
	v_bcnt_u32_b32 v17, v19, v17
	s_waitcnt lgkmcnt(0)
	v_add_u32_e32 v17, v72, v17
	ds_write_b32 v73, v17 offset:16
.LBB171_96:
	s_or_b64 exec, exec, s[4:5]
	v_and_b32_sdwa v18, s16, v27 dst_sel:DWORD dst_unused:UNUSED_PAD src0_sel:DWORD src1_sel:WORD_0
	v_lshlrev_b32_e32 v17, 2, v18
	v_add_lshl_u32 v76, v22, v17, 2
	v_and_b32_e32 v17, 1, v18
	v_add_co_u32_e32 v19, vcc, -1, v17
	v_addc_co_u32_e64 v20, s[4:5], 0, -1, vcc
	v_cmp_ne_u32_e32 vcc, 0, v17
	v_xor_b32_e32 v17, vcc_hi, v20
	v_and_b32_e32 v20, exec_hi, v17
	v_lshlrev_b32_e32 v17, 30, v18
	v_xor_b32_e32 v19, vcc_lo, v19
	v_cmp_gt_i64_e32 vcc, 0, v[16:17]
	v_not_b32_e32 v17, v17
	v_ashrrev_i32_e32 v17, 31, v17
	v_and_b32_e32 v19, exec_lo, v19
	v_xor_b32_e32 v21, vcc_hi, v17
	v_xor_b32_e32 v17, vcc_lo, v17
	v_and_b32_e32 v19, v19, v17
	v_lshlrev_b32_e32 v17, 29, v18
	v_cmp_gt_i64_e32 vcc, 0, v[16:17]
	v_not_b32_e32 v17, v17
	v_ashrrev_i32_e32 v17, 31, v17
	v_and_b32_e32 v20, v20, v21
	v_xor_b32_e32 v21, vcc_hi, v17
	v_xor_b32_e32 v17, vcc_lo, v17
	v_and_b32_e32 v19, v19, v17
	v_lshlrev_b32_e32 v17, 28, v18
	v_cmp_gt_i64_e32 vcc, 0, v[16:17]
	v_not_b32_e32 v17, v17
	v_ashrrev_i32_e32 v17, 31, v17
	v_and_b32_e32 v20, v20, v21
	;; [unrolled: 8-line block ×5, first 2 shown]
	v_xor_b32_e32 v21, vcc_hi, v17
	v_xor_b32_e32 v17, vcc_lo, v17
	v_and_b32_e32 v19, v19, v17
	v_lshlrev_b32_e32 v17, 24, v18
	v_cmp_gt_i64_e32 vcc, 0, v[16:17]
	v_not_b32_e32 v16, v17
	v_ashrrev_i32_e32 v16, 31, v16
	v_xor_b32_e32 v17, vcc_hi, v16
	v_xor_b32_e32 v16, vcc_lo, v16
	; wave barrier
	ds_read_b32 v75, v76 offset:16
	v_and_b32_e32 v20, v20, v21
	v_and_b32_e32 v16, v19, v16
	;; [unrolled: 1-line block ×3, first 2 shown]
	v_mbcnt_lo_u32_b32 v18, v16, 0
	v_mbcnt_hi_u32_b32 v77, v17, v18
	v_cmp_eq_u32_e32 vcc, 0, v77
	v_cmp_ne_u64_e64 s[4:5], 0, v[16:17]
	s_and_b64 s[18:19], s[4:5], vcc
	; wave barrier
	s_and_saveexec_b64 s[4:5], s[18:19]
	s_cbranch_execz .LBB171_98
; %bb.97:
	v_bcnt_u32_b32 v16, v16, 0
	v_bcnt_u32_b32 v16, v17, v16
	s_waitcnt lgkmcnt(0)
	v_add_u32_e32 v16, v75, v16
	ds_write_b32 v76, v16 offset:16
.LBB171_98:
	s_or_b64 exec, exec, s[4:5]
	v_and_b32_sdwa v18, s16, v26 dst_sel:DWORD dst_unused:UNUSED_PAD src0_sel:DWORD src1_sel:WORD_0
	v_and_b32_e32 v17, 1, v18
	v_add_co_u32_e32 v19, vcc, -1, v17
	v_addc_co_u32_e64 v20, s[4:5], 0, -1, vcc
	v_cmp_ne_u32_e32 vcc, 0, v17
	v_lshlrev_b32_e32 v16, 2, v18
	v_xor_b32_e32 v17, vcc_hi, v20
	v_add_lshl_u32 v79, v22, v16, 2
	v_mov_b32_e32 v16, 0
	v_and_b32_e32 v20, exec_hi, v17
	v_lshlrev_b32_e32 v17, 30, v18
	v_xor_b32_e32 v19, vcc_lo, v19
	v_cmp_gt_i64_e32 vcc, 0, v[16:17]
	v_not_b32_e32 v17, v17
	v_ashrrev_i32_e32 v17, 31, v17
	v_and_b32_e32 v19, exec_lo, v19
	v_xor_b32_e32 v21, vcc_hi, v17
	v_xor_b32_e32 v17, vcc_lo, v17
	v_and_b32_e32 v19, v19, v17
	v_lshlrev_b32_e32 v17, 29, v18
	v_cmp_gt_i64_e32 vcc, 0, v[16:17]
	v_not_b32_e32 v17, v17
	v_ashrrev_i32_e32 v17, 31, v17
	v_and_b32_e32 v20, v20, v21
	v_xor_b32_e32 v21, vcc_hi, v17
	v_xor_b32_e32 v17, vcc_lo, v17
	v_and_b32_e32 v19, v19, v17
	v_lshlrev_b32_e32 v17, 28, v18
	v_cmp_gt_i64_e32 vcc, 0, v[16:17]
	v_not_b32_e32 v17, v17
	v_ashrrev_i32_e32 v17, 31, v17
	v_and_b32_e32 v20, v20, v21
	;; [unrolled: 8-line block ×5, first 2 shown]
	v_xor_b32_e32 v21, vcc_hi, v17
	v_xor_b32_e32 v17, vcc_lo, v17
	v_and_b32_e32 v20, v20, v21
	v_and_b32_e32 v21, v19, v17
	v_lshlrev_b32_e32 v17, 24, v18
	v_cmp_gt_i64_e32 vcc, 0, v[16:17]
	v_not_b32_e32 v17, v17
	v_ashrrev_i32_e32 v17, 31, v17
	v_xor_b32_e32 v18, vcc_hi, v17
	v_xor_b32_e32 v17, vcc_lo, v17
	; wave barrier
	ds_read_b32 v78, v79 offset:16
	v_and_b32_e32 v19, v20, v18
	v_and_b32_e32 v18, v21, v17
	v_mbcnt_lo_u32_b32 v17, v18, 0
	v_mbcnt_hi_u32_b32 v80, v19, v17
	v_cmp_eq_u32_e32 vcc, 0, v80
	v_cmp_ne_u64_e64 s[4:5], 0, v[18:19]
	s_and_b64 s[18:19], s[4:5], vcc
	; wave barrier
	s_and_saveexec_b64 s[4:5], s[18:19]
	s_cbranch_execz .LBB171_100
; %bb.99:
	v_bcnt_u32_b32 v17, v18, 0
	v_bcnt_u32_b32 v17, v19, v17
	s_waitcnt lgkmcnt(0)
	v_add_u32_e32 v17, v78, v17
	ds_write_b32 v79, v17 offset:16
.LBB171_100:
	s_or_b64 exec, exec, s[4:5]
	v_and_b32_sdwa v18, s16, v25 dst_sel:DWORD dst_unused:UNUSED_PAD src0_sel:DWORD src1_sel:WORD_0
	v_lshlrev_b32_e32 v17, 2, v18
	v_add_lshl_u32 v81, v22, v17, 2
	v_and_b32_e32 v17, 1, v18
	v_add_co_u32_e32 v19, vcc, -1, v17
	v_addc_co_u32_e64 v20, s[4:5], 0, -1, vcc
	v_cmp_ne_u32_e32 vcc, 0, v17
	v_xor_b32_e32 v17, vcc_hi, v20
	v_and_b32_e32 v20, exec_hi, v17
	v_lshlrev_b32_e32 v17, 30, v18
	v_xor_b32_e32 v19, vcc_lo, v19
	v_cmp_gt_i64_e32 vcc, 0, v[16:17]
	v_not_b32_e32 v17, v17
	v_ashrrev_i32_e32 v17, 31, v17
	v_and_b32_e32 v19, exec_lo, v19
	v_xor_b32_e32 v21, vcc_hi, v17
	v_xor_b32_e32 v17, vcc_lo, v17
	v_and_b32_e32 v19, v19, v17
	v_lshlrev_b32_e32 v17, 29, v18
	v_cmp_gt_i64_e32 vcc, 0, v[16:17]
	v_not_b32_e32 v17, v17
	v_ashrrev_i32_e32 v17, 31, v17
	v_and_b32_e32 v20, v20, v21
	v_xor_b32_e32 v21, vcc_hi, v17
	v_xor_b32_e32 v17, vcc_lo, v17
	v_and_b32_e32 v19, v19, v17
	v_lshlrev_b32_e32 v17, 28, v18
	v_cmp_gt_i64_e32 vcc, 0, v[16:17]
	v_not_b32_e32 v17, v17
	v_ashrrev_i32_e32 v17, 31, v17
	v_and_b32_e32 v20, v20, v21
	;; [unrolled: 8-line block ×5, first 2 shown]
	v_xor_b32_e32 v21, vcc_hi, v17
	v_xor_b32_e32 v17, vcc_lo, v17
	v_and_b32_e32 v19, v19, v17
	v_lshlrev_b32_e32 v17, 24, v18
	v_cmp_gt_i64_e32 vcc, 0, v[16:17]
	v_not_b32_e32 v16, v17
	v_ashrrev_i32_e32 v16, 31, v16
	v_xor_b32_e32 v17, vcc_hi, v16
	v_xor_b32_e32 v16, vcc_lo, v16
	v_min_u32_e32 v33, 0xc0, v67
	; wave barrier
	ds_read_b32 v67, v81 offset:16
	v_and_b32_e32 v20, v20, v21
	v_and_b32_e32 v16, v19, v16
	;; [unrolled: 1-line block ×3, first 2 shown]
	v_mbcnt_lo_u32_b32 v18, v16, 0
	v_mbcnt_hi_u32_b32 v82, v17, v18
	v_cmp_eq_u32_e32 vcc, 0, v82
	v_cmp_ne_u64_e64 s[4:5], 0, v[16:17]
	v_add_u32_e32 v23, 16, v64
	v_lshrrev_b32_e32 v24, 6, v46
	s_and_b64 s[16:17], s[4:5], vcc
	; wave barrier
	s_and_saveexec_b64 s[4:5], s[16:17]
	s_cbranch_execz .LBB171_102
; %bb.101:
	v_bcnt_u32_b32 v16, v16, 0
	v_bcnt_u32_b32 v16, v17, v16
	s_waitcnt lgkmcnt(0)
	v_add_u32_e32 v16, v67, v16
	ds_write_b32 v81, v16 offset:16
.LBB171_102:
	s_or_b64 exec, exec, s[4:5]
	; wave barrier
	s_waitcnt lgkmcnt(0)
	s_barrier
	ds_read2_b32 v[18:19], v64 offset0:4 offset1:5
	ds_read2_b32 v[20:21], v23 offset0:2 offset1:3
	v_and_b32_e32 v17, 16, v65
	v_cmp_eq_u32_e32 vcc, 0, v17
	v_or_b32_e32 v17, 63, v33
	v_cmp_eq_u32_e64 s[16:17], v17, v46
	s_waitcnt lgkmcnt(1)
	v_add_u32_e32 v17, v19, v18
	v_and_b32_e32 v16, 15, v65
	s_waitcnt lgkmcnt(0)
	v_add3_u32 v17, v17, v20, v21
	v_cmp_eq_u32_e64 s[22:23], 0, v16
	v_cmp_lt_u32_e64 s[24:25], 1, v16
	v_mov_b32_dpp v21, v17 row_shr:1 row_mask:0xf bank_mask:0xf
	v_cndmask_b32_e64 v21, v21, 0, s[22:23]
	v_add_u32_e32 v17, v21, v17
	v_cmp_lt_u32_e64 s[28:29], 3, v16
	v_cmp_lt_u32_e64 s[30:31], 7, v16
	v_mov_b32_dpp v21, v17 row_shr:2 row_mask:0xf bank_mask:0xf
	v_cndmask_b32_e64 v21, 0, v21, s[24:25]
	v_add_u32_e32 v17, v17, v21
	v_bfe_i32 v34, v65, 4, 1
	v_cmp_lt_u32_e64 s[34:35], 31, v65
	v_mov_b32_dpp v21, v17 row_shr:4 row_mask:0xf bank_mask:0xf
	v_cndmask_b32_e64 v21, 0, v21, s[28:29]
	v_add_u32_e32 v17, v17, v21
	v_lshlrev_b32_e32 v24, 2, v24
	s_nop 0
	v_mov_b32_dpp v21, v17 row_shr:8 row_mask:0xf bank_mask:0xf
	v_cndmask_b32_e64 v16, 0, v21, s[30:31]
	v_add_u32_e32 v16, v17, v16
	s_nop 1
	v_mov_b32_dpp v17, v16 row_bcast:15 row_mask:0xf bank_mask:0xf
	v_and_b32_e32 v17, v34, v17
	v_add_u32_e32 v16, v16, v17
	s_nop 1
	v_mov_b32_dpp v17, v16 row_bcast:31 row_mask:0xf bank_mask:0xf
	v_cndmask_b32_e64 v17, 0, v17, s[34:35]
	v_add_u32_e32 v17, v16, v17
	s_and_saveexec_b64 s[4:5], s[16:17]
	s_cbranch_execz .LBB171_104
; %bb.103:
	ds_write_b32 v24, v17
.LBB171_104:
	s_or_b64 exec, exec, s[4:5]
	v_and_b32_e32 v16, 3, v65
	v_cmp_gt_u32_e64 s[26:27], 4, v46
	v_lshlrev_b32_e32 v21, 2, v46
	v_cmp_eq_u32_e64 s[20:21], 0, v16
	v_cmp_lt_u32_e64 s[18:19], 1, v16
	s_waitcnt lgkmcnt(0)
	s_barrier
	s_and_saveexec_b64 s[4:5], s[26:27]
	s_cbranch_execz .LBB171_106
; %bb.105:
	ds_read_b32 v16, v21
	s_waitcnt lgkmcnt(0)
	s_nop 0
	v_mov_b32_dpp v33, v16 row_shr:1 row_mask:0xf bank_mask:0xf
	v_cndmask_b32_e64 v33, v33, 0, s[20:21]
	v_add_u32_e32 v16, v33, v16
	s_nop 1
	v_mov_b32_dpp v33, v16 row_shr:2 row_mask:0xf bank_mask:0xf
	v_cndmask_b32_e64 v33, 0, v33, s[18:19]
	v_add_u32_e32 v16, v16, v33
	ds_write_b32 v21, v16
.LBB171_106:
	s_or_b64 exec, exec, s[4:5]
	v_cmp_lt_u32_e64 s[36:37], 63, v46
	v_add_u32_e32 v33, -4, v24
	v_mov_b32_e32 v16, 0
	v_mov_b32_e32 v83, 0
	s_waitcnt lgkmcnt(0)
	s_barrier
	s_and_saveexec_b64 s[4:5], s[36:37]
	s_cbranch_execz .LBB171_108
; %bb.107:
	ds_read_b32 v83, v33
.LBB171_108:
	s_or_b64 exec, exec, s[4:5]
	v_add_u32_e32 v34, -1, v65
	v_and_b32_e32 v84, 64, v65
	v_cmp_lt_i32_e64 s[4:5], v34, v84
	v_cndmask_b32_e64 v34, v34, v65, s[4:5]
	v_lshlrev_b32_e32 v34, 2, v34
	s_waitcnt lgkmcnt(0)
	v_add_u32_e32 v17, v83, v17
	ds_bpermute_b32 v17, v34, v17
	v_cmp_eq_u32_e64 s[38:39], 0, v65
	v_cmp_eq_u32_e64 s[40:41], 0, v46
	s_min_u32 s4, s44, 8
	v_and_or_b32 v66, v65, 63, v66
	s_waitcnt lgkmcnt(0)
	v_cndmask_b32_e64 v17, v17, v83, s[38:39]
	v_cndmask_b32_e64 v17, v17, 0, s[40:41]
	v_add_u32_e32 v18, v17, v18
	v_add_u32_e32 v19, v18, v19
	;; [unrolled: 1-line block ×3, first 2 shown]
	ds_write2_b32 v64, v17, v18 offset0:4 offset1:5
	ds_write2_b32 v23, v19, v20 offset0:2 offset1:3
	s_waitcnt lgkmcnt(0)
	s_barrier
	ds_read_b32 v17, v35 offset:16
	ds_read_b32 v18, v38 offset:16
	;; [unrolled: 1-line block ×8, first 2 shown]
	s_waitcnt lgkmcnt(7)
	v_add_u32_e32 v17, v17, v36
	s_waitcnt lgkmcnt(6)
	v_add3_u32 v18, v39, v37, v18
	s_waitcnt lgkmcnt(4)
	v_add3_u32 v36, v71, v69, v20
	v_lshlrev_b32_e32 v20, 1, v17
	v_add3_u32 v19, v68, v40, v19
	s_waitcnt lgkmcnt(0)
	s_barrier
	ds_write_b16 v20, v32
	v_lshlrev_b32_e32 v20, 1, v18
	ds_write_b16 v20, v31
	v_lshlrev_b32_e32 v20, 1, v19
	v_add3_u32 v35, v74, v72, v35
	ds_write_b16 v20, v30
	v_lshlrev_b32_e32 v20, 1, v36
	v_add3_u32 v37, v77, v75, v38
	;; [unrolled: 3-line block ×4, first 2 shown]
	ds_write_b16 v20, v27
	v_lshlrev_b32_e32 v20, 1, v38
	s_lshl_b32 s4, -1, s4
	v_lshlrev_b32_e32 v84, 1, v66
	ds_write_b16 v20, v26
	v_lshlrev_b32_e32 v20, 1, v39
	v_lshlrev_b32_e32 v17, 3, v17
	s_not_b32 s50, s4
	ds_write_b16 v20, v25
	s_waitcnt lgkmcnt(0)
	s_barrier
	ds_read_u16 v31, v84
	ds_read_u16 v30, v84 offset:128
	ds_read_u16 v29, v84 offset:256
	ds_read_u16 v28, v84 offset:384
	ds_read_u16 v27, v84 offset:512
	ds_read_u16 v26, v84 offset:640
	ds_read_u16 v25, v84 offset:768
	ds_read_u16 v20, v84 offset:896
	s_waitcnt lgkmcnt(0)
	s_barrier
	ds_write_b64 v17, v[12:13]
	v_lshlrev_b32_e32 v12, 3, v18
	v_and_b32_sdwa v18, v31, s50 dst_sel:DWORD dst_unused:UNUSED_PAD src0_sel:BYTE_1 src1_sel:DWORD
	v_lshlrev_b32_e32 v17, 2, v18
	ds_write_b64 v12, v[14:15]
	v_lshlrev_b32_e32 v12, 3, v19
	v_add_lshl_u32 v32, v17, v22, 2
	v_and_b32_e32 v17, 1, v18
	ds_write_b64 v12, v[8:9]
	v_lshlrev_b32_e32 v8, 3, v36
	v_add_co_u32_e64 v19, s[4:5], -1, v17
	ds_write_b64 v8, v[10:11]
	v_lshlrev_b32_e32 v8, 3, v35
	v_addc_co_u32_e64 v35, s[4:5], 0, -1, s[4:5]
	v_cmp_ne_u32_e64 s[4:5], 0, v17
	v_xor_b32_e32 v17, s5, v35
	v_and_b32_e32 v35, exec_hi, v17
	v_lshlrev_b32_e32 v17, 30, v18
	v_xor_b32_e32 v19, s4, v19
	v_cmp_gt_i64_e64 s[4:5], 0, v[16:17]
	v_not_b32_e32 v17, v17
	v_ashrrev_i32_e32 v17, 31, v17
	v_and_b32_e32 v19, exec_lo, v19
	v_xor_b32_e32 v36, s5, v17
	v_xor_b32_e32 v17, s4, v17
	v_and_b32_e32 v19, v19, v17
	v_lshlrev_b32_e32 v17, 29, v18
	v_cmp_gt_i64_e64 s[4:5], 0, v[16:17]
	v_not_b32_e32 v17, v17
	v_ashrrev_i32_e32 v17, 31, v17
	v_and_b32_e32 v35, v35, v36
	v_xor_b32_e32 v36, s5, v17
	v_xor_b32_e32 v17, s4, v17
	v_and_b32_e32 v19, v19, v17
	v_lshlrev_b32_e32 v17, 28, v18
	v_cmp_gt_i64_e64 s[4:5], 0, v[16:17]
	v_not_b32_e32 v17, v17
	v_ashrrev_i32_e32 v17, 31, v17
	v_and_b32_e32 v35, v35, v36
	;; [unrolled: 8-line block ×4, first 2 shown]
	v_xor_b32_e32 v36, s5, v17
	v_xor_b32_e32 v17, s4, v17
	v_and_b32_e32 v19, v19, v17
	v_lshlrev_b32_e32 v17, 25, v18
	v_cmp_gt_i64_e64 s[4:5], 0, v[16:17]
	v_not_b32_e32 v17, v17
	ds_write_b64 v8, v[4:5]
	v_lshlrev_b32_e32 v4, 3, v37
	v_ashrrev_i32_e32 v17, 31, v17
	ds_write_b64 v4, v[6:7]
	v_lshlrev_b32_e32 v4, 3, v38
	v_and_b32_e32 v35, v35, v36
	v_xor_b32_e32 v36, s5, v17
	v_xor_b32_e32 v17, s4, v17
	v_lshlrev_b32_e32 v66, 3, v66
	ds_write_b64 v4, v[0:1]
	v_lshlrev_b32_e32 v0, 3, v39
	v_and_b32_e32 v19, v19, v17
	v_lshlrev_b32_e32 v17, 24, v18
	ds_write_b64 v0, v[2:3]
	s_waitcnt lgkmcnt(0)
	s_barrier
	ds_read2st64_b64 v[12:15], v66 offset1:1
	ds_read2st64_b64 v[8:11], v66 offset0:2 offset1:3
	ds_read2st64_b64 v[4:7], v66 offset0:4 offset1:5
	;; [unrolled: 1-line block ×3, first 2 shown]
	s_waitcnt lgkmcnt(0)
	s_barrier
	ds_write2_b32 v64, v16, v16 offset0:4 offset1:5
	ds_write2_b32 v23, v16, v16 offset0:2 offset1:3
	v_cmp_gt_i64_e64 s[4:5], 0, v[16:17]
	v_not_b32_e32 v16, v17
	v_ashrrev_i32_e32 v16, 31, v16
	v_xor_b32_e32 v17, s5, v16
	v_xor_b32_e32 v16, s4, v16
	v_and_b32_e32 v35, v35, v36
	v_and_b32_e32 v16, v19, v16
	;; [unrolled: 1-line block ×3, first 2 shown]
	v_mbcnt_lo_u32_b32 v18, v16, 0
	v_mbcnt_hi_u32_b32 v35, v17, v18
	v_cmp_eq_u32_e64 s[4:5], 0, v35
	v_cmp_ne_u64_e64 s[44:45], 0, v[16:17]
	s_and_b64 s[44:45], s[44:45], s[4:5]
	s_waitcnt lgkmcnt(0)
	s_barrier
	s_waitcnt lgkmcnt(0)
	; wave barrier
	s_and_saveexec_b64 s[4:5], s[44:45]
	s_cbranch_execz .LBB171_110
; %bb.109:
	v_bcnt_u32_b32 v16, v16, 0
	v_bcnt_u32_b32 v16, v17, v16
	ds_write_b32 v32, v16 offset:16
.LBB171_110:
	s_or_b64 exec, exec, s[4:5]
	v_and_b32_sdwa v18, v30, s50 dst_sel:DWORD dst_unused:UNUSED_PAD src0_sel:BYTE_1 src1_sel:DWORD
	v_and_b32_e32 v17, 1, v18
	v_add_co_u32_e64 v19, s[4:5], -1, v17
	v_addc_co_u32_e64 v38, s[4:5], 0, -1, s[4:5]
	v_cmp_ne_u32_e64 s[4:5], 0, v17
	v_lshlrev_b32_e32 v16, 2, v18
	v_xor_b32_e32 v17, s5, v38
	v_add_lshl_u32 v37, v16, v22, 2
	v_mov_b32_e32 v16, 0
	v_and_b32_e32 v38, exec_hi, v17
	v_lshlrev_b32_e32 v17, 30, v18
	v_xor_b32_e32 v19, s4, v19
	v_cmp_gt_i64_e64 s[4:5], 0, v[16:17]
	v_not_b32_e32 v17, v17
	v_ashrrev_i32_e32 v17, 31, v17
	v_and_b32_e32 v19, exec_lo, v19
	v_xor_b32_e32 v39, s5, v17
	v_xor_b32_e32 v17, s4, v17
	v_and_b32_e32 v19, v19, v17
	v_lshlrev_b32_e32 v17, 29, v18
	v_cmp_gt_i64_e64 s[4:5], 0, v[16:17]
	v_not_b32_e32 v17, v17
	v_ashrrev_i32_e32 v17, 31, v17
	v_and_b32_e32 v38, v38, v39
	v_xor_b32_e32 v39, s5, v17
	v_xor_b32_e32 v17, s4, v17
	v_and_b32_e32 v19, v19, v17
	v_lshlrev_b32_e32 v17, 28, v18
	v_cmp_gt_i64_e64 s[4:5], 0, v[16:17]
	v_not_b32_e32 v17, v17
	v_ashrrev_i32_e32 v17, 31, v17
	v_and_b32_e32 v38, v38, v39
	;; [unrolled: 8-line block ×5, first 2 shown]
	v_xor_b32_e32 v39, s5, v17
	v_xor_b32_e32 v17, s4, v17
	v_and_b32_e32 v38, v38, v39
	v_and_b32_e32 v39, v19, v17
	v_lshlrev_b32_e32 v17, 24, v18
	v_cmp_gt_i64_e64 s[4:5], 0, v[16:17]
	v_not_b32_e32 v17, v17
	v_ashrrev_i32_e32 v17, 31, v17
	v_xor_b32_e32 v18, s5, v17
	v_xor_b32_e32 v17, s4, v17
	; wave barrier
	ds_read_b32 v36, v37 offset:16
	v_and_b32_e32 v19, v38, v18
	v_and_b32_e32 v18, v39, v17
	v_mbcnt_lo_u32_b32 v17, v18, 0
	v_mbcnt_hi_u32_b32 v38, v19, v17
	v_cmp_eq_u32_e64 s[4:5], 0, v38
	v_cmp_ne_u64_e64 s[44:45], 0, v[18:19]
	s_and_b64 s[44:45], s[44:45], s[4:5]
	; wave barrier
	s_and_saveexec_b64 s[4:5], s[44:45]
	s_cbranch_execz .LBB171_112
; %bb.111:
	v_bcnt_u32_b32 v17, v18, 0
	v_bcnt_u32_b32 v17, v19, v17
	s_waitcnt lgkmcnt(0)
	v_add_u32_e32 v17, v36, v17
	ds_write_b32 v37, v17 offset:16
.LBB171_112:
	s_or_b64 exec, exec, s[4:5]
	v_and_b32_sdwa v18, v29, s50 dst_sel:DWORD dst_unused:UNUSED_PAD src0_sel:BYTE_1 src1_sel:DWORD
	v_lshlrev_b32_e32 v17, 2, v18
	v_add_lshl_u32 v40, v17, v22, 2
	v_and_b32_e32 v17, 1, v18
	v_add_co_u32_e64 v19, s[4:5], -1, v17
	v_addc_co_u32_e64 v41, s[4:5], 0, -1, s[4:5]
	v_cmp_ne_u32_e64 s[4:5], 0, v17
	v_xor_b32_e32 v17, s5, v41
	v_and_b32_e32 v41, exec_hi, v17
	v_lshlrev_b32_e32 v17, 30, v18
	v_xor_b32_e32 v19, s4, v19
	v_cmp_gt_i64_e64 s[4:5], 0, v[16:17]
	v_not_b32_e32 v17, v17
	v_ashrrev_i32_e32 v17, 31, v17
	v_and_b32_e32 v19, exec_lo, v19
	v_xor_b32_e32 v46, s5, v17
	v_xor_b32_e32 v17, s4, v17
	v_and_b32_e32 v19, v19, v17
	v_lshlrev_b32_e32 v17, 29, v18
	v_cmp_gt_i64_e64 s[4:5], 0, v[16:17]
	v_not_b32_e32 v17, v17
	v_ashrrev_i32_e32 v17, 31, v17
	v_and_b32_e32 v41, v41, v46
	v_xor_b32_e32 v46, s5, v17
	v_xor_b32_e32 v17, s4, v17
	v_and_b32_e32 v19, v19, v17
	v_lshlrev_b32_e32 v17, 28, v18
	v_cmp_gt_i64_e64 s[4:5], 0, v[16:17]
	v_not_b32_e32 v17, v17
	v_ashrrev_i32_e32 v17, 31, v17
	v_and_b32_e32 v41, v41, v46
	;; [unrolled: 8-line block ×5, first 2 shown]
	v_xor_b32_e32 v46, s5, v17
	v_xor_b32_e32 v17, s4, v17
	v_and_b32_e32 v19, v19, v17
	v_lshlrev_b32_e32 v17, 24, v18
	v_cmp_gt_i64_e64 s[4:5], 0, v[16:17]
	v_not_b32_e32 v16, v17
	v_ashrrev_i32_e32 v16, 31, v16
	v_xor_b32_e32 v17, s5, v16
	v_xor_b32_e32 v16, s4, v16
	; wave barrier
	ds_read_b32 v39, v40 offset:16
	v_and_b32_e32 v41, v41, v46
	v_and_b32_e32 v16, v19, v16
	;; [unrolled: 1-line block ×3, first 2 shown]
	v_mbcnt_lo_u32_b32 v18, v16, 0
	v_mbcnt_hi_u32_b32 v41, v17, v18
	v_cmp_eq_u32_e64 s[4:5], 0, v41
	v_cmp_ne_u64_e64 s[44:45], 0, v[16:17]
	s_and_b64 s[44:45], s[44:45], s[4:5]
	; wave barrier
	s_and_saveexec_b64 s[4:5], s[44:45]
	s_cbranch_execz .LBB171_114
; %bb.113:
	v_bcnt_u32_b32 v16, v16, 0
	v_bcnt_u32_b32 v16, v17, v16
	s_waitcnt lgkmcnt(0)
	v_add_u32_e32 v16, v39, v16
	ds_write_b32 v40, v16 offset:16
.LBB171_114:
	s_or_b64 exec, exec, s[4:5]
	v_and_b32_sdwa v18, v28, s50 dst_sel:DWORD dst_unused:UNUSED_PAD src0_sel:BYTE_1 src1_sel:DWORD
	v_and_b32_e32 v17, 1, v18
	v_add_co_u32_e64 v19, s[4:5], -1, v17
	v_addc_co_u32_e64 v66, s[4:5], 0, -1, s[4:5]
	v_cmp_ne_u32_e64 s[4:5], 0, v17
	v_lshlrev_b32_e32 v16, 2, v18
	v_xor_b32_e32 v17, s5, v66
	v_add_lshl_u32 v65, v16, v22, 2
	v_mov_b32_e32 v16, 0
	v_and_b32_e32 v66, exec_hi, v17
	v_lshlrev_b32_e32 v17, 30, v18
	v_xor_b32_e32 v19, s4, v19
	v_cmp_gt_i64_e64 s[4:5], 0, v[16:17]
	v_not_b32_e32 v17, v17
	v_ashrrev_i32_e32 v17, 31, v17
	v_and_b32_e32 v19, exec_lo, v19
	v_xor_b32_e32 v67, s5, v17
	v_xor_b32_e32 v17, s4, v17
	v_and_b32_e32 v19, v19, v17
	v_lshlrev_b32_e32 v17, 29, v18
	v_cmp_gt_i64_e64 s[4:5], 0, v[16:17]
	v_not_b32_e32 v17, v17
	v_ashrrev_i32_e32 v17, 31, v17
	v_and_b32_e32 v66, v66, v67
	v_xor_b32_e32 v67, s5, v17
	v_xor_b32_e32 v17, s4, v17
	v_and_b32_e32 v19, v19, v17
	v_lshlrev_b32_e32 v17, 28, v18
	v_cmp_gt_i64_e64 s[4:5], 0, v[16:17]
	v_not_b32_e32 v17, v17
	v_ashrrev_i32_e32 v17, 31, v17
	v_and_b32_e32 v66, v66, v67
	;; [unrolled: 8-line block ×5, first 2 shown]
	v_xor_b32_e32 v67, s5, v17
	v_xor_b32_e32 v17, s4, v17
	v_and_b32_e32 v66, v66, v67
	v_and_b32_e32 v67, v19, v17
	v_lshlrev_b32_e32 v17, 24, v18
	v_cmp_gt_i64_e64 s[4:5], 0, v[16:17]
	v_not_b32_e32 v17, v17
	v_ashrrev_i32_e32 v17, 31, v17
	v_xor_b32_e32 v18, s5, v17
	v_xor_b32_e32 v17, s4, v17
	; wave barrier
	ds_read_b32 v46, v65 offset:16
	v_and_b32_e32 v19, v66, v18
	v_and_b32_e32 v18, v67, v17
	v_mbcnt_lo_u32_b32 v17, v18, 0
	v_mbcnt_hi_u32_b32 v66, v19, v17
	v_cmp_eq_u32_e64 s[4:5], 0, v66
	v_cmp_ne_u64_e64 s[44:45], 0, v[18:19]
	s_and_b64 s[44:45], s[44:45], s[4:5]
	; wave barrier
	s_and_saveexec_b64 s[4:5], s[44:45]
	s_cbranch_execz .LBB171_116
; %bb.115:
	v_bcnt_u32_b32 v17, v18, 0
	v_bcnt_u32_b32 v17, v19, v17
	s_waitcnt lgkmcnt(0)
	v_add_u32_e32 v17, v46, v17
	ds_write_b32 v65, v17 offset:16
.LBB171_116:
	s_or_b64 exec, exec, s[4:5]
	v_and_b32_sdwa v18, v27, s50 dst_sel:DWORD dst_unused:UNUSED_PAD src0_sel:BYTE_1 src1_sel:DWORD
	v_lshlrev_b32_e32 v17, 2, v18
	v_add_lshl_u32 v68, v17, v22, 2
	v_and_b32_e32 v17, 1, v18
	v_add_co_u32_e64 v19, s[4:5], -1, v17
	v_addc_co_u32_e64 v69, s[4:5], 0, -1, s[4:5]
	v_cmp_ne_u32_e64 s[4:5], 0, v17
	v_xor_b32_e32 v17, s5, v69
	v_and_b32_e32 v69, exec_hi, v17
	v_lshlrev_b32_e32 v17, 30, v18
	v_xor_b32_e32 v19, s4, v19
	v_cmp_gt_i64_e64 s[4:5], 0, v[16:17]
	v_not_b32_e32 v17, v17
	v_ashrrev_i32_e32 v17, 31, v17
	v_and_b32_e32 v19, exec_lo, v19
	v_xor_b32_e32 v70, s5, v17
	v_xor_b32_e32 v17, s4, v17
	v_and_b32_e32 v19, v19, v17
	v_lshlrev_b32_e32 v17, 29, v18
	v_cmp_gt_i64_e64 s[4:5], 0, v[16:17]
	v_not_b32_e32 v17, v17
	v_ashrrev_i32_e32 v17, 31, v17
	v_and_b32_e32 v69, v69, v70
	v_xor_b32_e32 v70, s5, v17
	v_xor_b32_e32 v17, s4, v17
	v_and_b32_e32 v19, v19, v17
	v_lshlrev_b32_e32 v17, 28, v18
	v_cmp_gt_i64_e64 s[4:5], 0, v[16:17]
	v_not_b32_e32 v17, v17
	v_ashrrev_i32_e32 v17, 31, v17
	v_and_b32_e32 v69, v69, v70
	;; [unrolled: 8-line block ×5, first 2 shown]
	v_xor_b32_e32 v70, s5, v17
	v_xor_b32_e32 v17, s4, v17
	v_and_b32_e32 v19, v19, v17
	v_lshlrev_b32_e32 v17, 24, v18
	v_cmp_gt_i64_e64 s[4:5], 0, v[16:17]
	v_not_b32_e32 v16, v17
	v_ashrrev_i32_e32 v16, 31, v16
	v_xor_b32_e32 v17, s5, v16
	v_xor_b32_e32 v16, s4, v16
	; wave barrier
	ds_read_b32 v67, v68 offset:16
	v_and_b32_e32 v69, v69, v70
	v_and_b32_e32 v16, v19, v16
	v_and_b32_e32 v17, v69, v17
	v_mbcnt_lo_u32_b32 v18, v16, 0
	v_mbcnt_hi_u32_b32 v69, v17, v18
	v_cmp_eq_u32_e64 s[4:5], 0, v69
	v_cmp_ne_u64_e64 s[44:45], 0, v[16:17]
	s_and_b64 s[44:45], s[44:45], s[4:5]
	; wave barrier
	s_and_saveexec_b64 s[4:5], s[44:45]
	s_cbranch_execz .LBB171_118
; %bb.117:
	v_bcnt_u32_b32 v16, v16, 0
	v_bcnt_u32_b32 v16, v17, v16
	s_waitcnt lgkmcnt(0)
	v_add_u32_e32 v16, v67, v16
	ds_write_b32 v68, v16 offset:16
.LBB171_118:
	s_or_b64 exec, exec, s[4:5]
	v_and_b32_sdwa v18, v26, s50 dst_sel:DWORD dst_unused:UNUSED_PAD src0_sel:BYTE_1 src1_sel:DWORD
	v_and_b32_e32 v17, 1, v18
	v_add_co_u32_e64 v19, s[4:5], -1, v17
	v_addc_co_u32_e64 v72, s[4:5], 0, -1, s[4:5]
	v_cmp_ne_u32_e64 s[4:5], 0, v17
	v_lshlrev_b32_e32 v16, 2, v18
	v_xor_b32_e32 v17, s5, v72
	v_add_lshl_u32 v71, v16, v22, 2
	v_mov_b32_e32 v16, 0
	v_and_b32_e32 v72, exec_hi, v17
	v_lshlrev_b32_e32 v17, 30, v18
	v_xor_b32_e32 v19, s4, v19
	v_cmp_gt_i64_e64 s[4:5], 0, v[16:17]
	v_not_b32_e32 v17, v17
	v_ashrrev_i32_e32 v17, 31, v17
	v_and_b32_e32 v19, exec_lo, v19
	v_xor_b32_e32 v73, s5, v17
	v_xor_b32_e32 v17, s4, v17
	v_and_b32_e32 v19, v19, v17
	v_lshlrev_b32_e32 v17, 29, v18
	v_cmp_gt_i64_e64 s[4:5], 0, v[16:17]
	v_not_b32_e32 v17, v17
	v_ashrrev_i32_e32 v17, 31, v17
	v_and_b32_e32 v72, v72, v73
	v_xor_b32_e32 v73, s5, v17
	v_xor_b32_e32 v17, s4, v17
	v_and_b32_e32 v19, v19, v17
	v_lshlrev_b32_e32 v17, 28, v18
	v_cmp_gt_i64_e64 s[4:5], 0, v[16:17]
	v_not_b32_e32 v17, v17
	v_ashrrev_i32_e32 v17, 31, v17
	v_and_b32_e32 v72, v72, v73
	;; [unrolled: 8-line block ×5, first 2 shown]
	v_xor_b32_e32 v73, s5, v17
	v_xor_b32_e32 v17, s4, v17
	v_and_b32_e32 v72, v72, v73
	v_and_b32_e32 v73, v19, v17
	v_lshlrev_b32_e32 v17, 24, v18
	v_cmp_gt_i64_e64 s[4:5], 0, v[16:17]
	v_not_b32_e32 v17, v17
	v_ashrrev_i32_e32 v17, 31, v17
	v_xor_b32_e32 v18, s5, v17
	v_xor_b32_e32 v17, s4, v17
	; wave barrier
	ds_read_b32 v70, v71 offset:16
	v_and_b32_e32 v19, v72, v18
	v_and_b32_e32 v18, v73, v17
	v_mbcnt_lo_u32_b32 v17, v18, 0
	v_mbcnt_hi_u32_b32 v72, v19, v17
	v_cmp_eq_u32_e64 s[4:5], 0, v72
	v_cmp_ne_u64_e64 s[44:45], 0, v[18:19]
	s_and_b64 s[44:45], s[44:45], s[4:5]
	; wave barrier
	s_and_saveexec_b64 s[4:5], s[44:45]
	s_cbranch_execz .LBB171_120
; %bb.119:
	v_bcnt_u32_b32 v17, v18, 0
	v_bcnt_u32_b32 v17, v19, v17
	s_waitcnt lgkmcnt(0)
	v_add_u32_e32 v17, v70, v17
	ds_write_b32 v71, v17 offset:16
.LBB171_120:
	s_or_b64 exec, exec, s[4:5]
	v_and_b32_sdwa v18, v25, s50 dst_sel:DWORD dst_unused:UNUSED_PAD src0_sel:BYTE_1 src1_sel:DWORD
	v_lshlrev_b32_e32 v17, 2, v18
	v_add_lshl_u32 v74, v17, v22, 2
	v_and_b32_e32 v17, 1, v18
	v_add_co_u32_e64 v19, s[4:5], -1, v17
	v_addc_co_u32_e64 v75, s[4:5], 0, -1, s[4:5]
	v_cmp_ne_u32_e64 s[4:5], 0, v17
	v_xor_b32_e32 v17, s5, v75
	v_and_b32_e32 v75, exec_hi, v17
	v_lshlrev_b32_e32 v17, 30, v18
	v_xor_b32_e32 v19, s4, v19
	v_cmp_gt_i64_e64 s[4:5], 0, v[16:17]
	v_not_b32_e32 v17, v17
	v_ashrrev_i32_e32 v17, 31, v17
	v_and_b32_e32 v19, exec_lo, v19
	v_xor_b32_e32 v76, s5, v17
	v_xor_b32_e32 v17, s4, v17
	v_and_b32_e32 v19, v19, v17
	v_lshlrev_b32_e32 v17, 29, v18
	v_cmp_gt_i64_e64 s[4:5], 0, v[16:17]
	v_not_b32_e32 v17, v17
	v_ashrrev_i32_e32 v17, 31, v17
	v_and_b32_e32 v75, v75, v76
	v_xor_b32_e32 v76, s5, v17
	v_xor_b32_e32 v17, s4, v17
	v_and_b32_e32 v19, v19, v17
	v_lshlrev_b32_e32 v17, 28, v18
	v_cmp_gt_i64_e64 s[4:5], 0, v[16:17]
	v_not_b32_e32 v17, v17
	v_ashrrev_i32_e32 v17, 31, v17
	v_and_b32_e32 v75, v75, v76
	;; [unrolled: 8-line block ×5, first 2 shown]
	v_xor_b32_e32 v76, s5, v17
	v_xor_b32_e32 v17, s4, v17
	v_and_b32_e32 v19, v19, v17
	v_lshlrev_b32_e32 v17, 24, v18
	v_cmp_gt_i64_e64 s[4:5], 0, v[16:17]
	v_not_b32_e32 v16, v17
	v_ashrrev_i32_e32 v16, 31, v16
	v_xor_b32_e32 v17, s5, v16
	v_xor_b32_e32 v16, s4, v16
	; wave barrier
	ds_read_b32 v73, v74 offset:16
	v_and_b32_e32 v75, v75, v76
	v_and_b32_e32 v16, v19, v16
	;; [unrolled: 1-line block ×3, first 2 shown]
	v_mbcnt_lo_u32_b32 v18, v16, 0
	v_mbcnt_hi_u32_b32 v75, v17, v18
	v_cmp_eq_u32_e64 s[4:5], 0, v75
	v_cmp_ne_u64_e64 s[44:45], 0, v[16:17]
	s_and_b64 s[44:45], s[44:45], s[4:5]
	; wave barrier
	s_and_saveexec_b64 s[4:5], s[44:45]
	s_cbranch_execz .LBB171_122
; %bb.121:
	v_bcnt_u32_b32 v16, v16, 0
	v_bcnt_u32_b32 v16, v17, v16
	s_waitcnt lgkmcnt(0)
	v_add_u32_e32 v16, v73, v16
	ds_write_b32 v74, v16 offset:16
.LBB171_122:
	s_or_b64 exec, exec, s[4:5]
	v_and_b32_sdwa v18, v20, s50 dst_sel:DWORD dst_unused:UNUSED_PAD src0_sel:BYTE_1 src1_sel:DWORD
	v_and_b32_e32 v17, 1, v18
	v_add_co_u32_e64 v19, s[4:5], -1, v17
	v_addc_co_u32_e64 v77, s[4:5], 0, -1, s[4:5]
	v_cmp_ne_u32_e64 s[4:5], 0, v17
	v_lshlrev_b32_e32 v16, 2, v18
	v_xor_b32_e32 v17, s5, v77
	v_add_lshl_u32 v76, v16, v22, 2
	v_mov_b32_e32 v16, 0
	v_and_b32_e32 v77, exec_hi, v17
	v_lshlrev_b32_e32 v17, 30, v18
	v_xor_b32_e32 v19, s4, v19
	v_cmp_gt_i64_e64 s[4:5], 0, v[16:17]
	v_not_b32_e32 v17, v17
	v_ashrrev_i32_e32 v17, 31, v17
	v_and_b32_e32 v19, exec_lo, v19
	v_xor_b32_e32 v78, s5, v17
	v_xor_b32_e32 v17, s4, v17
	v_and_b32_e32 v19, v19, v17
	v_lshlrev_b32_e32 v17, 29, v18
	v_cmp_gt_i64_e64 s[4:5], 0, v[16:17]
	v_not_b32_e32 v17, v17
	v_ashrrev_i32_e32 v17, 31, v17
	v_and_b32_e32 v77, v77, v78
	v_xor_b32_e32 v78, s5, v17
	v_xor_b32_e32 v17, s4, v17
	v_and_b32_e32 v19, v19, v17
	v_lshlrev_b32_e32 v17, 28, v18
	v_cmp_gt_i64_e64 s[4:5], 0, v[16:17]
	v_not_b32_e32 v17, v17
	v_ashrrev_i32_e32 v17, 31, v17
	v_and_b32_e32 v77, v77, v78
	;; [unrolled: 8-line block ×5, first 2 shown]
	v_xor_b32_e32 v78, s5, v17
	v_xor_b32_e32 v17, s4, v17
	v_and_b32_e32 v19, v19, v17
	v_lshlrev_b32_e32 v17, 24, v18
	v_cmp_gt_i64_e64 s[4:5], 0, v[16:17]
	v_not_b32_e32 v16, v17
	v_ashrrev_i32_e32 v16, 31, v16
	v_xor_b32_e32 v17, s5, v16
	v_xor_b32_e32 v16, s4, v16
	; wave barrier
	ds_read_b32 v22, v76 offset:16
	v_and_b32_e32 v77, v77, v78
	v_and_b32_e32 v16, v19, v16
	v_and_b32_e32 v17, v77, v17
	v_mbcnt_lo_u32_b32 v18, v16, 0
	v_mbcnt_hi_u32_b32 v77, v17, v18
	v_cmp_eq_u32_e64 s[4:5], 0, v77
	v_cmp_ne_u64_e64 s[44:45], 0, v[16:17]
	s_and_b64 s[44:45], s[44:45], s[4:5]
	; wave barrier
	s_and_saveexec_b64 s[4:5], s[44:45]
	s_cbranch_execz .LBB171_124
; %bb.123:
	v_bcnt_u32_b32 v16, v16, 0
	v_bcnt_u32_b32 v16, v17, v16
	s_waitcnt lgkmcnt(0)
	v_add_u32_e32 v16, v22, v16
	ds_write_b32 v76, v16 offset:16
.LBB171_124:
	s_or_b64 exec, exec, s[4:5]
	; wave barrier
	s_waitcnt lgkmcnt(0)
	s_barrier
	ds_read2_b32 v[18:19], v64 offset0:4 offset1:5
	ds_read2_b32 v[16:17], v23 offset0:2 offset1:3
	s_waitcnt lgkmcnt(1)
	v_add_u32_e32 v78, v19, v18
	s_waitcnt lgkmcnt(0)
	v_add3_u32 v17, v78, v16, v17
	s_nop 1
	v_mov_b32_dpp v78, v17 row_shr:1 row_mask:0xf bank_mask:0xf
	v_cndmask_b32_e64 v78, v78, 0, s[22:23]
	v_add_u32_e32 v17, v78, v17
	s_nop 1
	v_mov_b32_dpp v78, v17 row_shr:2 row_mask:0xf bank_mask:0xf
	v_cndmask_b32_e64 v78, 0, v78, s[24:25]
	v_add_u32_e32 v17, v17, v78
	;; [unrolled: 4-line block ×4, first 2 shown]
	s_nop 1
	v_mov_b32_dpp v78, v17 row_bcast:15 row_mask:0xf bank_mask:0xf
	v_cndmask_b32_e64 v78, v78, 0, vcc
	v_add_u32_e32 v17, v17, v78
	s_nop 1
	v_mov_b32_dpp v78, v17 row_bcast:31 row_mask:0xf bank_mask:0xf
	v_cndmask_b32_e64 v78, 0, v78, s[34:35]
	v_add_u32_e32 v17, v17, v78
	s_and_saveexec_b64 s[4:5], s[16:17]
	s_cbranch_execz .LBB171_126
; %bb.125:
	ds_write_b32 v24, v17
.LBB171_126:
	s_or_b64 exec, exec, s[4:5]
	s_waitcnt lgkmcnt(0)
	s_barrier
	s_and_saveexec_b64 s[4:5], s[26:27]
	s_cbranch_execz .LBB171_128
; %bb.127:
	ds_read_b32 v24, v21
	s_waitcnt lgkmcnt(0)
	s_nop 0
	v_mov_b32_dpp v78, v24 row_shr:1 row_mask:0xf bank_mask:0xf
	v_cndmask_b32_e64 v78, v78, 0, s[20:21]
	v_add_u32_e32 v24, v78, v24
	s_nop 1
	v_mov_b32_dpp v78, v24 row_shr:2 row_mask:0xf bank_mask:0xf
	v_cndmask_b32_e64 v78, 0, v78, s[18:19]
	v_add_u32_e32 v24, v24, v78
	ds_write_b32 v21, v24
.LBB171_128:
	s_or_b64 exec, exec, s[4:5]
	v_mov_b32_e32 v21, 0
	s_waitcnt lgkmcnt(0)
	s_barrier
	s_and_saveexec_b64 s[4:5], s[36:37]
	s_cbranch_execz .LBB171_130
; %bb.129:
	ds_read_b32 v21, v33
.LBB171_130:
	s_or_b64 exec, exec, s[4:5]
	s_waitcnt lgkmcnt(0)
	v_add_u32_e32 v17, v21, v17
	ds_bpermute_b32 v17, v34, v17
	v_lshlrev_b32_e32 v34, 3, v62
	s_waitcnt lgkmcnt(0)
	v_cndmask_b32_e64 v17, v17, v21, s[38:39]
	v_cndmask_b32_e64 v17, v17, 0, s[40:41]
	v_add_u32_e32 v18, v17, v18
	v_add_u32_e32 v19, v18, v19
	v_add_u32_e32 v16, v19, v16
	ds_write2_b32 v64, v17, v18 offset0:4 offset1:5
	ds_write2_b32 v23, v19, v16 offset0:2 offset1:3
	s_waitcnt lgkmcnt(0)
	s_barrier
	ds_read_b32 v16, v76 offset:16
	ds_read_b32 v17, v74 offset:16
	;; [unrolled: 1-line block ×4, first 2 shown]
	s_waitcnt lgkmcnt(3)
	v_add3_u32 v16, v77, v22, v16
	ds_read_b32 v21, v65 offset:16
	ds_read_b32 v22, v40 offset:16
	ds_read_b32 v23, v37 offset:16
	ds_read_b32 v24, v32 offset:16
	s_waitcnt lgkmcnt(0)
	s_barrier
	v_add3_u32 v22, v41, v39, v22
	v_add3_u32 v23, v38, v36, v23
	v_add_u32_e32 v24, v24, v35
	v_lshlrev_b32_e32 v32, 1, v24
	ds_write_b16 v32, v31
	v_lshlrev_b32_e32 v31, 1, v23
	v_add3_u32 v21, v66, v46, v21
	ds_write_b16 v31, v30
	v_lshlrev_b32_e32 v30, 1, v22
	v_add3_u32 v19, v69, v67, v19
	;; [unrolled: 3-line block ×4, first 2 shown]
	ds_write_b16 v28, v27
	v_lshlrev_b32_e32 v27, 1, v18
	ds_write_b16 v27, v26
	v_lshlrev_b32_e32 v26, 1, v17
	;; [unrolled: 2-line block ×4, first 2 shown]
	v_lshlrev_b32_e32 v24, 3, v24
	v_lshlrev_b32_e32 v23, 3, v23
	;; [unrolled: 1-line block ×7, first 2 shown]
	s_waitcnt lgkmcnt(0)
	s_barrier
	v_lshlrev_b32_e32 v21, 3, v21
	ds_read_b128 v[16:19], v20
	s_waitcnt lgkmcnt(0)
	s_barrier
	ds_write_b64 v24, v[12:13]
	ds_write_b64 v23, v[14:15]
	;; [unrolled: 1-line block ×8, first 2 shown]
	s_waitcnt lgkmcnt(0)
	s_barrier
	ds_read2_b64 v[22:25], v34 offset1:1
	ds_read2_b64 v[26:29], v34 offset0:2 offset1:3
	ds_read2_b64 v[30:33], v34 offset0:4 offset1:5
	;; [unrolled: 1-line block ×3, first 2 shown]
	v_xor_b32_e32 v38, 0x7fff7fff, v16
	v_xor_b32_e32 v39, 0x7fff7fff, v17
	;; [unrolled: 1-line block ×4, first 2 shown]
.LBB171_131:
	s_waitcnt lgkmcnt(0)
	s_barrier
	ds_write_b128 v54, v[38:41]
	s_waitcnt lgkmcnt(0)
	s_barrier
	ds_read_u16 v8, v43 offset:512
	ds_read_u16 v7, v48 offset:1024
	;; [unrolled: 1-line block ×7, first 2 shown]
	v_mov_b32_e32 v43, 0
	v_lshlrev_b64 v[0:1], 1, v[42:43]
	v_mov_b32_e32 v9, s47
	v_add_co_u32_e32 v0, vcc, s33, v0
	v_addc_co_u32_e32 v1, vcc, v9, v1, vcc
	s_and_saveexec_b64 s[4:5], s[0:1]
	s_cbranch_execnz .LBB171_150
; %bb.132:
	s_or_b64 exec, exec, s[4:5]
	s_and_saveexec_b64 s[4:5], s[2:3]
	s_cbranch_execnz .LBB171_151
.LBB171_133:
	s_or_b64 exec, exec, s[4:5]
	s_and_saveexec_b64 s[4:5], s[42:43]
	s_cbranch_execnz .LBB171_152
.LBB171_134:
	s_or_b64 exec, exec, s[4:5]
	s_and_saveexec_b64 s[4:5], s[6:7]
	s_cbranch_execnz .LBB171_153
.LBB171_135:
	s_or_b64 exec, exec, s[4:5]
	s_and_saveexec_b64 s[4:5], s[8:9]
	s_cbranch_execnz .LBB171_154
.LBB171_136:
	s_or_b64 exec, exec, s[4:5]
	s_and_saveexec_b64 s[4:5], s[10:11]
	s_cbranch_execnz .LBB171_155
.LBB171_137:
	s_or_b64 exec, exec, s[4:5]
	s_and_saveexec_b64 s[4:5], s[12:13]
	s_cbranch_execnz .LBB171_156
.LBB171_138:
	s_or_b64 exec, exec, s[4:5]
	s_and_saveexec_b64 s[4:5], s[14:15]
	s_cbranch_execz .LBB171_140
.LBB171_139:
	s_mul_i32 s16, s46, 0x700
	s_mov_b32 s17, 0
	s_lshl_b64 s[16:17], s[16:17], 1
	s_waitcnt lgkmcnt(1)
	v_mov_b32_e32 v3, s17
	v_add_co_u32_e32 v0, vcc, s16, v0
	v_addc_co_u32_e32 v1, vcc, v1, v3, vcc
	s_waitcnt lgkmcnt(0)
	global_store_short v[0:1], v2, off
.LBB171_140:
	s_or_b64 exec, exec, s[4:5]
	s_waitcnt lgkmcnt(0)
	s_barrier
	ds_write2_b64 v63, v[22:23], v[24:25] offset1:1
	ds_write2_b64 v63, v[26:27], v[28:29] offset0:2 offset1:3
	ds_write2_b64 v63, v[30:31], v[32:33] offset0:4 offset1:5
	;; [unrolled: 1-line block ×3, first 2 shown]
	s_waitcnt lgkmcnt(0)
	s_barrier
	ds_read_b64 v[14:15], v45 offset:2048
	ds_read_b64 v[12:13], v56 offset:4096
	ds_read_b64 v[10:11], v57 offset:6144
	ds_read_b64 v[8:9], v58 offset:8192
	ds_read_b64 v[6:7], v59 offset:10240
	ds_read_b64 v[4:5], v60 offset:12288
	ds_read_b64 v[0:1], v61 offset:14336
	v_mov_b32_e32 v45, 0
	v_lshlrev_b64 v[2:3], 3, v[44:45]
	v_mov_b32_e32 v16, s52
	v_add_co_u32_e32 v2, vcc, s49, v2
	v_addc_co_u32_e32 v3, vcc, v16, v3, vcc
	s_and_saveexec_b64 s[4:5], s[0:1]
	s_cbranch_execnz .LBB171_157
; %bb.141:
	s_or_b64 exec, exec, s[4:5]
	s_and_saveexec_b64 s[0:1], s[2:3]
	s_cbranch_execnz .LBB171_158
.LBB171_142:
	s_or_b64 exec, exec, s[0:1]
	s_and_saveexec_b64 s[0:1], s[42:43]
	s_cbranch_execnz .LBB171_159
.LBB171_143:
	s_or_b64 exec, exec, s[0:1]
	s_and_saveexec_b64 s[0:1], s[6:7]
	s_cbranch_execnz .LBB171_160
.LBB171_144:
	s_or_b64 exec, exec, s[0:1]
	s_and_saveexec_b64 s[0:1], s[8:9]
	s_cbranch_execnz .LBB171_161
.LBB171_145:
	s_or_b64 exec, exec, s[0:1]
	s_and_saveexec_b64 s[0:1], s[10:11]
	s_cbranch_execnz .LBB171_162
.LBB171_146:
	s_or_b64 exec, exec, s[0:1]
	s_and_saveexec_b64 s[0:1], s[12:13]
	s_cbranch_execnz .LBB171_163
.LBB171_147:
	s_or_b64 exec, exec, s[0:1]
	s_and_saveexec_b64 s[0:1], s[14:15]
	s_cbranch_execz .LBB171_149
.LBB171_148:
	s_mul_i32 s0, s48, 0x700
	s_mov_b32 s1, 0
	s_lshl_b64 s[0:1], s[0:1], 3
	s_waitcnt lgkmcnt(1)
	v_mov_b32_e32 v4, s1
	v_add_co_u32_e32 v2, vcc, s0, v2
	v_addc_co_u32_e32 v3, vcc, v3, v4, vcc
	s_waitcnt lgkmcnt(0)
	global_store_dwordx2 v[2:3], v[0:1], off
.LBB171_149:
	s_endpgm
.LBB171_150:
	ds_read_u16 v9, v47
	s_waitcnt lgkmcnt(0)
	global_store_short v[0:1], v9, off
	s_or_b64 exec, exec, s[4:5]
	s_and_saveexec_b64 s[4:5], s[2:3]
	s_cbranch_execz .LBB171_133
.LBB171_151:
	s_lshl_b32 s16, s46, 8
	s_mov_b32 s17, 0
	s_lshl_b64 s[16:17], s[16:17], 1
	v_mov_b32_e32 v9, s17
	v_add_co_u32_e32 v10, vcc, s16, v0
	v_addc_co_u32_e32 v11, vcc, v1, v9, vcc
	s_waitcnt lgkmcnt(6)
	global_store_short v[10:11], v8, off
	s_or_b64 exec, exec, s[4:5]
	s_and_saveexec_b64 s[4:5], s[42:43]
	s_cbranch_execz .LBB171_134
.LBB171_152:
	s_lshl_b32 s16, s46, 9
	s_mov_b32 s17, 0
	s_lshl_b64 s[16:17], s[16:17], 1
	v_mov_b32_e32 v9, s17
	s_waitcnt lgkmcnt(6)
	v_add_co_u32_e32 v8, vcc, s16, v0
	v_addc_co_u32_e32 v9, vcc, v1, v9, vcc
	s_waitcnt lgkmcnt(5)
	global_store_short v[8:9], v7, off
	s_or_b64 exec, exec, s[4:5]
	s_and_saveexec_b64 s[4:5], s[6:7]
	s_cbranch_execz .LBB171_135
.LBB171_153:
	s_mul_i32 s16, s46, 0x300
	s_mov_b32 s17, 0
	s_lshl_b64 s[16:17], s[16:17], 1
	s_waitcnt lgkmcnt(5)
	v_mov_b32_e32 v7, s17
	v_add_co_u32_e32 v8, vcc, s16, v0
	v_addc_co_u32_e32 v9, vcc, v1, v7, vcc
	s_waitcnt lgkmcnt(4)
	global_store_short v[8:9], v6, off
	s_or_b64 exec, exec, s[4:5]
	s_and_saveexec_b64 s[4:5], s[8:9]
	s_cbranch_execz .LBB171_136
.LBB171_154:
	s_lshl_b32 s16, s46, 10
	s_mov_b32 s17, 0
	s_lshl_b64 s[16:17], s[16:17], 1
	s_waitcnt lgkmcnt(5)
	v_mov_b32_e32 v7, s17
	s_waitcnt lgkmcnt(4)
	v_add_co_u32_e32 v6, vcc, s16, v0
	v_addc_co_u32_e32 v7, vcc, v1, v7, vcc
	s_waitcnt lgkmcnt(3)
	global_store_short v[6:7], v5, off
	s_or_b64 exec, exec, s[4:5]
	s_and_saveexec_b64 s[4:5], s[10:11]
	s_cbranch_execz .LBB171_137
.LBB171_155:
	s_mul_i32 s16, s46, 0x500
	s_mov_b32 s17, 0
	s_lshl_b64 s[16:17], s[16:17], 1
	s_waitcnt lgkmcnt(3)
	v_mov_b32_e32 v5, s17
	v_add_co_u32_e32 v6, vcc, s16, v0
	v_addc_co_u32_e32 v7, vcc, v1, v5, vcc
	s_waitcnt lgkmcnt(2)
	global_store_short v[6:7], v4, off
	s_or_b64 exec, exec, s[4:5]
	s_and_saveexec_b64 s[4:5], s[12:13]
	s_cbranch_execz .LBB171_138
.LBB171_156:
	s_mul_i32 s16, s46, 0x600
	s_mov_b32 s17, 0
	s_lshl_b64 s[16:17], s[16:17], 1
	s_waitcnt lgkmcnt(3)
	v_mov_b32_e32 v5, s17
	s_waitcnt lgkmcnt(2)
	v_add_co_u32_e32 v4, vcc, s16, v0
	v_addc_co_u32_e32 v5, vcc, v1, v5, vcc
	s_waitcnt lgkmcnt(1)
	global_store_short v[4:5], v3, off
	s_or_b64 exec, exec, s[4:5]
	s_and_saveexec_b64 s[4:5], s[14:15]
	s_cbranch_execnz .LBB171_139
	s_branch .LBB171_140
.LBB171_157:
	ds_read_b64 v[16:17], v55
	s_waitcnt lgkmcnt(0)
	global_store_dwordx2 v[2:3], v[16:17], off
	s_or_b64 exec, exec, s[4:5]
	s_and_saveexec_b64 s[0:1], s[2:3]
	s_cbranch_execz .LBB171_142
.LBB171_158:
	s_lshl_b32 s2, s48, 8
	s_mov_b32 s3, 0
	s_lshl_b64 s[2:3], s[2:3], 3
	v_mov_b32_e32 v17, s3
	v_add_co_u32_e32 v16, vcc, s2, v2
	v_addc_co_u32_e32 v17, vcc, v3, v17, vcc
	s_waitcnt lgkmcnt(6)
	global_store_dwordx2 v[16:17], v[14:15], off
	s_or_b64 exec, exec, s[0:1]
	s_and_saveexec_b64 s[0:1], s[42:43]
	s_cbranch_execz .LBB171_143
.LBB171_159:
	s_lshl_b32 s2, s48, 9
	s_mov_b32 s3, 0
	s_lshl_b64 s[2:3], s[2:3], 3
	s_waitcnt lgkmcnt(6)
	v_mov_b32_e32 v15, s3
	v_add_co_u32_e32 v14, vcc, s2, v2
	v_addc_co_u32_e32 v15, vcc, v3, v15, vcc
	s_waitcnt lgkmcnt(5)
	global_store_dwordx2 v[14:15], v[12:13], off
	s_or_b64 exec, exec, s[0:1]
	s_and_saveexec_b64 s[0:1], s[6:7]
	s_cbranch_execz .LBB171_144
.LBB171_160:
	s_mul_i32 s2, s48, 0x300
	s_mov_b32 s3, 0
	s_lshl_b64 s[2:3], s[2:3], 3
	s_waitcnt lgkmcnt(5)
	v_mov_b32_e32 v13, s3
	v_add_co_u32_e32 v12, vcc, s2, v2
	v_addc_co_u32_e32 v13, vcc, v3, v13, vcc
	s_waitcnt lgkmcnt(4)
	global_store_dwordx2 v[12:13], v[10:11], off
	s_or_b64 exec, exec, s[0:1]
	s_and_saveexec_b64 s[0:1], s[8:9]
	s_cbranch_execz .LBB171_145
.LBB171_161:
	s_lshl_b32 s2, s48, 10
	s_mov_b32 s3, 0
	s_lshl_b64 s[2:3], s[2:3], 3
	s_waitcnt lgkmcnt(4)
	v_mov_b32_e32 v11, s3
	v_add_co_u32_e32 v10, vcc, s2, v2
	v_addc_co_u32_e32 v11, vcc, v3, v11, vcc
	s_waitcnt lgkmcnt(3)
	global_store_dwordx2 v[10:11], v[8:9], off
	s_or_b64 exec, exec, s[0:1]
	s_and_saveexec_b64 s[0:1], s[10:11]
	s_cbranch_execz .LBB171_146
.LBB171_162:
	s_mul_i32 s2, s48, 0x500
	s_mov_b32 s3, 0
	s_lshl_b64 s[2:3], s[2:3], 3
	s_waitcnt lgkmcnt(3)
	v_mov_b32_e32 v9, s3
	v_add_co_u32_e32 v8, vcc, s2, v2
	v_addc_co_u32_e32 v9, vcc, v3, v9, vcc
	s_waitcnt lgkmcnt(2)
	global_store_dwordx2 v[8:9], v[6:7], off
	s_or_b64 exec, exec, s[0:1]
	s_and_saveexec_b64 s[0:1], s[12:13]
	s_cbranch_execz .LBB171_147
.LBB171_163:
	s_mul_i32 s2, s48, 0x600
	s_mov_b32 s3, 0
	s_lshl_b64 s[2:3], s[2:3], 3
	s_waitcnt lgkmcnt(2)
	v_mov_b32_e32 v7, s3
	v_add_co_u32_e32 v6, vcc, s2, v2
	v_addc_co_u32_e32 v7, vcc, v3, v7, vcc
	s_waitcnt lgkmcnt(1)
	global_store_dwordx2 v[6:7], v[4:5], off
	s_or_b64 exec, exec, s[0:1]
	s_and_saveexec_b64 s[0:1], s[14:15]
	s_cbranch_execnz .LBB171_148
	s_branch .LBB171_149
	.section	.rodata,"a",@progbits
	.p2align	6, 0x0
	.amdhsa_kernel _ZN2at6native18radixSortKVInPlaceILin1ELin1ELi256ELi8EsljEEvNS_4cuda6detail10TensorInfoIT3_T5_EES6_S6_S6_NS4_IT4_S6_EES6_b
		.amdhsa_group_segment_fixed_size 16896
		.amdhsa_private_segment_fixed_size 0
		.amdhsa_kernarg_size 712
		.amdhsa_user_sgpr_count 6
		.amdhsa_user_sgpr_private_segment_buffer 1
		.amdhsa_user_sgpr_dispatch_ptr 0
		.amdhsa_user_sgpr_queue_ptr 0
		.amdhsa_user_sgpr_kernarg_segment_ptr 1
		.amdhsa_user_sgpr_dispatch_id 0
		.amdhsa_user_sgpr_flat_scratch_init 0
		.amdhsa_user_sgpr_kernarg_preload_length 0
		.amdhsa_user_sgpr_kernarg_preload_offset 0
		.amdhsa_user_sgpr_private_segment_size 0
		.amdhsa_uses_dynamic_stack 0
		.amdhsa_system_sgpr_private_segment_wavefront_offset 0
		.amdhsa_system_sgpr_workgroup_id_x 1
		.amdhsa_system_sgpr_workgroup_id_y 1
		.amdhsa_system_sgpr_workgroup_id_z 1
		.amdhsa_system_sgpr_workgroup_info 0
		.amdhsa_system_vgpr_workitem_id 2
		.amdhsa_next_free_vgpr 113
		.amdhsa_next_free_sgpr 54
		.amdhsa_accum_offset 116
		.amdhsa_reserve_vcc 1
		.amdhsa_reserve_flat_scratch 0
		.amdhsa_float_round_mode_32 0
		.amdhsa_float_round_mode_16_64 0
		.amdhsa_float_denorm_mode_32 3
		.amdhsa_float_denorm_mode_16_64 3
		.amdhsa_dx10_clamp 1
		.amdhsa_ieee_mode 1
		.amdhsa_fp16_overflow 0
		.amdhsa_tg_split 0
		.amdhsa_exception_fp_ieee_invalid_op 0
		.amdhsa_exception_fp_denorm_src 0
		.amdhsa_exception_fp_ieee_div_zero 0
		.amdhsa_exception_fp_ieee_overflow 0
		.amdhsa_exception_fp_ieee_underflow 0
		.amdhsa_exception_fp_ieee_inexact 0
		.amdhsa_exception_int_div_zero 0
	.end_amdhsa_kernel
	.section	.text._ZN2at6native18radixSortKVInPlaceILin1ELin1ELi256ELi8EsljEEvNS_4cuda6detail10TensorInfoIT3_T5_EES6_S6_S6_NS4_IT4_S6_EES6_b,"axG",@progbits,_ZN2at6native18radixSortKVInPlaceILin1ELin1ELi256ELi8EsljEEvNS_4cuda6detail10TensorInfoIT3_T5_EES6_S6_S6_NS4_IT4_S6_EES6_b,comdat
.Lfunc_end171:
	.size	_ZN2at6native18radixSortKVInPlaceILin1ELin1ELi256ELi8EsljEEvNS_4cuda6detail10TensorInfoIT3_T5_EES6_S6_S6_NS4_IT4_S6_EES6_b, .Lfunc_end171-_ZN2at6native18radixSortKVInPlaceILin1ELin1ELi256ELi8EsljEEvNS_4cuda6detail10TensorInfoIT3_T5_EES6_S6_S6_NS4_IT4_S6_EES6_b
                                        ; -- End function
	.section	.AMDGPU.csdata,"",@progbits
; Kernel info:
; codeLenInByte = 20700
; NumSgprs: 58
; NumVgprs: 113
; NumAgprs: 0
; TotalNumVgprs: 113
; ScratchSize: 0
; MemoryBound: 0
; FloatMode: 240
; IeeeMode: 1
; LDSByteSize: 16896 bytes/workgroup (compile time only)
; SGPRBlocks: 7
; VGPRBlocks: 14
; NumSGPRsForWavesPerEU: 58
; NumVGPRsForWavesPerEU: 113
; AccumOffset: 116
; Occupancy: 3
; WaveLimiterHint : 1
; COMPUTE_PGM_RSRC2:SCRATCH_EN: 0
; COMPUTE_PGM_RSRC2:USER_SGPR: 6
; COMPUTE_PGM_RSRC2:TRAP_HANDLER: 0
; COMPUTE_PGM_RSRC2:TGID_X_EN: 1
; COMPUTE_PGM_RSRC2:TGID_Y_EN: 1
; COMPUTE_PGM_RSRC2:TGID_Z_EN: 1
; COMPUTE_PGM_RSRC2:TIDIG_COMP_CNT: 2
; COMPUTE_PGM_RSRC3_GFX90A:ACCUM_OFFSET: 28
; COMPUTE_PGM_RSRC3_GFX90A:TG_SPLIT: 0
	.section	.text._ZN2at6native18radixSortKVInPlaceILin1ELin1ELi128ELi8EsljEEvNS_4cuda6detail10TensorInfoIT3_T5_EES6_S6_S6_NS4_IT4_S6_EES6_b,"axG",@progbits,_ZN2at6native18radixSortKVInPlaceILin1ELin1ELi128ELi8EsljEEvNS_4cuda6detail10TensorInfoIT3_T5_EES6_S6_S6_NS4_IT4_S6_EES6_b,comdat
	.protected	_ZN2at6native18radixSortKVInPlaceILin1ELin1ELi128ELi8EsljEEvNS_4cuda6detail10TensorInfoIT3_T5_EES6_S6_S6_NS4_IT4_S6_EES6_b ; -- Begin function _ZN2at6native18radixSortKVInPlaceILin1ELin1ELi128ELi8EsljEEvNS_4cuda6detail10TensorInfoIT3_T5_EES6_S6_S6_NS4_IT4_S6_EES6_b
	.globl	_ZN2at6native18radixSortKVInPlaceILin1ELin1ELi128ELi8EsljEEvNS_4cuda6detail10TensorInfoIT3_T5_EES6_S6_S6_NS4_IT4_S6_EES6_b
	.p2align	8
	.type	_ZN2at6native18radixSortKVInPlaceILin1ELin1ELi128ELi8EsljEEvNS_4cuda6detail10TensorInfoIT3_T5_EES6_S6_S6_NS4_IT4_S6_EES6_b,@function
_ZN2at6native18radixSortKVInPlaceILin1ELin1ELi128ELi8EsljEEvNS_4cuda6detail10TensorInfoIT3_T5_EES6_S6_S6_NS4_IT4_S6_EES6_b: ; @_ZN2at6native18radixSortKVInPlaceILin1ELin1ELi128ELi8EsljEEvNS_4cuda6detail10TensorInfoIT3_T5_EES6_S6_S6_NS4_IT4_S6_EES6_b
; %bb.0:
	s_load_dwordx2 s[0:1], s[4:5], 0x1c8
	s_load_dwordx4 s[44:47], s[4:5], 0xd8
	s_add_u32 s50, s4, 0x1c8
	s_addc_u32 s51, s5, 0
	s_waitcnt lgkmcnt(0)
	s_mul_i32 s1, s1, s8
	s_add_i32 s1, s1, s7
	s_mul_i32 s0, s1, s0
	s_add_i32 s20, s0, s6
	s_cmp_ge_u32 s20, s44
	s_cbranch_scc1 .LBB172_149
; %bb.1:
	s_load_dword s2, s[4:5], 0xd0
	s_mov_b32 s1, 0
	s_mov_b32 s0, s20
	s_waitcnt lgkmcnt(0)
	s_cmp_lt_i32 s2, 2
	s_cbranch_scc1 .LBB172_4
; %bb.2:
	s_add_i32 s0, s2, -1
	s_add_i32 s6, s2, 1
	s_lshl_b64 s[2:3], s[0:1], 2
	s_add_u32 s0, s2, s4
	s_addc_u32 s3, s3, s5
	s_add_u32 s2, s0, 8
	s_addc_u32 s3, s3, 0
	s_mov_b32 s0, s20
.LBB172_3:                              ; =>This Inner Loop Header: Depth=1
	s_load_dword s7, s[2:3], 0x0
	s_load_dword s9, s[2:3], 0x64
	s_mov_b32 s8, s0
	s_waitcnt lgkmcnt(0)
	v_cvt_f32_u32_e32 v1, s7
	s_sub_i32 s0, 0, s7
	v_rcp_iflag_f32_e32 v1, v1
	v_mul_f32_e32 v1, 0x4f7ffffe, v1
	v_cvt_u32_f32_e32 v1, v1
	v_readfirstlane_b32 s10, v1
	s_mul_i32 s0, s0, s10
	s_mul_hi_u32 s0, s10, s0
	s_add_i32 s10, s10, s0
	s_mul_hi_u32 s0, s8, s10
	s_mul_i32 s10, s0, s7
	s_sub_i32 s10, s8, s10
	s_add_i32 s11, s0, 1
	s_sub_i32 s12, s10, s7
	s_cmp_ge_u32 s10, s7
	s_cselect_b32 s0, s11, s0
	s_cselect_b32 s10, s12, s10
	s_add_i32 s11, s0, 1
	s_cmp_ge_u32 s10, s7
	s_cselect_b32 s0, s11, s0
	s_mul_i32 s7, s0, s7
	s_sub_i32 s7, s8, s7
	s_mul_i32 s7, s9, s7
	s_add_i32 s6, s6, -1
	s_add_i32 s1, s7, s1
	s_add_u32 s2, s2, -4
	s_addc_u32 s3, s3, -1
	s_cmp_gt_u32 s6, 2
	s_cbranch_scc1 .LBB172_3
.LBB172_4:
	s_load_dword s2, s[4:5], 0x1b8
	s_mov_b32 s17, 0
	s_waitcnt lgkmcnt(0)
	s_cmp_lt_i32 s2, 2
	s_cbranch_scc1 .LBB172_7
; %bb.5:
	s_add_i32 s16, s2, -1
	s_add_i32 s6, s2, 1
	s_lshl_b64 s[2:3], s[16:17], 2
	s_add_u32 s2, s2, s4
	s_addc_u32 s3, s3, s5
	s_add_u32 s2, s2, 0xf0
	s_addc_u32 s3, s3, 0
.LBB172_6:                              ; =>This Inner Loop Header: Depth=1
	s_load_dword s7, s[2:3], 0x0
	s_load_dword s9, s[2:3], 0x64
	s_mov_b32 s8, s20
	s_waitcnt lgkmcnt(0)
	v_cvt_f32_u32_e32 v1, s7
	s_sub_i32 s10, 0, s7
	v_rcp_iflag_f32_e32 v1, v1
	v_mul_f32_e32 v1, 0x4f7ffffe, v1
	v_cvt_u32_f32_e32 v1, v1
	v_readfirstlane_b32 s11, v1
	s_mul_i32 s10, s10, s11
	s_mul_hi_u32 s10, s11, s10
	s_add_i32 s11, s11, s10
	s_mul_hi_u32 s10, s20, s11
	s_mul_i32 s11, s10, s7
	s_sub_i32 s11, s20, s11
	s_add_i32 s12, s10, 1
	s_sub_i32 s13, s11, s7
	s_cmp_ge_u32 s11, s7
	s_cselect_b32 s10, s12, s10
	s_cselect_b32 s11, s13, s11
	s_add_i32 s12, s10, 1
	s_cmp_ge_u32 s11, s7
	s_cselect_b32 s20, s12, s10
	s_mul_i32 s7, s20, s7
	s_sub_i32 s7, s8, s7
	s_mul_i32 s7, s9, s7
	s_add_i32 s6, s6, -1
	s_add_i32 s17, s7, s17
	s_add_u32 s2, s2, -4
	s_addc_u32 s3, s3, -1
	s_cmp_gt_u32 s6, 2
	s_cbranch_scc1 .LBB172_6
.LBB172_7:
	s_load_dword s2, s[4:5], 0x6c
	s_load_dwordx2 s[48:49], s[4:5], 0x1c0
	s_mov_b32 s8, 0x8000
	v_and_b32_e32 v46, 0x3ff, v0
	v_mul_lo_u32 v42, v46, s46
	s_waitcnt lgkmcnt(0)
	s_mul_i32 s0, s2, s0
	s_add_i32 s0, s0, s1
	s_bitcmp1_b32 s49, 0
	s_load_dwordx2 s[2:3], s[4:5], 0x0
	s_cselect_b64 s[34:35], -1, 0
	s_and_b64 s[6:7], s[34:35], exec
	s_cselect_b32 s6, s8, 0x7fff
	s_mov_b32 s1, 0
	s_pack_ll_b32_b16 s8, s6, s6
	s_lshl_b64 s[0:1], s[0:1], 1
	s_mov_b32 s9, s8
	s_waitcnt lgkmcnt(0)
	s_add_u32 s33, s2, s0
	s_mov_b32 s10, s8
	s_mov_b32 s11, s8
	v_pk_mov_b32 v[2:3], s[8:9], s[8:9] op_sel:[0,1]
	s_addc_u32 s44, s3, s1
	v_cmp_gt_u32_e64 s[0:1], s45, v46
	v_pk_mov_b32 v[4:5], s[10:11], s[10:11] op_sel:[0,1]
	v_mov_b32_e32 v6, s6
	s_and_saveexec_b64 s[2:3], s[0:1]
	s_cbranch_execz .LBB172_9
; %bb.8:
	v_mov_b32_e32 v43, 0
	v_lshlrev_b64 v[2:3], 1, v[42:43]
	v_mov_b32_e32 v1, s44
	v_add_co_u32_e32 v2, vcc, s33, v2
	v_addc_co_u32_e32 v3, vcc, v1, v3, vcc
	global_load_ushort v6, v[2:3], off
	s_mov_b32 s6, 0xffff
	v_mov_b32_e32 v1, s8
	v_mov_b32_e32 v3, s8
	;; [unrolled: 1-line block ×4, first 2 shown]
	s_waitcnt vmcnt(0)
	v_bfi_b32 v2, s6, v6, v1
.LBB172_9:
	s_or_b64 exec, exec, s[2:3]
	v_add_u32_e32 v1, 0x80, v46
	v_cmp_gt_u32_e64 s[2:3], s45, v1
	s_and_saveexec_b64 s[6:7], s[2:3]
	s_cbranch_execz .LBB172_11
; %bb.10:
	v_mul_lo_u32 v8, v1, s46
	v_mov_b32_e32 v9, 0
	v_lshlrev_b64 v[8:9], 1, v[8:9]
	v_mov_b32_e32 v7, s44
	v_add_co_u32_e32 v8, vcc, s33, v8
	v_addc_co_u32_e32 v9, vcc, v7, v9, vcc
	global_load_ushort v7, v[8:9], off
	s_mov_b32 s8, 0x5040100
	s_waitcnt vmcnt(0)
	v_perm_b32 v2, v7, v2, s8
.LBB172_11:
	s_or_b64 exec, exec, s[6:7]
	v_add_u32_e32 v22, 0x100, v46
	v_cmp_gt_u32_e64 s[40:41], s45, v22
	s_and_saveexec_b64 s[6:7], s[40:41]
	s_cbranch_execz .LBB172_13
; %bb.12:
	v_mul_lo_u32 v8, v22, s46
	v_mov_b32_e32 v9, 0
	v_lshlrev_b64 v[8:9], 1, v[8:9]
	v_mov_b32_e32 v7, s44
	v_add_co_u32_e32 v8, vcc, s33, v8
	v_addc_co_u32_e32 v9, vcc, v7, v9, vcc
	global_load_ushort v7, v[8:9], off
	s_mov_b32 s8, 0xffff
	s_waitcnt vmcnt(0)
	v_bfi_b32 v3, s8, v7, v3
.LBB172_13:
	s_or_b64 exec, exec, s[6:7]
	v_add_u32_e32 v23, 0x180, v46
	v_cmp_gt_u32_e64 s[6:7], s45, v23
	s_and_saveexec_b64 s[8:9], s[6:7]
	s_cbranch_execz .LBB172_15
; %bb.14:
	v_mul_lo_u32 v8, v23, s46
	v_mov_b32_e32 v9, 0
	v_lshlrev_b64 v[8:9], 1, v[8:9]
	v_mov_b32_e32 v7, s44
	v_add_co_u32_e32 v8, vcc, s33, v8
	v_addc_co_u32_e32 v9, vcc, v7, v9, vcc
	global_load_ushort v7, v[8:9], off
	s_mov_b32 s10, 0x5040100
	s_waitcnt vmcnt(0)
	v_perm_b32 v3, v7, v3, s10
.LBB172_15:
	s_or_b64 exec, exec, s[8:9]
	v_add_u32_e32 v24, 0x200, v46
	v_cmp_gt_u32_e64 s[8:9], s45, v24
	s_and_saveexec_b64 s[10:11], s[8:9]
	s_cbranch_execz .LBB172_17
; %bb.16:
	v_mul_lo_u32 v8, v24, s46
	v_mov_b32_e32 v9, 0
	v_lshlrev_b64 v[8:9], 1, v[8:9]
	v_mov_b32_e32 v7, s44
	v_add_co_u32_e32 v8, vcc, s33, v8
	v_addc_co_u32_e32 v9, vcc, v7, v9, vcc
	global_load_ushort v7, v[8:9], off
	s_mov_b32 s12, 0xffff
	s_waitcnt vmcnt(0)
	v_bfi_b32 v4, s12, v7, v4
.LBB172_17:
	s_or_b64 exec, exec, s[10:11]
	v_add_u32_e32 v25, 0x280, v46
	v_cmp_gt_u32_e64 s[10:11], s45, v25
	s_and_saveexec_b64 s[12:13], s[10:11]
	s_cbranch_execz .LBB172_19
; %bb.18:
	v_mul_lo_u32 v8, v25, s46
	v_mov_b32_e32 v9, 0
	v_lshlrev_b64 v[8:9], 1, v[8:9]
	v_mov_b32_e32 v7, s44
	v_add_co_u32_e32 v8, vcc, s33, v8
	v_addc_co_u32_e32 v9, vcc, v7, v9, vcc
	global_load_ushort v7, v[8:9], off
	s_mov_b32 s14, 0x5040100
	s_waitcnt vmcnt(0)
	v_perm_b32 v4, v7, v4, s14
.LBB172_19:
	s_or_b64 exec, exec, s[12:13]
	s_load_dwordx2 s[18:19], s[4:5], 0xe8
	v_add_u32_e32 v26, 0x300, v46
	v_cmp_gt_u32_e64 s[12:13], s45, v26
	s_and_saveexec_b64 s[14:15], s[12:13]
	s_cbranch_execz .LBB172_21
; %bb.20:
	v_mul_lo_u32 v8, v26, s46
	v_mov_b32_e32 v9, 0
	v_lshlrev_b64 v[8:9], 1, v[8:9]
	v_mov_b32_e32 v7, s44
	v_add_co_u32_e32 v8, vcc, s33, v8
	v_addc_co_u32_e32 v9, vcc, v7, v9, vcc
	global_load_ushort v7, v[8:9], off
	s_mov_b32 s16, 0xffff
	s_waitcnt vmcnt(0)
	v_bfi_b32 v5, s16, v7, v5
.LBB172_21:
	s_or_b64 exec, exec, s[14:15]
	s_load_dword s16, s[4:5], 0x154
	v_add_u32_e32 v27, 0x380, v46
	v_cmp_gt_u32_e64 s[14:15], s45, v27
	s_and_saveexec_b64 s[4:5], s[14:15]
	s_cbranch_execz .LBB172_23
; %bb.22:
	v_mul_lo_u32 v8, v27, s46
	v_mov_b32_e32 v9, 0
	v_lshlrev_b64 v[8:9], 1, v[8:9]
	v_mov_b32_e32 v7, s44
	v_add_co_u32_e32 v8, vcc, s33, v8
	v_addc_co_u32_e32 v9, vcc, v7, v9, vcc
	global_load_ushort v7, v[8:9], off
	s_mov_b32 s21, 0x5040100
	s_waitcnt vmcnt(0)
	v_perm_b32 v5, v7, v5, s21
.LBB172_23:
	s_or_b64 exec, exec, s[4:5]
	v_lshrrev_b32_e32 v36, 5, v46
	v_and_b32_e32 v7, 30, v36
	v_add_lshl_u32 v47, v7, v46, 1
	v_lshrrev_b32_e32 v35, 5, v1
	ds_write_b16 v47, v6
	v_and_b32_e32 v6, 62, v35
	v_add_lshl_u32 v43, v6, v46, 1
	v_lshrrev_b32_e32 v34, 5, v22
	ds_write_b16_d16_hi v43, v2 offset:256
	v_and_b32_e32 v2, 62, v34
	v_lshrrev_b32_e32 v33, 5, v23
	v_add_lshl_u32 v48, v2, v46, 1
	v_and_b32_e32 v2, 62, v33
	v_lshrrev_b32_e32 v32, 5, v24
	v_add_lshl_u32 v49, v2, v46, 1
	;; [unrolled: 3-line block ×6, first 2 shown]
	v_lshlrev_b32_e32 v62, 3, v46
	v_and_b32_e32 v2, 0xfe, v30
	s_waitcnt lgkmcnt(0)
	s_mul_i32 s4, s16, s20
	v_add_lshl_u32 v54, v2, v62, 1
	s_add_i32 s16, s4, s17
	s_mov_b32 s17, 0
	ds_write_b16 v48, v3 offset:512
	ds_write_b16_d16_hi v49, v3 offset:768
	ds_write_b16 v50, v4 offset:1024
	ds_write_b16_d16_hi v51, v4 offset:1280
	;; [unrolled: 2-line block ×3, first 2 shown]
	s_waitcnt lgkmcnt(0)
	s_barrier
	ds_read_b128 v[18:21], v54
	s_lshl_b64 s[4:5], s[16:17], 3
	s_add_u32 s45, s18, s4
	s_mov_b32 s16, s17
	s_addc_u32 s47, s19, s5
	s_mov_b32 s18, s17
	s_mov_b32 s19, s17
	s_mov_b32 s20, s17
	s_mov_b32 s21, s17
	s_mov_b32 s22, s17
	s_mov_b32 s23, s17
	s_mov_b32 s24, s17
	s_mov_b32 s25, s17
	s_mov_b32 s26, s17
	s_mov_b32 s27, s17
	s_mov_b32 s28, s17
	s_mov_b32 s29, s17
	s_mov_b32 s30, s17
	s_mov_b32 s31, s17
	v_pk_mov_b32 v[2:3], s[16:17], s[16:17] op_sel:[0,1]
	v_pk_mov_b32 v[4:5], s[18:19], s[18:19] op_sel:[0,1]
	;; [unrolled: 1-line block ×8, first 2 shown]
	v_pk_mov_b32 v[2:3], 0, 0
	v_mul_lo_u32 v44, v46, s48
	s_waitcnt lgkmcnt(0)
	s_barrier
	s_and_saveexec_b64 s[4:5], s[0:1]
	s_cbranch_execnz .LBB172_78
; %bb.24:
	s_or_b64 exec, exec, s[4:5]
	s_and_saveexec_b64 s[4:5], s[2:3]
	s_cbranch_execnz .LBB172_79
.LBB172_25:
	s_or_b64 exec, exec, s[4:5]
	s_and_saveexec_b64 s[4:5], s[40:41]
	s_cbranch_execnz .LBB172_80
.LBB172_26:
	s_or_b64 exec, exec, s[4:5]
	s_and_saveexec_b64 s[4:5], s[6:7]
	s_cbranch_execnz .LBB172_81
.LBB172_27:
	s_or_b64 exec, exec, s[4:5]
	s_and_saveexec_b64 s[4:5], s[8:9]
	s_cbranch_execnz .LBB172_82
.LBB172_28:
	s_or_b64 exec, exec, s[4:5]
	s_and_saveexec_b64 s[4:5], s[10:11]
	s_cbranch_execnz .LBB172_83
.LBB172_29:
	s_or_b64 exec, exec, s[4:5]
	s_and_saveexec_b64 s[4:5], s[12:13]
	s_cbranch_execnz .LBB172_84
.LBB172_30:
	s_or_b64 exec, exec, s[4:5]
	s_xor_b64 s[4:5], s[34:35], -1
	s_and_saveexec_b64 s[16:17], s[14:15]
	s_cbranch_execz .LBB172_32
.LBB172_31:
	v_mul_lo_u32 v16, v27, s48
	v_mov_b32_e32 v17, 0
	v_lshlrev_b64 v[16:17], 3, v[16:17]
	v_mov_b32_e32 v1, s47
	v_add_co_u32_e32 v16, vcc, s45, v16
	v_addc_co_u32_e32 v17, vcc, v1, v17, vcc
	global_load_dwordx2 v[16:17], v[16:17], off
.LBB172_32:
	s_or_b64 exec, exec, s[16:17]
	v_add_lshl_u32 v55, v36, v46, 3
	v_add_lshl_u32 v45, v35, v46, 3
	;; [unrolled: 1-line block ×9, first 2 shown]
	s_waitcnt vmcnt(0)
	ds_write_b64 v55, v[2:3]
	ds_write_b64 v45, v[4:5] offset:1024
	ds_write_b64 v56, v[6:7] offset:2048
	;; [unrolled: 1-line block ×7, first 2 shown]
	s_waitcnt lgkmcnt(0)
	s_barrier
	ds_read2_b64 v[14:17], v63 offset1:1
	ds_read2_b64 v[10:13], v63 offset0:2 offset1:3
	ds_read2_b64 v[6:9], v63 offset0:4 offset1:5
	;; [unrolled: 1-line block ×3, first 2 shown]
	v_mbcnt_lo_u32_b32 v1, -1, 0
	v_mbcnt_hi_u32_b32 v65, -1, v1
	v_and_b32_e32 v67, 0x3c0, v46
	v_add_u32_e32 v1, v65, v67
	v_and_b32_e32 v66, 0x1e00, v62
	v_lshlrev_b32_e32 v22, 3, v1
	v_lshlrev_b32_e32 v73, 4, v1
	v_or_b32_e32 v1, v65, v66
	v_lshlrev_b32_e32 v72, 1, v1
	s_and_b64 vcc, exec, s[4:5]
	v_bfe_u32 v68, v0, 10, 10
	v_bfe_u32 v69, v0, 20, 10
	v_lshlrev_b32_e32 v71, 3, v22
	v_lshlrev_b32_e32 v70, 3, v1
	v_lshlrev_b32_e32 v64, 4, v46
	s_waitcnt lgkmcnt(0)
	s_barrier
	s_cbranch_vccz .LBB172_85
; %bb.33:
	s_movk_i32 s4, 0x8000
	v_xor_b32_e32 v0, 0xffff8000, v18
	v_xor_b32_sdwa v1, v18, s4 dst_sel:DWORD dst_unused:UNUSED_PAD src0_sel:WORD_1 src1_sel:DWORD
	v_xor_b32_e32 v22, 0xffff8000, v19
	v_xor_b32_sdwa v23, v19, s4 dst_sel:DWORD dst_unused:UNUSED_PAD src0_sel:WORD_1 src1_sel:DWORD
	;; [unrolled: 2-line block ×4, first 2 shown]
	s_mov_b32 s4, 0x5040100
	v_perm_b32 v25, v27, v25, s4
	v_perm_b32 v24, v26, v24, s4
	;; [unrolled: 1-line block ×4, first 2 shown]
	ds_write_b128 v73, v[22:25]
	; wave barrier
	ds_read_u16 v84, v72
	ds_read_u16 v83, v72 offset:128
	ds_read_u16 v82, v72 offset:256
	;; [unrolled: 1-line block ×7, first 2 shown]
	s_waitcnt lgkmcnt(0)
	s_barrier
	ds_write2_b64 v71, v[14:15], v[16:17] offset1:1
	ds_write2_b64 v71, v[10:11], v[12:13] offset0:2 offset1:3
	ds_write2_b64 v71, v[6:7], v[8:9] offset0:4 offset1:5
	;; [unrolled: 1-line block ×3, first 2 shown]
	; wave barrier
	ds_read2st64_b64 v[34:37], v70 offset1:1
	ds_read2st64_b64 v[30:33], v70 offset0:2 offset1:3
	ds_read2st64_b64 v[26:29], v70 offset0:4 offset1:5
	;; [unrolled: 1-line block ×3, first 2 shown]
	s_waitcnt lgkmcnt(0)
	s_barrier
	s_load_dword s16, s[50:51], 0xc
	s_getpc_b64 s[4:5]
	s_add_u32 s4, s4, _ZN7rocprim17ROCPRIM_400000_NS16block_radix_sortIsLj128ELj8ElLj1ELj1ELj0ELNS0_26block_radix_rank_algorithmE1ELNS0_18block_padding_hintE2ELNS0_4arch9wavefront6targetE1EE19radix_bits_per_passE@rel32@lo+4
	s_addc_u32 s5, s5, _ZN7rocprim17ROCPRIM_400000_NS16block_radix_sortIsLj128ELj8ElLj1ELj1ELj0ELNS0_26block_radix_rank_algorithmE1ELNS0_18block_padding_hintE2ELNS0_4arch9wavefront6targetE1EE19radix_bits_per_passE@rel32@hi+12
	s_load_dword s42, s[4:5], 0x0
	s_waitcnt lgkmcnt(0)
	s_lshr_b32 s4, s16, 16
	s_and_b32 s5, s16, 0xffff
	v_mad_u32_u24 v0, v69, s4, v68
	v_mad_u64_u32 v[0:1], s[4:5], v0, s5, v[46:47]
	s_min_u32 s4, s42, 16
	s_lshl_b32 s4, -1, s4
	s_not_b32 s16, s4
	v_and_b32_sdwa v38, s16, v84 dst_sel:DWORD dst_unused:UNUSED_PAD src0_sel:DWORD src1_sel:WORD_0
	v_lshrrev_b32_e32 v74, 6, v0
	v_lshlrev_b32_e32 v1, 1, v38
	v_add_lshl_u32 v87, v74, v1, 2
	v_and_b32_e32 v1, 1, v38
	v_add_co_u32_e32 v39, vcc, -1, v1
	v_addc_co_u32_e64 v40, s[4:5], 0, -1, vcc
	v_cmp_ne_u32_e32 vcc, 0, v1
	v_xor_b32_e32 v1, vcc_hi, v40
	v_mov_b32_e32 v0, 0
	v_and_b32_e32 v40, exec_hi, v1
	v_lshlrev_b32_e32 v1, 30, v38
	v_xor_b32_e32 v39, vcc_lo, v39
	v_cmp_gt_i64_e32 vcc, 0, v[0:1]
	v_not_b32_e32 v1, v1
	v_ashrrev_i32_e32 v1, 31, v1
	v_and_b32_e32 v39, exec_lo, v39
	v_xor_b32_e32 v41, vcc_hi, v1
	v_xor_b32_e32 v1, vcc_lo, v1
	v_and_b32_e32 v39, v39, v1
	v_lshlrev_b32_e32 v1, 29, v38
	v_cmp_gt_i64_e32 vcc, 0, v[0:1]
	v_not_b32_e32 v1, v1
	v_ashrrev_i32_e32 v1, 31, v1
	v_and_b32_e32 v40, v40, v41
	v_xor_b32_e32 v41, vcc_hi, v1
	v_xor_b32_e32 v1, vcc_lo, v1
	v_and_b32_e32 v39, v39, v1
	v_lshlrev_b32_e32 v1, 28, v38
	v_cmp_gt_i64_e32 vcc, 0, v[0:1]
	v_not_b32_e32 v1, v1
	v_ashrrev_i32_e32 v1, 31, v1
	v_and_b32_e32 v40, v40, v41
	;; [unrolled: 8-line block ×5, first 2 shown]
	v_xor_b32_e32 v41, vcc_hi, v1
	v_xor_b32_e32 v1, vcc_lo, v1
	v_and_b32_e32 v40, v40, v41
	v_and_b32_e32 v41, v39, v1
	v_lshlrev_b32_e32 v1, 24, v38
	v_cmp_gt_i64_e32 vcc, 0, v[0:1]
	v_not_b32_e32 v1, v1
	v_ashrrev_i32_e32 v1, 31, v1
	v_xor_b32_e32 v38, vcc_hi, v1
	v_xor_b32_e32 v1, vcc_lo, v1
	v_and_b32_e32 v39, v40, v38
	v_and_b32_e32 v38, v41, v1
	v_mbcnt_lo_u32_b32 v1, v38, 0
	v_mbcnt_hi_u32_b32 v88, v39, v1
	v_cmp_eq_u32_e32 vcc, 0, v88
	v_cmp_ne_u64_e64 s[4:5], 0, v[38:39]
	s_and_b64 s[18:19], s[4:5], vcc
	ds_write2_b32 v64, v0, v0 offset0:2 offset1:3
	ds_write2_b32 v64, v0, v0 offset0:4 offset1:5
	s_waitcnt lgkmcnt(0)
	s_barrier
	s_waitcnt lgkmcnt(0)
	; wave barrier
	s_and_saveexec_b64 s[4:5], s[18:19]
	s_cbranch_execz .LBB172_35
; %bb.34:
	v_bcnt_u32_b32 v1, v38, 0
	v_bcnt_u32_b32 v1, v39, v1
	ds_write_b32 v87, v1 offset:8
.LBB172_35:
	s_or_b64 exec, exec, s[4:5]
	v_and_b32_sdwa v38, s16, v83 dst_sel:DWORD dst_unused:UNUSED_PAD src0_sel:DWORD src1_sel:WORD_0
	v_lshlrev_b32_e32 v1, 1, v38
	v_add_lshl_u32 v90, v74, v1, 2
	v_and_b32_e32 v1, 1, v38
	v_add_co_u32_e32 v39, vcc, -1, v1
	v_addc_co_u32_e64 v40, s[4:5], 0, -1, vcc
	v_cmp_ne_u32_e32 vcc, 0, v1
	v_xor_b32_e32 v1, vcc_hi, v40
	v_and_b32_e32 v40, exec_hi, v1
	v_lshlrev_b32_e32 v1, 30, v38
	v_xor_b32_e32 v39, vcc_lo, v39
	v_cmp_gt_i64_e32 vcc, 0, v[0:1]
	v_not_b32_e32 v1, v1
	v_ashrrev_i32_e32 v1, 31, v1
	v_and_b32_e32 v39, exec_lo, v39
	v_xor_b32_e32 v41, vcc_hi, v1
	v_xor_b32_e32 v1, vcc_lo, v1
	v_and_b32_e32 v39, v39, v1
	v_lshlrev_b32_e32 v1, 29, v38
	v_cmp_gt_i64_e32 vcc, 0, v[0:1]
	v_not_b32_e32 v1, v1
	v_ashrrev_i32_e32 v1, 31, v1
	v_and_b32_e32 v40, v40, v41
	v_xor_b32_e32 v41, vcc_hi, v1
	v_xor_b32_e32 v1, vcc_lo, v1
	v_and_b32_e32 v39, v39, v1
	v_lshlrev_b32_e32 v1, 28, v38
	v_cmp_gt_i64_e32 vcc, 0, v[0:1]
	v_not_b32_e32 v1, v1
	v_ashrrev_i32_e32 v1, 31, v1
	v_and_b32_e32 v40, v40, v41
	;; [unrolled: 8-line block ×5, first 2 shown]
	v_xor_b32_e32 v41, vcc_hi, v1
	v_xor_b32_e32 v1, vcc_lo, v1
	v_and_b32_e32 v39, v39, v1
	v_lshlrev_b32_e32 v1, 24, v38
	v_cmp_gt_i64_e32 vcc, 0, v[0:1]
	v_not_b32_e32 v0, v1
	v_ashrrev_i32_e32 v0, 31, v0
	v_xor_b32_e32 v1, vcc_hi, v0
	v_xor_b32_e32 v0, vcc_lo, v0
	; wave barrier
	ds_read_b32 v89, v90 offset:8
	v_and_b32_e32 v40, v40, v41
	v_and_b32_e32 v0, v39, v0
	;; [unrolled: 1-line block ×3, first 2 shown]
	v_mbcnt_lo_u32_b32 v38, v0, 0
	v_mbcnt_hi_u32_b32 v91, v1, v38
	v_cmp_eq_u32_e32 vcc, 0, v91
	v_cmp_ne_u64_e64 s[4:5], 0, v[0:1]
	s_and_b64 s[18:19], s[4:5], vcc
	; wave barrier
	s_and_saveexec_b64 s[4:5], s[18:19]
	s_cbranch_execz .LBB172_37
; %bb.36:
	v_bcnt_u32_b32 v0, v0, 0
	v_bcnt_u32_b32 v0, v1, v0
	s_waitcnt lgkmcnt(0)
	v_add_u32_e32 v0, v89, v0
	ds_write_b32 v90, v0 offset:8
.LBB172_37:
	s_or_b64 exec, exec, s[4:5]
	v_and_b32_sdwa v38, s16, v82 dst_sel:DWORD dst_unused:UNUSED_PAD src0_sel:DWORD src1_sel:WORD_0
	v_and_b32_e32 v1, 1, v38
	v_add_co_u32_e32 v39, vcc, -1, v1
	v_addc_co_u32_e64 v40, s[4:5], 0, -1, vcc
	v_cmp_ne_u32_e32 vcc, 0, v1
	v_lshlrev_b32_e32 v0, 1, v38
	v_xor_b32_e32 v1, vcc_hi, v40
	v_add_lshl_u32 v93, v74, v0, 2
	v_mov_b32_e32 v0, 0
	v_and_b32_e32 v40, exec_hi, v1
	v_lshlrev_b32_e32 v1, 30, v38
	v_xor_b32_e32 v39, vcc_lo, v39
	v_cmp_gt_i64_e32 vcc, 0, v[0:1]
	v_not_b32_e32 v1, v1
	v_ashrrev_i32_e32 v1, 31, v1
	v_and_b32_e32 v39, exec_lo, v39
	v_xor_b32_e32 v41, vcc_hi, v1
	v_xor_b32_e32 v1, vcc_lo, v1
	v_and_b32_e32 v39, v39, v1
	v_lshlrev_b32_e32 v1, 29, v38
	v_cmp_gt_i64_e32 vcc, 0, v[0:1]
	v_not_b32_e32 v1, v1
	v_ashrrev_i32_e32 v1, 31, v1
	v_and_b32_e32 v40, v40, v41
	v_xor_b32_e32 v41, vcc_hi, v1
	v_xor_b32_e32 v1, vcc_lo, v1
	v_and_b32_e32 v39, v39, v1
	v_lshlrev_b32_e32 v1, 28, v38
	v_cmp_gt_i64_e32 vcc, 0, v[0:1]
	v_not_b32_e32 v1, v1
	v_ashrrev_i32_e32 v1, 31, v1
	v_and_b32_e32 v40, v40, v41
	;; [unrolled: 8-line block ×5, first 2 shown]
	v_xor_b32_e32 v41, vcc_hi, v1
	v_xor_b32_e32 v1, vcc_lo, v1
	v_and_b32_e32 v40, v40, v41
	v_and_b32_e32 v41, v39, v1
	v_lshlrev_b32_e32 v1, 24, v38
	v_cmp_gt_i64_e32 vcc, 0, v[0:1]
	v_not_b32_e32 v1, v1
	v_ashrrev_i32_e32 v1, 31, v1
	v_xor_b32_e32 v38, vcc_hi, v1
	v_xor_b32_e32 v1, vcc_lo, v1
	; wave barrier
	ds_read_b32 v92, v93 offset:8
	v_and_b32_e32 v39, v40, v38
	v_and_b32_e32 v38, v41, v1
	v_mbcnt_lo_u32_b32 v1, v38, 0
	v_mbcnt_hi_u32_b32 v94, v39, v1
	v_cmp_eq_u32_e32 vcc, 0, v94
	v_cmp_ne_u64_e64 s[4:5], 0, v[38:39]
	s_and_b64 s[18:19], s[4:5], vcc
	; wave barrier
	s_and_saveexec_b64 s[4:5], s[18:19]
	s_cbranch_execz .LBB172_39
; %bb.38:
	v_bcnt_u32_b32 v1, v38, 0
	v_bcnt_u32_b32 v1, v39, v1
	s_waitcnt lgkmcnt(0)
	v_add_u32_e32 v1, v92, v1
	ds_write_b32 v93, v1 offset:8
.LBB172_39:
	s_or_b64 exec, exec, s[4:5]
	v_and_b32_sdwa v38, s16, v81 dst_sel:DWORD dst_unused:UNUSED_PAD src0_sel:DWORD src1_sel:WORD_0
	v_lshlrev_b32_e32 v1, 1, v38
	v_add_lshl_u32 v96, v74, v1, 2
	v_and_b32_e32 v1, 1, v38
	v_add_co_u32_e32 v39, vcc, -1, v1
	v_addc_co_u32_e64 v40, s[4:5], 0, -1, vcc
	v_cmp_ne_u32_e32 vcc, 0, v1
	v_xor_b32_e32 v1, vcc_hi, v40
	v_and_b32_e32 v40, exec_hi, v1
	v_lshlrev_b32_e32 v1, 30, v38
	v_xor_b32_e32 v39, vcc_lo, v39
	v_cmp_gt_i64_e32 vcc, 0, v[0:1]
	v_not_b32_e32 v1, v1
	v_ashrrev_i32_e32 v1, 31, v1
	v_and_b32_e32 v39, exec_lo, v39
	v_xor_b32_e32 v41, vcc_hi, v1
	v_xor_b32_e32 v1, vcc_lo, v1
	v_and_b32_e32 v39, v39, v1
	v_lshlrev_b32_e32 v1, 29, v38
	v_cmp_gt_i64_e32 vcc, 0, v[0:1]
	v_not_b32_e32 v1, v1
	v_ashrrev_i32_e32 v1, 31, v1
	v_and_b32_e32 v40, v40, v41
	v_xor_b32_e32 v41, vcc_hi, v1
	v_xor_b32_e32 v1, vcc_lo, v1
	v_and_b32_e32 v39, v39, v1
	v_lshlrev_b32_e32 v1, 28, v38
	v_cmp_gt_i64_e32 vcc, 0, v[0:1]
	v_not_b32_e32 v1, v1
	v_ashrrev_i32_e32 v1, 31, v1
	v_and_b32_e32 v40, v40, v41
	;; [unrolled: 8-line block ×5, first 2 shown]
	v_xor_b32_e32 v41, vcc_hi, v1
	v_xor_b32_e32 v1, vcc_lo, v1
	v_and_b32_e32 v39, v39, v1
	v_lshlrev_b32_e32 v1, 24, v38
	v_cmp_gt_i64_e32 vcc, 0, v[0:1]
	v_not_b32_e32 v0, v1
	v_ashrrev_i32_e32 v0, 31, v0
	v_xor_b32_e32 v1, vcc_hi, v0
	v_xor_b32_e32 v0, vcc_lo, v0
	; wave barrier
	ds_read_b32 v95, v96 offset:8
	v_and_b32_e32 v40, v40, v41
	v_and_b32_e32 v0, v39, v0
	;; [unrolled: 1-line block ×3, first 2 shown]
	v_mbcnt_lo_u32_b32 v38, v0, 0
	v_mbcnt_hi_u32_b32 v97, v1, v38
	v_cmp_eq_u32_e32 vcc, 0, v97
	v_cmp_ne_u64_e64 s[4:5], 0, v[0:1]
	s_and_b64 s[18:19], s[4:5], vcc
	; wave barrier
	s_and_saveexec_b64 s[4:5], s[18:19]
	s_cbranch_execz .LBB172_41
; %bb.40:
	v_bcnt_u32_b32 v0, v0, 0
	v_bcnt_u32_b32 v0, v1, v0
	s_waitcnt lgkmcnt(0)
	v_add_u32_e32 v0, v95, v0
	ds_write_b32 v96, v0 offset:8
.LBB172_41:
	s_or_b64 exec, exec, s[4:5]
	v_and_b32_sdwa v38, s16, v80 dst_sel:DWORD dst_unused:UNUSED_PAD src0_sel:DWORD src1_sel:WORD_0
	v_and_b32_e32 v1, 1, v38
	v_add_co_u32_e32 v39, vcc, -1, v1
	v_addc_co_u32_e64 v40, s[4:5], 0, -1, vcc
	v_cmp_ne_u32_e32 vcc, 0, v1
	v_lshlrev_b32_e32 v0, 1, v38
	v_xor_b32_e32 v1, vcc_hi, v40
	v_add_lshl_u32 v99, v74, v0, 2
	v_mov_b32_e32 v0, 0
	v_and_b32_e32 v40, exec_hi, v1
	v_lshlrev_b32_e32 v1, 30, v38
	v_xor_b32_e32 v39, vcc_lo, v39
	v_cmp_gt_i64_e32 vcc, 0, v[0:1]
	v_not_b32_e32 v1, v1
	v_ashrrev_i32_e32 v1, 31, v1
	v_and_b32_e32 v39, exec_lo, v39
	v_xor_b32_e32 v41, vcc_hi, v1
	v_xor_b32_e32 v1, vcc_lo, v1
	v_and_b32_e32 v39, v39, v1
	v_lshlrev_b32_e32 v1, 29, v38
	v_cmp_gt_i64_e32 vcc, 0, v[0:1]
	v_not_b32_e32 v1, v1
	v_ashrrev_i32_e32 v1, 31, v1
	v_and_b32_e32 v40, v40, v41
	v_xor_b32_e32 v41, vcc_hi, v1
	v_xor_b32_e32 v1, vcc_lo, v1
	v_and_b32_e32 v39, v39, v1
	v_lshlrev_b32_e32 v1, 28, v38
	v_cmp_gt_i64_e32 vcc, 0, v[0:1]
	v_not_b32_e32 v1, v1
	v_ashrrev_i32_e32 v1, 31, v1
	v_and_b32_e32 v40, v40, v41
	;; [unrolled: 8-line block ×5, first 2 shown]
	v_xor_b32_e32 v41, vcc_hi, v1
	v_xor_b32_e32 v1, vcc_lo, v1
	v_and_b32_e32 v40, v40, v41
	v_and_b32_e32 v41, v39, v1
	v_lshlrev_b32_e32 v1, 24, v38
	v_cmp_gt_i64_e32 vcc, 0, v[0:1]
	v_not_b32_e32 v1, v1
	v_ashrrev_i32_e32 v1, 31, v1
	v_xor_b32_e32 v38, vcc_hi, v1
	v_xor_b32_e32 v1, vcc_lo, v1
	; wave barrier
	ds_read_b32 v98, v99 offset:8
	v_and_b32_e32 v39, v40, v38
	v_and_b32_e32 v38, v41, v1
	v_mbcnt_lo_u32_b32 v1, v38, 0
	v_mbcnt_hi_u32_b32 v100, v39, v1
	v_cmp_eq_u32_e32 vcc, 0, v100
	v_cmp_ne_u64_e64 s[4:5], 0, v[38:39]
	s_and_b64 s[18:19], s[4:5], vcc
	; wave barrier
	s_and_saveexec_b64 s[4:5], s[18:19]
	s_cbranch_execz .LBB172_43
; %bb.42:
	v_bcnt_u32_b32 v1, v38, 0
	v_bcnt_u32_b32 v1, v39, v1
	s_waitcnt lgkmcnt(0)
	v_add_u32_e32 v1, v98, v1
	ds_write_b32 v99, v1 offset:8
.LBB172_43:
	s_or_b64 exec, exec, s[4:5]
	v_and_b32_sdwa v38, s16, v79 dst_sel:DWORD dst_unused:UNUSED_PAD src0_sel:DWORD src1_sel:WORD_0
	v_lshlrev_b32_e32 v1, 1, v38
	v_add_lshl_u32 v102, v74, v1, 2
	v_and_b32_e32 v1, 1, v38
	v_add_co_u32_e32 v39, vcc, -1, v1
	v_addc_co_u32_e64 v40, s[4:5], 0, -1, vcc
	v_cmp_ne_u32_e32 vcc, 0, v1
	v_xor_b32_e32 v1, vcc_hi, v40
	v_and_b32_e32 v40, exec_hi, v1
	v_lshlrev_b32_e32 v1, 30, v38
	v_xor_b32_e32 v39, vcc_lo, v39
	v_cmp_gt_i64_e32 vcc, 0, v[0:1]
	v_not_b32_e32 v1, v1
	v_ashrrev_i32_e32 v1, 31, v1
	v_and_b32_e32 v39, exec_lo, v39
	v_xor_b32_e32 v41, vcc_hi, v1
	v_xor_b32_e32 v1, vcc_lo, v1
	v_and_b32_e32 v39, v39, v1
	v_lshlrev_b32_e32 v1, 29, v38
	v_cmp_gt_i64_e32 vcc, 0, v[0:1]
	v_not_b32_e32 v1, v1
	v_ashrrev_i32_e32 v1, 31, v1
	v_and_b32_e32 v40, v40, v41
	v_xor_b32_e32 v41, vcc_hi, v1
	v_xor_b32_e32 v1, vcc_lo, v1
	v_and_b32_e32 v39, v39, v1
	v_lshlrev_b32_e32 v1, 28, v38
	v_cmp_gt_i64_e32 vcc, 0, v[0:1]
	v_not_b32_e32 v1, v1
	v_ashrrev_i32_e32 v1, 31, v1
	v_and_b32_e32 v40, v40, v41
	v_xor_b32_e32 v41, vcc_hi, v1
	v_xor_b32_e32 v1, vcc_lo, v1
	v_and_b32_e32 v39, v39, v1
	v_lshlrev_b32_e32 v1, 27, v38
	v_cmp_gt_i64_e32 vcc, 0, v[0:1]
	v_not_b32_e32 v1, v1
	v_ashrrev_i32_e32 v1, 31, v1
	v_and_b32_e32 v40, v40, v41
	v_xor_b32_e32 v41, vcc_hi, v1
	v_xor_b32_e32 v1, vcc_lo, v1
	v_and_b32_e32 v39, v39, v1
	v_lshlrev_b32_e32 v1, 26, v38
	v_cmp_gt_i64_e32 vcc, 0, v[0:1]
	v_not_b32_e32 v1, v1
	v_ashrrev_i32_e32 v1, 31, v1
	v_and_b32_e32 v40, v40, v41
	v_xor_b32_e32 v41, vcc_hi, v1
	v_xor_b32_e32 v1, vcc_lo, v1
	v_and_b32_e32 v39, v39, v1
	v_lshlrev_b32_e32 v1, 25, v38
	v_cmp_gt_i64_e32 vcc, 0, v[0:1]
	v_not_b32_e32 v1, v1
	v_ashrrev_i32_e32 v1, 31, v1
	v_and_b32_e32 v40, v40, v41
	v_xor_b32_e32 v41, vcc_hi, v1
	v_xor_b32_e32 v1, vcc_lo, v1
	v_and_b32_e32 v39, v39, v1
	v_lshlrev_b32_e32 v1, 24, v38
	v_cmp_gt_i64_e32 vcc, 0, v[0:1]
	v_not_b32_e32 v0, v1
	v_ashrrev_i32_e32 v0, 31, v0
	v_xor_b32_e32 v1, vcc_hi, v0
	v_xor_b32_e32 v0, vcc_lo, v0
	; wave barrier
	ds_read_b32 v101, v102 offset:8
	v_and_b32_e32 v40, v40, v41
	v_and_b32_e32 v0, v39, v0
	;; [unrolled: 1-line block ×3, first 2 shown]
	v_mbcnt_lo_u32_b32 v38, v0, 0
	v_mbcnt_hi_u32_b32 v103, v1, v38
	v_cmp_eq_u32_e32 vcc, 0, v103
	v_cmp_ne_u64_e64 s[4:5], 0, v[0:1]
	s_and_b64 s[18:19], s[4:5], vcc
	; wave barrier
	s_and_saveexec_b64 s[4:5], s[18:19]
	s_cbranch_execz .LBB172_45
; %bb.44:
	v_bcnt_u32_b32 v0, v0, 0
	v_bcnt_u32_b32 v0, v1, v0
	s_waitcnt lgkmcnt(0)
	v_add_u32_e32 v0, v101, v0
	ds_write_b32 v102, v0 offset:8
.LBB172_45:
	s_or_b64 exec, exec, s[4:5]
	v_and_b32_sdwa v38, s16, v78 dst_sel:DWORD dst_unused:UNUSED_PAD src0_sel:DWORD src1_sel:WORD_0
	v_and_b32_e32 v1, 1, v38
	v_add_co_u32_e32 v39, vcc, -1, v1
	v_addc_co_u32_e64 v40, s[4:5], 0, -1, vcc
	v_cmp_ne_u32_e32 vcc, 0, v1
	v_lshlrev_b32_e32 v0, 1, v38
	v_xor_b32_e32 v1, vcc_hi, v40
	v_add_lshl_u32 v105, v74, v0, 2
	v_mov_b32_e32 v0, 0
	v_and_b32_e32 v40, exec_hi, v1
	v_lshlrev_b32_e32 v1, 30, v38
	v_xor_b32_e32 v39, vcc_lo, v39
	v_cmp_gt_i64_e32 vcc, 0, v[0:1]
	v_not_b32_e32 v1, v1
	v_ashrrev_i32_e32 v1, 31, v1
	v_and_b32_e32 v39, exec_lo, v39
	v_xor_b32_e32 v41, vcc_hi, v1
	v_xor_b32_e32 v1, vcc_lo, v1
	v_and_b32_e32 v39, v39, v1
	v_lshlrev_b32_e32 v1, 29, v38
	v_cmp_gt_i64_e32 vcc, 0, v[0:1]
	v_not_b32_e32 v1, v1
	v_ashrrev_i32_e32 v1, 31, v1
	v_and_b32_e32 v40, v40, v41
	v_xor_b32_e32 v41, vcc_hi, v1
	v_xor_b32_e32 v1, vcc_lo, v1
	v_and_b32_e32 v39, v39, v1
	v_lshlrev_b32_e32 v1, 28, v38
	v_cmp_gt_i64_e32 vcc, 0, v[0:1]
	v_not_b32_e32 v1, v1
	v_ashrrev_i32_e32 v1, 31, v1
	v_and_b32_e32 v40, v40, v41
	;; [unrolled: 8-line block ×5, first 2 shown]
	v_xor_b32_e32 v41, vcc_hi, v1
	v_xor_b32_e32 v1, vcc_lo, v1
	v_and_b32_e32 v40, v40, v41
	v_and_b32_e32 v41, v39, v1
	v_lshlrev_b32_e32 v1, 24, v38
	v_cmp_gt_i64_e32 vcc, 0, v[0:1]
	v_not_b32_e32 v1, v1
	v_ashrrev_i32_e32 v1, 31, v1
	v_xor_b32_e32 v38, vcc_hi, v1
	v_xor_b32_e32 v1, vcc_lo, v1
	; wave barrier
	ds_read_b32 v104, v105 offset:8
	v_and_b32_e32 v39, v40, v38
	v_and_b32_e32 v38, v41, v1
	v_mbcnt_lo_u32_b32 v1, v38, 0
	v_mbcnt_hi_u32_b32 v106, v39, v1
	v_cmp_eq_u32_e32 vcc, 0, v106
	v_cmp_ne_u64_e64 s[4:5], 0, v[38:39]
	s_and_b64 s[18:19], s[4:5], vcc
	; wave barrier
	s_and_saveexec_b64 s[4:5], s[18:19]
	s_cbranch_execz .LBB172_47
; %bb.46:
	v_bcnt_u32_b32 v1, v38, 0
	v_bcnt_u32_b32 v1, v39, v1
	s_waitcnt lgkmcnt(0)
	v_add_u32_e32 v1, v104, v1
	ds_write_b32 v105, v1 offset:8
.LBB172_47:
	s_or_b64 exec, exec, s[4:5]
	v_and_b32_sdwa v38, s16, v77 dst_sel:DWORD dst_unused:UNUSED_PAD src0_sel:DWORD src1_sel:WORD_0
	v_lshlrev_b32_e32 v1, 1, v38
	v_add_lshl_u32 v108, v74, v1, 2
	v_and_b32_e32 v1, 1, v38
	v_add_co_u32_e32 v39, vcc, -1, v1
	v_addc_co_u32_e64 v40, s[4:5], 0, -1, vcc
	v_cmp_ne_u32_e32 vcc, 0, v1
	v_xor_b32_e32 v1, vcc_hi, v40
	v_and_b32_e32 v40, exec_hi, v1
	v_lshlrev_b32_e32 v1, 30, v38
	v_xor_b32_e32 v39, vcc_lo, v39
	v_cmp_gt_i64_e32 vcc, 0, v[0:1]
	v_not_b32_e32 v1, v1
	v_ashrrev_i32_e32 v1, 31, v1
	v_and_b32_e32 v39, exec_lo, v39
	v_xor_b32_e32 v41, vcc_hi, v1
	v_xor_b32_e32 v1, vcc_lo, v1
	v_and_b32_e32 v39, v39, v1
	v_lshlrev_b32_e32 v1, 29, v38
	v_cmp_gt_i64_e32 vcc, 0, v[0:1]
	v_not_b32_e32 v1, v1
	v_ashrrev_i32_e32 v1, 31, v1
	v_and_b32_e32 v40, v40, v41
	v_xor_b32_e32 v41, vcc_hi, v1
	v_xor_b32_e32 v1, vcc_lo, v1
	v_and_b32_e32 v39, v39, v1
	v_lshlrev_b32_e32 v1, 28, v38
	v_cmp_gt_i64_e32 vcc, 0, v[0:1]
	v_not_b32_e32 v1, v1
	v_ashrrev_i32_e32 v1, 31, v1
	v_and_b32_e32 v40, v40, v41
	;; [unrolled: 8-line block ×5, first 2 shown]
	v_xor_b32_e32 v41, vcc_hi, v1
	v_xor_b32_e32 v1, vcc_lo, v1
	v_and_b32_e32 v39, v39, v1
	v_lshlrev_b32_e32 v1, 24, v38
	v_cmp_gt_i64_e32 vcc, 0, v[0:1]
	v_not_b32_e32 v0, v1
	v_ashrrev_i32_e32 v0, 31, v0
	v_xor_b32_e32 v1, vcc_hi, v0
	v_xor_b32_e32 v0, vcc_lo, v0
	; wave barrier
	ds_read_b32 v107, v108 offset:8
	v_and_b32_e32 v40, v40, v41
	v_and_b32_e32 v0, v39, v0
	v_and_b32_e32 v1, v40, v1
	v_mbcnt_lo_u32_b32 v38, v0, 0
	v_mbcnt_hi_u32_b32 v109, v1, v38
	v_cmp_eq_u32_e32 vcc, 0, v109
	v_cmp_ne_u64_e64 s[4:5], 0, v[0:1]
	v_or_b32_e32 v75, 8, v64
	v_lshrrev_b32_e32 v76, 6, v46
	v_min_u32_e32 v85, 64, v67
	s_and_b64 s[16:17], s[4:5], vcc
	; wave barrier
	s_and_saveexec_b64 s[4:5], s[16:17]
	s_cbranch_execz .LBB172_49
; %bb.48:
	v_bcnt_u32_b32 v0, v0, 0
	v_bcnt_u32_b32 v0, v1, v0
	s_waitcnt lgkmcnt(0)
	v_add_u32_e32 v0, v107, v0
	ds_write_b32 v108, v0 offset:8
.LBB172_49:
	s_or_b64 exec, exec, s[4:5]
	; wave barrier
	s_waitcnt lgkmcnt(0)
	s_barrier
	ds_read2_b32 v[38:39], v64 offset0:2 offset1:3
	ds_read2_b32 v[40:41], v75 offset0:2 offset1:3
	v_and_b32_e32 v1, 16, v65
	v_cmp_eq_u32_e32 vcc, 0, v1
	v_or_b32_e32 v1, 63, v85
	v_cmp_eq_u32_e64 s[16:17], v1, v46
	s_waitcnt lgkmcnt(1)
	v_add_u32_e32 v1, v39, v38
	v_and_b32_e32 v0, 15, v65
	s_waitcnt lgkmcnt(0)
	v_add3_u32 v1, v1, v40, v41
	v_cmp_eq_u32_e64 s[20:21], 0, v0
	v_cmp_lt_u32_e64 s[22:23], 1, v0
	v_mov_b32_dpp v41, v1 row_shr:1 row_mask:0xf bank_mask:0xf
	v_cndmask_b32_e64 v41, v41, 0, s[20:21]
	v_add_u32_e32 v1, v41, v1
	v_cmp_lt_u32_e64 s[26:27], 3, v0
	v_cmp_lt_u32_e64 s[28:29], 7, v0
	v_mov_b32_dpp v41, v1 row_shr:2 row_mask:0xf bank_mask:0xf
	v_cndmask_b32_e64 v41, 0, v41, s[22:23]
	v_add_u32_e32 v1, v1, v41
	v_bfe_i32 v86, v65, 4, 1
	v_cmp_lt_u32_e64 s[34:35], 31, v65
	v_mov_b32_dpp v41, v1 row_shr:4 row_mask:0xf bank_mask:0xf
	v_cndmask_b32_e64 v41, 0, v41, s[26:27]
	v_add_u32_e32 v1, v1, v41
	v_lshlrev_b32_e32 v76, 2, v76
	s_nop 0
	v_mov_b32_dpp v41, v1 row_shr:8 row_mask:0xf bank_mask:0xf
	v_cndmask_b32_e64 v0, 0, v41, s[28:29]
	v_add_u32_e32 v0, v1, v0
	s_nop 1
	v_mov_b32_dpp v1, v0 row_bcast:15 row_mask:0xf bank_mask:0xf
	v_and_b32_e32 v1, v86, v1
	v_add_u32_e32 v0, v0, v1
	s_nop 1
	v_mov_b32_dpp v1, v0 row_bcast:31 row_mask:0xf bank_mask:0xf
	v_cndmask_b32_e64 v1, 0, v1, s[34:35]
	v_add_u32_e32 v1, v0, v1
	s_and_saveexec_b64 s[4:5], s[16:17]
	s_cbranch_execz .LBB172_51
; %bb.50:
	ds_write_b32 v76, v1
.LBB172_51:
	s_or_b64 exec, exec, s[4:5]
	v_and_b32_e32 v0, 1, v65
	v_cmp_gt_u32_e64 s[24:25], 2, v46
	v_lshlrev_b32_e32 v41, 2, v46
	v_cmp_eq_u32_e64 s[18:19], 0, v0
	s_waitcnt lgkmcnt(0)
	s_barrier
	s_and_saveexec_b64 s[4:5], s[24:25]
	s_cbranch_execz .LBB172_53
; %bb.52:
	ds_read_b32 v0, v41
	s_waitcnt lgkmcnt(0)
	s_nop 0
	v_mov_b32_dpp v85, v0 row_shr:1 row_mask:0xf bank_mask:0xf
	v_cndmask_b32_e64 v85, v85, 0, s[18:19]
	v_add_u32_e32 v0, v85, v0
	ds_write_b32 v41, v0
.LBB172_53:
	s_or_b64 exec, exec, s[4:5]
	v_cmp_lt_u32_e64 s[30:31], 63, v46
	v_add_u32_e32 v85, -4, v76
	v_mov_b32_e32 v0, 0
	v_mov_b32_e32 v110, 0
	s_waitcnt lgkmcnt(0)
	s_barrier
	s_and_saveexec_b64 s[4:5], s[30:31]
	s_cbranch_execz .LBB172_55
; %bb.54:
	ds_read_b32 v110, v85
.LBB172_55:
	s_or_b64 exec, exec, s[4:5]
	v_add_u32_e32 v86, -1, v65
	v_and_b32_e32 v111, 64, v65
	v_cmp_lt_i32_e64 s[4:5], v86, v111
	v_cndmask_b32_e64 v86, v86, v65, s[4:5]
	v_lshlrev_b32_e32 v86, 2, v86
	s_waitcnt lgkmcnt(0)
	v_add_u32_e32 v1, v110, v1
	ds_bpermute_b32 v1, v86, v1
	v_cmp_eq_u32_e64 s[36:37], 0, v65
	v_cmp_eq_u32_e64 s[38:39], 0, v46
	v_and_or_b32 v111, v65, 63, v66
	v_lshlrev_b32_e32 v112, 1, v111
	s_waitcnt lgkmcnt(0)
	v_cndmask_b32_e64 v1, v1, v110, s[36:37]
	v_cndmask_b32_e64 v1, v1, 0, s[38:39]
	v_add_u32_e32 v38, v1, v38
	v_add_u32_e32 v39, v38, v39
	;; [unrolled: 1-line block ×3, first 2 shown]
	ds_write2_b32 v64, v1, v38 offset0:2 offset1:3
	ds_write2_b32 v75, v39, v40 offset0:2 offset1:3
	s_waitcnt lgkmcnt(0)
	s_barrier
	ds_read_b32 v1, v87 offset:8
	ds_read_b32 v38, v90 offset:8
	;; [unrolled: 1-line block ×8, first 2 shown]
	s_waitcnt lgkmcnt(7)
	v_add_u32_e32 v1, v1, v88
	s_waitcnt lgkmcnt(6)
	v_add3_u32 v38, v91, v89, v38
	s_waitcnt lgkmcnt(4)
	v_add3_u32 v88, v97, v95, v40
	v_lshlrev_b32_e32 v40, 1, v1
	v_add3_u32 v39, v94, v92, v39
	s_waitcnt lgkmcnt(0)
	s_barrier
	ds_write_b16 v40, v84
	v_lshlrev_b32_e32 v40, 1, v38
	ds_write_b16 v40, v83
	v_lshlrev_b32_e32 v40, 1, v39
	v_add3_u32 v87, v100, v98, v87
	ds_write_b16 v40, v82
	v_lshlrev_b32_e32 v40, 1, v88
	v_add3_u32 v89, v103, v101, v90
	;; [unrolled: 3-line block ×4, first 2 shown]
	ds_write_b16 v40, v79
	v_lshlrev_b32_e32 v40, 1, v90
	ds_write_b16 v40, v78
	v_lshlrev_b32_e32 v40, 1, v91
	v_lshlrev_b32_e32 v1, 3, v1
	ds_write_b16 v40, v77
	s_waitcnt lgkmcnt(0)
	s_barrier
	ds_read_u16 v83, v112
	ds_read_u16 v82, v112 offset:128
	ds_read_u16 v81, v112 offset:256
	;; [unrolled: 1-line block ×7, first 2 shown]
	s_waitcnt lgkmcnt(0)
	s_barrier
	ds_write_b64 v1, v[34:35]
	v_lshlrev_b32_e32 v1, 3, v38
	ds_write_b64 v1, v[36:37]
	v_lshlrev_b32_e32 v1, 3, v39
	;; [unrolled: 2-line block ×4, first 2 shown]
	s_min_u32 s4, s42, 8
	ds_write_b64 v1, v[26:27]
	v_lshlrev_b32_e32 v1, 3, v89
	s_lshl_b32 s4, -1, s4
	ds_write_b64 v1, v[28:29]
	v_lshlrev_b32_e32 v1, 3, v90
	s_not_b32 s49, s4
	ds_write_b64 v1, v[22:23]
	v_lshlrev_b32_e32 v1, 3, v91
	v_and_b32_sdwa v38, v83, s49 dst_sel:DWORD dst_unused:UNUSED_PAD src0_sel:BYTE_1 src1_sel:DWORD
	ds_write_b64 v1, v[24:25]
	v_lshlrev_b32_e32 v1, 1, v38
	v_add_lshl_u32 v84, v1, v74, 2
	v_and_b32_e32 v1, 1, v38
	v_add_co_u32_e64 v39, s[4:5], -1, v1
	v_addc_co_u32_e64 v87, s[4:5], 0, -1, s[4:5]
	v_cmp_ne_u32_e64 s[4:5], 0, v1
	v_xor_b32_e32 v1, s5, v87
	v_and_b32_e32 v87, exec_hi, v1
	v_lshlrev_b32_e32 v1, 30, v38
	v_xor_b32_e32 v39, s4, v39
	v_cmp_gt_i64_e64 s[4:5], 0, v[0:1]
	v_not_b32_e32 v1, v1
	v_ashrrev_i32_e32 v1, 31, v1
	v_and_b32_e32 v39, exec_lo, v39
	v_xor_b32_e32 v88, s5, v1
	v_xor_b32_e32 v1, s4, v1
	v_and_b32_e32 v39, v39, v1
	v_lshlrev_b32_e32 v1, 29, v38
	v_cmp_gt_i64_e64 s[4:5], 0, v[0:1]
	v_not_b32_e32 v1, v1
	v_ashrrev_i32_e32 v1, 31, v1
	v_and_b32_e32 v87, v87, v88
	v_xor_b32_e32 v88, s5, v1
	v_xor_b32_e32 v1, s4, v1
	v_and_b32_e32 v39, v39, v1
	v_lshlrev_b32_e32 v1, 28, v38
	v_cmp_gt_i64_e64 s[4:5], 0, v[0:1]
	v_not_b32_e32 v1, v1
	v_ashrrev_i32_e32 v1, 31, v1
	v_and_b32_e32 v87, v87, v88
	;; [unrolled: 8-line block ×5, first 2 shown]
	v_xor_b32_e32 v88, s5, v1
	v_xor_b32_e32 v1, s4, v1
	v_lshlrev_b32_e32 v111, 3, v111
	v_and_b32_e32 v39, v39, v1
	v_lshlrev_b32_e32 v1, 24, v38
	s_waitcnt lgkmcnt(0)
	s_barrier
	ds_read2st64_b64 v[34:37], v111 offset1:1
	ds_read2st64_b64 v[30:33], v111 offset0:2 offset1:3
	ds_read2st64_b64 v[26:29], v111 offset0:4 offset1:5
	ds_read2st64_b64 v[22:25], v111 offset0:6 offset1:7
	s_waitcnt lgkmcnt(0)
	s_barrier
	ds_write2_b32 v64, v0, v0 offset0:2 offset1:3
	ds_write2_b32 v75, v0, v0 offset0:2 offset1:3
	v_cmp_gt_i64_e64 s[4:5], 0, v[0:1]
	v_not_b32_e32 v0, v1
	v_ashrrev_i32_e32 v0, 31, v0
	v_xor_b32_e32 v1, s5, v0
	v_xor_b32_e32 v0, s4, v0
	v_and_b32_e32 v87, v87, v88
	v_and_b32_e32 v0, v39, v0
	;; [unrolled: 1-line block ×3, first 2 shown]
	v_mbcnt_lo_u32_b32 v38, v0, 0
	v_mbcnt_hi_u32_b32 v87, v1, v38
	v_cmp_eq_u32_e64 s[4:5], 0, v87
	v_cmp_ne_u64_e64 s[42:43], 0, v[0:1]
	s_and_b64 s[42:43], s[42:43], s[4:5]
	s_waitcnt lgkmcnt(0)
	s_barrier
	s_waitcnt lgkmcnt(0)
	; wave barrier
	s_and_saveexec_b64 s[4:5], s[42:43]
	s_cbranch_execz .LBB172_57
; %bb.56:
	v_bcnt_u32_b32 v0, v0, 0
	v_bcnt_u32_b32 v0, v1, v0
	ds_write_b32 v84, v0 offset:8
.LBB172_57:
	s_or_b64 exec, exec, s[4:5]
	v_and_b32_sdwa v38, v82, s49 dst_sel:DWORD dst_unused:UNUSED_PAD src0_sel:BYTE_1 src1_sel:DWORD
	v_and_b32_e32 v1, 1, v38
	v_add_co_u32_e64 v39, s[4:5], -1, v1
	v_addc_co_u32_e64 v90, s[4:5], 0, -1, s[4:5]
	v_cmp_ne_u32_e64 s[4:5], 0, v1
	v_lshlrev_b32_e32 v0, 1, v38
	v_xor_b32_e32 v1, s5, v90
	v_add_lshl_u32 v89, v0, v74, 2
	v_mov_b32_e32 v0, 0
	v_and_b32_e32 v90, exec_hi, v1
	v_lshlrev_b32_e32 v1, 30, v38
	v_xor_b32_e32 v39, s4, v39
	v_cmp_gt_i64_e64 s[4:5], 0, v[0:1]
	v_not_b32_e32 v1, v1
	v_ashrrev_i32_e32 v1, 31, v1
	v_and_b32_e32 v39, exec_lo, v39
	v_xor_b32_e32 v91, s5, v1
	v_xor_b32_e32 v1, s4, v1
	v_and_b32_e32 v39, v39, v1
	v_lshlrev_b32_e32 v1, 29, v38
	v_cmp_gt_i64_e64 s[4:5], 0, v[0:1]
	v_not_b32_e32 v1, v1
	v_ashrrev_i32_e32 v1, 31, v1
	v_and_b32_e32 v90, v90, v91
	v_xor_b32_e32 v91, s5, v1
	v_xor_b32_e32 v1, s4, v1
	v_and_b32_e32 v39, v39, v1
	v_lshlrev_b32_e32 v1, 28, v38
	v_cmp_gt_i64_e64 s[4:5], 0, v[0:1]
	v_not_b32_e32 v1, v1
	v_ashrrev_i32_e32 v1, 31, v1
	v_and_b32_e32 v90, v90, v91
	;; [unrolled: 8-line block ×5, first 2 shown]
	v_xor_b32_e32 v91, s5, v1
	v_xor_b32_e32 v1, s4, v1
	v_and_b32_e32 v90, v90, v91
	v_and_b32_e32 v91, v39, v1
	v_lshlrev_b32_e32 v1, 24, v38
	v_cmp_gt_i64_e64 s[4:5], 0, v[0:1]
	v_not_b32_e32 v1, v1
	v_ashrrev_i32_e32 v1, 31, v1
	v_xor_b32_e32 v38, s5, v1
	v_xor_b32_e32 v1, s4, v1
	; wave barrier
	ds_read_b32 v88, v89 offset:8
	v_and_b32_e32 v39, v90, v38
	v_and_b32_e32 v38, v91, v1
	v_mbcnt_lo_u32_b32 v1, v38, 0
	v_mbcnt_hi_u32_b32 v90, v39, v1
	v_cmp_eq_u32_e64 s[4:5], 0, v90
	v_cmp_ne_u64_e64 s[42:43], 0, v[38:39]
	s_and_b64 s[42:43], s[42:43], s[4:5]
	; wave barrier
	s_and_saveexec_b64 s[4:5], s[42:43]
	s_cbranch_execz .LBB172_59
; %bb.58:
	v_bcnt_u32_b32 v1, v38, 0
	v_bcnt_u32_b32 v1, v39, v1
	s_waitcnt lgkmcnt(0)
	v_add_u32_e32 v1, v88, v1
	ds_write_b32 v89, v1 offset:8
.LBB172_59:
	s_or_b64 exec, exec, s[4:5]
	v_and_b32_sdwa v38, v81, s49 dst_sel:DWORD dst_unused:UNUSED_PAD src0_sel:BYTE_1 src1_sel:DWORD
	v_lshlrev_b32_e32 v1, 1, v38
	v_add_lshl_u32 v92, v1, v74, 2
	v_and_b32_e32 v1, 1, v38
	v_add_co_u32_e64 v39, s[4:5], -1, v1
	v_addc_co_u32_e64 v93, s[4:5], 0, -1, s[4:5]
	v_cmp_ne_u32_e64 s[4:5], 0, v1
	v_xor_b32_e32 v1, s5, v93
	v_and_b32_e32 v93, exec_hi, v1
	v_lshlrev_b32_e32 v1, 30, v38
	v_xor_b32_e32 v39, s4, v39
	v_cmp_gt_i64_e64 s[4:5], 0, v[0:1]
	v_not_b32_e32 v1, v1
	v_ashrrev_i32_e32 v1, 31, v1
	v_and_b32_e32 v39, exec_lo, v39
	v_xor_b32_e32 v94, s5, v1
	v_xor_b32_e32 v1, s4, v1
	v_and_b32_e32 v39, v39, v1
	v_lshlrev_b32_e32 v1, 29, v38
	v_cmp_gt_i64_e64 s[4:5], 0, v[0:1]
	v_not_b32_e32 v1, v1
	v_ashrrev_i32_e32 v1, 31, v1
	v_and_b32_e32 v93, v93, v94
	v_xor_b32_e32 v94, s5, v1
	v_xor_b32_e32 v1, s4, v1
	v_and_b32_e32 v39, v39, v1
	v_lshlrev_b32_e32 v1, 28, v38
	v_cmp_gt_i64_e64 s[4:5], 0, v[0:1]
	v_not_b32_e32 v1, v1
	v_ashrrev_i32_e32 v1, 31, v1
	v_and_b32_e32 v93, v93, v94
	;; [unrolled: 8-line block ×5, first 2 shown]
	v_xor_b32_e32 v94, s5, v1
	v_xor_b32_e32 v1, s4, v1
	v_and_b32_e32 v39, v39, v1
	v_lshlrev_b32_e32 v1, 24, v38
	v_cmp_gt_i64_e64 s[4:5], 0, v[0:1]
	v_not_b32_e32 v0, v1
	v_ashrrev_i32_e32 v0, 31, v0
	v_xor_b32_e32 v1, s5, v0
	v_xor_b32_e32 v0, s4, v0
	; wave barrier
	ds_read_b32 v91, v92 offset:8
	v_and_b32_e32 v93, v93, v94
	v_and_b32_e32 v0, v39, v0
	;; [unrolled: 1-line block ×3, first 2 shown]
	v_mbcnt_lo_u32_b32 v38, v0, 0
	v_mbcnt_hi_u32_b32 v93, v1, v38
	v_cmp_eq_u32_e64 s[4:5], 0, v93
	v_cmp_ne_u64_e64 s[42:43], 0, v[0:1]
	s_and_b64 s[42:43], s[42:43], s[4:5]
	; wave barrier
	s_and_saveexec_b64 s[4:5], s[42:43]
	s_cbranch_execz .LBB172_61
; %bb.60:
	v_bcnt_u32_b32 v0, v0, 0
	v_bcnt_u32_b32 v0, v1, v0
	s_waitcnt lgkmcnt(0)
	v_add_u32_e32 v0, v91, v0
	ds_write_b32 v92, v0 offset:8
.LBB172_61:
	s_or_b64 exec, exec, s[4:5]
	v_and_b32_sdwa v38, v80, s49 dst_sel:DWORD dst_unused:UNUSED_PAD src0_sel:BYTE_1 src1_sel:DWORD
	v_and_b32_e32 v1, 1, v38
	v_add_co_u32_e64 v39, s[4:5], -1, v1
	v_addc_co_u32_e64 v96, s[4:5], 0, -1, s[4:5]
	v_cmp_ne_u32_e64 s[4:5], 0, v1
	v_lshlrev_b32_e32 v0, 1, v38
	v_xor_b32_e32 v1, s5, v96
	v_add_lshl_u32 v95, v0, v74, 2
	v_mov_b32_e32 v0, 0
	v_and_b32_e32 v96, exec_hi, v1
	v_lshlrev_b32_e32 v1, 30, v38
	v_xor_b32_e32 v39, s4, v39
	v_cmp_gt_i64_e64 s[4:5], 0, v[0:1]
	v_not_b32_e32 v1, v1
	v_ashrrev_i32_e32 v1, 31, v1
	v_and_b32_e32 v39, exec_lo, v39
	v_xor_b32_e32 v97, s5, v1
	v_xor_b32_e32 v1, s4, v1
	v_and_b32_e32 v39, v39, v1
	v_lshlrev_b32_e32 v1, 29, v38
	v_cmp_gt_i64_e64 s[4:5], 0, v[0:1]
	v_not_b32_e32 v1, v1
	v_ashrrev_i32_e32 v1, 31, v1
	v_and_b32_e32 v96, v96, v97
	v_xor_b32_e32 v97, s5, v1
	v_xor_b32_e32 v1, s4, v1
	v_and_b32_e32 v39, v39, v1
	v_lshlrev_b32_e32 v1, 28, v38
	v_cmp_gt_i64_e64 s[4:5], 0, v[0:1]
	v_not_b32_e32 v1, v1
	v_ashrrev_i32_e32 v1, 31, v1
	v_and_b32_e32 v96, v96, v97
	;; [unrolled: 8-line block ×5, first 2 shown]
	v_xor_b32_e32 v97, s5, v1
	v_xor_b32_e32 v1, s4, v1
	v_and_b32_e32 v96, v96, v97
	v_and_b32_e32 v97, v39, v1
	v_lshlrev_b32_e32 v1, 24, v38
	v_cmp_gt_i64_e64 s[4:5], 0, v[0:1]
	v_not_b32_e32 v1, v1
	v_ashrrev_i32_e32 v1, 31, v1
	v_xor_b32_e32 v38, s5, v1
	v_xor_b32_e32 v1, s4, v1
	; wave barrier
	ds_read_b32 v94, v95 offset:8
	v_and_b32_e32 v39, v96, v38
	v_and_b32_e32 v38, v97, v1
	v_mbcnt_lo_u32_b32 v1, v38, 0
	v_mbcnt_hi_u32_b32 v96, v39, v1
	v_cmp_eq_u32_e64 s[4:5], 0, v96
	v_cmp_ne_u64_e64 s[42:43], 0, v[38:39]
	s_and_b64 s[42:43], s[42:43], s[4:5]
	; wave barrier
	s_and_saveexec_b64 s[4:5], s[42:43]
	s_cbranch_execz .LBB172_63
; %bb.62:
	v_bcnt_u32_b32 v1, v38, 0
	v_bcnt_u32_b32 v1, v39, v1
	s_waitcnt lgkmcnt(0)
	v_add_u32_e32 v1, v94, v1
	ds_write_b32 v95, v1 offset:8
.LBB172_63:
	s_or_b64 exec, exec, s[4:5]
	v_and_b32_sdwa v38, v79, s49 dst_sel:DWORD dst_unused:UNUSED_PAD src0_sel:BYTE_1 src1_sel:DWORD
	v_lshlrev_b32_e32 v1, 1, v38
	v_add_lshl_u32 v98, v1, v74, 2
	v_and_b32_e32 v1, 1, v38
	v_add_co_u32_e64 v39, s[4:5], -1, v1
	v_addc_co_u32_e64 v99, s[4:5], 0, -1, s[4:5]
	v_cmp_ne_u32_e64 s[4:5], 0, v1
	v_xor_b32_e32 v1, s5, v99
	v_and_b32_e32 v99, exec_hi, v1
	v_lshlrev_b32_e32 v1, 30, v38
	v_xor_b32_e32 v39, s4, v39
	v_cmp_gt_i64_e64 s[4:5], 0, v[0:1]
	v_not_b32_e32 v1, v1
	v_ashrrev_i32_e32 v1, 31, v1
	v_and_b32_e32 v39, exec_lo, v39
	v_xor_b32_e32 v100, s5, v1
	v_xor_b32_e32 v1, s4, v1
	v_and_b32_e32 v39, v39, v1
	v_lshlrev_b32_e32 v1, 29, v38
	v_cmp_gt_i64_e64 s[4:5], 0, v[0:1]
	v_not_b32_e32 v1, v1
	v_ashrrev_i32_e32 v1, 31, v1
	v_and_b32_e32 v99, v99, v100
	v_xor_b32_e32 v100, s5, v1
	v_xor_b32_e32 v1, s4, v1
	v_and_b32_e32 v39, v39, v1
	v_lshlrev_b32_e32 v1, 28, v38
	v_cmp_gt_i64_e64 s[4:5], 0, v[0:1]
	v_not_b32_e32 v1, v1
	v_ashrrev_i32_e32 v1, 31, v1
	v_and_b32_e32 v99, v99, v100
	;; [unrolled: 8-line block ×5, first 2 shown]
	v_xor_b32_e32 v100, s5, v1
	v_xor_b32_e32 v1, s4, v1
	v_and_b32_e32 v39, v39, v1
	v_lshlrev_b32_e32 v1, 24, v38
	v_cmp_gt_i64_e64 s[4:5], 0, v[0:1]
	v_not_b32_e32 v0, v1
	v_ashrrev_i32_e32 v0, 31, v0
	v_xor_b32_e32 v1, s5, v0
	v_xor_b32_e32 v0, s4, v0
	; wave barrier
	ds_read_b32 v97, v98 offset:8
	v_and_b32_e32 v99, v99, v100
	v_and_b32_e32 v0, v39, v0
	v_and_b32_e32 v1, v99, v1
	v_mbcnt_lo_u32_b32 v38, v0, 0
	v_mbcnt_hi_u32_b32 v99, v1, v38
	v_cmp_eq_u32_e64 s[4:5], 0, v99
	v_cmp_ne_u64_e64 s[42:43], 0, v[0:1]
	s_and_b64 s[42:43], s[42:43], s[4:5]
	; wave barrier
	s_and_saveexec_b64 s[4:5], s[42:43]
	s_cbranch_execz .LBB172_65
; %bb.64:
	v_bcnt_u32_b32 v0, v0, 0
	v_bcnt_u32_b32 v0, v1, v0
	s_waitcnt lgkmcnt(0)
	v_add_u32_e32 v0, v97, v0
	ds_write_b32 v98, v0 offset:8
.LBB172_65:
	s_or_b64 exec, exec, s[4:5]
	v_and_b32_sdwa v38, v78, s49 dst_sel:DWORD dst_unused:UNUSED_PAD src0_sel:BYTE_1 src1_sel:DWORD
	v_and_b32_e32 v1, 1, v38
	v_add_co_u32_e64 v39, s[4:5], -1, v1
	v_addc_co_u32_e64 v102, s[4:5], 0, -1, s[4:5]
	v_cmp_ne_u32_e64 s[4:5], 0, v1
	v_lshlrev_b32_e32 v0, 1, v38
	v_xor_b32_e32 v1, s5, v102
	v_add_lshl_u32 v101, v0, v74, 2
	v_mov_b32_e32 v0, 0
	v_and_b32_e32 v102, exec_hi, v1
	v_lshlrev_b32_e32 v1, 30, v38
	v_xor_b32_e32 v39, s4, v39
	v_cmp_gt_i64_e64 s[4:5], 0, v[0:1]
	v_not_b32_e32 v1, v1
	v_ashrrev_i32_e32 v1, 31, v1
	v_and_b32_e32 v39, exec_lo, v39
	v_xor_b32_e32 v103, s5, v1
	v_xor_b32_e32 v1, s4, v1
	v_and_b32_e32 v39, v39, v1
	v_lshlrev_b32_e32 v1, 29, v38
	v_cmp_gt_i64_e64 s[4:5], 0, v[0:1]
	v_not_b32_e32 v1, v1
	v_ashrrev_i32_e32 v1, 31, v1
	v_and_b32_e32 v102, v102, v103
	v_xor_b32_e32 v103, s5, v1
	v_xor_b32_e32 v1, s4, v1
	v_and_b32_e32 v39, v39, v1
	v_lshlrev_b32_e32 v1, 28, v38
	v_cmp_gt_i64_e64 s[4:5], 0, v[0:1]
	v_not_b32_e32 v1, v1
	v_ashrrev_i32_e32 v1, 31, v1
	v_and_b32_e32 v102, v102, v103
	;; [unrolled: 8-line block ×5, first 2 shown]
	v_xor_b32_e32 v103, s5, v1
	v_xor_b32_e32 v1, s4, v1
	v_and_b32_e32 v102, v102, v103
	v_and_b32_e32 v103, v39, v1
	v_lshlrev_b32_e32 v1, 24, v38
	v_cmp_gt_i64_e64 s[4:5], 0, v[0:1]
	v_not_b32_e32 v1, v1
	v_ashrrev_i32_e32 v1, 31, v1
	v_xor_b32_e32 v38, s5, v1
	v_xor_b32_e32 v1, s4, v1
	; wave barrier
	ds_read_b32 v100, v101 offset:8
	v_and_b32_e32 v39, v102, v38
	v_and_b32_e32 v38, v103, v1
	v_mbcnt_lo_u32_b32 v1, v38, 0
	v_mbcnt_hi_u32_b32 v102, v39, v1
	v_cmp_eq_u32_e64 s[4:5], 0, v102
	v_cmp_ne_u64_e64 s[42:43], 0, v[38:39]
	s_and_b64 s[42:43], s[42:43], s[4:5]
	; wave barrier
	s_and_saveexec_b64 s[4:5], s[42:43]
	s_cbranch_execz .LBB172_67
; %bb.66:
	v_bcnt_u32_b32 v1, v38, 0
	v_bcnt_u32_b32 v1, v39, v1
	s_waitcnt lgkmcnt(0)
	v_add_u32_e32 v1, v100, v1
	ds_write_b32 v101, v1 offset:8
.LBB172_67:
	s_or_b64 exec, exec, s[4:5]
	v_and_b32_sdwa v38, v77, s49 dst_sel:DWORD dst_unused:UNUSED_PAD src0_sel:BYTE_1 src1_sel:DWORD
	v_lshlrev_b32_e32 v1, 1, v38
	v_add_lshl_u32 v104, v1, v74, 2
	v_and_b32_e32 v1, 1, v38
	v_add_co_u32_e64 v39, s[4:5], -1, v1
	v_addc_co_u32_e64 v105, s[4:5], 0, -1, s[4:5]
	v_cmp_ne_u32_e64 s[4:5], 0, v1
	v_xor_b32_e32 v1, s5, v105
	v_and_b32_e32 v105, exec_hi, v1
	v_lshlrev_b32_e32 v1, 30, v38
	v_xor_b32_e32 v39, s4, v39
	v_cmp_gt_i64_e64 s[4:5], 0, v[0:1]
	v_not_b32_e32 v1, v1
	v_ashrrev_i32_e32 v1, 31, v1
	v_and_b32_e32 v39, exec_lo, v39
	v_xor_b32_e32 v106, s5, v1
	v_xor_b32_e32 v1, s4, v1
	v_and_b32_e32 v39, v39, v1
	v_lshlrev_b32_e32 v1, 29, v38
	v_cmp_gt_i64_e64 s[4:5], 0, v[0:1]
	v_not_b32_e32 v1, v1
	v_ashrrev_i32_e32 v1, 31, v1
	v_and_b32_e32 v105, v105, v106
	v_xor_b32_e32 v106, s5, v1
	v_xor_b32_e32 v1, s4, v1
	v_and_b32_e32 v39, v39, v1
	v_lshlrev_b32_e32 v1, 28, v38
	v_cmp_gt_i64_e64 s[4:5], 0, v[0:1]
	v_not_b32_e32 v1, v1
	v_ashrrev_i32_e32 v1, 31, v1
	v_and_b32_e32 v105, v105, v106
	;; [unrolled: 8-line block ×5, first 2 shown]
	v_xor_b32_e32 v106, s5, v1
	v_xor_b32_e32 v1, s4, v1
	v_and_b32_e32 v39, v39, v1
	v_lshlrev_b32_e32 v1, 24, v38
	v_cmp_gt_i64_e64 s[4:5], 0, v[0:1]
	v_not_b32_e32 v0, v1
	v_ashrrev_i32_e32 v0, 31, v0
	v_xor_b32_e32 v1, s5, v0
	v_xor_b32_e32 v0, s4, v0
	; wave barrier
	ds_read_b32 v103, v104 offset:8
	v_and_b32_e32 v105, v105, v106
	v_and_b32_e32 v0, v39, v0
	;; [unrolled: 1-line block ×3, first 2 shown]
	v_mbcnt_lo_u32_b32 v38, v0, 0
	v_mbcnt_hi_u32_b32 v105, v1, v38
	v_cmp_eq_u32_e64 s[4:5], 0, v105
	v_cmp_ne_u64_e64 s[42:43], 0, v[0:1]
	s_and_b64 s[42:43], s[42:43], s[4:5]
	; wave barrier
	s_and_saveexec_b64 s[4:5], s[42:43]
	s_cbranch_execz .LBB172_69
; %bb.68:
	v_bcnt_u32_b32 v0, v0, 0
	v_bcnt_u32_b32 v0, v1, v0
	s_waitcnt lgkmcnt(0)
	v_add_u32_e32 v0, v103, v0
	ds_write_b32 v104, v0 offset:8
.LBB172_69:
	s_or_b64 exec, exec, s[4:5]
	v_and_b32_sdwa v38, v40, s49 dst_sel:DWORD dst_unused:UNUSED_PAD src0_sel:BYTE_1 src1_sel:DWORD
	v_and_b32_e32 v1, 1, v38
	v_add_co_u32_e64 v39, s[4:5], -1, v1
	v_addc_co_u32_e64 v107, s[4:5], 0, -1, s[4:5]
	v_cmp_ne_u32_e64 s[4:5], 0, v1
	v_lshlrev_b32_e32 v0, 1, v38
	v_xor_b32_e32 v1, s5, v107
	v_add_lshl_u32 v106, v0, v74, 2
	v_mov_b32_e32 v0, 0
	v_and_b32_e32 v107, exec_hi, v1
	v_lshlrev_b32_e32 v1, 30, v38
	v_xor_b32_e32 v39, s4, v39
	v_cmp_gt_i64_e64 s[4:5], 0, v[0:1]
	v_not_b32_e32 v1, v1
	v_ashrrev_i32_e32 v1, 31, v1
	v_and_b32_e32 v39, exec_lo, v39
	v_xor_b32_e32 v108, s5, v1
	v_xor_b32_e32 v1, s4, v1
	v_and_b32_e32 v39, v39, v1
	v_lshlrev_b32_e32 v1, 29, v38
	v_cmp_gt_i64_e64 s[4:5], 0, v[0:1]
	v_not_b32_e32 v1, v1
	v_ashrrev_i32_e32 v1, 31, v1
	v_and_b32_e32 v107, v107, v108
	v_xor_b32_e32 v108, s5, v1
	v_xor_b32_e32 v1, s4, v1
	v_and_b32_e32 v39, v39, v1
	v_lshlrev_b32_e32 v1, 28, v38
	v_cmp_gt_i64_e64 s[4:5], 0, v[0:1]
	v_not_b32_e32 v1, v1
	v_ashrrev_i32_e32 v1, 31, v1
	v_and_b32_e32 v107, v107, v108
	;; [unrolled: 8-line block ×5, first 2 shown]
	v_xor_b32_e32 v108, s5, v1
	v_xor_b32_e32 v1, s4, v1
	v_and_b32_e32 v39, v39, v1
	v_lshlrev_b32_e32 v1, 24, v38
	v_cmp_gt_i64_e64 s[4:5], 0, v[0:1]
	v_not_b32_e32 v0, v1
	v_ashrrev_i32_e32 v0, 31, v0
	v_xor_b32_e32 v1, s5, v0
	v_xor_b32_e32 v0, s4, v0
	; wave barrier
	ds_read_b32 v74, v106 offset:8
	v_and_b32_e32 v107, v107, v108
	v_and_b32_e32 v0, v39, v0
	;; [unrolled: 1-line block ×3, first 2 shown]
	v_mbcnt_lo_u32_b32 v38, v0, 0
	v_mbcnt_hi_u32_b32 v107, v1, v38
	v_cmp_eq_u32_e64 s[4:5], 0, v107
	v_cmp_ne_u64_e64 s[42:43], 0, v[0:1]
	s_and_b64 s[42:43], s[42:43], s[4:5]
	; wave barrier
	s_and_saveexec_b64 s[4:5], s[42:43]
	s_cbranch_execz .LBB172_71
; %bb.70:
	v_bcnt_u32_b32 v0, v0, 0
	v_bcnt_u32_b32 v0, v1, v0
	s_waitcnt lgkmcnt(0)
	v_add_u32_e32 v0, v74, v0
	ds_write_b32 v106, v0 offset:8
.LBB172_71:
	s_or_b64 exec, exec, s[4:5]
	; wave barrier
	s_waitcnt lgkmcnt(0)
	s_barrier
	ds_read2_b32 v[38:39], v64 offset0:2 offset1:3
	ds_read2_b32 v[0:1], v75 offset0:2 offset1:3
	s_waitcnt lgkmcnt(1)
	v_add_u32_e32 v108, v39, v38
	s_waitcnt lgkmcnt(0)
	v_add3_u32 v1, v108, v0, v1
	s_nop 1
	v_mov_b32_dpp v108, v1 row_shr:1 row_mask:0xf bank_mask:0xf
	v_cndmask_b32_e64 v108, v108, 0, s[20:21]
	v_add_u32_e32 v1, v108, v1
	s_nop 1
	v_mov_b32_dpp v108, v1 row_shr:2 row_mask:0xf bank_mask:0xf
	v_cndmask_b32_e64 v108, 0, v108, s[22:23]
	v_add_u32_e32 v1, v1, v108
	;; [unrolled: 4-line block ×4, first 2 shown]
	s_nop 1
	v_mov_b32_dpp v108, v1 row_bcast:15 row_mask:0xf bank_mask:0xf
	v_cndmask_b32_e64 v108, v108, 0, vcc
	v_add_u32_e32 v1, v1, v108
	s_nop 1
	v_mov_b32_dpp v108, v1 row_bcast:31 row_mask:0xf bank_mask:0xf
	v_cndmask_b32_e64 v108, 0, v108, s[34:35]
	v_add_u32_e32 v1, v1, v108
	s_and_saveexec_b64 s[4:5], s[16:17]
	s_cbranch_execz .LBB172_73
; %bb.72:
	ds_write_b32 v76, v1
.LBB172_73:
	s_or_b64 exec, exec, s[4:5]
	s_waitcnt lgkmcnt(0)
	s_barrier
	s_and_saveexec_b64 s[4:5], s[24:25]
	s_cbranch_execz .LBB172_75
; %bb.74:
	ds_read_b32 v76, v41
	s_waitcnt lgkmcnt(0)
	s_nop 0
	v_mov_b32_dpp v108, v76 row_shr:1 row_mask:0xf bank_mask:0xf
	v_cndmask_b32_e64 v108, v108, 0, s[18:19]
	v_add_u32_e32 v76, v108, v76
	ds_write_b32 v41, v76
.LBB172_75:
	s_or_b64 exec, exec, s[4:5]
	v_mov_b32_e32 v41, 0
	s_waitcnt lgkmcnt(0)
	s_barrier
	s_and_saveexec_b64 s[4:5], s[30:31]
	s_cbranch_execz .LBB172_77
; %bb.76:
	ds_read_b32 v41, v85
.LBB172_77:
	s_or_b64 exec, exec, s[4:5]
	s_waitcnt lgkmcnt(0)
	v_add_u32_e32 v1, v41, v1
	ds_bpermute_b32 v1, v86, v1
	s_waitcnt lgkmcnt(0)
	v_cndmask_b32_e64 v1, v1, v41, s[36:37]
	v_cndmask_b32_e64 v1, v1, 0, s[38:39]
	v_add_u32_e32 v38, v1, v38
	v_add_u32_e32 v39, v38, v39
	;; [unrolled: 1-line block ×3, first 2 shown]
	ds_write2_b32 v64, v1, v38 offset0:2 offset1:3
	ds_write2_b32 v75, v39, v0 offset0:2 offset1:3
	s_waitcnt lgkmcnt(0)
	s_barrier
	ds_read_b32 v0, v106 offset:8
	ds_read_b32 v1, v104 offset:8
	;; [unrolled: 1-line block ×4, first 2 shown]
	s_waitcnt lgkmcnt(3)
	v_add3_u32 v0, v107, v74, v0
	s_waitcnt lgkmcnt(2)
	v_add3_u32 v1, v105, v103, v1
	;; [unrolled: 2-line block ×3, first 2 shown]
	ds_read_b32 v38, v95 offset:8
	ds_read_b32 v41, v92 offset:8
	;; [unrolled: 1-line block ×4, first 2 shown]
	s_waitcnt lgkmcnt(0)
	s_barrier
	v_add3_u32 v41, v93, v91, v41
	v_add3_u32 v75, v90, v88, v75
	v_add_u32_e32 v76, v76, v87
	v_lshlrev_b32_e32 v84, 1, v76
	ds_write_b16 v84, v83
	v_lshlrev_b32_e32 v83, 1, v75
	v_add3_u32 v38, v96, v94, v38
	ds_write_b16 v83, v82
	v_lshlrev_b32_e32 v82, 1, v41
	v_add3_u32 v39, v99, v97, v39
	ds_write_b16 v82, v81
	v_lshlrev_b32_e32 v81, 1, v38
	ds_write_b16 v81, v80
	v_lshlrev_b32_e32 v80, 1, v39
	;; [unrolled: 2-line block ×6, first 2 shown]
	v_lshlrev_b32_e32 v76, 3, v76
	v_lshlrev_b32_e32 v80, 3, v62
	s_waitcnt lgkmcnt(0)
	s_barrier
	v_lshlrev_b32_e32 v75, 3, v75
	v_lshlrev_b32_e32 v77, 3, v41
	;; [unrolled: 1-line block ×4, first 2 shown]
	ds_read_b128 v[38:41], v40
	v_lshlrev_b32_e32 v74, 3, v74
	v_lshlrev_b32_e32 v1, 3, v1
	;; [unrolled: 1-line block ×3, first 2 shown]
	s_waitcnt lgkmcnt(0)
	s_barrier
	ds_write_b64 v76, v[34:35]
	ds_write_b64 v75, v[36:37]
	;; [unrolled: 1-line block ×8, first 2 shown]
	s_waitcnt lgkmcnt(0)
	s_barrier
	ds_read2_b64 v[22:25], v80 offset1:1
	ds_read2_b64 v[26:29], v80 offset0:2 offset1:3
	ds_read2_b64 v[30:33], v80 offset0:4 offset1:5
	;; [unrolled: 1-line block ×3, first 2 shown]
	v_xor_b32_e32 v38, 0x80008000, v38
	v_xor_b32_e32 v39, 0x80008000, v39
	;; [unrolled: 1-line block ×4, first 2 shown]
	s_branch .LBB172_131
.LBB172_78:
	v_mov_b32_e32 v45, 0
	v_lshlrev_b64 v[2:3], 3, v[44:45]
	v_mov_b32_e32 v4, s47
	v_add_co_u32_e32 v2, vcc, s45, v2
	v_addc_co_u32_e32 v3, vcc, v4, v3, vcc
	global_load_dwordx2 v[2:3], v[2:3], off
	v_mov_b32_e32 v4, v45
	v_mov_b32_e32 v5, v45
	;; [unrolled: 1-line block ×14, first 2 shown]
	s_or_b64 exec, exec, s[4:5]
	s_and_saveexec_b64 s[4:5], s[2:3]
	s_cbranch_execz .LBB172_25
.LBB172_79:
	v_mul_lo_u32 v4, v1, s48
	v_mov_b32_e32 v5, 0
	v_lshlrev_b64 v[4:5], 3, v[4:5]
	v_mov_b32_e32 v1, s47
	v_add_co_u32_e32 v4, vcc, s45, v4
	v_addc_co_u32_e32 v5, vcc, v1, v5, vcc
	global_load_dwordx2 v[4:5], v[4:5], off
	s_or_b64 exec, exec, s[4:5]
	s_and_saveexec_b64 s[4:5], s[40:41]
	s_cbranch_execz .LBB172_26
.LBB172_80:
	v_mul_lo_u32 v6, v22, s48
	v_mov_b32_e32 v7, 0
	v_lshlrev_b64 v[6:7], 3, v[6:7]
	v_mov_b32_e32 v1, s47
	v_add_co_u32_e32 v6, vcc, s45, v6
	v_addc_co_u32_e32 v7, vcc, v1, v7, vcc
	global_load_dwordx2 v[6:7], v[6:7], off
	s_or_b64 exec, exec, s[4:5]
	s_and_saveexec_b64 s[4:5], s[6:7]
	s_cbranch_execz .LBB172_27
.LBB172_81:
	v_mul_lo_u32 v8, v23, s48
	v_mov_b32_e32 v9, 0
	v_lshlrev_b64 v[8:9], 3, v[8:9]
	v_mov_b32_e32 v1, s47
	v_add_co_u32_e32 v8, vcc, s45, v8
	v_addc_co_u32_e32 v9, vcc, v1, v9, vcc
	global_load_dwordx2 v[8:9], v[8:9], off
	s_or_b64 exec, exec, s[4:5]
	s_and_saveexec_b64 s[4:5], s[8:9]
	s_cbranch_execz .LBB172_28
.LBB172_82:
	v_mul_lo_u32 v10, v24, s48
	v_mov_b32_e32 v11, 0
	v_lshlrev_b64 v[10:11], 3, v[10:11]
	v_mov_b32_e32 v1, s47
	v_add_co_u32_e32 v10, vcc, s45, v10
	v_addc_co_u32_e32 v11, vcc, v1, v11, vcc
	global_load_dwordx2 v[10:11], v[10:11], off
	s_or_b64 exec, exec, s[4:5]
	s_and_saveexec_b64 s[4:5], s[10:11]
	s_cbranch_execz .LBB172_29
.LBB172_83:
	v_mul_lo_u32 v12, v25, s48
	v_mov_b32_e32 v13, 0
	v_lshlrev_b64 v[12:13], 3, v[12:13]
	v_mov_b32_e32 v1, s47
	v_add_co_u32_e32 v12, vcc, s45, v12
	v_addc_co_u32_e32 v13, vcc, v1, v13, vcc
	global_load_dwordx2 v[12:13], v[12:13], off
	s_or_b64 exec, exec, s[4:5]
	s_and_saveexec_b64 s[4:5], s[12:13]
	s_cbranch_execz .LBB172_30
.LBB172_84:
	v_mul_lo_u32 v14, v26, s48
	v_mov_b32_e32 v15, 0
	v_lshlrev_b64 v[14:15], 3, v[14:15]
	v_mov_b32_e32 v1, s47
	v_add_co_u32_e32 v14, vcc, s45, v14
	v_addc_co_u32_e32 v15, vcc, v1, v15, vcc
	global_load_dwordx2 v[14:15], v[14:15], off
	s_or_b64 exec, exec, s[4:5]
	s_xor_b64 s[4:5], s[34:35], -1
	s_and_saveexec_b64 s[16:17], s[14:15]
	s_cbranch_execnz .LBB172_31
	s_branch .LBB172_32
.LBB172_85:
                                        ; implicit-def: $vgpr41
                                        ; implicit-def: $vgpr36_vgpr37
                                        ; implicit-def: $vgpr32_vgpr33
                                        ; implicit-def: $vgpr28_vgpr29
                                        ; implicit-def: $vgpr24_vgpr25
	s_cbranch_execz .LBB172_131
; %bb.86:
	s_movk_i32 s4, 0x7fff
	v_xor_b32_e32 v0, 0x7fff, v18
	v_xor_b32_sdwa v1, v18, s4 dst_sel:DWORD dst_unused:UNUSED_PAD src0_sel:WORD_1 src1_sel:DWORD
	v_xor_b32_e32 v18, 0x7fff, v19
	v_xor_b32_sdwa v19, v19, s4 dst_sel:DWORD dst_unused:UNUSED_PAD src0_sel:WORD_1 src1_sel:DWORD
	s_waitcnt lgkmcnt(3)
	v_xor_b32_e32 v22, 0x7fff, v20
	v_xor_b32_sdwa v20, v20, s4 dst_sel:DWORD dst_unused:UNUSED_PAD src0_sel:WORD_1 src1_sel:DWORD
	v_xor_b32_e32 v23, 0x7fff, v21
	v_xor_b32_sdwa v21, v21, s4 dst_sel:DWORD dst_unused:UNUSED_PAD src0_sel:WORD_1 src1_sel:DWORD
	s_mov_b32 s4, 0x5040100
	v_perm_b32 v21, v21, v23, s4
	v_perm_b32 v20, v20, v22, s4
	;; [unrolled: 1-line block ×4, first 2 shown]
	ds_write_b128 v73, v[18:21]
	; wave barrier
	s_waitcnt lgkmcnt(2)
	ds_read_u16 v32, v72
	ds_read_u16 v31, v72 offset:128
	ds_read_u16 v30, v72 offset:256
	;; [unrolled: 1-line block ×7, first 2 shown]
	s_waitcnt lgkmcnt(0)
	s_barrier
	ds_write2_b64 v71, v[14:15], v[16:17] offset1:1
	ds_write2_b64 v71, v[10:11], v[12:13] offset0:2 offset1:3
	ds_write2_b64 v71, v[6:7], v[8:9] offset0:4 offset1:5
	;; [unrolled: 1-line block ×3, first 2 shown]
	; wave barrier
	ds_read2st64_b64 v[12:15], v70 offset1:1
	ds_read2st64_b64 v[8:11], v70 offset0:2 offset1:3
	ds_read2st64_b64 v[4:7], v70 offset0:4 offset1:5
	;; [unrolled: 1-line block ×3, first 2 shown]
	s_waitcnt lgkmcnt(0)
	s_barrier
	s_load_dword s16, s[50:51], 0xc
	s_getpc_b64 s[4:5]
	s_add_u32 s4, s4, _ZN7rocprim17ROCPRIM_400000_NS16block_radix_sortIsLj128ELj8ElLj1ELj1ELj0ELNS0_26block_radix_rank_algorithmE1ELNS0_18block_padding_hintE2ELNS0_4arch9wavefront6targetE1EE19radix_bits_per_passE@rel32@lo+4
	s_addc_u32 s5, s5, _ZN7rocprim17ROCPRIM_400000_NS16block_radix_sortIsLj128ELj8ElLj1ELj1ELj0ELNS0_26block_radix_rank_algorithmE1ELNS0_18block_padding_hintE2ELNS0_4arch9wavefront6targetE1EE19radix_bits_per_passE@rel32@hi+12
	s_load_dword s42, s[4:5], 0x0
	s_waitcnt lgkmcnt(0)
	s_lshr_b32 s4, s16, 16
	s_and_b32 s5, s16, 0xffff
	v_mad_u32_u24 v16, v69, s4, v68
	v_mad_u64_u32 v[16:17], s[4:5], v16, s5, v[46:47]
	s_min_u32 s4, s42, 16
	s_lshl_b32 s4, -1, s4
	s_not_b32 s16, s4
	v_and_b32_sdwa v18, s16, v32 dst_sel:DWORD dst_unused:UNUSED_PAD src0_sel:DWORD src1_sel:WORD_0
	v_lshrrev_b32_e32 v22, 6, v16
	v_lshlrev_b32_e32 v17, 1, v18
	v_add_lshl_u32 v35, v22, v17, 2
	v_and_b32_e32 v17, 1, v18
	v_add_co_u32_e32 v19, vcc, -1, v17
	v_addc_co_u32_e64 v20, s[4:5], 0, -1, vcc
	v_cmp_ne_u32_e32 vcc, 0, v17
	v_xor_b32_e32 v17, vcc_hi, v20
	v_mov_b32_e32 v16, 0
	v_and_b32_e32 v20, exec_hi, v17
	v_lshlrev_b32_e32 v17, 30, v18
	v_xor_b32_e32 v19, vcc_lo, v19
	v_cmp_gt_i64_e32 vcc, 0, v[16:17]
	v_not_b32_e32 v17, v17
	v_ashrrev_i32_e32 v17, 31, v17
	v_and_b32_e32 v19, exec_lo, v19
	v_xor_b32_e32 v21, vcc_hi, v17
	v_xor_b32_e32 v17, vcc_lo, v17
	v_and_b32_e32 v19, v19, v17
	v_lshlrev_b32_e32 v17, 29, v18
	v_cmp_gt_i64_e32 vcc, 0, v[16:17]
	v_not_b32_e32 v17, v17
	v_ashrrev_i32_e32 v17, 31, v17
	v_and_b32_e32 v20, v20, v21
	v_xor_b32_e32 v21, vcc_hi, v17
	v_xor_b32_e32 v17, vcc_lo, v17
	v_and_b32_e32 v19, v19, v17
	v_lshlrev_b32_e32 v17, 28, v18
	v_cmp_gt_i64_e32 vcc, 0, v[16:17]
	v_not_b32_e32 v17, v17
	v_ashrrev_i32_e32 v17, 31, v17
	v_and_b32_e32 v20, v20, v21
	v_xor_b32_e32 v21, vcc_hi, v17
	v_xor_b32_e32 v17, vcc_lo, v17
	v_and_b32_e32 v19, v19, v17
	v_lshlrev_b32_e32 v17, 27, v18
	v_cmp_gt_i64_e32 vcc, 0, v[16:17]
	v_not_b32_e32 v17, v17
	v_ashrrev_i32_e32 v17, 31, v17
	v_and_b32_e32 v20, v20, v21
	v_xor_b32_e32 v21, vcc_hi, v17
	v_xor_b32_e32 v17, vcc_lo, v17
	v_and_b32_e32 v19, v19, v17
	v_lshlrev_b32_e32 v17, 26, v18
	v_cmp_gt_i64_e32 vcc, 0, v[16:17]
	v_not_b32_e32 v17, v17
	v_ashrrev_i32_e32 v17, 31, v17
	v_and_b32_e32 v20, v20, v21
	v_xor_b32_e32 v21, vcc_hi, v17
	v_xor_b32_e32 v17, vcc_lo, v17
	v_and_b32_e32 v19, v19, v17
	v_lshlrev_b32_e32 v17, 25, v18
	v_cmp_gt_i64_e32 vcc, 0, v[16:17]
	v_not_b32_e32 v17, v17
	v_ashrrev_i32_e32 v17, 31, v17
	v_and_b32_e32 v20, v20, v21
	v_xor_b32_e32 v21, vcc_hi, v17
	v_xor_b32_e32 v17, vcc_lo, v17
	v_and_b32_e32 v20, v20, v21
	v_and_b32_e32 v21, v19, v17
	v_lshlrev_b32_e32 v17, 24, v18
	v_cmp_gt_i64_e32 vcc, 0, v[16:17]
	v_not_b32_e32 v17, v17
	v_ashrrev_i32_e32 v17, 31, v17
	v_xor_b32_e32 v18, vcc_hi, v17
	v_xor_b32_e32 v17, vcc_lo, v17
	v_and_b32_e32 v19, v20, v18
	v_and_b32_e32 v18, v21, v17
	v_mbcnt_lo_u32_b32 v17, v18, 0
	v_mbcnt_hi_u32_b32 v36, v19, v17
	v_cmp_eq_u32_e32 vcc, 0, v36
	v_cmp_ne_u64_e64 s[4:5], 0, v[18:19]
	s_and_b64 s[18:19], s[4:5], vcc
	ds_write2_b32 v64, v16, v16 offset0:2 offset1:3
	ds_write2_b32 v64, v16, v16 offset0:4 offset1:5
	s_waitcnt lgkmcnt(0)
	s_barrier
	s_waitcnt lgkmcnt(0)
	; wave barrier
	s_and_saveexec_b64 s[4:5], s[18:19]
	s_cbranch_execz .LBB172_88
; %bb.87:
	v_bcnt_u32_b32 v17, v18, 0
	v_bcnt_u32_b32 v17, v19, v17
	ds_write_b32 v35, v17 offset:8
.LBB172_88:
	s_or_b64 exec, exec, s[4:5]
	v_and_b32_sdwa v18, s16, v31 dst_sel:DWORD dst_unused:UNUSED_PAD src0_sel:DWORD src1_sel:WORD_0
	v_lshlrev_b32_e32 v17, 1, v18
	v_add_lshl_u32 v38, v22, v17, 2
	v_and_b32_e32 v17, 1, v18
	v_add_co_u32_e32 v19, vcc, -1, v17
	v_addc_co_u32_e64 v20, s[4:5], 0, -1, vcc
	v_cmp_ne_u32_e32 vcc, 0, v17
	v_xor_b32_e32 v17, vcc_hi, v20
	v_and_b32_e32 v20, exec_hi, v17
	v_lshlrev_b32_e32 v17, 30, v18
	v_xor_b32_e32 v19, vcc_lo, v19
	v_cmp_gt_i64_e32 vcc, 0, v[16:17]
	v_not_b32_e32 v17, v17
	v_ashrrev_i32_e32 v17, 31, v17
	v_and_b32_e32 v19, exec_lo, v19
	v_xor_b32_e32 v21, vcc_hi, v17
	v_xor_b32_e32 v17, vcc_lo, v17
	v_and_b32_e32 v19, v19, v17
	v_lshlrev_b32_e32 v17, 29, v18
	v_cmp_gt_i64_e32 vcc, 0, v[16:17]
	v_not_b32_e32 v17, v17
	v_ashrrev_i32_e32 v17, 31, v17
	v_and_b32_e32 v20, v20, v21
	v_xor_b32_e32 v21, vcc_hi, v17
	v_xor_b32_e32 v17, vcc_lo, v17
	v_and_b32_e32 v19, v19, v17
	v_lshlrev_b32_e32 v17, 28, v18
	v_cmp_gt_i64_e32 vcc, 0, v[16:17]
	v_not_b32_e32 v17, v17
	v_ashrrev_i32_e32 v17, 31, v17
	v_and_b32_e32 v20, v20, v21
	;; [unrolled: 8-line block ×5, first 2 shown]
	v_xor_b32_e32 v21, vcc_hi, v17
	v_xor_b32_e32 v17, vcc_lo, v17
	v_and_b32_e32 v19, v19, v17
	v_lshlrev_b32_e32 v17, 24, v18
	v_cmp_gt_i64_e32 vcc, 0, v[16:17]
	v_not_b32_e32 v16, v17
	v_ashrrev_i32_e32 v16, 31, v16
	v_xor_b32_e32 v17, vcc_hi, v16
	v_xor_b32_e32 v16, vcc_lo, v16
	; wave barrier
	ds_read_b32 v37, v38 offset:8
	v_and_b32_e32 v20, v20, v21
	v_and_b32_e32 v16, v19, v16
	;; [unrolled: 1-line block ×3, first 2 shown]
	v_mbcnt_lo_u32_b32 v18, v16, 0
	v_mbcnt_hi_u32_b32 v39, v17, v18
	v_cmp_eq_u32_e32 vcc, 0, v39
	v_cmp_ne_u64_e64 s[4:5], 0, v[16:17]
	s_and_b64 s[18:19], s[4:5], vcc
	; wave barrier
	s_and_saveexec_b64 s[4:5], s[18:19]
	s_cbranch_execz .LBB172_90
; %bb.89:
	v_bcnt_u32_b32 v16, v16, 0
	v_bcnt_u32_b32 v16, v17, v16
	s_waitcnt lgkmcnt(0)
	v_add_u32_e32 v16, v37, v16
	ds_write_b32 v38, v16 offset:8
.LBB172_90:
	s_or_b64 exec, exec, s[4:5]
	v_and_b32_sdwa v18, s16, v30 dst_sel:DWORD dst_unused:UNUSED_PAD src0_sel:DWORD src1_sel:WORD_0
	v_and_b32_e32 v17, 1, v18
	v_add_co_u32_e32 v19, vcc, -1, v17
	v_addc_co_u32_e64 v20, s[4:5], 0, -1, vcc
	v_cmp_ne_u32_e32 vcc, 0, v17
	v_lshlrev_b32_e32 v16, 1, v18
	v_xor_b32_e32 v17, vcc_hi, v20
	v_add_lshl_u32 v41, v22, v16, 2
	v_mov_b32_e32 v16, 0
	v_and_b32_e32 v20, exec_hi, v17
	v_lshlrev_b32_e32 v17, 30, v18
	v_xor_b32_e32 v19, vcc_lo, v19
	v_cmp_gt_i64_e32 vcc, 0, v[16:17]
	v_not_b32_e32 v17, v17
	v_ashrrev_i32_e32 v17, 31, v17
	v_and_b32_e32 v19, exec_lo, v19
	v_xor_b32_e32 v21, vcc_hi, v17
	v_xor_b32_e32 v17, vcc_lo, v17
	v_and_b32_e32 v19, v19, v17
	v_lshlrev_b32_e32 v17, 29, v18
	v_cmp_gt_i64_e32 vcc, 0, v[16:17]
	v_not_b32_e32 v17, v17
	v_ashrrev_i32_e32 v17, 31, v17
	v_and_b32_e32 v20, v20, v21
	v_xor_b32_e32 v21, vcc_hi, v17
	v_xor_b32_e32 v17, vcc_lo, v17
	v_and_b32_e32 v19, v19, v17
	v_lshlrev_b32_e32 v17, 28, v18
	v_cmp_gt_i64_e32 vcc, 0, v[16:17]
	v_not_b32_e32 v17, v17
	v_ashrrev_i32_e32 v17, 31, v17
	v_and_b32_e32 v20, v20, v21
	;; [unrolled: 8-line block ×5, first 2 shown]
	v_xor_b32_e32 v21, vcc_hi, v17
	v_xor_b32_e32 v17, vcc_lo, v17
	v_and_b32_e32 v20, v20, v21
	v_and_b32_e32 v21, v19, v17
	v_lshlrev_b32_e32 v17, 24, v18
	v_cmp_gt_i64_e32 vcc, 0, v[16:17]
	v_not_b32_e32 v17, v17
	v_ashrrev_i32_e32 v17, 31, v17
	v_xor_b32_e32 v18, vcc_hi, v17
	v_xor_b32_e32 v17, vcc_lo, v17
	; wave barrier
	ds_read_b32 v40, v41 offset:8
	v_and_b32_e32 v19, v20, v18
	v_and_b32_e32 v18, v21, v17
	v_mbcnt_lo_u32_b32 v17, v18, 0
	v_mbcnt_hi_u32_b32 v68, v19, v17
	v_cmp_eq_u32_e32 vcc, 0, v68
	v_cmp_ne_u64_e64 s[4:5], 0, v[18:19]
	s_and_b64 s[18:19], s[4:5], vcc
	; wave barrier
	s_and_saveexec_b64 s[4:5], s[18:19]
	s_cbranch_execz .LBB172_92
; %bb.91:
	v_bcnt_u32_b32 v17, v18, 0
	v_bcnt_u32_b32 v17, v19, v17
	s_waitcnt lgkmcnt(0)
	v_add_u32_e32 v17, v40, v17
	ds_write_b32 v41, v17 offset:8
.LBB172_92:
	s_or_b64 exec, exec, s[4:5]
	v_and_b32_sdwa v18, s16, v29 dst_sel:DWORD dst_unused:UNUSED_PAD src0_sel:DWORD src1_sel:WORD_0
	v_lshlrev_b32_e32 v17, 1, v18
	v_add_lshl_u32 v70, v22, v17, 2
	v_and_b32_e32 v17, 1, v18
	v_add_co_u32_e32 v19, vcc, -1, v17
	v_addc_co_u32_e64 v20, s[4:5], 0, -1, vcc
	v_cmp_ne_u32_e32 vcc, 0, v17
	v_xor_b32_e32 v17, vcc_hi, v20
	v_and_b32_e32 v20, exec_hi, v17
	v_lshlrev_b32_e32 v17, 30, v18
	v_xor_b32_e32 v19, vcc_lo, v19
	v_cmp_gt_i64_e32 vcc, 0, v[16:17]
	v_not_b32_e32 v17, v17
	v_ashrrev_i32_e32 v17, 31, v17
	v_and_b32_e32 v19, exec_lo, v19
	v_xor_b32_e32 v21, vcc_hi, v17
	v_xor_b32_e32 v17, vcc_lo, v17
	v_and_b32_e32 v19, v19, v17
	v_lshlrev_b32_e32 v17, 29, v18
	v_cmp_gt_i64_e32 vcc, 0, v[16:17]
	v_not_b32_e32 v17, v17
	v_ashrrev_i32_e32 v17, 31, v17
	v_and_b32_e32 v20, v20, v21
	v_xor_b32_e32 v21, vcc_hi, v17
	v_xor_b32_e32 v17, vcc_lo, v17
	v_and_b32_e32 v19, v19, v17
	v_lshlrev_b32_e32 v17, 28, v18
	v_cmp_gt_i64_e32 vcc, 0, v[16:17]
	v_not_b32_e32 v17, v17
	v_ashrrev_i32_e32 v17, 31, v17
	v_and_b32_e32 v20, v20, v21
	;; [unrolled: 8-line block ×5, first 2 shown]
	v_xor_b32_e32 v21, vcc_hi, v17
	v_xor_b32_e32 v17, vcc_lo, v17
	v_and_b32_e32 v19, v19, v17
	v_lshlrev_b32_e32 v17, 24, v18
	v_cmp_gt_i64_e32 vcc, 0, v[16:17]
	v_not_b32_e32 v16, v17
	v_ashrrev_i32_e32 v16, 31, v16
	v_xor_b32_e32 v17, vcc_hi, v16
	v_xor_b32_e32 v16, vcc_lo, v16
	; wave barrier
	ds_read_b32 v69, v70 offset:8
	v_and_b32_e32 v20, v20, v21
	v_and_b32_e32 v16, v19, v16
	;; [unrolled: 1-line block ×3, first 2 shown]
	v_mbcnt_lo_u32_b32 v18, v16, 0
	v_mbcnt_hi_u32_b32 v71, v17, v18
	v_cmp_eq_u32_e32 vcc, 0, v71
	v_cmp_ne_u64_e64 s[4:5], 0, v[16:17]
	s_and_b64 s[18:19], s[4:5], vcc
	; wave barrier
	s_and_saveexec_b64 s[4:5], s[18:19]
	s_cbranch_execz .LBB172_94
; %bb.93:
	v_bcnt_u32_b32 v16, v16, 0
	v_bcnt_u32_b32 v16, v17, v16
	s_waitcnt lgkmcnt(0)
	v_add_u32_e32 v16, v69, v16
	ds_write_b32 v70, v16 offset:8
.LBB172_94:
	s_or_b64 exec, exec, s[4:5]
	v_and_b32_sdwa v18, s16, v28 dst_sel:DWORD dst_unused:UNUSED_PAD src0_sel:DWORD src1_sel:WORD_0
	v_and_b32_e32 v17, 1, v18
	v_add_co_u32_e32 v19, vcc, -1, v17
	v_addc_co_u32_e64 v20, s[4:5], 0, -1, vcc
	v_cmp_ne_u32_e32 vcc, 0, v17
	v_lshlrev_b32_e32 v16, 1, v18
	v_xor_b32_e32 v17, vcc_hi, v20
	v_add_lshl_u32 v73, v22, v16, 2
	v_mov_b32_e32 v16, 0
	v_and_b32_e32 v20, exec_hi, v17
	v_lshlrev_b32_e32 v17, 30, v18
	v_xor_b32_e32 v19, vcc_lo, v19
	v_cmp_gt_i64_e32 vcc, 0, v[16:17]
	v_not_b32_e32 v17, v17
	v_ashrrev_i32_e32 v17, 31, v17
	v_and_b32_e32 v19, exec_lo, v19
	v_xor_b32_e32 v21, vcc_hi, v17
	v_xor_b32_e32 v17, vcc_lo, v17
	v_and_b32_e32 v19, v19, v17
	v_lshlrev_b32_e32 v17, 29, v18
	v_cmp_gt_i64_e32 vcc, 0, v[16:17]
	v_not_b32_e32 v17, v17
	v_ashrrev_i32_e32 v17, 31, v17
	v_and_b32_e32 v20, v20, v21
	v_xor_b32_e32 v21, vcc_hi, v17
	v_xor_b32_e32 v17, vcc_lo, v17
	v_and_b32_e32 v19, v19, v17
	v_lshlrev_b32_e32 v17, 28, v18
	v_cmp_gt_i64_e32 vcc, 0, v[16:17]
	v_not_b32_e32 v17, v17
	v_ashrrev_i32_e32 v17, 31, v17
	v_and_b32_e32 v20, v20, v21
	;; [unrolled: 8-line block ×5, first 2 shown]
	v_xor_b32_e32 v21, vcc_hi, v17
	v_xor_b32_e32 v17, vcc_lo, v17
	v_and_b32_e32 v20, v20, v21
	v_and_b32_e32 v21, v19, v17
	v_lshlrev_b32_e32 v17, 24, v18
	v_cmp_gt_i64_e32 vcc, 0, v[16:17]
	v_not_b32_e32 v17, v17
	v_ashrrev_i32_e32 v17, 31, v17
	v_xor_b32_e32 v18, vcc_hi, v17
	v_xor_b32_e32 v17, vcc_lo, v17
	; wave barrier
	ds_read_b32 v72, v73 offset:8
	v_and_b32_e32 v19, v20, v18
	v_and_b32_e32 v18, v21, v17
	v_mbcnt_lo_u32_b32 v17, v18, 0
	v_mbcnt_hi_u32_b32 v74, v19, v17
	v_cmp_eq_u32_e32 vcc, 0, v74
	v_cmp_ne_u64_e64 s[4:5], 0, v[18:19]
	s_and_b64 s[18:19], s[4:5], vcc
	; wave barrier
	s_and_saveexec_b64 s[4:5], s[18:19]
	s_cbranch_execz .LBB172_96
; %bb.95:
	v_bcnt_u32_b32 v17, v18, 0
	v_bcnt_u32_b32 v17, v19, v17
	s_waitcnt lgkmcnt(0)
	v_add_u32_e32 v17, v72, v17
	ds_write_b32 v73, v17 offset:8
.LBB172_96:
	s_or_b64 exec, exec, s[4:5]
	v_and_b32_sdwa v18, s16, v27 dst_sel:DWORD dst_unused:UNUSED_PAD src0_sel:DWORD src1_sel:WORD_0
	v_lshlrev_b32_e32 v17, 1, v18
	v_add_lshl_u32 v76, v22, v17, 2
	v_and_b32_e32 v17, 1, v18
	v_add_co_u32_e32 v19, vcc, -1, v17
	v_addc_co_u32_e64 v20, s[4:5], 0, -1, vcc
	v_cmp_ne_u32_e32 vcc, 0, v17
	v_xor_b32_e32 v17, vcc_hi, v20
	v_and_b32_e32 v20, exec_hi, v17
	v_lshlrev_b32_e32 v17, 30, v18
	v_xor_b32_e32 v19, vcc_lo, v19
	v_cmp_gt_i64_e32 vcc, 0, v[16:17]
	v_not_b32_e32 v17, v17
	v_ashrrev_i32_e32 v17, 31, v17
	v_and_b32_e32 v19, exec_lo, v19
	v_xor_b32_e32 v21, vcc_hi, v17
	v_xor_b32_e32 v17, vcc_lo, v17
	v_and_b32_e32 v19, v19, v17
	v_lshlrev_b32_e32 v17, 29, v18
	v_cmp_gt_i64_e32 vcc, 0, v[16:17]
	v_not_b32_e32 v17, v17
	v_ashrrev_i32_e32 v17, 31, v17
	v_and_b32_e32 v20, v20, v21
	v_xor_b32_e32 v21, vcc_hi, v17
	v_xor_b32_e32 v17, vcc_lo, v17
	v_and_b32_e32 v19, v19, v17
	v_lshlrev_b32_e32 v17, 28, v18
	v_cmp_gt_i64_e32 vcc, 0, v[16:17]
	v_not_b32_e32 v17, v17
	v_ashrrev_i32_e32 v17, 31, v17
	v_and_b32_e32 v20, v20, v21
	;; [unrolled: 8-line block ×5, first 2 shown]
	v_xor_b32_e32 v21, vcc_hi, v17
	v_xor_b32_e32 v17, vcc_lo, v17
	v_and_b32_e32 v19, v19, v17
	v_lshlrev_b32_e32 v17, 24, v18
	v_cmp_gt_i64_e32 vcc, 0, v[16:17]
	v_not_b32_e32 v16, v17
	v_ashrrev_i32_e32 v16, 31, v16
	v_xor_b32_e32 v17, vcc_hi, v16
	v_xor_b32_e32 v16, vcc_lo, v16
	; wave barrier
	ds_read_b32 v75, v76 offset:8
	v_and_b32_e32 v20, v20, v21
	v_and_b32_e32 v16, v19, v16
	;; [unrolled: 1-line block ×3, first 2 shown]
	v_mbcnt_lo_u32_b32 v18, v16, 0
	v_mbcnt_hi_u32_b32 v77, v17, v18
	v_cmp_eq_u32_e32 vcc, 0, v77
	v_cmp_ne_u64_e64 s[4:5], 0, v[16:17]
	s_and_b64 s[18:19], s[4:5], vcc
	; wave barrier
	s_and_saveexec_b64 s[4:5], s[18:19]
	s_cbranch_execz .LBB172_98
; %bb.97:
	v_bcnt_u32_b32 v16, v16, 0
	v_bcnt_u32_b32 v16, v17, v16
	s_waitcnt lgkmcnt(0)
	v_add_u32_e32 v16, v75, v16
	ds_write_b32 v76, v16 offset:8
.LBB172_98:
	s_or_b64 exec, exec, s[4:5]
	v_and_b32_sdwa v18, s16, v26 dst_sel:DWORD dst_unused:UNUSED_PAD src0_sel:DWORD src1_sel:WORD_0
	v_and_b32_e32 v17, 1, v18
	v_add_co_u32_e32 v19, vcc, -1, v17
	v_addc_co_u32_e64 v20, s[4:5], 0, -1, vcc
	v_cmp_ne_u32_e32 vcc, 0, v17
	v_lshlrev_b32_e32 v16, 1, v18
	v_xor_b32_e32 v17, vcc_hi, v20
	v_add_lshl_u32 v79, v22, v16, 2
	v_mov_b32_e32 v16, 0
	v_and_b32_e32 v20, exec_hi, v17
	v_lshlrev_b32_e32 v17, 30, v18
	v_xor_b32_e32 v19, vcc_lo, v19
	v_cmp_gt_i64_e32 vcc, 0, v[16:17]
	v_not_b32_e32 v17, v17
	v_ashrrev_i32_e32 v17, 31, v17
	v_and_b32_e32 v19, exec_lo, v19
	v_xor_b32_e32 v21, vcc_hi, v17
	v_xor_b32_e32 v17, vcc_lo, v17
	v_and_b32_e32 v19, v19, v17
	v_lshlrev_b32_e32 v17, 29, v18
	v_cmp_gt_i64_e32 vcc, 0, v[16:17]
	v_not_b32_e32 v17, v17
	v_ashrrev_i32_e32 v17, 31, v17
	v_and_b32_e32 v20, v20, v21
	v_xor_b32_e32 v21, vcc_hi, v17
	v_xor_b32_e32 v17, vcc_lo, v17
	v_and_b32_e32 v19, v19, v17
	v_lshlrev_b32_e32 v17, 28, v18
	v_cmp_gt_i64_e32 vcc, 0, v[16:17]
	v_not_b32_e32 v17, v17
	v_ashrrev_i32_e32 v17, 31, v17
	v_and_b32_e32 v20, v20, v21
	;; [unrolled: 8-line block ×5, first 2 shown]
	v_xor_b32_e32 v21, vcc_hi, v17
	v_xor_b32_e32 v17, vcc_lo, v17
	v_and_b32_e32 v20, v20, v21
	v_and_b32_e32 v21, v19, v17
	v_lshlrev_b32_e32 v17, 24, v18
	v_cmp_gt_i64_e32 vcc, 0, v[16:17]
	v_not_b32_e32 v17, v17
	v_ashrrev_i32_e32 v17, 31, v17
	v_xor_b32_e32 v18, vcc_hi, v17
	v_xor_b32_e32 v17, vcc_lo, v17
	; wave barrier
	ds_read_b32 v78, v79 offset:8
	v_and_b32_e32 v19, v20, v18
	v_and_b32_e32 v18, v21, v17
	v_mbcnt_lo_u32_b32 v17, v18, 0
	v_mbcnt_hi_u32_b32 v80, v19, v17
	v_cmp_eq_u32_e32 vcc, 0, v80
	v_cmp_ne_u64_e64 s[4:5], 0, v[18:19]
	s_and_b64 s[18:19], s[4:5], vcc
	; wave barrier
	s_and_saveexec_b64 s[4:5], s[18:19]
	s_cbranch_execz .LBB172_100
; %bb.99:
	v_bcnt_u32_b32 v17, v18, 0
	v_bcnt_u32_b32 v17, v19, v17
	s_waitcnt lgkmcnt(0)
	v_add_u32_e32 v17, v78, v17
	ds_write_b32 v79, v17 offset:8
.LBB172_100:
	s_or_b64 exec, exec, s[4:5]
	v_and_b32_sdwa v18, s16, v25 dst_sel:DWORD dst_unused:UNUSED_PAD src0_sel:DWORD src1_sel:WORD_0
	v_lshlrev_b32_e32 v17, 1, v18
	v_add_lshl_u32 v81, v22, v17, 2
	v_and_b32_e32 v17, 1, v18
	v_add_co_u32_e32 v19, vcc, -1, v17
	v_addc_co_u32_e64 v20, s[4:5], 0, -1, vcc
	v_cmp_ne_u32_e32 vcc, 0, v17
	v_xor_b32_e32 v17, vcc_hi, v20
	v_and_b32_e32 v20, exec_hi, v17
	v_lshlrev_b32_e32 v17, 30, v18
	v_xor_b32_e32 v19, vcc_lo, v19
	v_cmp_gt_i64_e32 vcc, 0, v[16:17]
	v_not_b32_e32 v17, v17
	v_ashrrev_i32_e32 v17, 31, v17
	v_and_b32_e32 v19, exec_lo, v19
	v_xor_b32_e32 v21, vcc_hi, v17
	v_xor_b32_e32 v17, vcc_lo, v17
	v_and_b32_e32 v19, v19, v17
	v_lshlrev_b32_e32 v17, 29, v18
	v_cmp_gt_i64_e32 vcc, 0, v[16:17]
	v_not_b32_e32 v17, v17
	v_ashrrev_i32_e32 v17, 31, v17
	v_and_b32_e32 v20, v20, v21
	v_xor_b32_e32 v21, vcc_hi, v17
	v_xor_b32_e32 v17, vcc_lo, v17
	v_and_b32_e32 v19, v19, v17
	v_lshlrev_b32_e32 v17, 28, v18
	v_cmp_gt_i64_e32 vcc, 0, v[16:17]
	v_not_b32_e32 v17, v17
	v_ashrrev_i32_e32 v17, 31, v17
	v_and_b32_e32 v20, v20, v21
	;; [unrolled: 8-line block ×5, first 2 shown]
	v_xor_b32_e32 v21, vcc_hi, v17
	v_xor_b32_e32 v17, vcc_lo, v17
	v_and_b32_e32 v19, v19, v17
	v_lshlrev_b32_e32 v17, 24, v18
	v_cmp_gt_i64_e32 vcc, 0, v[16:17]
	v_not_b32_e32 v16, v17
	v_ashrrev_i32_e32 v16, 31, v16
	v_xor_b32_e32 v17, vcc_hi, v16
	v_xor_b32_e32 v16, vcc_lo, v16
	v_min_u32_e32 v33, 64, v67
	; wave barrier
	ds_read_b32 v67, v81 offset:8
	v_and_b32_e32 v20, v20, v21
	v_and_b32_e32 v16, v19, v16
	v_and_b32_e32 v17, v20, v17
	v_mbcnt_lo_u32_b32 v18, v16, 0
	v_mbcnt_hi_u32_b32 v82, v17, v18
	v_cmp_eq_u32_e32 vcc, 0, v82
	v_cmp_ne_u64_e64 s[4:5], 0, v[16:17]
	v_or_b32_e32 v23, 8, v64
	v_lshrrev_b32_e32 v24, 6, v46
	s_and_b64 s[16:17], s[4:5], vcc
	; wave barrier
	s_and_saveexec_b64 s[4:5], s[16:17]
	s_cbranch_execz .LBB172_102
; %bb.101:
	v_bcnt_u32_b32 v16, v16, 0
	v_bcnt_u32_b32 v16, v17, v16
	s_waitcnt lgkmcnt(0)
	v_add_u32_e32 v16, v67, v16
	ds_write_b32 v81, v16 offset:8
.LBB172_102:
	s_or_b64 exec, exec, s[4:5]
	; wave barrier
	s_waitcnt lgkmcnt(0)
	s_barrier
	ds_read2_b32 v[18:19], v64 offset0:2 offset1:3
	ds_read2_b32 v[20:21], v23 offset0:2 offset1:3
	v_and_b32_e32 v17, 16, v65
	v_cmp_eq_u32_e32 vcc, 0, v17
	v_or_b32_e32 v17, 63, v33
	v_cmp_eq_u32_e64 s[16:17], v17, v46
	s_waitcnt lgkmcnt(1)
	v_add_u32_e32 v17, v19, v18
	v_and_b32_e32 v16, 15, v65
	s_waitcnt lgkmcnt(0)
	v_add3_u32 v17, v17, v20, v21
	v_cmp_eq_u32_e64 s[20:21], 0, v16
	v_cmp_lt_u32_e64 s[22:23], 1, v16
	v_mov_b32_dpp v21, v17 row_shr:1 row_mask:0xf bank_mask:0xf
	v_cndmask_b32_e64 v21, v21, 0, s[20:21]
	v_add_u32_e32 v17, v21, v17
	v_cmp_lt_u32_e64 s[26:27], 3, v16
	v_cmp_lt_u32_e64 s[28:29], 7, v16
	v_mov_b32_dpp v21, v17 row_shr:2 row_mask:0xf bank_mask:0xf
	v_cndmask_b32_e64 v21, 0, v21, s[22:23]
	v_add_u32_e32 v17, v17, v21
	v_bfe_i32 v34, v65, 4, 1
	v_cmp_lt_u32_e64 s[34:35], 31, v65
	v_mov_b32_dpp v21, v17 row_shr:4 row_mask:0xf bank_mask:0xf
	v_cndmask_b32_e64 v21, 0, v21, s[26:27]
	v_add_u32_e32 v17, v17, v21
	v_lshlrev_b32_e32 v24, 2, v24
	s_nop 0
	v_mov_b32_dpp v21, v17 row_shr:8 row_mask:0xf bank_mask:0xf
	v_cndmask_b32_e64 v16, 0, v21, s[28:29]
	v_add_u32_e32 v16, v17, v16
	s_nop 1
	v_mov_b32_dpp v17, v16 row_bcast:15 row_mask:0xf bank_mask:0xf
	v_and_b32_e32 v17, v34, v17
	v_add_u32_e32 v16, v16, v17
	s_nop 1
	v_mov_b32_dpp v17, v16 row_bcast:31 row_mask:0xf bank_mask:0xf
	v_cndmask_b32_e64 v17, 0, v17, s[34:35]
	v_add_u32_e32 v17, v16, v17
	s_and_saveexec_b64 s[4:5], s[16:17]
	s_cbranch_execz .LBB172_104
; %bb.103:
	ds_write_b32 v24, v17
.LBB172_104:
	s_or_b64 exec, exec, s[4:5]
	v_and_b32_e32 v16, 1, v65
	v_cmp_gt_u32_e64 s[24:25], 2, v46
	v_lshlrev_b32_e32 v21, 2, v46
	v_cmp_eq_u32_e64 s[18:19], 0, v16
	s_waitcnt lgkmcnt(0)
	s_barrier
	s_and_saveexec_b64 s[4:5], s[24:25]
	s_cbranch_execz .LBB172_106
; %bb.105:
	ds_read_b32 v16, v21
	s_waitcnt lgkmcnt(0)
	s_nop 0
	v_mov_b32_dpp v33, v16 row_shr:1 row_mask:0xf bank_mask:0xf
	v_cndmask_b32_e64 v33, v33, 0, s[18:19]
	v_add_u32_e32 v16, v33, v16
	ds_write_b32 v21, v16
.LBB172_106:
	s_or_b64 exec, exec, s[4:5]
	v_cmp_lt_u32_e64 s[30:31], 63, v46
	v_add_u32_e32 v33, -4, v24
	v_mov_b32_e32 v16, 0
	v_mov_b32_e32 v83, 0
	s_waitcnt lgkmcnt(0)
	s_barrier
	s_and_saveexec_b64 s[4:5], s[30:31]
	s_cbranch_execz .LBB172_108
; %bb.107:
	ds_read_b32 v83, v33
.LBB172_108:
	s_or_b64 exec, exec, s[4:5]
	v_add_u32_e32 v34, -1, v65
	v_and_b32_e32 v84, 64, v65
	v_cmp_lt_i32_e64 s[4:5], v34, v84
	v_cndmask_b32_e64 v34, v34, v65, s[4:5]
	v_lshlrev_b32_e32 v34, 2, v34
	s_waitcnt lgkmcnt(0)
	v_add_u32_e32 v17, v83, v17
	ds_bpermute_b32 v17, v34, v17
	v_cmp_eq_u32_e64 s[36:37], 0, v65
	v_cmp_eq_u32_e64 s[38:39], 0, v46
	s_min_u32 s4, s42, 8
	v_and_or_b32 v66, v65, 63, v66
	s_waitcnt lgkmcnt(0)
	v_cndmask_b32_e64 v17, v17, v83, s[36:37]
	v_cndmask_b32_e64 v17, v17, 0, s[38:39]
	v_add_u32_e32 v18, v17, v18
	v_add_u32_e32 v19, v18, v19
	;; [unrolled: 1-line block ×3, first 2 shown]
	ds_write2_b32 v64, v17, v18 offset0:2 offset1:3
	ds_write2_b32 v23, v19, v20 offset0:2 offset1:3
	s_waitcnt lgkmcnt(0)
	s_barrier
	ds_read_b32 v17, v35 offset:8
	ds_read_b32 v18, v38 offset:8
	;; [unrolled: 1-line block ×8, first 2 shown]
	s_waitcnt lgkmcnt(7)
	v_add_u32_e32 v17, v17, v36
	s_waitcnt lgkmcnt(6)
	v_add3_u32 v18, v39, v37, v18
	s_waitcnt lgkmcnt(4)
	v_add3_u32 v36, v71, v69, v20
	v_lshlrev_b32_e32 v20, 1, v17
	v_add3_u32 v19, v68, v40, v19
	s_waitcnt lgkmcnt(0)
	s_barrier
	ds_write_b16 v20, v32
	v_lshlrev_b32_e32 v20, 1, v18
	ds_write_b16 v20, v31
	v_lshlrev_b32_e32 v20, 1, v19
	v_add3_u32 v35, v74, v72, v35
	ds_write_b16 v20, v30
	v_lshlrev_b32_e32 v20, 1, v36
	v_add3_u32 v37, v77, v75, v38
	;; [unrolled: 3-line block ×4, first 2 shown]
	ds_write_b16 v20, v27
	v_lshlrev_b32_e32 v20, 1, v38
	s_lshl_b32 s4, -1, s4
	v_lshlrev_b32_e32 v84, 1, v66
	ds_write_b16 v20, v26
	v_lshlrev_b32_e32 v20, 1, v39
	v_lshlrev_b32_e32 v17, 3, v17
	s_not_b32 s49, s4
	ds_write_b16 v20, v25
	s_waitcnt lgkmcnt(0)
	s_barrier
	ds_read_u16 v31, v84
	ds_read_u16 v30, v84 offset:128
	ds_read_u16 v29, v84 offset:256
	;; [unrolled: 1-line block ×7, first 2 shown]
	s_waitcnt lgkmcnt(0)
	s_barrier
	ds_write_b64 v17, v[12:13]
	v_lshlrev_b32_e32 v12, 3, v18
	v_and_b32_sdwa v18, v31, s49 dst_sel:DWORD dst_unused:UNUSED_PAD src0_sel:BYTE_1 src1_sel:DWORD
	v_lshlrev_b32_e32 v17, 1, v18
	ds_write_b64 v12, v[14:15]
	v_lshlrev_b32_e32 v12, 3, v19
	v_add_lshl_u32 v32, v17, v22, 2
	v_and_b32_e32 v17, 1, v18
	ds_write_b64 v12, v[8:9]
	v_lshlrev_b32_e32 v8, 3, v36
	v_add_co_u32_e64 v19, s[4:5], -1, v17
	ds_write_b64 v8, v[10:11]
	v_lshlrev_b32_e32 v8, 3, v35
	v_addc_co_u32_e64 v35, s[4:5], 0, -1, s[4:5]
	v_cmp_ne_u32_e64 s[4:5], 0, v17
	v_xor_b32_e32 v17, s5, v35
	v_and_b32_e32 v35, exec_hi, v17
	v_lshlrev_b32_e32 v17, 30, v18
	v_xor_b32_e32 v19, s4, v19
	v_cmp_gt_i64_e64 s[4:5], 0, v[16:17]
	v_not_b32_e32 v17, v17
	v_ashrrev_i32_e32 v17, 31, v17
	v_and_b32_e32 v19, exec_lo, v19
	v_xor_b32_e32 v36, s5, v17
	v_xor_b32_e32 v17, s4, v17
	v_and_b32_e32 v19, v19, v17
	v_lshlrev_b32_e32 v17, 29, v18
	v_cmp_gt_i64_e64 s[4:5], 0, v[16:17]
	v_not_b32_e32 v17, v17
	v_ashrrev_i32_e32 v17, 31, v17
	v_and_b32_e32 v35, v35, v36
	v_xor_b32_e32 v36, s5, v17
	v_xor_b32_e32 v17, s4, v17
	v_and_b32_e32 v19, v19, v17
	v_lshlrev_b32_e32 v17, 28, v18
	v_cmp_gt_i64_e64 s[4:5], 0, v[16:17]
	v_not_b32_e32 v17, v17
	v_ashrrev_i32_e32 v17, 31, v17
	v_and_b32_e32 v35, v35, v36
	;; [unrolled: 8-line block ×4, first 2 shown]
	v_xor_b32_e32 v36, s5, v17
	v_xor_b32_e32 v17, s4, v17
	v_and_b32_e32 v19, v19, v17
	v_lshlrev_b32_e32 v17, 25, v18
	v_cmp_gt_i64_e64 s[4:5], 0, v[16:17]
	v_not_b32_e32 v17, v17
	ds_write_b64 v8, v[4:5]
	v_lshlrev_b32_e32 v4, 3, v37
	v_ashrrev_i32_e32 v17, 31, v17
	ds_write_b64 v4, v[6:7]
	v_lshlrev_b32_e32 v4, 3, v38
	v_and_b32_e32 v35, v35, v36
	v_xor_b32_e32 v36, s5, v17
	v_xor_b32_e32 v17, s4, v17
	v_lshlrev_b32_e32 v66, 3, v66
	ds_write_b64 v4, v[0:1]
	v_lshlrev_b32_e32 v0, 3, v39
	v_and_b32_e32 v19, v19, v17
	v_lshlrev_b32_e32 v17, 24, v18
	ds_write_b64 v0, v[2:3]
	s_waitcnt lgkmcnt(0)
	s_barrier
	ds_read2st64_b64 v[12:15], v66 offset1:1
	ds_read2st64_b64 v[8:11], v66 offset0:2 offset1:3
	ds_read2st64_b64 v[4:7], v66 offset0:4 offset1:5
	;; [unrolled: 1-line block ×3, first 2 shown]
	s_waitcnt lgkmcnt(0)
	s_barrier
	ds_write2_b32 v64, v16, v16 offset0:2 offset1:3
	ds_write2_b32 v23, v16, v16 offset0:2 offset1:3
	v_cmp_gt_i64_e64 s[4:5], 0, v[16:17]
	v_not_b32_e32 v16, v17
	v_ashrrev_i32_e32 v16, 31, v16
	v_xor_b32_e32 v17, s5, v16
	v_xor_b32_e32 v16, s4, v16
	v_and_b32_e32 v35, v35, v36
	v_and_b32_e32 v16, v19, v16
	;; [unrolled: 1-line block ×3, first 2 shown]
	v_mbcnt_lo_u32_b32 v18, v16, 0
	v_mbcnt_hi_u32_b32 v35, v17, v18
	v_cmp_eq_u32_e64 s[4:5], 0, v35
	v_cmp_ne_u64_e64 s[42:43], 0, v[16:17]
	s_and_b64 s[42:43], s[42:43], s[4:5]
	s_waitcnt lgkmcnt(0)
	s_barrier
	s_waitcnt lgkmcnt(0)
	; wave barrier
	s_and_saveexec_b64 s[4:5], s[42:43]
	s_cbranch_execz .LBB172_110
; %bb.109:
	v_bcnt_u32_b32 v16, v16, 0
	v_bcnt_u32_b32 v16, v17, v16
	ds_write_b32 v32, v16 offset:8
.LBB172_110:
	s_or_b64 exec, exec, s[4:5]
	v_and_b32_sdwa v18, v30, s49 dst_sel:DWORD dst_unused:UNUSED_PAD src0_sel:BYTE_1 src1_sel:DWORD
	v_and_b32_e32 v17, 1, v18
	v_add_co_u32_e64 v19, s[4:5], -1, v17
	v_addc_co_u32_e64 v38, s[4:5], 0, -1, s[4:5]
	v_cmp_ne_u32_e64 s[4:5], 0, v17
	v_lshlrev_b32_e32 v16, 1, v18
	v_xor_b32_e32 v17, s5, v38
	v_add_lshl_u32 v37, v16, v22, 2
	v_mov_b32_e32 v16, 0
	v_and_b32_e32 v38, exec_hi, v17
	v_lshlrev_b32_e32 v17, 30, v18
	v_xor_b32_e32 v19, s4, v19
	v_cmp_gt_i64_e64 s[4:5], 0, v[16:17]
	v_not_b32_e32 v17, v17
	v_ashrrev_i32_e32 v17, 31, v17
	v_and_b32_e32 v19, exec_lo, v19
	v_xor_b32_e32 v39, s5, v17
	v_xor_b32_e32 v17, s4, v17
	v_and_b32_e32 v19, v19, v17
	v_lshlrev_b32_e32 v17, 29, v18
	v_cmp_gt_i64_e64 s[4:5], 0, v[16:17]
	v_not_b32_e32 v17, v17
	v_ashrrev_i32_e32 v17, 31, v17
	v_and_b32_e32 v38, v38, v39
	v_xor_b32_e32 v39, s5, v17
	v_xor_b32_e32 v17, s4, v17
	v_and_b32_e32 v19, v19, v17
	v_lshlrev_b32_e32 v17, 28, v18
	v_cmp_gt_i64_e64 s[4:5], 0, v[16:17]
	v_not_b32_e32 v17, v17
	v_ashrrev_i32_e32 v17, 31, v17
	v_and_b32_e32 v38, v38, v39
	;; [unrolled: 8-line block ×5, first 2 shown]
	v_xor_b32_e32 v39, s5, v17
	v_xor_b32_e32 v17, s4, v17
	v_and_b32_e32 v38, v38, v39
	v_and_b32_e32 v39, v19, v17
	v_lshlrev_b32_e32 v17, 24, v18
	v_cmp_gt_i64_e64 s[4:5], 0, v[16:17]
	v_not_b32_e32 v17, v17
	v_ashrrev_i32_e32 v17, 31, v17
	v_xor_b32_e32 v18, s5, v17
	v_xor_b32_e32 v17, s4, v17
	; wave barrier
	ds_read_b32 v36, v37 offset:8
	v_and_b32_e32 v19, v38, v18
	v_and_b32_e32 v18, v39, v17
	v_mbcnt_lo_u32_b32 v17, v18, 0
	v_mbcnt_hi_u32_b32 v38, v19, v17
	v_cmp_eq_u32_e64 s[4:5], 0, v38
	v_cmp_ne_u64_e64 s[42:43], 0, v[18:19]
	s_and_b64 s[42:43], s[42:43], s[4:5]
	; wave barrier
	s_and_saveexec_b64 s[4:5], s[42:43]
	s_cbranch_execz .LBB172_112
; %bb.111:
	v_bcnt_u32_b32 v17, v18, 0
	v_bcnt_u32_b32 v17, v19, v17
	s_waitcnt lgkmcnt(0)
	v_add_u32_e32 v17, v36, v17
	ds_write_b32 v37, v17 offset:8
.LBB172_112:
	s_or_b64 exec, exec, s[4:5]
	v_and_b32_sdwa v18, v29, s49 dst_sel:DWORD dst_unused:UNUSED_PAD src0_sel:BYTE_1 src1_sel:DWORD
	v_lshlrev_b32_e32 v17, 1, v18
	v_add_lshl_u32 v40, v17, v22, 2
	v_and_b32_e32 v17, 1, v18
	v_add_co_u32_e64 v19, s[4:5], -1, v17
	v_addc_co_u32_e64 v41, s[4:5], 0, -1, s[4:5]
	v_cmp_ne_u32_e64 s[4:5], 0, v17
	v_xor_b32_e32 v17, s5, v41
	v_and_b32_e32 v41, exec_hi, v17
	v_lshlrev_b32_e32 v17, 30, v18
	v_xor_b32_e32 v19, s4, v19
	v_cmp_gt_i64_e64 s[4:5], 0, v[16:17]
	v_not_b32_e32 v17, v17
	v_ashrrev_i32_e32 v17, 31, v17
	v_and_b32_e32 v19, exec_lo, v19
	v_xor_b32_e32 v46, s5, v17
	v_xor_b32_e32 v17, s4, v17
	v_and_b32_e32 v19, v19, v17
	v_lshlrev_b32_e32 v17, 29, v18
	v_cmp_gt_i64_e64 s[4:5], 0, v[16:17]
	v_not_b32_e32 v17, v17
	v_ashrrev_i32_e32 v17, 31, v17
	v_and_b32_e32 v41, v41, v46
	v_xor_b32_e32 v46, s5, v17
	v_xor_b32_e32 v17, s4, v17
	v_and_b32_e32 v19, v19, v17
	v_lshlrev_b32_e32 v17, 28, v18
	v_cmp_gt_i64_e64 s[4:5], 0, v[16:17]
	v_not_b32_e32 v17, v17
	v_ashrrev_i32_e32 v17, 31, v17
	v_and_b32_e32 v41, v41, v46
	;; [unrolled: 8-line block ×5, first 2 shown]
	v_xor_b32_e32 v46, s5, v17
	v_xor_b32_e32 v17, s4, v17
	v_and_b32_e32 v19, v19, v17
	v_lshlrev_b32_e32 v17, 24, v18
	v_cmp_gt_i64_e64 s[4:5], 0, v[16:17]
	v_not_b32_e32 v16, v17
	v_ashrrev_i32_e32 v16, 31, v16
	v_xor_b32_e32 v17, s5, v16
	v_xor_b32_e32 v16, s4, v16
	; wave barrier
	ds_read_b32 v39, v40 offset:8
	v_and_b32_e32 v41, v41, v46
	v_and_b32_e32 v16, v19, v16
	v_and_b32_e32 v17, v41, v17
	v_mbcnt_lo_u32_b32 v18, v16, 0
	v_mbcnt_hi_u32_b32 v41, v17, v18
	v_cmp_eq_u32_e64 s[4:5], 0, v41
	v_cmp_ne_u64_e64 s[42:43], 0, v[16:17]
	s_and_b64 s[42:43], s[42:43], s[4:5]
	; wave barrier
	s_and_saveexec_b64 s[4:5], s[42:43]
	s_cbranch_execz .LBB172_114
; %bb.113:
	v_bcnt_u32_b32 v16, v16, 0
	v_bcnt_u32_b32 v16, v17, v16
	s_waitcnt lgkmcnt(0)
	v_add_u32_e32 v16, v39, v16
	ds_write_b32 v40, v16 offset:8
.LBB172_114:
	s_or_b64 exec, exec, s[4:5]
	v_and_b32_sdwa v18, v28, s49 dst_sel:DWORD dst_unused:UNUSED_PAD src0_sel:BYTE_1 src1_sel:DWORD
	v_and_b32_e32 v17, 1, v18
	v_add_co_u32_e64 v19, s[4:5], -1, v17
	v_addc_co_u32_e64 v66, s[4:5], 0, -1, s[4:5]
	v_cmp_ne_u32_e64 s[4:5], 0, v17
	v_lshlrev_b32_e32 v16, 1, v18
	v_xor_b32_e32 v17, s5, v66
	v_add_lshl_u32 v65, v16, v22, 2
	v_mov_b32_e32 v16, 0
	v_and_b32_e32 v66, exec_hi, v17
	v_lshlrev_b32_e32 v17, 30, v18
	v_xor_b32_e32 v19, s4, v19
	v_cmp_gt_i64_e64 s[4:5], 0, v[16:17]
	v_not_b32_e32 v17, v17
	v_ashrrev_i32_e32 v17, 31, v17
	v_and_b32_e32 v19, exec_lo, v19
	v_xor_b32_e32 v67, s5, v17
	v_xor_b32_e32 v17, s4, v17
	v_and_b32_e32 v19, v19, v17
	v_lshlrev_b32_e32 v17, 29, v18
	v_cmp_gt_i64_e64 s[4:5], 0, v[16:17]
	v_not_b32_e32 v17, v17
	v_ashrrev_i32_e32 v17, 31, v17
	v_and_b32_e32 v66, v66, v67
	v_xor_b32_e32 v67, s5, v17
	v_xor_b32_e32 v17, s4, v17
	v_and_b32_e32 v19, v19, v17
	v_lshlrev_b32_e32 v17, 28, v18
	v_cmp_gt_i64_e64 s[4:5], 0, v[16:17]
	v_not_b32_e32 v17, v17
	v_ashrrev_i32_e32 v17, 31, v17
	v_and_b32_e32 v66, v66, v67
	;; [unrolled: 8-line block ×5, first 2 shown]
	v_xor_b32_e32 v67, s5, v17
	v_xor_b32_e32 v17, s4, v17
	v_and_b32_e32 v66, v66, v67
	v_and_b32_e32 v67, v19, v17
	v_lshlrev_b32_e32 v17, 24, v18
	v_cmp_gt_i64_e64 s[4:5], 0, v[16:17]
	v_not_b32_e32 v17, v17
	v_ashrrev_i32_e32 v17, 31, v17
	v_xor_b32_e32 v18, s5, v17
	v_xor_b32_e32 v17, s4, v17
	; wave barrier
	ds_read_b32 v46, v65 offset:8
	v_and_b32_e32 v19, v66, v18
	v_and_b32_e32 v18, v67, v17
	v_mbcnt_lo_u32_b32 v17, v18, 0
	v_mbcnt_hi_u32_b32 v66, v19, v17
	v_cmp_eq_u32_e64 s[4:5], 0, v66
	v_cmp_ne_u64_e64 s[42:43], 0, v[18:19]
	s_and_b64 s[42:43], s[42:43], s[4:5]
	; wave barrier
	s_and_saveexec_b64 s[4:5], s[42:43]
	s_cbranch_execz .LBB172_116
; %bb.115:
	v_bcnt_u32_b32 v17, v18, 0
	v_bcnt_u32_b32 v17, v19, v17
	s_waitcnt lgkmcnt(0)
	v_add_u32_e32 v17, v46, v17
	ds_write_b32 v65, v17 offset:8
.LBB172_116:
	s_or_b64 exec, exec, s[4:5]
	v_and_b32_sdwa v18, v27, s49 dst_sel:DWORD dst_unused:UNUSED_PAD src0_sel:BYTE_1 src1_sel:DWORD
	v_lshlrev_b32_e32 v17, 1, v18
	v_add_lshl_u32 v68, v17, v22, 2
	v_and_b32_e32 v17, 1, v18
	v_add_co_u32_e64 v19, s[4:5], -1, v17
	v_addc_co_u32_e64 v69, s[4:5], 0, -1, s[4:5]
	v_cmp_ne_u32_e64 s[4:5], 0, v17
	v_xor_b32_e32 v17, s5, v69
	v_and_b32_e32 v69, exec_hi, v17
	v_lshlrev_b32_e32 v17, 30, v18
	v_xor_b32_e32 v19, s4, v19
	v_cmp_gt_i64_e64 s[4:5], 0, v[16:17]
	v_not_b32_e32 v17, v17
	v_ashrrev_i32_e32 v17, 31, v17
	v_and_b32_e32 v19, exec_lo, v19
	v_xor_b32_e32 v70, s5, v17
	v_xor_b32_e32 v17, s4, v17
	v_and_b32_e32 v19, v19, v17
	v_lshlrev_b32_e32 v17, 29, v18
	v_cmp_gt_i64_e64 s[4:5], 0, v[16:17]
	v_not_b32_e32 v17, v17
	v_ashrrev_i32_e32 v17, 31, v17
	v_and_b32_e32 v69, v69, v70
	v_xor_b32_e32 v70, s5, v17
	v_xor_b32_e32 v17, s4, v17
	v_and_b32_e32 v19, v19, v17
	v_lshlrev_b32_e32 v17, 28, v18
	v_cmp_gt_i64_e64 s[4:5], 0, v[16:17]
	v_not_b32_e32 v17, v17
	v_ashrrev_i32_e32 v17, 31, v17
	v_and_b32_e32 v69, v69, v70
	;; [unrolled: 8-line block ×5, first 2 shown]
	v_xor_b32_e32 v70, s5, v17
	v_xor_b32_e32 v17, s4, v17
	v_and_b32_e32 v19, v19, v17
	v_lshlrev_b32_e32 v17, 24, v18
	v_cmp_gt_i64_e64 s[4:5], 0, v[16:17]
	v_not_b32_e32 v16, v17
	v_ashrrev_i32_e32 v16, 31, v16
	v_xor_b32_e32 v17, s5, v16
	v_xor_b32_e32 v16, s4, v16
	; wave barrier
	ds_read_b32 v67, v68 offset:8
	v_and_b32_e32 v69, v69, v70
	v_and_b32_e32 v16, v19, v16
	;; [unrolled: 1-line block ×3, first 2 shown]
	v_mbcnt_lo_u32_b32 v18, v16, 0
	v_mbcnt_hi_u32_b32 v69, v17, v18
	v_cmp_eq_u32_e64 s[4:5], 0, v69
	v_cmp_ne_u64_e64 s[42:43], 0, v[16:17]
	s_and_b64 s[42:43], s[42:43], s[4:5]
	; wave barrier
	s_and_saveexec_b64 s[4:5], s[42:43]
	s_cbranch_execz .LBB172_118
; %bb.117:
	v_bcnt_u32_b32 v16, v16, 0
	v_bcnt_u32_b32 v16, v17, v16
	s_waitcnt lgkmcnt(0)
	v_add_u32_e32 v16, v67, v16
	ds_write_b32 v68, v16 offset:8
.LBB172_118:
	s_or_b64 exec, exec, s[4:5]
	v_and_b32_sdwa v18, v26, s49 dst_sel:DWORD dst_unused:UNUSED_PAD src0_sel:BYTE_1 src1_sel:DWORD
	v_and_b32_e32 v17, 1, v18
	v_add_co_u32_e64 v19, s[4:5], -1, v17
	v_addc_co_u32_e64 v72, s[4:5], 0, -1, s[4:5]
	v_cmp_ne_u32_e64 s[4:5], 0, v17
	v_lshlrev_b32_e32 v16, 1, v18
	v_xor_b32_e32 v17, s5, v72
	v_add_lshl_u32 v71, v16, v22, 2
	v_mov_b32_e32 v16, 0
	v_and_b32_e32 v72, exec_hi, v17
	v_lshlrev_b32_e32 v17, 30, v18
	v_xor_b32_e32 v19, s4, v19
	v_cmp_gt_i64_e64 s[4:5], 0, v[16:17]
	v_not_b32_e32 v17, v17
	v_ashrrev_i32_e32 v17, 31, v17
	v_and_b32_e32 v19, exec_lo, v19
	v_xor_b32_e32 v73, s5, v17
	v_xor_b32_e32 v17, s4, v17
	v_and_b32_e32 v19, v19, v17
	v_lshlrev_b32_e32 v17, 29, v18
	v_cmp_gt_i64_e64 s[4:5], 0, v[16:17]
	v_not_b32_e32 v17, v17
	v_ashrrev_i32_e32 v17, 31, v17
	v_and_b32_e32 v72, v72, v73
	v_xor_b32_e32 v73, s5, v17
	v_xor_b32_e32 v17, s4, v17
	v_and_b32_e32 v19, v19, v17
	v_lshlrev_b32_e32 v17, 28, v18
	v_cmp_gt_i64_e64 s[4:5], 0, v[16:17]
	v_not_b32_e32 v17, v17
	v_ashrrev_i32_e32 v17, 31, v17
	v_and_b32_e32 v72, v72, v73
	;; [unrolled: 8-line block ×5, first 2 shown]
	v_xor_b32_e32 v73, s5, v17
	v_xor_b32_e32 v17, s4, v17
	v_and_b32_e32 v72, v72, v73
	v_and_b32_e32 v73, v19, v17
	v_lshlrev_b32_e32 v17, 24, v18
	v_cmp_gt_i64_e64 s[4:5], 0, v[16:17]
	v_not_b32_e32 v17, v17
	v_ashrrev_i32_e32 v17, 31, v17
	v_xor_b32_e32 v18, s5, v17
	v_xor_b32_e32 v17, s4, v17
	; wave barrier
	ds_read_b32 v70, v71 offset:8
	v_and_b32_e32 v19, v72, v18
	v_and_b32_e32 v18, v73, v17
	v_mbcnt_lo_u32_b32 v17, v18, 0
	v_mbcnt_hi_u32_b32 v72, v19, v17
	v_cmp_eq_u32_e64 s[4:5], 0, v72
	v_cmp_ne_u64_e64 s[42:43], 0, v[18:19]
	s_and_b64 s[42:43], s[42:43], s[4:5]
	; wave barrier
	s_and_saveexec_b64 s[4:5], s[42:43]
	s_cbranch_execz .LBB172_120
; %bb.119:
	v_bcnt_u32_b32 v17, v18, 0
	v_bcnt_u32_b32 v17, v19, v17
	s_waitcnt lgkmcnt(0)
	v_add_u32_e32 v17, v70, v17
	ds_write_b32 v71, v17 offset:8
.LBB172_120:
	s_or_b64 exec, exec, s[4:5]
	v_and_b32_sdwa v18, v25, s49 dst_sel:DWORD dst_unused:UNUSED_PAD src0_sel:BYTE_1 src1_sel:DWORD
	v_lshlrev_b32_e32 v17, 1, v18
	v_add_lshl_u32 v74, v17, v22, 2
	v_and_b32_e32 v17, 1, v18
	v_add_co_u32_e64 v19, s[4:5], -1, v17
	v_addc_co_u32_e64 v75, s[4:5], 0, -1, s[4:5]
	v_cmp_ne_u32_e64 s[4:5], 0, v17
	v_xor_b32_e32 v17, s5, v75
	v_and_b32_e32 v75, exec_hi, v17
	v_lshlrev_b32_e32 v17, 30, v18
	v_xor_b32_e32 v19, s4, v19
	v_cmp_gt_i64_e64 s[4:5], 0, v[16:17]
	v_not_b32_e32 v17, v17
	v_ashrrev_i32_e32 v17, 31, v17
	v_and_b32_e32 v19, exec_lo, v19
	v_xor_b32_e32 v76, s5, v17
	v_xor_b32_e32 v17, s4, v17
	v_and_b32_e32 v19, v19, v17
	v_lshlrev_b32_e32 v17, 29, v18
	v_cmp_gt_i64_e64 s[4:5], 0, v[16:17]
	v_not_b32_e32 v17, v17
	v_ashrrev_i32_e32 v17, 31, v17
	v_and_b32_e32 v75, v75, v76
	v_xor_b32_e32 v76, s5, v17
	v_xor_b32_e32 v17, s4, v17
	v_and_b32_e32 v19, v19, v17
	v_lshlrev_b32_e32 v17, 28, v18
	v_cmp_gt_i64_e64 s[4:5], 0, v[16:17]
	v_not_b32_e32 v17, v17
	v_ashrrev_i32_e32 v17, 31, v17
	v_and_b32_e32 v75, v75, v76
	;; [unrolled: 8-line block ×5, first 2 shown]
	v_xor_b32_e32 v76, s5, v17
	v_xor_b32_e32 v17, s4, v17
	v_and_b32_e32 v19, v19, v17
	v_lshlrev_b32_e32 v17, 24, v18
	v_cmp_gt_i64_e64 s[4:5], 0, v[16:17]
	v_not_b32_e32 v16, v17
	v_ashrrev_i32_e32 v16, 31, v16
	v_xor_b32_e32 v17, s5, v16
	v_xor_b32_e32 v16, s4, v16
	; wave barrier
	ds_read_b32 v73, v74 offset:8
	v_and_b32_e32 v75, v75, v76
	v_and_b32_e32 v16, v19, v16
	;; [unrolled: 1-line block ×3, first 2 shown]
	v_mbcnt_lo_u32_b32 v18, v16, 0
	v_mbcnt_hi_u32_b32 v75, v17, v18
	v_cmp_eq_u32_e64 s[4:5], 0, v75
	v_cmp_ne_u64_e64 s[42:43], 0, v[16:17]
	s_and_b64 s[42:43], s[42:43], s[4:5]
	; wave barrier
	s_and_saveexec_b64 s[4:5], s[42:43]
	s_cbranch_execz .LBB172_122
; %bb.121:
	v_bcnt_u32_b32 v16, v16, 0
	v_bcnt_u32_b32 v16, v17, v16
	s_waitcnt lgkmcnt(0)
	v_add_u32_e32 v16, v73, v16
	ds_write_b32 v74, v16 offset:8
.LBB172_122:
	s_or_b64 exec, exec, s[4:5]
	v_and_b32_sdwa v18, v20, s49 dst_sel:DWORD dst_unused:UNUSED_PAD src0_sel:BYTE_1 src1_sel:DWORD
	v_and_b32_e32 v17, 1, v18
	v_add_co_u32_e64 v19, s[4:5], -1, v17
	v_addc_co_u32_e64 v77, s[4:5], 0, -1, s[4:5]
	v_cmp_ne_u32_e64 s[4:5], 0, v17
	v_lshlrev_b32_e32 v16, 1, v18
	v_xor_b32_e32 v17, s5, v77
	v_add_lshl_u32 v76, v16, v22, 2
	v_mov_b32_e32 v16, 0
	v_and_b32_e32 v77, exec_hi, v17
	v_lshlrev_b32_e32 v17, 30, v18
	v_xor_b32_e32 v19, s4, v19
	v_cmp_gt_i64_e64 s[4:5], 0, v[16:17]
	v_not_b32_e32 v17, v17
	v_ashrrev_i32_e32 v17, 31, v17
	v_and_b32_e32 v19, exec_lo, v19
	v_xor_b32_e32 v78, s5, v17
	v_xor_b32_e32 v17, s4, v17
	v_and_b32_e32 v19, v19, v17
	v_lshlrev_b32_e32 v17, 29, v18
	v_cmp_gt_i64_e64 s[4:5], 0, v[16:17]
	v_not_b32_e32 v17, v17
	v_ashrrev_i32_e32 v17, 31, v17
	v_and_b32_e32 v77, v77, v78
	v_xor_b32_e32 v78, s5, v17
	v_xor_b32_e32 v17, s4, v17
	v_and_b32_e32 v19, v19, v17
	v_lshlrev_b32_e32 v17, 28, v18
	v_cmp_gt_i64_e64 s[4:5], 0, v[16:17]
	v_not_b32_e32 v17, v17
	v_ashrrev_i32_e32 v17, 31, v17
	v_and_b32_e32 v77, v77, v78
	;; [unrolled: 8-line block ×5, first 2 shown]
	v_xor_b32_e32 v78, s5, v17
	v_xor_b32_e32 v17, s4, v17
	v_and_b32_e32 v19, v19, v17
	v_lshlrev_b32_e32 v17, 24, v18
	v_cmp_gt_i64_e64 s[4:5], 0, v[16:17]
	v_not_b32_e32 v16, v17
	v_ashrrev_i32_e32 v16, 31, v16
	v_xor_b32_e32 v17, s5, v16
	v_xor_b32_e32 v16, s4, v16
	; wave barrier
	ds_read_b32 v22, v76 offset:8
	v_and_b32_e32 v77, v77, v78
	v_and_b32_e32 v16, v19, v16
	;; [unrolled: 1-line block ×3, first 2 shown]
	v_mbcnt_lo_u32_b32 v18, v16, 0
	v_mbcnt_hi_u32_b32 v77, v17, v18
	v_cmp_eq_u32_e64 s[4:5], 0, v77
	v_cmp_ne_u64_e64 s[42:43], 0, v[16:17]
	s_and_b64 s[42:43], s[42:43], s[4:5]
	; wave barrier
	s_and_saveexec_b64 s[4:5], s[42:43]
	s_cbranch_execz .LBB172_124
; %bb.123:
	v_bcnt_u32_b32 v16, v16, 0
	v_bcnt_u32_b32 v16, v17, v16
	s_waitcnt lgkmcnt(0)
	v_add_u32_e32 v16, v22, v16
	ds_write_b32 v76, v16 offset:8
.LBB172_124:
	s_or_b64 exec, exec, s[4:5]
	; wave barrier
	s_waitcnt lgkmcnt(0)
	s_barrier
	ds_read2_b32 v[18:19], v64 offset0:2 offset1:3
	ds_read2_b32 v[16:17], v23 offset0:2 offset1:3
	s_waitcnt lgkmcnt(1)
	v_add_u32_e32 v78, v19, v18
	s_waitcnt lgkmcnt(0)
	v_add3_u32 v17, v78, v16, v17
	s_nop 1
	v_mov_b32_dpp v78, v17 row_shr:1 row_mask:0xf bank_mask:0xf
	v_cndmask_b32_e64 v78, v78, 0, s[20:21]
	v_add_u32_e32 v17, v78, v17
	s_nop 1
	v_mov_b32_dpp v78, v17 row_shr:2 row_mask:0xf bank_mask:0xf
	v_cndmask_b32_e64 v78, 0, v78, s[22:23]
	v_add_u32_e32 v17, v17, v78
	;; [unrolled: 4-line block ×4, first 2 shown]
	s_nop 1
	v_mov_b32_dpp v78, v17 row_bcast:15 row_mask:0xf bank_mask:0xf
	v_cndmask_b32_e64 v78, v78, 0, vcc
	v_add_u32_e32 v17, v17, v78
	s_nop 1
	v_mov_b32_dpp v78, v17 row_bcast:31 row_mask:0xf bank_mask:0xf
	v_cndmask_b32_e64 v78, 0, v78, s[34:35]
	v_add_u32_e32 v17, v17, v78
	s_and_saveexec_b64 s[4:5], s[16:17]
	s_cbranch_execz .LBB172_126
; %bb.125:
	ds_write_b32 v24, v17
.LBB172_126:
	s_or_b64 exec, exec, s[4:5]
	s_waitcnt lgkmcnt(0)
	s_barrier
	s_and_saveexec_b64 s[4:5], s[24:25]
	s_cbranch_execz .LBB172_128
; %bb.127:
	ds_read_b32 v24, v21
	s_waitcnt lgkmcnt(0)
	s_nop 0
	v_mov_b32_dpp v78, v24 row_shr:1 row_mask:0xf bank_mask:0xf
	v_cndmask_b32_e64 v78, v78, 0, s[18:19]
	v_add_u32_e32 v24, v78, v24
	ds_write_b32 v21, v24
.LBB172_128:
	s_or_b64 exec, exec, s[4:5]
	v_mov_b32_e32 v21, 0
	s_waitcnt lgkmcnt(0)
	s_barrier
	s_and_saveexec_b64 s[4:5], s[30:31]
	s_cbranch_execz .LBB172_130
; %bb.129:
	ds_read_b32 v21, v33
.LBB172_130:
	s_or_b64 exec, exec, s[4:5]
	s_waitcnt lgkmcnt(0)
	v_add_u32_e32 v17, v21, v17
	ds_bpermute_b32 v17, v34, v17
	v_lshlrev_b32_e32 v34, 3, v62
	s_waitcnt lgkmcnt(0)
	v_cndmask_b32_e64 v17, v17, v21, s[36:37]
	v_cndmask_b32_e64 v17, v17, 0, s[38:39]
	v_add_u32_e32 v18, v17, v18
	v_add_u32_e32 v19, v18, v19
	;; [unrolled: 1-line block ×3, first 2 shown]
	ds_write2_b32 v64, v17, v18 offset0:2 offset1:3
	ds_write2_b32 v23, v19, v16 offset0:2 offset1:3
	s_waitcnt lgkmcnt(0)
	s_barrier
	ds_read_b32 v16, v76 offset:8
	ds_read_b32 v17, v74 offset:8
	;; [unrolled: 1-line block ×4, first 2 shown]
	s_waitcnt lgkmcnt(3)
	v_add3_u32 v16, v77, v22, v16
	ds_read_b32 v21, v65 offset:8
	ds_read_b32 v22, v40 offset:8
	ds_read_b32 v23, v37 offset:8
	ds_read_b32 v24, v32 offset:8
	s_waitcnt lgkmcnt(0)
	s_barrier
	v_add3_u32 v22, v41, v39, v22
	v_add3_u32 v23, v38, v36, v23
	v_add_u32_e32 v24, v24, v35
	v_lshlrev_b32_e32 v32, 1, v24
	ds_write_b16 v32, v31
	v_lshlrev_b32_e32 v31, 1, v23
	v_add3_u32 v21, v66, v46, v21
	ds_write_b16 v31, v30
	v_lshlrev_b32_e32 v30, 1, v22
	v_add3_u32 v19, v69, v67, v19
	;; [unrolled: 3-line block ×4, first 2 shown]
	ds_write_b16 v28, v27
	v_lshlrev_b32_e32 v27, 1, v18
	ds_write_b16 v27, v26
	v_lshlrev_b32_e32 v26, 1, v17
	ds_write_b16 v26, v25
	v_lshlrev_b32_e32 v25, 1, v16
	ds_write_b16 v25, v20
	v_lshlrev_b32_e32 v20, 1, v62
	v_lshlrev_b32_e32 v24, 3, v24
	v_lshlrev_b32_e32 v23, 3, v23
	;; [unrolled: 1-line block ×7, first 2 shown]
	s_waitcnt lgkmcnt(0)
	s_barrier
	v_lshlrev_b32_e32 v21, 3, v21
	ds_read_b128 v[16:19], v20
	s_waitcnt lgkmcnt(0)
	s_barrier
	ds_write_b64 v24, v[12:13]
	ds_write_b64 v23, v[14:15]
	;; [unrolled: 1-line block ×8, first 2 shown]
	s_waitcnt lgkmcnt(0)
	s_barrier
	ds_read2_b64 v[22:25], v34 offset1:1
	ds_read2_b64 v[26:29], v34 offset0:2 offset1:3
	ds_read2_b64 v[30:33], v34 offset0:4 offset1:5
	;; [unrolled: 1-line block ×3, first 2 shown]
	v_xor_b32_e32 v38, 0x7fff7fff, v16
	v_xor_b32_e32 v39, 0x7fff7fff, v17
	;; [unrolled: 1-line block ×4, first 2 shown]
.LBB172_131:
	s_waitcnt lgkmcnt(0)
	s_barrier
	ds_write_b128 v54, v[38:41]
	s_waitcnt lgkmcnt(0)
	s_barrier
	ds_read_u16 v8, v43 offset:256
	ds_read_u16 v7, v48 offset:512
	;; [unrolled: 1-line block ×7, first 2 shown]
	v_mov_b32_e32 v43, 0
	v_lshlrev_b64 v[0:1], 1, v[42:43]
	v_mov_b32_e32 v9, s44
	v_add_co_u32_e32 v0, vcc, s33, v0
	v_addc_co_u32_e32 v1, vcc, v9, v1, vcc
	s_and_saveexec_b64 s[4:5], s[0:1]
	s_cbranch_execnz .LBB172_150
; %bb.132:
	s_or_b64 exec, exec, s[4:5]
	s_and_saveexec_b64 s[4:5], s[2:3]
	s_cbranch_execnz .LBB172_151
.LBB172_133:
	s_or_b64 exec, exec, s[4:5]
	s_and_saveexec_b64 s[4:5], s[40:41]
	s_cbranch_execnz .LBB172_152
.LBB172_134:
	s_or_b64 exec, exec, s[4:5]
	s_and_saveexec_b64 s[4:5], s[6:7]
	s_cbranch_execnz .LBB172_153
.LBB172_135:
	s_or_b64 exec, exec, s[4:5]
	s_and_saveexec_b64 s[4:5], s[8:9]
	s_cbranch_execnz .LBB172_154
.LBB172_136:
	s_or_b64 exec, exec, s[4:5]
	s_and_saveexec_b64 s[4:5], s[10:11]
	s_cbranch_execnz .LBB172_155
.LBB172_137:
	s_or_b64 exec, exec, s[4:5]
	s_and_saveexec_b64 s[4:5], s[12:13]
	s_cbranch_execnz .LBB172_156
.LBB172_138:
	s_or_b64 exec, exec, s[4:5]
	s_and_saveexec_b64 s[4:5], s[14:15]
	s_cbranch_execz .LBB172_140
.LBB172_139:
	s_mul_i32 s16, s46, 0x380
	s_mov_b32 s17, 0
	s_lshl_b64 s[16:17], s[16:17], 1
	s_waitcnt lgkmcnt(1)
	v_mov_b32_e32 v3, s17
	v_add_co_u32_e32 v0, vcc, s16, v0
	v_addc_co_u32_e32 v1, vcc, v1, v3, vcc
	s_waitcnt lgkmcnt(0)
	global_store_short v[0:1], v2, off
.LBB172_140:
	s_or_b64 exec, exec, s[4:5]
	s_waitcnt lgkmcnt(0)
	s_barrier
	ds_write2_b64 v63, v[22:23], v[24:25] offset1:1
	ds_write2_b64 v63, v[26:27], v[28:29] offset0:2 offset1:3
	ds_write2_b64 v63, v[30:31], v[32:33] offset0:4 offset1:5
	;; [unrolled: 1-line block ×3, first 2 shown]
	s_waitcnt lgkmcnt(0)
	s_barrier
	ds_read_b64 v[14:15], v45 offset:1024
	ds_read_b64 v[12:13], v56 offset:2048
	;; [unrolled: 1-line block ×7, first 2 shown]
	v_mov_b32_e32 v45, 0
	v_lshlrev_b64 v[2:3], 3, v[44:45]
	v_mov_b32_e32 v16, s47
	v_add_co_u32_e32 v2, vcc, s45, v2
	v_addc_co_u32_e32 v3, vcc, v16, v3, vcc
	s_and_saveexec_b64 s[4:5], s[0:1]
	s_cbranch_execnz .LBB172_157
; %bb.141:
	s_or_b64 exec, exec, s[4:5]
	s_and_saveexec_b64 s[0:1], s[2:3]
	s_cbranch_execnz .LBB172_158
.LBB172_142:
	s_or_b64 exec, exec, s[0:1]
	s_and_saveexec_b64 s[0:1], s[40:41]
	s_cbranch_execnz .LBB172_159
.LBB172_143:
	s_or_b64 exec, exec, s[0:1]
	s_and_saveexec_b64 s[0:1], s[6:7]
	s_cbranch_execnz .LBB172_160
.LBB172_144:
	s_or_b64 exec, exec, s[0:1]
	s_and_saveexec_b64 s[0:1], s[8:9]
	s_cbranch_execnz .LBB172_161
.LBB172_145:
	s_or_b64 exec, exec, s[0:1]
	s_and_saveexec_b64 s[0:1], s[10:11]
	s_cbranch_execnz .LBB172_162
.LBB172_146:
	s_or_b64 exec, exec, s[0:1]
	s_and_saveexec_b64 s[0:1], s[12:13]
	s_cbranch_execnz .LBB172_163
.LBB172_147:
	s_or_b64 exec, exec, s[0:1]
	s_and_saveexec_b64 s[0:1], s[14:15]
	s_cbranch_execz .LBB172_149
.LBB172_148:
	s_mul_i32 s0, s48, 0x380
	s_mov_b32 s1, 0
	s_lshl_b64 s[0:1], s[0:1], 3
	s_waitcnt lgkmcnt(1)
	v_mov_b32_e32 v4, s1
	v_add_co_u32_e32 v2, vcc, s0, v2
	v_addc_co_u32_e32 v3, vcc, v3, v4, vcc
	s_waitcnt lgkmcnt(0)
	global_store_dwordx2 v[2:3], v[0:1], off
.LBB172_149:
	s_endpgm
.LBB172_150:
	ds_read_u16 v9, v47
	s_waitcnt lgkmcnt(0)
	global_store_short v[0:1], v9, off
	s_or_b64 exec, exec, s[4:5]
	s_and_saveexec_b64 s[4:5], s[2:3]
	s_cbranch_execz .LBB172_133
.LBB172_151:
	s_lshl_b32 s16, s46, 7
	s_mov_b32 s17, 0
	s_lshl_b64 s[16:17], s[16:17], 1
	v_mov_b32_e32 v9, s17
	v_add_co_u32_e32 v10, vcc, s16, v0
	v_addc_co_u32_e32 v11, vcc, v1, v9, vcc
	s_waitcnt lgkmcnt(6)
	global_store_short v[10:11], v8, off
	s_or_b64 exec, exec, s[4:5]
	s_and_saveexec_b64 s[4:5], s[40:41]
	s_cbranch_execz .LBB172_134
.LBB172_152:
	s_lshl_b32 s16, s46, 8
	s_mov_b32 s17, 0
	s_lshl_b64 s[16:17], s[16:17], 1
	v_mov_b32_e32 v9, s17
	s_waitcnt lgkmcnt(6)
	v_add_co_u32_e32 v8, vcc, s16, v0
	v_addc_co_u32_e32 v9, vcc, v1, v9, vcc
	s_waitcnt lgkmcnt(5)
	global_store_short v[8:9], v7, off
	s_or_b64 exec, exec, s[4:5]
	s_and_saveexec_b64 s[4:5], s[6:7]
	s_cbranch_execz .LBB172_135
.LBB172_153:
	s_mul_i32 s16, s46, 0x180
	s_mov_b32 s17, 0
	s_lshl_b64 s[16:17], s[16:17], 1
	s_waitcnt lgkmcnt(5)
	v_mov_b32_e32 v7, s17
	v_add_co_u32_e32 v8, vcc, s16, v0
	v_addc_co_u32_e32 v9, vcc, v1, v7, vcc
	s_waitcnt lgkmcnt(4)
	global_store_short v[8:9], v6, off
	s_or_b64 exec, exec, s[4:5]
	s_and_saveexec_b64 s[4:5], s[8:9]
	s_cbranch_execz .LBB172_136
.LBB172_154:
	s_lshl_b32 s16, s46, 9
	s_mov_b32 s17, 0
	s_lshl_b64 s[16:17], s[16:17], 1
	s_waitcnt lgkmcnt(5)
	v_mov_b32_e32 v7, s17
	s_waitcnt lgkmcnt(4)
	v_add_co_u32_e32 v6, vcc, s16, v0
	v_addc_co_u32_e32 v7, vcc, v1, v7, vcc
	s_waitcnt lgkmcnt(3)
	global_store_short v[6:7], v5, off
	s_or_b64 exec, exec, s[4:5]
	s_and_saveexec_b64 s[4:5], s[10:11]
	s_cbranch_execz .LBB172_137
.LBB172_155:
	s_mul_i32 s16, s46, 0x280
	s_mov_b32 s17, 0
	s_lshl_b64 s[16:17], s[16:17], 1
	s_waitcnt lgkmcnt(3)
	v_mov_b32_e32 v5, s17
	v_add_co_u32_e32 v6, vcc, s16, v0
	v_addc_co_u32_e32 v7, vcc, v1, v5, vcc
	s_waitcnt lgkmcnt(2)
	global_store_short v[6:7], v4, off
	s_or_b64 exec, exec, s[4:5]
	s_and_saveexec_b64 s[4:5], s[12:13]
	s_cbranch_execz .LBB172_138
.LBB172_156:
	s_mul_i32 s16, s46, 0x300
	s_mov_b32 s17, 0
	s_lshl_b64 s[16:17], s[16:17], 1
	s_waitcnt lgkmcnt(3)
	v_mov_b32_e32 v5, s17
	s_waitcnt lgkmcnt(2)
	v_add_co_u32_e32 v4, vcc, s16, v0
	v_addc_co_u32_e32 v5, vcc, v1, v5, vcc
	s_waitcnt lgkmcnt(1)
	global_store_short v[4:5], v3, off
	s_or_b64 exec, exec, s[4:5]
	s_and_saveexec_b64 s[4:5], s[14:15]
	s_cbranch_execnz .LBB172_139
	s_branch .LBB172_140
.LBB172_157:
	ds_read_b64 v[16:17], v55
	s_waitcnt lgkmcnt(0)
	global_store_dwordx2 v[2:3], v[16:17], off
	s_or_b64 exec, exec, s[4:5]
	s_and_saveexec_b64 s[0:1], s[2:3]
	s_cbranch_execz .LBB172_142
.LBB172_158:
	s_lshl_b32 s2, s48, 7
	s_mov_b32 s3, 0
	s_lshl_b64 s[2:3], s[2:3], 3
	v_mov_b32_e32 v17, s3
	v_add_co_u32_e32 v16, vcc, s2, v2
	v_addc_co_u32_e32 v17, vcc, v3, v17, vcc
	s_waitcnt lgkmcnt(6)
	global_store_dwordx2 v[16:17], v[14:15], off
	s_or_b64 exec, exec, s[0:1]
	s_and_saveexec_b64 s[0:1], s[40:41]
	s_cbranch_execz .LBB172_143
.LBB172_159:
	s_lshl_b32 s2, s48, 8
	s_mov_b32 s3, 0
	s_lshl_b64 s[2:3], s[2:3], 3
	s_waitcnt lgkmcnt(6)
	v_mov_b32_e32 v15, s3
	v_add_co_u32_e32 v14, vcc, s2, v2
	v_addc_co_u32_e32 v15, vcc, v3, v15, vcc
	s_waitcnt lgkmcnt(5)
	global_store_dwordx2 v[14:15], v[12:13], off
	s_or_b64 exec, exec, s[0:1]
	s_and_saveexec_b64 s[0:1], s[6:7]
	s_cbranch_execz .LBB172_144
.LBB172_160:
	s_mul_i32 s2, s48, 0x180
	s_mov_b32 s3, 0
	s_lshl_b64 s[2:3], s[2:3], 3
	s_waitcnt lgkmcnt(5)
	v_mov_b32_e32 v13, s3
	v_add_co_u32_e32 v12, vcc, s2, v2
	v_addc_co_u32_e32 v13, vcc, v3, v13, vcc
	s_waitcnt lgkmcnt(4)
	global_store_dwordx2 v[12:13], v[10:11], off
	s_or_b64 exec, exec, s[0:1]
	s_and_saveexec_b64 s[0:1], s[8:9]
	s_cbranch_execz .LBB172_145
.LBB172_161:
	s_lshl_b32 s2, s48, 9
	s_mov_b32 s3, 0
	s_lshl_b64 s[2:3], s[2:3], 3
	s_waitcnt lgkmcnt(4)
	v_mov_b32_e32 v11, s3
	v_add_co_u32_e32 v10, vcc, s2, v2
	v_addc_co_u32_e32 v11, vcc, v3, v11, vcc
	s_waitcnt lgkmcnt(3)
	global_store_dwordx2 v[10:11], v[8:9], off
	s_or_b64 exec, exec, s[0:1]
	s_and_saveexec_b64 s[0:1], s[10:11]
	s_cbranch_execz .LBB172_146
.LBB172_162:
	s_mul_i32 s2, s48, 0x280
	s_mov_b32 s3, 0
	s_lshl_b64 s[2:3], s[2:3], 3
	s_waitcnt lgkmcnt(3)
	v_mov_b32_e32 v9, s3
	v_add_co_u32_e32 v8, vcc, s2, v2
	v_addc_co_u32_e32 v9, vcc, v3, v9, vcc
	s_waitcnt lgkmcnt(2)
	global_store_dwordx2 v[8:9], v[6:7], off
	s_or_b64 exec, exec, s[0:1]
	s_and_saveexec_b64 s[0:1], s[12:13]
	s_cbranch_execz .LBB172_147
.LBB172_163:
	s_mul_i32 s2, s48, 0x300
	s_mov_b32 s3, 0
	s_lshl_b64 s[2:3], s[2:3], 3
	s_waitcnt lgkmcnt(2)
	v_mov_b32_e32 v7, s3
	v_add_co_u32_e32 v6, vcc, s2, v2
	v_addc_co_u32_e32 v7, vcc, v3, v7, vcc
	s_waitcnt lgkmcnt(1)
	global_store_dwordx2 v[6:7], v[4:5], off
	s_or_b64 exec, exec, s[0:1]
	s_and_saveexec_b64 s[0:1], s[14:15]
	s_cbranch_execnz .LBB172_148
	s_branch .LBB172_149
	.section	.rodata,"a",@progbits
	.p2align	6, 0x0
	.amdhsa_kernel _ZN2at6native18radixSortKVInPlaceILin1ELin1ELi128ELi8EsljEEvNS_4cuda6detail10TensorInfoIT3_T5_EES6_S6_S6_NS4_IT4_S6_EES6_b
		.amdhsa_group_segment_fixed_size 8448
		.amdhsa_private_segment_fixed_size 0
		.amdhsa_kernarg_size 712
		.amdhsa_user_sgpr_count 6
		.amdhsa_user_sgpr_private_segment_buffer 1
		.amdhsa_user_sgpr_dispatch_ptr 0
		.amdhsa_user_sgpr_queue_ptr 0
		.amdhsa_user_sgpr_kernarg_segment_ptr 1
		.amdhsa_user_sgpr_dispatch_id 0
		.amdhsa_user_sgpr_flat_scratch_init 0
		.amdhsa_user_sgpr_kernarg_preload_length 0
		.amdhsa_user_sgpr_kernarg_preload_offset 0
		.amdhsa_user_sgpr_private_segment_size 0
		.amdhsa_uses_dynamic_stack 0
		.amdhsa_system_sgpr_private_segment_wavefront_offset 0
		.amdhsa_system_sgpr_workgroup_id_x 1
		.amdhsa_system_sgpr_workgroup_id_y 1
		.amdhsa_system_sgpr_workgroup_id_z 1
		.amdhsa_system_sgpr_workgroup_info 0
		.amdhsa_system_vgpr_workitem_id 2
		.amdhsa_next_free_vgpr 113
		.amdhsa_next_free_sgpr 52
		.amdhsa_accum_offset 116
		.amdhsa_reserve_vcc 1
		.amdhsa_reserve_flat_scratch 0
		.amdhsa_float_round_mode_32 0
		.amdhsa_float_round_mode_16_64 0
		.amdhsa_float_denorm_mode_32 3
		.amdhsa_float_denorm_mode_16_64 3
		.amdhsa_dx10_clamp 1
		.amdhsa_ieee_mode 1
		.amdhsa_fp16_overflow 0
		.amdhsa_tg_split 0
		.amdhsa_exception_fp_ieee_invalid_op 0
		.amdhsa_exception_fp_denorm_src 0
		.amdhsa_exception_fp_ieee_div_zero 0
		.amdhsa_exception_fp_ieee_overflow 0
		.amdhsa_exception_fp_ieee_underflow 0
		.amdhsa_exception_fp_ieee_inexact 0
		.amdhsa_exception_int_div_zero 0
	.end_amdhsa_kernel
	.section	.text._ZN2at6native18radixSortKVInPlaceILin1ELin1ELi128ELi8EsljEEvNS_4cuda6detail10TensorInfoIT3_T5_EES6_S6_S6_NS4_IT4_S6_EES6_b,"axG",@progbits,_ZN2at6native18radixSortKVInPlaceILin1ELin1ELi128ELi8EsljEEvNS_4cuda6detail10TensorInfoIT3_T5_EES6_S6_S6_NS4_IT4_S6_EES6_b,comdat
.Lfunc_end172:
	.size	_ZN2at6native18radixSortKVInPlaceILin1ELin1ELi128ELi8EsljEEvNS_4cuda6detail10TensorInfoIT3_T5_EES6_S6_S6_NS4_IT4_S6_EES6_b, .Lfunc_end172-_ZN2at6native18radixSortKVInPlaceILin1ELin1ELi128ELi8EsljEEvNS_4cuda6detail10TensorInfoIT3_T5_EES6_S6_S6_NS4_IT4_S6_EES6_b
                                        ; -- End function
	.section	.AMDGPU.csdata,"",@progbits
; Kernel info:
; codeLenInByte = 20568
; NumSgprs: 56
; NumVgprs: 113
; NumAgprs: 0
; TotalNumVgprs: 113
; ScratchSize: 0
; MemoryBound: 0
; FloatMode: 240
; IeeeMode: 1
; LDSByteSize: 8448 bytes/workgroup (compile time only)
; SGPRBlocks: 6
; VGPRBlocks: 14
; NumSGPRsForWavesPerEU: 56
; NumVGPRsForWavesPerEU: 113
; AccumOffset: 116
; Occupancy: 4
; WaveLimiterHint : 1
; COMPUTE_PGM_RSRC2:SCRATCH_EN: 0
; COMPUTE_PGM_RSRC2:USER_SGPR: 6
; COMPUTE_PGM_RSRC2:TRAP_HANDLER: 0
; COMPUTE_PGM_RSRC2:TGID_X_EN: 1
; COMPUTE_PGM_RSRC2:TGID_Y_EN: 1
; COMPUTE_PGM_RSRC2:TGID_Z_EN: 1
; COMPUTE_PGM_RSRC2:TIDIG_COMP_CNT: 2
; COMPUTE_PGM_RSRC3_GFX90A:ACCUM_OFFSET: 28
; COMPUTE_PGM_RSRC3_GFX90A:TG_SPLIT: 0
	.section	.text._ZN2at6native18radixSortKVInPlaceILin1ELin1ELi32ELi4EsljEEvNS_4cuda6detail10TensorInfoIT3_T5_EES6_S6_S6_NS4_IT4_S6_EES6_b,"axG",@progbits,_ZN2at6native18radixSortKVInPlaceILin1ELin1ELi32ELi4EsljEEvNS_4cuda6detail10TensorInfoIT3_T5_EES6_S6_S6_NS4_IT4_S6_EES6_b,comdat
	.protected	_ZN2at6native18radixSortKVInPlaceILin1ELin1ELi32ELi4EsljEEvNS_4cuda6detail10TensorInfoIT3_T5_EES6_S6_S6_NS4_IT4_S6_EES6_b ; -- Begin function _ZN2at6native18radixSortKVInPlaceILin1ELin1ELi32ELi4EsljEEvNS_4cuda6detail10TensorInfoIT3_T5_EES6_S6_S6_NS4_IT4_S6_EES6_b
	.globl	_ZN2at6native18radixSortKVInPlaceILin1ELin1ELi32ELi4EsljEEvNS_4cuda6detail10TensorInfoIT3_T5_EES6_S6_S6_NS4_IT4_S6_EES6_b
	.p2align	8
	.type	_ZN2at6native18radixSortKVInPlaceILin1ELin1ELi32ELi4EsljEEvNS_4cuda6detail10TensorInfoIT3_T5_EES6_S6_S6_NS4_IT4_S6_EES6_b,@function
_ZN2at6native18radixSortKVInPlaceILin1ELin1ELi32ELi4EsljEEvNS_4cuda6detail10TensorInfoIT3_T5_EES6_S6_S6_NS4_IT4_S6_EES6_b: ; @_ZN2at6native18radixSortKVInPlaceILin1ELin1ELi32ELi4EsljEEvNS_4cuda6detail10TensorInfoIT3_T5_EES6_S6_S6_NS4_IT4_S6_EES6_b
; %bb.0:
	s_load_dwordx2 s[0:1], s[4:5], 0x1c8
	s_load_dwordx4 s[28:31], s[4:5], 0xd8
	s_waitcnt lgkmcnt(0)
	s_mul_i32 s1, s1, s8
	s_add_i32 s1, s1, s7
	s_mul_i32 s0, s1, s0
	s_add_i32 s14, s0, s6
	s_cmp_ge_u32 s14, s28
	s_cbranch_scc1 .LBB173_63
; %bb.1:
	s_load_dword s2, s[4:5], 0xd0
	s_mov_b32 s1, 0
	s_mov_b32 s0, s14
	s_waitcnt lgkmcnt(0)
	s_cmp_lt_i32 s2, 2
	s_cbranch_scc1 .LBB173_4
; %bb.2:
	s_add_i32 s0, s2, -1
	s_add_i32 s6, s2, 1
	s_lshl_b64 s[2:3], s[0:1], 2
	s_add_u32 s0, s2, s4
	s_addc_u32 s3, s3, s5
	s_add_u32 s2, s0, 8
	s_addc_u32 s3, s3, 0
	s_mov_b32 s0, s14
.LBB173_3:                              ; =>This Inner Loop Header: Depth=1
	s_load_dword s7, s[2:3], 0x0
	s_load_dword s9, s[2:3], 0x64
	s_mov_b32 s8, s0
	s_waitcnt lgkmcnt(0)
	v_cvt_f32_u32_e32 v1, s7
	s_sub_i32 s0, 0, s7
	v_rcp_iflag_f32_e32 v1, v1
	v_mul_f32_e32 v1, 0x4f7ffffe, v1
	v_cvt_u32_f32_e32 v1, v1
	v_readfirstlane_b32 s10, v1
	s_mul_i32 s0, s0, s10
	s_mul_hi_u32 s0, s10, s0
	s_add_i32 s10, s10, s0
	s_mul_hi_u32 s0, s8, s10
	s_mul_i32 s10, s0, s7
	s_sub_i32 s10, s8, s10
	s_add_i32 s11, s0, 1
	s_sub_i32 s12, s10, s7
	s_cmp_ge_u32 s10, s7
	s_cselect_b32 s0, s11, s0
	s_cselect_b32 s10, s12, s10
	s_add_i32 s11, s0, 1
	s_cmp_ge_u32 s10, s7
	s_cselect_b32 s0, s11, s0
	s_mul_i32 s7, s0, s7
	s_sub_i32 s7, s8, s7
	s_mul_i32 s7, s9, s7
	s_add_i32 s6, s6, -1
	s_add_i32 s1, s7, s1
	s_add_u32 s2, s2, -4
	s_addc_u32 s3, s3, -1
	s_cmp_gt_u32 s6, 2
	s_cbranch_scc1 .LBB173_3
.LBB173_4:
	s_load_dword s2, s[4:5], 0x1b8
	s_mov_b32 s11, 0
	s_waitcnt lgkmcnt(0)
	s_cmp_lt_i32 s2, 2
	s_cbranch_scc1 .LBB173_7
; %bb.5:
	s_add_i32 s10, s2, -1
	s_add_i32 s6, s2, 1
	s_lshl_b64 s[2:3], s[10:11], 2
	s_add_u32 s2, s2, s4
	s_addc_u32 s3, s3, s5
	s_add_u32 s2, s2, 0xf0
	s_addc_u32 s3, s3, 0
.LBB173_6:                              ; =>This Inner Loop Header: Depth=1
	s_load_dword s7, s[2:3], 0x0
	s_load_dword s9, s[2:3], 0x64
	s_mov_b32 s8, s14
	s_waitcnt lgkmcnt(0)
	v_cvt_f32_u32_e32 v1, s7
	s_sub_i32 s10, 0, s7
	v_rcp_iflag_f32_e32 v1, v1
	v_mul_f32_e32 v1, 0x4f7ffffe, v1
	v_cvt_u32_f32_e32 v1, v1
	v_readfirstlane_b32 s12, v1
	s_mul_i32 s10, s10, s12
	s_mul_hi_u32 s10, s12, s10
	s_add_i32 s12, s12, s10
	s_mul_hi_u32 s10, s14, s12
	s_mul_i32 s12, s10, s7
	s_sub_i32 s12, s14, s12
	s_add_i32 s13, s10, 1
	s_sub_i32 s14, s12, s7
	s_cmp_ge_u32 s12, s7
	s_cselect_b32 s10, s13, s10
	s_cselect_b32 s12, s14, s12
	s_add_i32 s13, s10, 1
	s_cmp_ge_u32 s12, s7
	s_cselect_b32 s14, s13, s10
	s_mul_i32 s7, s14, s7
	s_sub_i32 s7, s8, s7
	s_mul_i32 s7, s9, s7
	s_add_i32 s6, s6, -1
	s_add_i32 s11, s7, s11
	s_add_u32 s2, s2, -4
	s_addc_u32 s3, s3, -1
	s_cmp_gt_u32 s6, 2
	s_cbranch_scc1 .LBB173_6
.LBB173_7:
	s_load_dword s2, s[4:5], 0x6c
	s_load_dwordx2 s[26:27], s[4:5], 0x1c0
	s_mov_b32 s10, 0x8000
	v_mul_lo_u32 v18, v0, s30
	s_waitcnt lgkmcnt(0)
	s_mul_i32 s0, s2, s0
	s_load_dwordx2 s[2:3], s[4:5], 0x0
	s_add_i32 s0, s0, s1
	s_bitcmp1_b32 s27, 0
	s_cselect_b64 s[8:9], -1, 0
	s_and_b64 s[6:7], s[8:9], exec
	s_mov_b32 s1, 0
	s_cselect_b32 s6, s10, 0x7fff
	s_lshl_b64 s[0:1], s[0:1], 1
	s_waitcnt lgkmcnt(0)
	s_add_u32 s27, s2, s0
	s_pack_ll_b32_b16 s2, s6, s6
	s_addc_u32 s31, s3, s1
	s_mov_b32 s3, s2
	v_cmp_gt_u32_e64 s[0:1], s29, v0
	v_pk_mov_b32 v[2:3], s[2:3], s[2:3] op_sel:[0,1]
	v_mov_b32_e32 v4, s6
	s_and_saveexec_b64 s[6:7], s[0:1]
	s_cbranch_execz .LBB173_9
; %bb.8:
	v_mov_b32_e32 v19, 0
	v_lshlrev_b64 v[2:3], 1, v[18:19]
	v_mov_b32_e32 v1, s31
	v_add_co_u32_e32 v2, vcc, s27, v2
	v_addc_co_u32_e32 v3, vcc, v1, v3, vcc
	global_load_ushort v4, v[2:3], off
	s_mov_b32 s3, 0xffff
	v_mov_b32_e32 v1, s2
	v_mov_b32_e32 v3, s2
	s_waitcnt vmcnt(0)
	v_bfi_b32 v2, s3, v4, v1
.LBB173_9:
	s_or_b64 exec, exec, s[6:7]
	v_or_b32_e32 v1, 32, v0
	v_cmp_gt_u32_e64 s[2:3], s29, v1
	s_and_saveexec_b64 s[6:7], s[2:3]
	s_cbranch_execz .LBB173_11
; %bb.10:
	v_mul_lo_u32 v6, v1, s30
	v_mov_b32_e32 v7, 0
	v_lshlrev_b64 v[6:7], 1, v[6:7]
	v_mov_b32_e32 v5, s31
	v_add_co_u32_e32 v6, vcc, s27, v6
	v_addc_co_u32_e32 v7, vcc, v5, v7, vcc
	global_load_ushort v5, v[6:7], off
	s_mov_b32 s10, 0x5040100
	s_waitcnt vmcnt(0)
	v_perm_b32 v2, v5, v2, s10
.LBB173_11:
	s_or_b64 exec, exec, s[6:7]
	s_load_dwordx2 s[12:13], s[4:5], 0xe8
	v_or_b32_e32 v11, 64, v0
	v_cmp_gt_u32_e64 s[24:25], s29, v11
	s_and_saveexec_b64 s[6:7], s[24:25]
	s_cbranch_execz .LBB173_13
; %bb.12:
	v_mul_lo_u32 v6, v11, s30
	v_mov_b32_e32 v7, 0
	v_lshlrev_b64 v[6:7], 1, v[6:7]
	v_mov_b32_e32 v5, s31
	v_add_co_u32_e32 v6, vcc, s27, v6
	v_addc_co_u32_e32 v7, vcc, v5, v7, vcc
	global_load_ushort v5, v[6:7], off
	s_mov_b32 s10, 0xffff
	s_waitcnt vmcnt(0)
	v_bfi_b32 v3, s10, v5, v3
.LBB173_13:
	s_or_b64 exec, exec, s[6:7]
	s_load_dword s10, s[4:5], 0x154
	v_or_b32_e32 v12, 0x60, v0
	v_cmp_gt_u32_e64 s[6:7], s29, v12
	s_and_saveexec_b64 s[4:5], s[6:7]
	s_cbranch_execz .LBB173_15
; %bb.14:
	v_mul_lo_u32 v6, v12, s30
	v_mov_b32_e32 v7, 0
	v_lshlrev_b64 v[6:7], 1, v[6:7]
	v_mov_b32_e32 v5, s31
	v_add_co_u32_e32 v6, vcc, s27, v6
	v_addc_co_u32_e32 v7, vcc, v5, v7, vcc
	global_load_ushort v5, v[6:7], off
	s_mov_b32 s15, 0x5040100
	s_waitcnt vmcnt(0)
	v_perm_b32 v3, v5, v3, s15
.LBB173_15:
	s_or_b64 exec, exec, s[4:5]
	v_lshlrev_b32_e32 v34, 1, v0
	v_lshrrev_b32_e32 v14, 5, v11
	ds_write_b16 v34, v4
	ds_write_b16_d16_hi v34, v2 offset:64
	v_and_b32_e32 v2, 2, v14
	v_lshrrev_b32_e32 v13, 5, v12
	v_add_lshl_u32 v19, v2, v0, 1
	v_and_b32_e32 v2, 2, v13
	v_lshlrev_b32_e32 v10, 2, v0
	v_lshrrev_b32_e32 v15, 3, v0
	v_add_lshl_u32 v35, v2, v0, 1
	v_and_or_b32 v2, v15, 2, v10
	v_lshlrev_b32_e32 v36, 1, v2
	s_waitcnt lgkmcnt(0)
	s_mul_i32 s4, s10, s14
	ds_write_b16 v19, v3 offset:128
	ds_write_b16_d16_hi v35, v3 offset:192
	s_waitcnt lgkmcnt(0)
	; wave barrier
	s_waitcnt lgkmcnt(0)
	ds_read_b64 v[22:23], v36
	s_add_i32 s16, s4, s11
	s_mov_b32 s17, 0
	s_lshl_b64 s[4:5], s[16:17], 3
	s_mov_b32 s16, s17
	s_add_u32 s33, s12, s4
	s_mov_b32 s18, s17
	s_mov_b32 s19, s17
	;; [unrolled: 1-line block ×6, first 2 shown]
	v_pk_mov_b32 v[2:3], s[16:17], s[16:17] op_sel:[0,1]
	s_addc_u32 s38, s13, s5
	v_pk_mov_b32 v[4:5], s[18:19], s[18:19] op_sel:[0,1]
	v_pk_mov_b32 v[6:7], s[20:21], s[20:21] op_sel:[0,1]
	;; [unrolled: 1-line block ×3, first 2 shown]
	v_pk_mov_b32 v[2:3], 0, 0
	v_mul_lo_u32 v20, v0, s26
	s_waitcnt lgkmcnt(0)
	; wave barrier
	s_waitcnt lgkmcnt(0)
	s_and_saveexec_b64 s[4:5], s[0:1]
	s_cbranch_execnz .LBB173_36
; %bb.16:
	s_or_b64 exec, exec, s[4:5]
	s_and_saveexec_b64 s[4:5], s[2:3]
	s_cbranch_execnz .LBB173_37
.LBB173_17:
	s_or_b64 exec, exec, s[4:5]
	s_and_saveexec_b64 s[4:5], s[24:25]
	s_cbranch_execz .LBB173_19
.LBB173_18:
	v_mul_lo_u32 v6, v11, s26
	v_mov_b32_e32 v7, 0
	v_lshlrev_b64 v[6:7], 3, v[6:7]
	v_mov_b32_e32 v11, s38
	v_add_co_u32_e32 v6, vcc, s33, v6
	v_addc_co_u32_e32 v7, vcc, v11, v7, vcc
	global_load_dwordx2 v[6:7], v[6:7], off
.LBB173_19:
	s_or_b64 exec, exec, s[4:5]
	s_xor_b64 s[4:5], s[8:9], -1
	v_lshrrev_b32_e32 v11, 5, v1
	s_and_saveexec_b64 s[8:9], s[6:7]
	s_cbranch_execz .LBB173_21
; %bb.20:
	v_mul_lo_u32 v8, v12, s26
	v_mov_b32_e32 v9, 0
	v_lshlrev_b64 v[8:9], 3, v[8:9]
	v_mov_b32_e32 v12, s38
	v_add_co_u32_e32 v8, vcc, s33, v8
	v_addc_co_u32_e32 v9, vcc, v12, v9, vcc
	global_load_dwordx2 v[8:9], v[8:9], off
.LBB173_21:
	s_or_b64 exec, exec, s[8:9]
	v_add_lshl_u32 v21, v11, v0, 3
	v_mbcnt_lo_u32_b32 v11, -1, 0
	v_mbcnt_hi_u32_b32 v11, -1, v11
	v_lshlrev_b32_e32 v37, 3, v0
	v_add_lshl_u32 v38, v14, v0, 3
	v_add_lshl_u32 v39, v13, v0, 3
	;; [unrolled: 1-line block ×3, first 2 shown]
	s_getpc_b64 s[8:9]
	s_add_u32 s8, s8, _ZN7rocprim17ROCPRIM_400000_NS16block_radix_sortIsLj32ELj4ElLj1ELj1ELj0ELNS0_26block_radix_rank_algorithmE1ELNS0_18block_padding_hintE2ELNS0_4arch9wavefront6targetE1EE19radix_bits_per_passE@rel32@lo+4
	s_addc_u32 s9, s9, _ZN7rocprim17ROCPRIM_400000_NS16block_radix_sortIsLj32ELj4ElLj1ELj1ELj0ELNS0_26block_radix_rank_algorithmE1ELNS0_18block_padding_hintE2ELNS0_4arch9wavefront6targetE1EE19radix_bits_per_passE@rel32@hi+12
	v_and_b32_e32 v12, 15, v11
	s_waitcnt vmcnt(0)
	ds_write_b64 v37, v[2:3]
	ds_write_b64 v21, v[4:5] offset:256
	ds_write_b64 v38, v[6:7] offset:512
	;; [unrolled: 1-line block ×3, first 2 shown]
	s_waitcnt lgkmcnt(0)
	; wave barrier
	s_waitcnt lgkmcnt(0)
	ds_read2_b64 v[2:5], v40 offset1:1
	ds_read2_b64 v[6:9], v40 offset0:2 offset1:3
	s_load_dword s39, s[8:9], 0x0
	v_cmp_eq_u32_e64 s[10:11], 0, v12
	v_cmp_lt_u32_e64 s[12:13], 1, v12
	v_cmp_lt_u32_e64 s[14:15], 3, v12
	;; [unrolled: 1-line block ×3, first 2 shown]
	v_and_b32_e32 v12, 16, v11
	v_cmp_eq_u32_e64 s[18:19], 0, v12
	v_add_u32_e32 v12, -1, v11
	v_and_b32_e32 v13, 0x60, v11
	v_cmp_lt_i32_e32 vcc, v12, v13
	s_movk_i32 s8, 0x100
	v_cndmask_b32_e32 v12, v12, v11, vcc
	v_cmp_gt_u32_e64 s[8:9], s8, v0
	v_lshlrev_b32_e32 v43, 5, v0
	s_mov_b32 s40, 0
	v_cmp_eq_u32_e64 s[20:21], 31, v0
	v_lshlrev_b32_e32 v44, 2, v12
	v_cmp_eq_u32_e64 s[22:23], 0, v11
	v_lshlrev_b32_e32 v42, 1, v10
	v_lshlrev_b32_e32 v41, 3, v10
	s_and_b64 vcc, exec, s[4:5]
	v_add_u32_e64 v45, 7, 2
	s_waitcnt lgkmcnt(0)
	; wave barrier
	s_waitcnt lgkmcnt(0)
	s_cbranch_vccz .LBB173_38
; %bb.22:
	v_xor_b32_e32 v32, 0x80008000, v22
	v_xor_b32_e32 v33, 0x80008000, v23
	v_and_b32_e32 v46, 14, v45
	v_mov_b32_e32 v47, 0
	s_movk_i32 s41, 0xe0
	v_pk_mov_b32 v[10:11], v[2:3], v[2:3] op_sel:[0,1]
	v_pk_mov_b32 v[12:13], v[4:5], v[4:5] op_sel:[0,1]
	;; [unrolled: 1-line block ×4, first 2 shown]
	s_branch .LBB173_24
.LBB173_23:                             ;   in Loop: Header=BB173_24 Depth=1
	v_lshlrev_b32_e32 v10, 1, v51
	s_waitcnt lgkmcnt(0)
	; wave barrier
	ds_write_b16 v10, v32
	v_lshlrev_b32_e32 v10, 1, v52
	ds_write_b16 v10, v48
	v_lshlrev_b32_e32 v10, 1, v53
	;; [unrolled: 2-line block ×4, first 2 shown]
	s_waitcnt lgkmcnt(0)
	; wave barrier
	s_waitcnt lgkmcnt(0)
	ds_read_b64 v[32:33], v42
	s_waitcnt lgkmcnt(0)
	; wave barrier
	s_waitcnt lgkmcnt(0)
	ds_write_b64 v10, v[30:31]
	v_lshlrev_b32_e32 v10, 3, v52
	ds_write_b64 v10, v[28:29]
	v_lshlrev_b32_e32 v10, 3, v53
	;; [unrolled: 2-line block ×3, first 2 shown]
	ds_write_b64 v10, v[24:25]
	s_waitcnt lgkmcnt(0)
	; wave barrier
	s_waitcnt lgkmcnt(0)
	ds_read2_b64 v[10:13], v41 offset1:1
	ds_read2_b64 v[14:17], v41 offset0:2 offset1:3
	s_add_i32 s40, s40, 4
	s_waitcnt lgkmcnt(0)
	; wave barrier
	s_waitcnt lgkmcnt(0)
	s_cbranch_execz .LBB173_35
.LBB173_24:                             ; =>This Loop Header: Depth=1
                                        ;     Child Loop BB173_27 Depth 2
	v_pk_mov_b32 v[24:25], v[16:17], v[16:17] op_sel:[0,1]
	v_pk_mov_b32 v[26:27], v[14:15], v[14:15] op_sel:[0,1]
	;; [unrolled: 1-line block ×4, first 2 shown]
	s_and_saveexec_b64 s[4:5], s[8:9]
	s_cbranch_execz .LBB173_31
; %bb.25:                               ;   in Loop: Header=BB173_24 Depth=1
	s_mov_b32 s42, 0
	s_mov_b64 s[28:29], 0
	v_pk_mov_b32 v[10:11], v[0:1], v[0:1] op_sel:[0,1]
	s_branch .LBB173_27
.LBB173_26:                             ;   in Loop: Header=BB173_27 Depth=2
	s_or_b64 exec, exec, s[36:37]
	s_add_i32 s42, s42, 2
	v_cmp_eq_u32_e32 vcc, s42, v46
	v_add_u32_e32 v11, 64, v11
	s_or_b64 s[28:29], vcc, s[28:29]
	v_add_u32_e32 v10, 64, v10
	s_andn2_b64 exec, exec, s[28:29]
	s_cbranch_execz .LBB173_31
.LBB173_27:                             ;   Parent Loop BB173_24 Depth=1
                                        ; =>  This Inner Loop Header: Depth=2
	s_or_b32 s34, s42, 1
	v_cmp_le_u32_e64 s[34:35], s34, 7
	v_cmp_le_u32_e64 s[44:45], s42, 7
	s_and_saveexec_b64 s[36:37], s[44:45]
	s_cbranch_execz .LBB173_29
; %bb.28:                               ;   in Loop: Header=BB173_27 Depth=2
	v_lshlrev_b32_e32 v12, 2, v10
	ds_write_b32 v12, v47
.LBB173_29:                             ;   in Loop: Header=BB173_27 Depth=2
	s_or_b64 exec, exec, s[36:37]
	s_and_saveexec_b64 s[36:37], s[34:35]
	s_cbranch_execz .LBB173_26
; %bb.30:                               ;   in Loop: Header=BB173_27 Depth=2
	v_lshlrev_b32_e32 v12, 2, v11
	ds_write_b32 v12, v47
	s_branch .LBB173_26
.LBB173_31:                             ;   in Loop: Header=BB173_24 Depth=1
	s_or_b64 exec, exec, s[4:5]
	s_sub_i32 s4, 16, s40
	s_min_u32 s4, s39, s4
	s_lshl_b32 s4, -1, s4
	s_not_b32 s4, s4
	v_lshrrev_b32_sdwa v10, s40, v32 dst_sel:DWORD dst_unused:UNUSED_PAD src0_sel:DWORD src1_sel:WORD_0
	v_and_b32_e32 v10, s4, v10
	v_lshrrev_b32_e32 v11, 3, v10
	v_lshlrev_b32_e32 v10, 5, v10
	v_and_or_b32 v10, v10, s41, v0
	v_lshlrev_b32_e32 v10, 1, v10
	v_add_lshl_u32 v52, v10, v11, 1
	ds_read_u16 v51, v52
	v_lshrrev_b32_e32 v48, 16, v32
	v_lshrrev_b32_e32 v10, s40, v48
	v_and_b32_e32 v10, s4, v10
	v_lshrrev_b32_e32 v49, 16, v33
	s_waitcnt lgkmcnt(0)
	v_add_u16_e32 v11, 1, v51
	ds_write_b16 v52, v11
	v_lshrrev_b32_e32 v11, 3, v10
	v_lshlrev_b32_e32 v10, 5, v10
	v_and_or_b32 v10, v10, s41, v0
	v_lshlrev_b32_e32 v10, 1, v10
	v_add_lshl_u32 v54, v10, v11, 1
	ds_read_u16 v53, v54
	s_waitcnt lgkmcnt(0)
	v_add_u16_e32 v10, 1, v53
	ds_write_b16 v54, v10
	v_lshrrev_b32_sdwa v10, s40, v33 dst_sel:DWORD dst_unused:UNUSED_PAD src0_sel:DWORD src1_sel:WORD_0
	v_and_b32_e32 v10, s4, v10
	v_lshrrev_b32_e32 v11, 3, v10
	v_lshlrev_b32_e32 v10, 5, v10
	v_and_or_b32 v10, v10, s41, v0
	v_lshlrev_b32_e32 v10, 1, v10
	v_add_lshl_u32 v55, v10, v11, 1
	ds_read_u16 v56, v55
	s_waitcnt lgkmcnt(0)
	v_add_u16_e32 v10, 1, v56
	ds_write_b16 v55, v10
	v_lshrrev_b32_e32 v10, s40, v49
	v_and_b32_e32 v10, s4, v10
	v_lshrrev_b32_e32 v11, 3, v10
	v_lshlrev_b32_e32 v10, 5, v10
	v_and_or_b32 v10, v10, s41, v0
	v_lshlrev_b32_e32 v10, 1, v10
	v_add_lshl_u32 v58, v10, v11, 1
	ds_read_u16 v57, v58
	s_waitcnt lgkmcnt(0)
	v_add_u16_e32 v10, 1, v57
	ds_write_b16 v58, v10
	s_waitcnt lgkmcnt(0)
	; wave barrier
	s_waitcnt lgkmcnt(0)
	ds_read2_b32 v[16:17], v43 offset1:1
	ds_read2_b32 v[14:15], v43 offset0:2 offset1:3
	ds_read2_b32 v[10:11], v43 offset0:4 offset1:5
	;; [unrolled: 1-line block ×3, first 2 shown]
	s_waitcnt lgkmcnt(3)
	v_add_u32_e32 v50, v17, v16
	s_waitcnt lgkmcnt(2)
	v_add3_u32 v50, v50, v14, v15
	s_waitcnt lgkmcnt(1)
	v_add3_u32 v50, v50, v10, v11
	s_waitcnt lgkmcnt(0)
	v_add3_u32 v13, v50, v12, v13
	s_nop 1
	v_mov_b32_dpp v50, v13 row_shr:1 row_mask:0xf bank_mask:0xf
	v_cndmask_b32_e64 v50, v50, 0, s[10:11]
	v_add_u32_e32 v13, v50, v13
	s_nop 1
	v_mov_b32_dpp v50, v13 row_shr:2 row_mask:0xf bank_mask:0xf
	v_cndmask_b32_e64 v50, 0, v50, s[12:13]
	v_add_u32_e32 v13, v13, v50
	s_nop 1
	v_mov_b32_dpp v50, v13 row_shr:4 row_mask:0xf bank_mask:0xf
	v_cndmask_b32_e64 v50, 0, v50, s[14:15]
	v_add_u32_e32 v13, v13, v50
	s_nop 1
	v_mov_b32_dpp v50, v13 row_shr:8 row_mask:0xf bank_mask:0xf
	v_cndmask_b32_e64 v50, 0, v50, s[16:17]
	v_add_u32_e32 v13, v13, v50
	s_nop 1
	v_mov_b32_dpp v50, v13 row_bcast:15 row_mask:0xf bank_mask:0xf
	v_cndmask_b32_e64 v50, v50, 0, s[18:19]
	v_add_u32_e32 v13, v13, v50
	s_and_saveexec_b64 s[4:5], s[20:21]
	s_cbranch_execz .LBB173_33
; %bb.32:                               ;   in Loop: Header=BB173_24 Depth=1
	ds_write_b32 v47, v13 offset:1024
.LBB173_33:                             ;   in Loop: Header=BB173_24 Depth=1
	s_or_b64 exec, exec, s[4:5]
	ds_bpermute_b32 v13, v44, v13
	s_waitcnt lgkmcnt(0)
	; wave barrier
	s_waitcnt lgkmcnt(0)
	ds_read_b32 v59, v47 offset:1024
	v_mov_b32_e32 v50, v32
	v_cndmask_b32_e64 v13, v13, 0, s[22:23]
	s_cmp_gt_u32 s40, 11
	s_waitcnt lgkmcnt(0)
	v_lshl_add_u32 v13, v59, 16, v13
	v_add_u32_e32 v16, v13, v16
	v_add_u32_e32 v17, v16, v17
	v_add_u32_e32 v14, v17, v14
	v_add_u32_e32 v15, v14, v15
	v_add_u32_e32 v10, v15, v10
	v_add_u32_e32 v11, v10, v11
	v_add_u32_e32 v12, v11, v12
	ds_write2_b32 v43, v13, v16 offset1:1
	ds_write2_b32 v43, v17, v14 offset0:2 offset1:3
	ds_write2_b32 v43, v15, v10 offset0:4 offset1:5
	;; [unrolled: 1-line block ×3, first 2 shown]
	s_waitcnt lgkmcnt(0)
	; wave barrier
	s_waitcnt lgkmcnt(0)
	ds_read_u16 v10, v52
	ds_read_u16 v11, v54
	;; [unrolled: 1-line block ×4, first 2 shown]
	v_mov_b32_e32 v55, v33
	s_waitcnt lgkmcnt(3)
	v_add_u32_sdwa v51, v10, v51 dst_sel:DWORD dst_unused:UNUSED_PAD src0_sel:DWORD src1_sel:WORD_0
	s_waitcnt lgkmcnt(2)
	v_add_u32_sdwa v52, v11, v53 dst_sel:DWORD dst_unused:UNUSED_PAD src0_sel:DWORD src1_sel:WORD_0
	;; [unrolled: 2-line block ×4, first 2 shown]
	s_cbranch_scc0 .LBB173_23
; %bb.34:
                                        ; implicit-def: $vgpr33
                                        ; implicit-def: $vgpr16_vgpr17
                                        ; implicit-def: $vgpr12_vgpr13
                                        ; implicit-def: $sgpr40
.LBB173_35:
	v_lshlrev_b32_e32 v10, 1, v51
	s_waitcnt lgkmcnt(0)
	; wave barrier
	ds_write_b16 v10, v50
	v_lshlrev_b32_e32 v10, 1, v52
	ds_write_b16 v10, v48
	v_lshlrev_b32_e32 v10, 1, v53
	;; [unrolled: 2-line block ×4, first 2 shown]
	v_lshlrev_b32_e32 v11, 3, v52
	v_lshlrev_b32_e32 v12, 3, v53
	;; [unrolled: 1-line block ×3, first 2 shown]
	s_waitcnt lgkmcnt(0)
	; wave barrier
	s_waitcnt lgkmcnt(0)
	ds_read_b64 v[32:33], v42
	s_waitcnt lgkmcnt(0)
	; wave barrier
	s_waitcnt lgkmcnt(0)
	ds_write_b64 v10, v[30:31]
	ds_write_b64 v11, v[28:29]
	ds_write_b64 v12, v[26:27]
	ds_write_b64 v13, v[24:25]
	s_waitcnt lgkmcnt(0)
	; wave barrier
	s_waitcnt lgkmcnt(0)
	ds_read2_b64 v[10:13], v41 offset1:1
	ds_read2_b64 v[14:17], v41 offset0:2 offset1:3
	v_xor_b32_e32 v24, 0x80008000, v32
	v_xor_b32_e32 v25, 0x80008000, v33
	s_branch .LBB173_53
.LBB173_36:
	v_mov_b32_e32 v21, 0
	v_lshlrev_b64 v[2:3], 3, v[20:21]
	v_mov_b32_e32 v4, s38
	v_add_co_u32_e32 v2, vcc, s33, v2
	v_addc_co_u32_e32 v3, vcc, v4, v3, vcc
	global_load_dwordx2 v[2:3], v[2:3], off
	v_mov_b32_e32 v4, v21
	v_mov_b32_e32 v5, v21
	;; [unrolled: 1-line block ×6, first 2 shown]
	s_or_b64 exec, exec, s[4:5]
	s_and_saveexec_b64 s[4:5], s[2:3]
	s_cbranch_execz .LBB173_17
.LBB173_37:
	v_mul_lo_u32 v4, v1, s26
	v_mov_b32_e32 v5, 0
	v_lshlrev_b64 v[4:5], 3, v[4:5]
	v_mov_b32_e32 v16, s38
	v_add_co_u32_e32 v4, vcc, s33, v4
	v_addc_co_u32_e32 v5, vcc, v16, v5, vcc
	global_load_dwordx2 v[4:5], v[4:5], off
	s_or_b64 exec, exec, s[4:5]
	s_and_saveexec_b64 s[4:5], s[24:25]
	s_cbranch_execnz .LBB173_18
	s_branch .LBB173_19
.LBB173_38:
                                        ; implicit-def: $vgpr25
                                        ; implicit-def: $vgpr16_vgpr17
                                        ; implicit-def: $vgpr12_vgpr13
	s_cbranch_execz .LBB173_53
; %bb.39:
	v_xor_b32_e32 v22, 0x7fff7fff, v22
	v_xor_b32_e32 v23, 0x7fff7fff, v23
	v_and_b32_e32 v24, 14, v45
	s_mov_b32 s41, 0
	v_mov_b32_e32 v25, 0
	s_movk_i32 s40, 0xe0
	s_branch .LBB173_41
.LBB173_40:                             ;   in Loop: Header=BB173_41 Depth=1
	v_lshlrev_b32_e32 v2, 1, v29
	s_waitcnt lgkmcnt(0)
	; wave barrier
	ds_write_b16 v2, v22
	v_lshlrev_b32_e32 v2, 1, v30
	ds_write_b16 v2, v26
	v_lshlrev_b32_e32 v2, 1, v31
	;; [unrolled: 2-line block ×4, first 2 shown]
	s_waitcnt lgkmcnt(0)
	; wave barrier
	s_waitcnt lgkmcnt(0)
	ds_read_b64 v[22:23], v42
	s_waitcnt lgkmcnt(0)
	; wave barrier
	s_waitcnt lgkmcnt(0)
	ds_write_b64 v2, v[16:17]
	v_lshlrev_b32_e32 v2, 3, v30
	ds_write_b64 v2, v[14:15]
	v_lshlrev_b32_e32 v2, 3, v31
	;; [unrolled: 2-line block ×3, first 2 shown]
	ds_write_b64 v2, v[10:11]
	s_waitcnt lgkmcnt(0)
	; wave barrier
	s_waitcnt lgkmcnt(0)
	ds_read2_b64 v[2:5], v41 offset1:1
	ds_read2_b64 v[6:9], v41 offset0:2 offset1:3
	s_add_i32 s41, s41, 4
	s_waitcnt lgkmcnt(0)
	; wave barrier
	s_waitcnt lgkmcnt(0)
	s_cbranch_execz .LBB173_52
.LBB173_41:                             ; =>This Loop Header: Depth=1
                                        ;     Child Loop BB173_44 Depth 2
	s_waitcnt lgkmcnt(1)
	v_pk_mov_b32 v[10:11], v[8:9], v[8:9] op_sel:[0,1]
	v_pk_mov_b32 v[12:13], v[6:7], v[6:7] op_sel:[0,1]
	s_waitcnt lgkmcnt(0)
	v_pk_mov_b32 v[14:15], v[4:5], v[4:5] op_sel:[0,1]
	v_pk_mov_b32 v[16:17], v[2:3], v[2:3] op_sel:[0,1]
	s_and_saveexec_b64 s[4:5], s[8:9]
	s_cbranch_execz .LBB173_48
; %bb.42:                               ;   in Loop: Header=BB173_41 Depth=1
	s_mov_b32 s42, 0
	s_mov_b64 s[28:29], 0
	v_pk_mov_b32 v[2:3], v[0:1], v[0:1] op_sel:[0,1]
	s_branch .LBB173_44
.LBB173_43:                             ;   in Loop: Header=BB173_44 Depth=2
	s_or_b64 exec, exec, s[36:37]
	s_add_i32 s42, s42, 2
	v_cmp_eq_u32_e32 vcc, s42, v24
	v_add_u32_e32 v3, 64, v3
	s_or_b64 s[28:29], vcc, s[28:29]
	v_add_u32_e32 v2, 64, v2
	s_andn2_b64 exec, exec, s[28:29]
	s_cbranch_execz .LBB173_48
.LBB173_44:                             ;   Parent Loop BB173_41 Depth=1
                                        ; =>  This Inner Loop Header: Depth=2
	s_or_b32 s34, s42, 1
	v_cmp_le_u32_e64 s[34:35], s34, 7
	v_cmp_le_u32_e64 s[44:45], s42, 7
	s_and_saveexec_b64 s[36:37], s[44:45]
	s_cbranch_execz .LBB173_46
; %bb.45:                               ;   in Loop: Header=BB173_44 Depth=2
	v_lshlrev_b32_e32 v4, 2, v2
	ds_write_b32 v4, v25
.LBB173_46:                             ;   in Loop: Header=BB173_44 Depth=2
	s_or_b64 exec, exec, s[36:37]
	s_and_saveexec_b64 s[36:37], s[34:35]
	s_cbranch_execz .LBB173_43
; %bb.47:                               ;   in Loop: Header=BB173_44 Depth=2
	v_lshlrev_b32_e32 v4, 2, v3
	ds_write_b32 v4, v25
	s_branch .LBB173_43
.LBB173_48:                             ;   in Loop: Header=BB173_41 Depth=1
	s_or_b64 exec, exec, s[4:5]
	s_sub_i32 s4, 16, s41
	s_min_u32 s4, s39, s4
	s_lshl_b32 s4, -1, s4
	s_not_b32 s4, s4
	v_lshrrev_b32_sdwa v2, s41, v22 dst_sel:DWORD dst_unused:UNUSED_PAD src0_sel:DWORD src1_sel:WORD_0
	v_and_b32_e32 v2, s4, v2
	v_lshrrev_b32_e32 v3, 3, v2
	v_lshlrev_b32_e32 v2, 5, v2
	v_and_or_b32 v2, v2, s40, v0
	v_lshlrev_b32_e32 v2, 1, v2
	v_add_lshl_u32 v30, v2, v3, 1
	ds_read_u16 v29, v30
	v_lshrrev_b32_e32 v26, 16, v22
	v_lshrrev_b32_e32 v2, s41, v26
	v_and_b32_e32 v2, s4, v2
	v_lshrrev_b32_e32 v27, 16, v23
	s_waitcnt lgkmcnt(0)
	v_add_u16_e32 v3, 1, v29
	ds_write_b16 v30, v3
	v_lshrrev_b32_e32 v3, 3, v2
	v_lshlrev_b32_e32 v2, 5, v2
	v_and_or_b32 v2, v2, s40, v0
	v_lshlrev_b32_e32 v2, 1, v2
	v_add_lshl_u32 v32, v2, v3, 1
	ds_read_u16 v31, v32
	s_waitcnt lgkmcnt(0)
	v_add_u16_e32 v2, 1, v31
	ds_write_b16 v32, v2
	v_lshrrev_b32_sdwa v2, s41, v23 dst_sel:DWORD dst_unused:UNUSED_PAD src0_sel:DWORD src1_sel:WORD_0
	v_and_b32_e32 v2, s4, v2
	v_lshrrev_b32_e32 v3, 3, v2
	v_lshlrev_b32_e32 v2, 5, v2
	v_and_or_b32 v2, v2, s40, v0
	v_lshlrev_b32_e32 v2, 1, v2
	v_add_lshl_u32 v33, v2, v3, 1
	ds_read_u16 v45, v33
	s_waitcnt lgkmcnt(0)
	v_add_u16_e32 v2, 1, v45
	ds_write_b16 v33, v2
	v_lshrrev_b32_e32 v2, s41, v27
	v_and_b32_e32 v2, s4, v2
	v_lshrrev_b32_e32 v3, 3, v2
	v_lshlrev_b32_e32 v2, 5, v2
	v_and_or_b32 v2, v2, s40, v0
	v_lshlrev_b32_e32 v2, 1, v2
	v_add_lshl_u32 v47, v2, v3, 1
	ds_read_u16 v46, v47
	s_waitcnt lgkmcnt(0)
	v_add_u16_e32 v2, 1, v46
	ds_write_b16 v47, v2
	s_waitcnt lgkmcnt(0)
	; wave barrier
	s_waitcnt lgkmcnt(0)
	ds_read2_b32 v[8:9], v43 offset1:1
	ds_read2_b32 v[6:7], v43 offset0:2 offset1:3
	ds_read2_b32 v[2:3], v43 offset0:4 offset1:5
	ds_read2_b32 v[4:5], v43 offset0:6 offset1:7
	s_waitcnt lgkmcnt(3)
	v_add_u32_e32 v28, v9, v8
	s_waitcnt lgkmcnt(2)
	v_add3_u32 v28, v28, v6, v7
	s_waitcnt lgkmcnt(1)
	v_add3_u32 v28, v28, v2, v3
	;; [unrolled: 2-line block ×3, first 2 shown]
	s_nop 1
	v_mov_b32_dpp v28, v5 row_shr:1 row_mask:0xf bank_mask:0xf
	v_cndmask_b32_e64 v28, v28, 0, s[10:11]
	v_add_u32_e32 v5, v28, v5
	s_nop 1
	v_mov_b32_dpp v28, v5 row_shr:2 row_mask:0xf bank_mask:0xf
	v_cndmask_b32_e64 v28, 0, v28, s[12:13]
	v_add_u32_e32 v5, v5, v28
	;; [unrolled: 4-line block ×4, first 2 shown]
	s_nop 1
	v_mov_b32_dpp v28, v5 row_bcast:15 row_mask:0xf bank_mask:0xf
	v_cndmask_b32_e64 v28, v28, 0, s[18:19]
	v_add_u32_e32 v5, v5, v28
	s_and_saveexec_b64 s[4:5], s[20:21]
	s_cbranch_execz .LBB173_50
; %bb.49:                               ;   in Loop: Header=BB173_41 Depth=1
	ds_write_b32 v25, v5 offset:1024
.LBB173_50:                             ;   in Loop: Header=BB173_41 Depth=1
	s_or_b64 exec, exec, s[4:5]
	ds_bpermute_b32 v5, v44, v5
	s_waitcnt lgkmcnt(0)
	; wave barrier
	s_waitcnt lgkmcnt(0)
	ds_read_b32 v48, v25 offset:1024
	v_mov_b32_e32 v28, v22
	v_cndmask_b32_e64 v5, v5, 0, s[22:23]
	s_cmp_gt_u32 s41, 11
	s_waitcnt lgkmcnt(0)
	v_lshl_add_u32 v5, v48, 16, v5
	v_add_u32_e32 v8, v5, v8
	v_add_u32_e32 v9, v8, v9
	;; [unrolled: 1-line block ×7, first 2 shown]
	ds_write2_b32 v43, v5, v8 offset1:1
	ds_write2_b32 v43, v9, v6 offset0:2 offset1:3
	ds_write2_b32 v43, v7, v2 offset0:4 offset1:5
	;; [unrolled: 1-line block ×3, first 2 shown]
	s_waitcnt lgkmcnt(0)
	; wave barrier
	s_waitcnt lgkmcnt(0)
	ds_read_u16 v2, v30
	ds_read_u16 v3, v32
	;; [unrolled: 1-line block ×4, first 2 shown]
	v_mov_b32_e32 v33, v23
	s_waitcnt lgkmcnt(3)
	v_add_u32_sdwa v29, v2, v29 dst_sel:DWORD dst_unused:UNUSED_PAD src0_sel:DWORD src1_sel:WORD_0
	s_waitcnt lgkmcnt(2)
	v_add_u32_sdwa v30, v3, v31 dst_sel:DWORD dst_unused:UNUSED_PAD src0_sel:DWORD src1_sel:WORD_0
	;; [unrolled: 2-line block ×4, first 2 shown]
	s_cbranch_scc0 .LBB173_40
; %bb.51:
                                        ; implicit-def: $vgpr23
                                        ; implicit-def: $vgpr8_vgpr9
                                        ; implicit-def: $vgpr4_vgpr5
                                        ; implicit-def: $sgpr41
.LBB173_52:
	v_lshlrev_b32_e32 v0, 1, v29
	s_waitcnt lgkmcnt(0)
	; wave barrier
	ds_write_b16 v0, v28
	v_lshlrev_b32_e32 v0, 1, v30
	ds_write_b16 v0, v26
	v_lshlrev_b32_e32 v0, 1, v31
	;; [unrolled: 2-line block ×3, first 2 shown]
	v_lshlrev_b32_e32 v2, 3, v29
	ds_write_b16 v0, v27
	s_waitcnt lgkmcnt(0)
	; wave barrier
	s_waitcnt lgkmcnt(0)
	v_lshlrev_b32_e32 v3, 3, v30
	v_lshlrev_b32_e32 v4, 3, v31
	;; [unrolled: 1-line block ×3, first 2 shown]
	ds_read_b64 v[0:1], v42
	s_waitcnt lgkmcnt(0)
	; wave barrier
	s_waitcnt lgkmcnt(0)
	ds_write_b64 v2, v[16:17]
	ds_write_b64 v3, v[14:15]
	;; [unrolled: 1-line block ×4, first 2 shown]
	s_waitcnt lgkmcnt(0)
	; wave barrier
	s_waitcnt lgkmcnt(0)
	ds_read2_b64 v[10:13], v41 offset1:1
	ds_read2_b64 v[14:17], v41 offset0:2 offset1:3
	v_xor_b32_e32 v24, 0x7fff7fff, v0
	v_xor_b32_e32 v25, 0x7fff7fff, v1
.LBB173_53:
	s_waitcnt lgkmcnt(0)
	; wave barrier
	s_waitcnt lgkmcnt(0)
	ds_write_b64 v36, v[24:25]
	s_waitcnt lgkmcnt(0)
	; wave barrier
	s_waitcnt lgkmcnt(0)
	ds_read_u16 v4, v34 offset:64
	ds_read_u16 v3, v19 offset:128
	;; [unrolled: 1-line block ×3, first 2 shown]
	v_mov_b32_e32 v19, 0
	v_lshlrev_b64 v[0:1], 1, v[18:19]
	v_mov_b32_e32 v5, s31
	v_add_co_u32_e32 v0, vcc, s27, v0
	v_addc_co_u32_e32 v1, vcc, v5, v1, vcc
	s_and_saveexec_b64 s[4:5], s[0:1]
	s_cbranch_execnz .LBB173_64
; %bb.54:
	s_or_b64 exec, exec, s[4:5]
	s_and_saveexec_b64 s[4:5], s[2:3]
	s_cbranch_execnz .LBB173_65
.LBB173_55:
	s_or_b64 exec, exec, s[4:5]
	s_and_saveexec_b64 s[4:5], s[24:25]
	s_cbranch_execnz .LBB173_66
.LBB173_56:
	s_or_b64 exec, exec, s[4:5]
	s_and_saveexec_b64 s[4:5], s[6:7]
	s_cbranch_execz .LBB173_58
.LBB173_57:
	s_mul_i32 s8, s30, 0x60
	s_mov_b32 s9, 0
	s_lshl_b64 s[8:9], s[8:9], 1
	s_waitcnt lgkmcnt(1)
	v_mov_b32_e32 v3, s9
	v_add_co_u32_e32 v0, vcc, s8, v0
	v_addc_co_u32_e32 v1, vcc, v1, v3, vcc
	s_waitcnt lgkmcnt(0)
	global_store_short v[0:1], v2, off
.LBB173_58:
	s_or_b64 exec, exec, s[4:5]
	s_waitcnt lgkmcnt(0)
	; wave barrier
	s_waitcnt lgkmcnt(0)
	ds_write2_b64 v40, v[10:11], v[12:13] offset1:1
	ds_write2_b64 v40, v[14:15], v[16:17] offset0:2 offset1:3
	s_waitcnt lgkmcnt(0)
	; wave barrier
	s_waitcnt lgkmcnt(0)
	ds_read_b64 v[6:7], v21 offset:256
	ds_read_b64 v[4:5], v38 offset:512
	;; [unrolled: 1-line block ×3, first 2 shown]
	v_mov_b32_e32 v21, 0
	v_lshlrev_b64 v[2:3], 3, v[20:21]
	v_mov_b32_e32 v8, s38
	v_add_co_u32_e32 v2, vcc, s33, v2
	v_addc_co_u32_e32 v3, vcc, v8, v3, vcc
	s_and_saveexec_b64 s[4:5], s[0:1]
	s_cbranch_execnz .LBB173_67
; %bb.59:
	s_or_b64 exec, exec, s[4:5]
	s_and_saveexec_b64 s[0:1], s[2:3]
	s_cbranch_execnz .LBB173_68
.LBB173_60:
	s_or_b64 exec, exec, s[0:1]
	s_and_saveexec_b64 s[0:1], s[24:25]
	s_cbranch_execnz .LBB173_69
.LBB173_61:
	s_or_b64 exec, exec, s[0:1]
	s_and_saveexec_b64 s[0:1], s[6:7]
	s_cbranch_execz .LBB173_63
.LBB173_62:
	s_mul_i32 s0, s26, 0x60
	s_mov_b32 s1, 0
	s_lshl_b64 s[0:1], s[0:1], 3
	s_waitcnt lgkmcnt(1)
	v_mov_b32_e32 v4, s1
	v_add_co_u32_e32 v2, vcc, s0, v2
	v_addc_co_u32_e32 v3, vcc, v3, v4, vcc
	s_waitcnt lgkmcnt(0)
	global_store_dwordx2 v[2:3], v[0:1], off
.LBB173_63:
	s_endpgm
.LBB173_64:
	ds_read_u16 v5, v34
	s_waitcnt lgkmcnt(0)
	global_store_short v[0:1], v5, off
	s_or_b64 exec, exec, s[4:5]
	s_and_saveexec_b64 s[4:5], s[2:3]
	s_cbranch_execz .LBB173_55
.LBB173_65:
	s_lshl_b32 s8, s30, 5
	s_mov_b32 s9, 0
	s_lshl_b64 s[8:9], s[8:9], 1
	v_mov_b32_e32 v5, s9
	v_add_co_u32_e32 v6, vcc, s8, v0
	v_addc_co_u32_e32 v7, vcc, v1, v5, vcc
	s_waitcnt lgkmcnt(2)
	global_store_short v[6:7], v4, off
	s_or_b64 exec, exec, s[4:5]
	s_and_saveexec_b64 s[4:5], s[24:25]
	s_cbranch_execz .LBB173_56
.LBB173_66:
	s_lshl_b32 s8, s30, 6
	s_mov_b32 s9, 0
	s_lshl_b64 s[8:9], s[8:9], 1
	v_mov_b32_e32 v5, s9
	s_waitcnt lgkmcnt(2)
	v_add_co_u32_e32 v4, vcc, s8, v0
	v_addc_co_u32_e32 v5, vcc, v1, v5, vcc
	s_waitcnt lgkmcnt(1)
	global_store_short v[4:5], v3, off
	s_or_b64 exec, exec, s[4:5]
	s_and_saveexec_b64 s[4:5], s[6:7]
	s_cbranch_execnz .LBB173_57
	s_branch .LBB173_58
.LBB173_67:
	ds_read_b64 v[8:9], v37
	s_waitcnt lgkmcnt(0)
	global_store_dwordx2 v[2:3], v[8:9], off
	s_or_b64 exec, exec, s[4:5]
	s_and_saveexec_b64 s[0:1], s[2:3]
	s_cbranch_execz .LBB173_60
.LBB173_68:
	s_lshl_b32 s2, s26, 5
	s_mov_b32 s3, 0
	s_lshl_b64 s[2:3], s[2:3], 3
	v_mov_b32_e32 v9, s3
	v_add_co_u32_e32 v8, vcc, s2, v2
	v_addc_co_u32_e32 v9, vcc, v3, v9, vcc
	s_waitcnt lgkmcnt(2)
	global_store_dwordx2 v[8:9], v[6:7], off
	s_or_b64 exec, exec, s[0:1]
	s_and_saveexec_b64 s[0:1], s[24:25]
	s_cbranch_execz .LBB173_61
.LBB173_69:
	s_lshl_b32 s2, s26, 6
	s_mov_b32 s3, 0
	s_lshl_b64 s[2:3], s[2:3], 3
	s_waitcnt lgkmcnt(2)
	v_mov_b32_e32 v7, s3
	v_add_co_u32_e32 v6, vcc, s2, v2
	v_addc_co_u32_e32 v7, vcc, v3, v7, vcc
	s_waitcnt lgkmcnt(1)
	global_store_dwordx2 v[6:7], v[4:5], off
	s_or_b64 exec, exec, s[0:1]
	s_and_saveexec_b64 s[0:1], s[6:7]
	s_cbranch_execnz .LBB173_62
	s_branch .LBB173_63
	.section	.rodata,"a",@progbits
	.p2align	6, 0x0
	.amdhsa_kernel _ZN2at6native18radixSortKVInPlaceILin1ELin1ELi32ELi4EsljEEvNS_4cuda6detail10TensorInfoIT3_T5_EES6_S6_S6_NS4_IT4_S6_EES6_b
		.amdhsa_group_segment_fixed_size 1056
		.amdhsa_private_segment_fixed_size 0
		.amdhsa_kernarg_size 712
		.amdhsa_user_sgpr_count 6
		.amdhsa_user_sgpr_private_segment_buffer 1
		.amdhsa_user_sgpr_dispatch_ptr 0
		.amdhsa_user_sgpr_queue_ptr 0
		.amdhsa_user_sgpr_kernarg_segment_ptr 1
		.amdhsa_user_sgpr_dispatch_id 0
		.amdhsa_user_sgpr_flat_scratch_init 0
		.amdhsa_user_sgpr_kernarg_preload_length 0
		.amdhsa_user_sgpr_kernarg_preload_offset 0
		.amdhsa_user_sgpr_private_segment_size 0
		.amdhsa_uses_dynamic_stack 0
		.amdhsa_system_sgpr_private_segment_wavefront_offset 0
		.amdhsa_system_sgpr_workgroup_id_x 1
		.amdhsa_system_sgpr_workgroup_id_y 1
		.amdhsa_system_sgpr_workgroup_id_z 1
		.amdhsa_system_sgpr_workgroup_info 0
		.amdhsa_system_vgpr_workitem_id 0
		.amdhsa_next_free_vgpr 60
		.amdhsa_next_free_sgpr 46
		.amdhsa_accum_offset 60
		.amdhsa_reserve_vcc 1
		.amdhsa_reserve_flat_scratch 0
		.amdhsa_float_round_mode_32 0
		.amdhsa_float_round_mode_16_64 0
		.amdhsa_float_denorm_mode_32 3
		.amdhsa_float_denorm_mode_16_64 3
		.amdhsa_dx10_clamp 1
		.amdhsa_ieee_mode 1
		.amdhsa_fp16_overflow 0
		.amdhsa_tg_split 0
		.amdhsa_exception_fp_ieee_invalid_op 0
		.amdhsa_exception_fp_denorm_src 0
		.amdhsa_exception_fp_ieee_div_zero 0
		.amdhsa_exception_fp_ieee_overflow 0
		.amdhsa_exception_fp_ieee_underflow 0
		.amdhsa_exception_fp_ieee_inexact 0
		.amdhsa_exception_int_div_zero 0
	.end_amdhsa_kernel
	.section	.text._ZN2at6native18radixSortKVInPlaceILin1ELin1ELi32ELi4EsljEEvNS_4cuda6detail10TensorInfoIT3_T5_EES6_S6_S6_NS4_IT4_S6_EES6_b,"axG",@progbits,_ZN2at6native18radixSortKVInPlaceILin1ELin1ELi32ELi4EsljEEvNS_4cuda6detail10TensorInfoIT3_T5_EES6_S6_S6_NS4_IT4_S6_EES6_b,comdat
.Lfunc_end173:
	.size	_ZN2at6native18radixSortKVInPlaceILin1ELin1ELi32ELi4EsljEEvNS_4cuda6detail10TensorInfoIT3_T5_EES6_S6_S6_NS4_IT4_S6_EES6_b, .Lfunc_end173-_ZN2at6native18radixSortKVInPlaceILin1ELin1ELi32ELi4EsljEEvNS_4cuda6detail10TensorInfoIT3_T5_EES6_S6_S6_NS4_IT4_S6_EES6_b
                                        ; -- End function
	.section	.AMDGPU.csdata,"",@progbits
; Kernel info:
; codeLenInByte = 4784
; NumSgprs: 50
; NumVgprs: 60
; NumAgprs: 0
; TotalNumVgprs: 60
; ScratchSize: 0
; MemoryBound: 0
; FloatMode: 240
; IeeeMode: 1
; LDSByteSize: 1056 bytes/workgroup (compile time only)
; SGPRBlocks: 6
; VGPRBlocks: 7
; NumSGPRsForWavesPerEU: 50
; NumVGPRsForWavesPerEU: 60
; AccumOffset: 60
; Occupancy: 8
; WaveLimiterHint : 1
; COMPUTE_PGM_RSRC2:SCRATCH_EN: 0
; COMPUTE_PGM_RSRC2:USER_SGPR: 6
; COMPUTE_PGM_RSRC2:TRAP_HANDLER: 0
; COMPUTE_PGM_RSRC2:TGID_X_EN: 1
; COMPUTE_PGM_RSRC2:TGID_Y_EN: 1
; COMPUTE_PGM_RSRC2:TGID_Z_EN: 1
; COMPUTE_PGM_RSRC2:TIDIG_COMP_CNT: 0
; COMPUTE_PGM_RSRC3_GFX90A:ACCUM_OFFSET: 14
; COMPUTE_PGM_RSRC3_GFX90A:TG_SPLIT: 0
	.section	.text._ZN2at6native18radixSortKVInPlaceILin1ELin1ELi16ELi2EsljEEvNS_4cuda6detail10TensorInfoIT3_T5_EES6_S6_S6_NS4_IT4_S6_EES6_b,"axG",@progbits,_ZN2at6native18radixSortKVInPlaceILin1ELin1ELi16ELi2EsljEEvNS_4cuda6detail10TensorInfoIT3_T5_EES6_S6_S6_NS4_IT4_S6_EES6_b,comdat
	.protected	_ZN2at6native18radixSortKVInPlaceILin1ELin1ELi16ELi2EsljEEvNS_4cuda6detail10TensorInfoIT3_T5_EES6_S6_S6_NS4_IT4_S6_EES6_b ; -- Begin function _ZN2at6native18radixSortKVInPlaceILin1ELin1ELi16ELi2EsljEEvNS_4cuda6detail10TensorInfoIT3_T5_EES6_S6_S6_NS4_IT4_S6_EES6_b
	.globl	_ZN2at6native18radixSortKVInPlaceILin1ELin1ELi16ELi2EsljEEvNS_4cuda6detail10TensorInfoIT3_T5_EES6_S6_S6_NS4_IT4_S6_EES6_b
	.p2align	8
	.type	_ZN2at6native18radixSortKVInPlaceILin1ELin1ELi16ELi2EsljEEvNS_4cuda6detail10TensorInfoIT3_T5_EES6_S6_S6_NS4_IT4_S6_EES6_b,@function
_ZN2at6native18radixSortKVInPlaceILin1ELin1ELi16ELi2EsljEEvNS_4cuda6detail10TensorInfoIT3_T5_EES6_S6_S6_NS4_IT4_S6_EES6_b: ; @_ZN2at6native18radixSortKVInPlaceILin1ELin1ELi16ELi2EsljEEvNS_4cuda6detail10TensorInfoIT3_T5_EES6_S6_S6_NS4_IT4_S6_EES6_b
; %bb.0:
	s_load_dwordx2 s[0:1], s[4:5], 0x1c8
	s_load_dwordx4 s[16:19], s[4:5], 0xd8
	s_waitcnt lgkmcnt(0)
	s_mul_i32 s1, s1, s8
	s_add_i32 s1, s1, s7
	s_mul_i32 s0, s1, s0
	s_add_i32 s12, s0, s6
	s_cmp_ge_u32 s12, s16
	s_cbranch_scc1 .LBB174_53
; %bb.1:
	s_load_dword s2, s[4:5], 0xd0
	s_mov_b32 s1, 0
	s_mov_b32 s0, s12
	s_waitcnt lgkmcnt(0)
	s_cmp_lt_i32 s2, 2
	s_cbranch_scc1 .LBB174_4
; %bb.2:
	s_add_i32 s0, s2, -1
	s_add_i32 s6, s2, 1
	s_lshl_b64 s[2:3], s[0:1], 2
	s_add_u32 s0, s2, s4
	s_addc_u32 s3, s3, s5
	s_add_u32 s2, s0, 8
	s_addc_u32 s3, s3, 0
	s_mov_b32 s0, s12
.LBB174_3:                              ; =>This Inner Loop Header: Depth=1
	s_load_dword s7, s[2:3], 0x0
	s_load_dword s9, s[2:3], 0x64
	s_mov_b32 s8, s0
	s_waitcnt lgkmcnt(0)
	v_cvt_f32_u32_e32 v1, s7
	s_sub_i32 s0, 0, s7
	v_rcp_iflag_f32_e32 v1, v1
	v_mul_f32_e32 v1, 0x4f7ffffe, v1
	v_cvt_u32_f32_e32 v1, v1
	v_readfirstlane_b32 s10, v1
	s_mul_i32 s0, s0, s10
	s_mul_hi_u32 s0, s10, s0
	s_add_i32 s10, s10, s0
	s_mul_hi_u32 s0, s8, s10
	s_mul_i32 s10, s0, s7
	s_sub_i32 s10, s8, s10
	s_add_i32 s11, s0, 1
	s_sub_i32 s13, s10, s7
	s_cmp_ge_u32 s10, s7
	s_cselect_b32 s0, s11, s0
	s_cselect_b32 s10, s13, s10
	s_add_i32 s11, s0, 1
	s_cmp_ge_u32 s10, s7
	s_cselect_b32 s0, s11, s0
	s_mul_i32 s7, s0, s7
	s_sub_i32 s7, s8, s7
	s_mul_i32 s7, s9, s7
	s_add_i32 s6, s6, -1
	s_add_i32 s1, s7, s1
	s_add_u32 s2, s2, -4
	s_addc_u32 s3, s3, -1
	s_cmp_gt_u32 s6, 2
	s_cbranch_scc1 .LBB174_3
.LBB174_4:
	s_load_dword s2, s[4:5], 0x1b8
	s_mov_b32 s7, 0
	s_waitcnt lgkmcnt(0)
	s_cmp_lt_i32 s2, 2
	s_cbranch_scc1 .LBB174_7
; %bb.5:
	s_add_i32 s6, s2, -1
	s_add_i32 s8, s2, 1
	s_lshl_b64 s[2:3], s[6:7], 2
	s_add_u32 s2, s2, s4
	s_addc_u32 s3, s3, s5
	s_add_u32 s2, s2, 0xf0
	s_addc_u32 s3, s3, 0
.LBB174_6:                              ; =>This Inner Loop Header: Depth=1
	s_load_dword s6, s[2:3], 0x0
	s_load_dword s10, s[2:3], 0x64
	s_mov_b32 s9, s12
	s_waitcnt lgkmcnt(0)
	v_cvt_f32_u32_e32 v1, s6
	s_sub_i32 s11, 0, s6
	v_rcp_iflag_f32_e32 v1, v1
	v_mul_f32_e32 v1, 0x4f7ffffe, v1
	v_cvt_u32_f32_e32 v1, v1
	v_readfirstlane_b32 s12, v1
	s_mul_i32 s11, s11, s12
	s_mul_hi_u32 s11, s12, s11
	s_add_i32 s12, s12, s11
	s_mul_hi_u32 s11, s9, s12
	s_mul_i32 s12, s11, s6
	s_sub_i32 s12, s9, s12
	s_add_i32 s13, s11, 1
	s_sub_i32 s14, s12, s6
	s_cmp_ge_u32 s12, s6
	s_cselect_b32 s11, s13, s11
	s_cselect_b32 s12, s14, s12
	s_add_i32 s13, s11, 1
	s_cmp_ge_u32 s12, s6
	s_cselect_b32 s12, s13, s11
	s_mul_i32 s6, s12, s6
	s_sub_i32 s6, s9, s6
	s_mul_i32 s6, s10, s6
	s_add_i32 s8, s8, -1
	s_add_i32 s7, s6, s7
	s_add_u32 s2, s2, -4
	s_addc_u32 s3, s3, -1
	s_cmp_gt_u32 s8, 2
	s_cbranch_scc1 .LBB174_6
.LBB174_7:
	s_load_dword s2, s[4:5], 0x6c
	s_load_dwordx2 s[20:21], s[4:5], 0x1c0
	v_mul_lo_u32 v10, v0, s18
	s_waitcnt lgkmcnt(0)
	s_mul_i32 s0, s2, s0
	s_add_i32 s0, s0, s1
	s_bitcmp1_b32 s21, 0
	s_load_dwordx2 s[2:3], s[4:5], 0x0
	s_load_dwordx2 s[10:11], s[4:5], 0xe8
	s_cselect_b64 s[8:9], -1, 0
	s_mov_b32 s1, 0x8000
	s_and_b64 s[14:15], s[8:9], exec
	s_cselect_b32 s13, s1, 0x7fff
	s_mov_b32 s1, 0
	s_lshl_b64 s[0:1], s[0:1], 1
	s_waitcnt lgkmcnt(0)
	s_add_u32 s19, s2, s0
	s_pack_ll_b32_b16 s6, s13, s13
	s_addc_u32 s21, s3, s1
	v_cmp_gt_u32_e64 s[0:1], s17, v0
	v_mov_b32_e32 v3, s6
	v_mov_b32_e32 v2, s13
	s_and_saveexec_b64 s[2:3], s[0:1]
	s_cbranch_execz .LBB174_9
; %bb.8:
	v_mov_b32_e32 v11, 0
	v_lshlrev_b64 v[2:3], 1, v[10:11]
	v_mov_b32_e32 v1, s21
	v_add_co_u32_e32 v2, vcc, s19, v2
	v_addc_co_u32_e32 v3, vcc, v1, v3, vcc
	global_load_ushort v2, v[2:3], off
	s_mov_b32 s13, 0xffff
	v_mov_b32_e32 v1, s6
	s_waitcnt vmcnt(0)
	v_bfi_b32 v3, s13, v2, v1
.LBB174_9:
	s_or_b64 exec, exec, s[2:3]
	s_load_dword s6, s[4:5], 0x154
	v_or_b32_e32 v1, 16, v0
	v_cmp_gt_u32_e64 s[2:3], s17, v1
	s_and_saveexec_b64 s[4:5], s[2:3]
	s_cbranch_execz .LBB174_11
; %bb.10:
	v_mul_lo_u32 v4, v1, s18
	v_mov_b32_e32 v5, 0
	v_lshlrev_b64 v[4:5], 1, v[4:5]
	v_mov_b32_e32 v6, s21
	v_add_co_u32_e32 v4, vcc, s19, v4
	v_addc_co_u32_e32 v5, vcc, v6, v5, vcc
	global_load_ushort v4, v[4:5], off
	s_mov_b32 s13, 0x5040100
	s_waitcnt vmcnt(0)
	v_perm_b32 v3, v4, v3, s13
.LBB174_11:
	s_or_b64 exec, exec, s[4:5]
	s_waitcnt lgkmcnt(0)
	s_mul_i32 s4, s6, s12
	v_lshlrev_b32_e32 v22, 1, v0
	v_lshlrev_b32_e32 v11, 2, v0
	s_add_i32 s4, s4, s7
	s_mov_b32 s5, 0
	ds_write_b16 v22, v2
	ds_write_b16_d16_hi v22, v3 offset:32
	s_waitcnt lgkmcnt(0)
	; wave barrier
	s_waitcnt lgkmcnt(0)
	ds_read_b32 v27, v11
	s_lshl_b64 s[6:7], s[4:5], 3
	s_add_u32 s30, s10, s6
	s_mov_b32 s4, s5
	s_addc_u32 s31, s11, s7
	s_mov_b32 s6, s5
	s_mov_b32 s7, s5
	v_pk_mov_b32 v[2:3], s[4:5], s[4:5] op_sel:[0,1]
	v_pk_mov_b32 v[4:5], s[6:7], s[6:7] op_sel:[0,1]
	v_pk_mov_b32 v[2:3], 0, 0
	v_mul_lo_u32 v12, v0, s20
	s_waitcnt lgkmcnt(0)
	; wave barrier
	s_waitcnt lgkmcnt(0)
	s_and_saveexec_b64 s[4:5], s[0:1]
	s_cbranch_execz .LBB174_13
; %bb.12:
	v_mov_b32_e32 v13, 0
	v_lshlrev_b64 v[2:3], 3, v[12:13]
	v_mov_b32_e32 v4, s31
	v_add_co_u32_e32 v2, vcc, s30, v2
	v_addc_co_u32_e32 v3, vcc, v4, v3, vcc
	global_load_dwordx2 v[2:3], v[2:3], off
	v_mov_b32_e32 v4, v13
	v_mov_b32_e32 v5, v13
.LBB174_13:
	s_or_b64 exec, exec, s[4:5]
	s_xor_b64 s[22:23], s[8:9], -1
	s_and_saveexec_b64 s[4:5], s[2:3]
	s_cbranch_execz .LBB174_15
; %bb.14:
	v_mul_lo_u32 v4, v1, s20
	v_mov_b32_e32 v5, 0
	v_lshlrev_b64 v[4:5], 3, v[4:5]
	v_mov_b32_e32 v6, s31
	v_add_co_u32_e32 v4, vcc, s30, v4
	v_addc_co_u32_e32 v5, vcc, v6, v5, vcc
	global_load_dwordx2 v[4:5], v[4:5], off
.LBB174_15:
	s_or_b64 exec, exec, s[4:5]
	v_mbcnt_lo_u32_b32 v6, -1, 0
	v_lshlrev_b32_e32 v23, 3, v0
	v_lshlrev_b32_e32 v13, 3, v22
	s_getpc_b64 s[4:5]
	s_add_u32 s4, s4, _ZN7rocprim17ROCPRIM_400000_NS16block_radix_sortIsLj16ELj2ElLj1ELj1ELj0ELNS0_26block_radix_rank_algorithmE1ELNS0_18block_padding_hintE2ELNS0_4arch9wavefront6targetE1EE19radix_bits_per_passE@rel32@lo+4
	s_addc_u32 s5, s5, _ZN7rocprim17ROCPRIM_400000_NS16block_radix_sortIsLj16ELj2ElLj1ELj1ELj0ELNS0_26block_radix_rank_algorithmE1ELNS0_18block_padding_hintE2ELNS0_4arch9wavefront6targetE1EE19radix_bits_per_passE@rel32@hi+12
	v_mbcnt_hi_u32_b32 v6, -1, v6
	s_waitcnt vmcnt(0)
	ds_write2_b64 v23, v[2:3], v[4:5] offset1:16
	s_waitcnt lgkmcnt(0)
	; wave barrier
	s_waitcnt lgkmcnt(0)
	ds_read2_b64 v[2:5], v13 offset1:1
	s_load_dword s33, s[4:5], 0x0
	v_and_b32_e32 v7, 15, v6
	v_cmp_eq_u32_e64 s[6:7], 0, v7
	v_cmp_lt_u32_e64 s[8:9], 1, v7
	v_cmp_lt_u32_e64 s[10:11], 3, v7
	;; [unrolled: 1-line block ×3, first 2 shown]
	v_add_u32_e32 v7, -1, v6
	v_and_b32_e32 v8, 0x70, v6
	v_cmp_lt_i32_e32 vcc, v7, v8
	s_movk_i32 s4, 0x80
	v_cndmask_b32_e32 v7, v7, v6, vcc
	v_cmp_gt_u32_e64 s[4:5], s4, v0
	v_lshlrev_b32_e32 v24, 5, v0
	s_mov_b32 s34, 0
	v_cmp_eq_u32_e64 s[14:15], 15, v0
	s_movk_i32 s35, 0x70
	v_lshlrev_b32_e32 v26, 2, v7
	v_cmp_eq_u32_e64 s[16:17], 0, v6
	v_lshlrev_b32_e32 v25, 1, v22
	s_and_b64 vcc, exec, s[22:23]
	v_add_u32_e64 v28, 7, 2
	s_waitcnt lgkmcnt(0)
	; wave barrier
	s_waitcnt lgkmcnt(0)
	s_cbranch_vccz .LBB174_30
; %bb.16:
	v_xor_b32_e32 v31, 0x80008000, v27
	v_and_b32_e32 v29, 14, v28
	v_mov_b32_e32 v30, 0
	v_pk_mov_b32 v[6:7], v[2:3], v[2:3] op_sel:[0,1]
	v_pk_mov_b32 v[8:9], v[4:5], v[4:5] op_sel:[0,1]
	s_branch .LBB174_18
.LBB174_17:                             ;   in Loop: Header=BB174_18 Depth=1
	v_lshlrev_b32_e32 v6, 1, v18
	s_waitcnt lgkmcnt(0)
	; wave barrier
	ds_write_b16 v6, v31
	v_lshlrev_b32_e32 v6, 1, v19
	ds_write_b16 v6, v32
	v_lshlrev_b32_e32 v6, 3, v18
	s_waitcnt lgkmcnt(0)
	; wave barrier
	s_waitcnt lgkmcnt(0)
	ds_read_b32 v31, v25
	s_waitcnt lgkmcnt(0)
	; wave barrier
	s_waitcnt lgkmcnt(0)
	ds_write_b64 v6, v[16:17]
	v_lshlrev_b32_e32 v6, 3, v19
	ds_write_b64 v6, v[14:15]
	s_waitcnt lgkmcnt(0)
	; wave barrier
	s_waitcnt lgkmcnt(0)
	ds_read2_b64 v[6:9], v13 offset1:1
	s_add_i32 s34, s34, 4
	s_waitcnt lgkmcnt(0)
	; wave barrier
	s_waitcnt lgkmcnt(0)
	s_cbranch_execz .LBB174_29
.LBB174_18:                             ; =>This Loop Header: Depth=1
                                        ;     Child Loop BB174_21 Depth 2
	v_pk_mov_b32 v[14:15], v[8:9], v[8:9] op_sel:[0,1]
	v_pk_mov_b32 v[16:17], v[6:7], v[6:7] op_sel:[0,1]
	s_and_saveexec_b64 s[22:23], s[4:5]
	s_cbranch_execz .LBB174_25
; %bb.19:                               ;   in Loop: Header=BB174_18 Depth=1
	s_mov_b32 s36, 0
	s_mov_b64 s[24:25], 0
	v_pk_mov_b32 v[6:7], v[0:1], v[0:1] op_sel:[0,1]
	s_branch .LBB174_21
.LBB174_20:                             ;   in Loop: Header=BB174_21 Depth=2
	s_or_b64 exec, exec, s[28:29]
	s_add_i32 s36, s36, 2
	v_cmp_eq_u32_e32 vcc, s36, v29
	v_add_u32_e32 v7, 32, v7
	s_or_b64 s[24:25], vcc, s[24:25]
	v_add_u32_e32 v6, 32, v6
	s_andn2_b64 exec, exec, s[24:25]
	s_cbranch_execz .LBB174_25
.LBB174_21:                             ;   Parent Loop BB174_18 Depth=1
                                        ; =>  This Inner Loop Header: Depth=2
	s_or_b32 s26, s36, 1
	v_cmp_le_u32_e64 s[26:27], s26, 7
	v_cmp_le_u32_e64 s[38:39], s36, 7
	s_and_saveexec_b64 s[28:29], s[38:39]
	s_cbranch_execz .LBB174_23
; %bb.22:                               ;   in Loop: Header=BB174_21 Depth=2
	v_lshlrev_b32_e32 v8, 2, v6
	ds_write_b32 v8, v30
.LBB174_23:                             ;   in Loop: Header=BB174_21 Depth=2
	s_or_b64 exec, exec, s[28:29]
	s_and_saveexec_b64 s[28:29], s[26:27]
	s_cbranch_execz .LBB174_20
; %bb.24:                               ;   in Loop: Header=BB174_21 Depth=2
	v_lshlrev_b32_e32 v8, 2, v7
	ds_write_b32 v8, v30
	s_branch .LBB174_20
.LBB174_25:                             ;   in Loop: Header=BB174_18 Depth=1
	s_or_b64 exec, exec, s[22:23]
	s_sub_i32 s22, 16, s34
	s_min_u32 s22, s33, s22
	s_lshl_b32 s22, -1, s22
	s_not_b32 s22, s22
	v_lshrrev_b32_sdwa v6, s34, v31 dst_sel:DWORD dst_unused:UNUSED_PAD src0_sel:DWORD src1_sel:WORD_0
	v_and_b32_e32 v6, s22, v6
	v_lshrrev_b32_e32 v7, 3, v6
	v_lshlrev_b32_e32 v6, 4, v6
	v_and_or_b32 v6, v6, s35, v0
	v_lshlrev_b32_e32 v6, 1, v6
	v_add_lshl_u32 v34, v6, v7, 1
	ds_read_u16 v33, v34
	v_lshrrev_b32_e32 v32, 16, v31
	v_lshrrev_b32_e32 v6, s34, v32
	v_and_b32_e32 v6, s22, v6
	s_waitcnt lgkmcnt(0)
	v_add_u16_e32 v7, 1, v33
	ds_write_b16 v34, v7
	v_lshrrev_b32_e32 v7, 3, v6
	v_lshlrev_b32_e32 v6, 4, v6
	v_and_or_b32 v6, v6, s35, v0
	v_lshlrev_b32_e32 v6, 1, v6
	v_add_lshl_u32 v36, v6, v7, 1
	ds_read_u16 v35, v36
	s_waitcnt lgkmcnt(0)
	v_add_u16_e32 v6, 1, v35
	ds_write_b16 v36, v6
	s_waitcnt lgkmcnt(0)
	; wave barrier
	s_waitcnt lgkmcnt(0)
	ds_read2_b32 v[20:21], v24 offset1:1
	ds_read2_b32 v[18:19], v24 offset0:2 offset1:3
	ds_read2_b32 v[6:7], v24 offset0:4 offset1:5
	;; [unrolled: 1-line block ×3, first 2 shown]
	s_waitcnt lgkmcnt(3)
	v_add_u32_e32 v37, v21, v20
	s_waitcnt lgkmcnt(2)
	v_add3_u32 v37, v37, v18, v19
	s_waitcnt lgkmcnt(1)
	v_add3_u32 v37, v37, v6, v7
	;; [unrolled: 2-line block ×3, first 2 shown]
	s_nop 1
	v_mov_b32_dpp v37, v9 row_shr:1 row_mask:0xf bank_mask:0xf
	v_cndmask_b32_e64 v37, v37, 0, s[6:7]
	v_add_u32_e32 v9, v37, v9
	s_nop 1
	v_mov_b32_dpp v37, v9 row_shr:2 row_mask:0xf bank_mask:0xf
	v_cndmask_b32_e64 v37, 0, v37, s[8:9]
	v_add_u32_e32 v9, v9, v37
	;; [unrolled: 4-line block ×4, first 2 shown]
	s_and_saveexec_b64 s[22:23], s[14:15]
	s_cbranch_execz .LBB174_27
; %bb.26:                               ;   in Loop: Header=BB174_18 Depth=1
	ds_write_b32 v30, v9 offset:512
.LBB174_27:                             ;   in Loop: Header=BB174_18 Depth=1
	s_or_b64 exec, exec, s[22:23]
	ds_bpermute_b32 v9, v26, v9
	s_waitcnt lgkmcnt(0)
	; wave barrier
	s_waitcnt lgkmcnt(0)
	ds_read_b32 v37, v30 offset:512
	s_cmp_gt_u32 s34, 11
	v_cndmask_b32_e64 v9, v9, 0, s[16:17]
	s_waitcnt lgkmcnt(0)
	v_lshl_add_u32 v9, v37, 16, v9
	v_add_u32_e32 v20, v9, v20
	v_add_u32_e32 v21, v20, v21
	ds_write2_b32 v24, v9, v20 offset1:1
	v_add_u32_e32 v9, v21, v18
	v_add_u32_e32 v18, v9, v19
	;; [unrolled: 1-line block ×5, first 2 shown]
	ds_write2_b32 v24, v21, v9 offset0:2 offset1:3
	ds_write2_b32 v24, v18, v6 offset0:4 offset1:5
	;; [unrolled: 1-line block ×3, first 2 shown]
	s_waitcnt lgkmcnt(0)
	; wave barrier
	s_waitcnt lgkmcnt(0)
	ds_read_u16 v6, v34
	ds_read_u16 v7, v36
	v_mov_b32_e32 v20, v31
	s_waitcnt lgkmcnt(1)
	v_add_u32_sdwa v18, v6, v33 dst_sel:DWORD dst_unused:UNUSED_PAD src0_sel:DWORD src1_sel:WORD_0
	s_waitcnt lgkmcnt(0)
	v_add_u32_sdwa v19, v7, v35 dst_sel:DWORD dst_unused:UNUSED_PAD src0_sel:DWORD src1_sel:WORD_0
	s_cbranch_scc0 .LBB174_17
; %bb.28:
                                        ; implicit-def: $vgpr8_vgpr9
                                        ; implicit-def: $sgpr34
                                        ; implicit-def: $vgpr31
.LBB174_29:
	v_lshlrev_b32_e32 v6, 1, v18
	s_waitcnt lgkmcnt(0)
	; wave barrier
	ds_write_b16 v6, v20
	v_lshlrev_b32_e32 v6, 1, v19
	ds_write_b16 v6, v32
	s_waitcnt lgkmcnt(0)
	; wave barrier
	s_waitcnt lgkmcnt(0)
	v_lshlrev_b32_e32 v6, 3, v18
	v_lshlrev_b32_e32 v7, 3, v19
	ds_read_b32 v18, v25
	s_waitcnt lgkmcnt(0)
	; wave barrier
	s_waitcnt lgkmcnt(0)
	ds_write_b64 v6, v[16:17]
	ds_write_b64 v7, v[14:15]
	s_waitcnt lgkmcnt(0)
	; wave barrier
	s_waitcnt lgkmcnt(0)
	ds_read2_b64 v[6:9], v13 offset1:1
	v_xor_b32_e32 v14, 0x80008000, v18
	s_branch .LBB174_45
.LBB174_30:
                                        ; implicit-def: $vgpr8_vgpr9
                                        ; implicit-def: $vgpr14
	s_cbranch_execz .LBB174_45
; %bb.31:
	v_xor_b32_e32 v20, 0x7fff7fff, v27
	v_and_b32_e32 v18, 14, v28
	s_mov_b32 s35, 0
	v_mov_b32_e32 v19, 0
	s_movk_i32 s34, 0x70
	s_branch .LBB174_33
.LBB174_32:                             ;   in Loop: Header=BB174_33 Depth=1
	v_lshlrev_b32_e32 v2, 1, v14
	s_waitcnt lgkmcnt(0)
	; wave barrier
	ds_write_b16 v2, v20
	v_lshlrev_b32_e32 v2, 1, v15
	ds_write_b16 v2, v21
	v_lshlrev_b32_e32 v2, 3, v14
	s_waitcnt lgkmcnt(0)
	; wave barrier
	s_waitcnt lgkmcnt(0)
	ds_read_b32 v20, v25
	s_waitcnt lgkmcnt(0)
	; wave barrier
	s_waitcnt lgkmcnt(0)
	ds_write_b64 v2, v[8:9]
	v_lshlrev_b32_e32 v2, 3, v15
	ds_write_b64 v2, v[6:7]
	s_waitcnt lgkmcnt(0)
	; wave barrier
	s_waitcnt lgkmcnt(0)
	ds_read2_b64 v[2:5], v13 offset1:1
	s_add_i32 s35, s35, 4
	s_waitcnt lgkmcnt(0)
	; wave barrier
	s_waitcnt lgkmcnt(0)
	s_cbranch_execz .LBB174_44
.LBB174_33:                             ; =>This Loop Header: Depth=1
                                        ;     Child Loop BB174_36 Depth 2
	s_waitcnt lgkmcnt(0)
	v_pk_mov_b32 v[6:7], v[4:5], v[4:5] op_sel:[0,1]
	v_pk_mov_b32 v[8:9], v[2:3], v[2:3] op_sel:[0,1]
	s_and_saveexec_b64 s[22:23], s[4:5]
	s_cbranch_execz .LBB174_40
; %bb.34:                               ;   in Loop: Header=BB174_33 Depth=1
	s_mov_b32 s36, 0
	s_mov_b64 s[24:25], 0
	v_pk_mov_b32 v[2:3], v[0:1], v[0:1] op_sel:[0,1]
	s_branch .LBB174_36
.LBB174_35:                             ;   in Loop: Header=BB174_36 Depth=2
	s_or_b64 exec, exec, s[28:29]
	s_add_i32 s36, s36, 2
	v_cmp_eq_u32_e32 vcc, s36, v18
	v_add_u32_e32 v3, 32, v3
	s_or_b64 s[24:25], vcc, s[24:25]
	v_add_u32_e32 v2, 32, v2
	s_andn2_b64 exec, exec, s[24:25]
	s_cbranch_execz .LBB174_40
.LBB174_36:                             ;   Parent Loop BB174_33 Depth=1
                                        ; =>  This Inner Loop Header: Depth=2
	s_or_b32 s26, s36, 1
	v_cmp_le_u32_e64 s[26:27], s26, 7
	v_cmp_le_u32_e64 s[38:39], s36, 7
	s_and_saveexec_b64 s[28:29], s[38:39]
	s_cbranch_execz .LBB174_38
; %bb.37:                               ;   in Loop: Header=BB174_36 Depth=2
	v_lshlrev_b32_e32 v4, 2, v2
	ds_write_b32 v4, v19
.LBB174_38:                             ;   in Loop: Header=BB174_36 Depth=2
	s_or_b64 exec, exec, s[28:29]
	s_and_saveexec_b64 s[28:29], s[26:27]
	s_cbranch_execz .LBB174_35
; %bb.39:                               ;   in Loop: Header=BB174_36 Depth=2
	v_lshlrev_b32_e32 v4, 2, v3
	ds_write_b32 v4, v19
	s_branch .LBB174_35
.LBB174_40:                             ;   in Loop: Header=BB174_33 Depth=1
	s_or_b64 exec, exec, s[22:23]
	s_sub_i32 s22, 16, s35
	s_min_u32 s22, s33, s22
	s_lshl_b32 s22, -1, s22
	s_not_b32 s22, s22
	v_lshrrev_b32_sdwa v2, s35, v20 dst_sel:DWORD dst_unused:UNUSED_PAD src0_sel:DWORD src1_sel:WORD_0
	v_and_b32_e32 v2, s22, v2
	v_lshrrev_b32_e32 v3, 3, v2
	v_lshlrev_b32_e32 v2, 4, v2
	v_and_or_b32 v2, v2, s34, v0
	v_lshlrev_b32_e32 v2, 1, v2
	v_add_lshl_u32 v28, v2, v3, 1
	ds_read_u16 v27, v28
	v_lshrrev_b32_e32 v21, 16, v20
	v_lshrrev_b32_e32 v2, s35, v21
	v_and_b32_e32 v2, s22, v2
	s_waitcnt lgkmcnt(0)
	v_add_u16_e32 v3, 1, v27
	ds_write_b16 v28, v3
	v_lshrrev_b32_e32 v3, 3, v2
	v_lshlrev_b32_e32 v2, 4, v2
	v_and_or_b32 v2, v2, s34, v0
	v_lshlrev_b32_e32 v2, 1, v2
	v_add_lshl_u32 v30, v2, v3, 1
	ds_read_u16 v29, v30
	s_waitcnt lgkmcnt(0)
	v_add_u16_e32 v2, 1, v29
	ds_write_b16 v30, v2
	s_waitcnt lgkmcnt(0)
	; wave barrier
	s_waitcnt lgkmcnt(0)
	ds_read2_b32 v[16:17], v24 offset1:1
	ds_read2_b32 v[14:15], v24 offset0:2 offset1:3
	ds_read2_b32 v[2:3], v24 offset0:4 offset1:5
	;; [unrolled: 1-line block ×3, first 2 shown]
	s_waitcnt lgkmcnt(3)
	v_add_u32_e32 v31, v17, v16
	s_waitcnt lgkmcnt(2)
	v_add3_u32 v31, v31, v14, v15
	s_waitcnt lgkmcnt(1)
	v_add3_u32 v31, v31, v2, v3
	;; [unrolled: 2-line block ×3, first 2 shown]
	s_nop 1
	v_mov_b32_dpp v31, v5 row_shr:1 row_mask:0xf bank_mask:0xf
	v_cndmask_b32_e64 v31, v31, 0, s[6:7]
	v_add_u32_e32 v5, v31, v5
	s_nop 1
	v_mov_b32_dpp v31, v5 row_shr:2 row_mask:0xf bank_mask:0xf
	v_cndmask_b32_e64 v31, 0, v31, s[8:9]
	v_add_u32_e32 v5, v5, v31
	s_nop 1
	v_mov_b32_dpp v31, v5 row_shr:4 row_mask:0xf bank_mask:0xf
	v_cndmask_b32_e64 v31, 0, v31, s[10:11]
	v_add_u32_e32 v5, v5, v31
	s_nop 1
	v_mov_b32_dpp v31, v5 row_shr:8 row_mask:0xf bank_mask:0xf
	v_cndmask_b32_e64 v31, 0, v31, s[12:13]
	v_add_u32_e32 v5, v5, v31
	s_and_saveexec_b64 s[22:23], s[14:15]
	s_cbranch_execz .LBB174_42
; %bb.41:                               ;   in Loop: Header=BB174_33 Depth=1
	ds_write_b32 v19, v5 offset:512
.LBB174_42:                             ;   in Loop: Header=BB174_33 Depth=1
	s_or_b64 exec, exec, s[22:23]
	ds_bpermute_b32 v5, v26, v5
	s_waitcnt lgkmcnt(0)
	; wave barrier
	s_waitcnt lgkmcnt(0)
	ds_read_b32 v31, v19 offset:512
	s_cmp_gt_u32 s35, 11
	v_cndmask_b32_e64 v5, v5, 0, s[16:17]
	s_waitcnt lgkmcnt(0)
	v_lshl_add_u32 v5, v31, 16, v5
	v_add_u32_e32 v16, v5, v16
	v_add_u32_e32 v17, v16, v17
	ds_write2_b32 v24, v5, v16 offset1:1
	v_add_u32_e32 v5, v17, v14
	v_add_u32_e32 v14, v5, v15
	v_add_u32_e32 v2, v14, v2
	v_add_u32_e32 v3, v2, v3
	v_add_u32_e32 v4, v3, v4
	ds_write2_b32 v24, v17, v5 offset0:2 offset1:3
	ds_write2_b32 v24, v14, v2 offset0:4 offset1:5
	;; [unrolled: 1-line block ×3, first 2 shown]
	s_waitcnt lgkmcnt(0)
	; wave barrier
	s_waitcnt lgkmcnt(0)
	ds_read_u16 v2, v28
	ds_read_u16 v3, v30
	v_mov_b32_e32 v16, v20
	s_waitcnt lgkmcnt(1)
	v_add_u32_sdwa v14, v2, v27 dst_sel:DWORD dst_unused:UNUSED_PAD src0_sel:DWORD src1_sel:WORD_0
	s_waitcnt lgkmcnt(0)
	v_add_u32_sdwa v15, v3, v29 dst_sel:DWORD dst_unused:UNUSED_PAD src0_sel:DWORD src1_sel:WORD_0
	s_cbranch_scc0 .LBB174_32
; %bb.43:
                                        ; implicit-def: $vgpr4_vgpr5
                                        ; implicit-def: $sgpr35
                                        ; implicit-def: $vgpr20
.LBB174_44:
	v_lshlrev_b32_e32 v0, 1, v14
	s_waitcnt lgkmcnt(0)
	; wave barrier
	ds_write_b16 v0, v16
	v_lshlrev_b32_e32 v0, 1, v15
	ds_write_b16 v0, v21
	s_waitcnt lgkmcnt(0)
	; wave barrier
	s_waitcnt lgkmcnt(0)
	v_lshlrev_b32_e32 v0, 3, v14
	ds_read_b32 v2, v25
	v_lshlrev_b32_e32 v1, 3, v15
	s_waitcnt lgkmcnt(0)
	; wave barrier
	s_waitcnt lgkmcnt(0)
	ds_write_b64 v0, v[8:9]
	ds_write_b64 v1, v[6:7]
	s_waitcnt lgkmcnt(0)
	; wave barrier
	s_waitcnt lgkmcnt(0)
	ds_read2_b64 v[6:9], v13 offset1:1
	v_xor_b32_e32 v14, 0x7fff7fff, v2
.LBB174_45:
	s_waitcnt lgkmcnt(0)
	; wave barrier
	s_waitcnt lgkmcnt(0)
	ds_write_b32 v11, v14
	s_waitcnt lgkmcnt(0)
	; wave barrier
	s_waitcnt lgkmcnt(0)
	ds_read_u16 v2, v22 offset:32
	v_mov_b32_e32 v11, 0
	v_lshlrev_b64 v[0:1], 1, v[10:11]
	v_mov_b32_e32 v3, s21
	v_add_co_u32_e32 v0, vcc, s19, v0
	v_addc_co_u32_e32 v1, vcc, v3, v1, vcc
	s_and_saveexec_b64 s[4:5], s[0:1]
	s_cbranch_execz .LBB174_47
; %bb.46:
	ds_read_u16 v3, v22
	s_waitcnt lgkmcnt(0)
	global_store_short v[0:1], v3, off
.LBB174_47:
	s_or_b64 exec, exec, s[4:5]
	s_and_saveexec_b64 s[4:5], s[2:3]
	s_cbranch_execz .LBB174_49
; %bb.48:
	s_lshl_b32 s6, s18, 4
	s_mov_b32 s7, 0
	s_lshl_b64 s[6:7], s[6:7], 1
	v_mov_b32_e32 v3, s7
	v_add_co_u32_e32 v0, vcc, s6, v0
	v_addc_co_u32_e32 v1, vcc, v1, v3, vcc
	s_waitcnt lgkmcnt(0)
	global_store_short v[0:1], v2, off
.LBB174_49:
	s_or_b64 exec, exec, s[4:5]
	s_waitcnt lgkmcnt(0)
	; wave barrier
	s_waitcnt lgkmcnt(0)
	ds_write2_b64 v13, v[6:7], v[8:9] offset1:1
	s_waitcnt lgkmcnt(0)
	; wave barrier
	s_waitcnt lgkmcnt(0)
	ds_read_b64 v[0:1], v23 offset:128
	v_mov_b32_e32 v13, 0
	v_lshlrev_b64 v[2:3], 3, v[12:13]
	v_mov_b32_e32 v4, s31
	v_add_co_u32_e32 v2, vcc, s30, v2
	v_addc_co_u32_e32 v3, vcc, v4, v3, vcc
	s_and_saveexec_b64 s[4:5], s[0:1]
	s_cbranch_execz .LBB174_51
; %bb.50:
	ds_read_b64 v[4:5], v23
	s_waitcnt lgkmcnt(0)
	global_store_dwordx2 v[2:3], v[4:5], off
.LBB174_51:
	s_or_b64 exec, exec, s[4:5]
	s_and_saveexec_b64 s[0:1], s[2:3]
	s_cbranch_execz .LBB174_53
; %bb.52:
	s_lshl_b32 s0, s20, 4
	s_mov_b32 s1, 0
	s_lshl_b64 s[0:1], s[0:1], 3
	v_mov_b32_e32 v4, s1
	v_add_co_u32_e32 v2, vcc, s0, v2
	v_addc_co_u32_e32 v3, vcc, v3, v4, vcc
	s_waitcnt lgkmcnt(0)
	global_store_dwordx2 v[2:3], v[0:1], off
.LBB174_53:
	s_endpgm
	.section	.rodata,"a",@progbits
	.p2align	6, 0x0
	.amdhsa_kernel _ZN2at6native18radixSortKVInPlaceILin1ELin1ELi16ELi2EsljEEvNS_4cuda6detail10TensorInfoIT3_T5_EES6_S6_S6_NS4_IT4_S6_EES6_b
		.amdhsa_group_segment_fixed_size 528
		.amdhsa_private_segment_fixed_size 0
		.amdhsa_kernarg_size 712
		.amdhsa_user_sgpr_count 6
		.amdhsa_user_sgpr_private_segment_buffer 1
		.amdhsa_user_sgpr_dispatch_ptr 0
		.amdhsa_user_sgpr_queue_ptr 0
		.amdhsa_user_sgpr_kernarg_segment_ptr 1
		.amdhsa_user_sgpr_dispatch_id 0
		.amdhsa_user_sgpr_flat_scratch_init 0
		.amdhsa_user_sgpr_kernarg_preload_length 0
		.amdhsa_user_sgpr_kernarg_preload_offset 0
		.amdhsa_user_sgpr_private_segment_size 0
		.amdhsa_uses_dynamic_stack 0
		.amdhsa_system_sgpr_private_segment_wavefront_offset 0
		.amdhsa_system_sgpr_workgroup_id_x 1
		.amdhsa_system_sgpr_workgroup_id_y 1
		.amdhsa_system_sgpr_workgroup_id_z 1
		.amdhsa_system_sgpr_workgroup_info 0
		.amdhsa_system_vgpr_workitem_id 0
		.amdhsa_next_free_vgpr 38
		.amdhsa_next_free_sgpr 40
		.amdhsa_accum_offset 40
		.amdhsa_reserve_vcc 1
		.amdhsa_reserve_flat_scratch 0
		.amdhsa_float_round_mode_32 0
		.amdhsa_float_round_mode_16_64 0
		.amdhsa_float_denorm_mode_32 3
		.amdhsa_float_denorm_mode_16_64 3
		.amdhsa_dx10_clamp 1
		.amdhsa_ieee_mode 1
		.amdhsa_fp16_overflow 0
		.amdhsa_tg_split 0
		.amdhsa_exception_fp_ieee_invalid_op 0
		.amdhsa_exception_fp_denorm_src 0
		.amdhsa_exception_fp_ieee_div_zero 0
		.amdhsa_exception_fp_ieee_overflow 0
		.amdhsa_exception_fp_ieee_underflow 0
		.amdhsa_exception_fp_ieee_inexact 0
		.amdhsa_exception_int_div_zero 0
	.end_amdhsa_kernel
	.section	.text._ZN2at6native18radixSortKVInPlaceILin1ELin1ELi16ELi2EsljEEvNS_4cuda6detail10TensorInfoIT3_T5_EES6_S6_S6_NS4_IT4_S6_EES6_b,"axG",@progbits,_ZN2at6native18radixSortKVInPlaceILin1ELin1ELi16ELi2EsljEEvNS_4cuda6detail10TensorInfoIT3_T5_EES6_S6_S6_NS4_IT4_S6_EES6_b,comdat
.Lfunc_end174:
	.size	_ZN2at6native18radixSortKVInPlaceILin1ELin1ELi16ELi2EsljEEvNS_4cuda6detail10TensorInfoIT3_T5_EES6_S6_S6_NS4_IT4_S6_EES6_b, .Lfunc_end174-_ZN2at6native18radixSortKVInPlaceILin1ELin1ELi16ELi2EsljEEvNS_4cuda6detail10TensorInfoIT3_T5_EES6_S6_S6_NS4_IT4_S6_EES6_b
                                        ; -- End function
	.section	.AMDGPU.csdata,"",@progbits
; Kernel info:
; codeLenInByte = 3240
; NumSgprs: 44
; NumVgprs: 38
; NumAgprs: 0
; TotalNumVgprs: 38
; ScratchSize: 0
; MemoryBound: 0
; FloatMode: 240
; IeeeMode: 1
; LDSByteSize: 528 bytes/workgroup (compile time only)
; SGPRBlocks: 5
; VGPRBlocks: 4
; NumSGPRsForWavesPerEU: 44
; NumVGPRsForWavesPerEU: 38
; AccumOffset: 40
; Occupancy: 8
; WaveLimiterHint : 1
; COMPUTE_PGM_RSRC2:SCRATCH_EN: 0
; COMPUTE_PGM_RSRC2:USER_SGPR: 6
; COMPUTE_PGM_RSRC2:TRAP_HANDLER: 0
; COMPUTE_PGM_RSRC2:TGID_X_EN: 1
; COMPUTE_PGM_RSRC2:TGID_Y_EN: 1
; COMPUTE_PGM_RSRC2:TGID_Z_EN: 1
; COMPUTE_PGM_RSRC2:TIDIG_COMP_CNT: 0
; COMPUTE_PGM_RSRC3_GFX90A:ACCUM_OFFSET: 9
; COMPUTE_PGM_RSRC3_GFX90A:TG_SPLIT: 0
	.section	.text._ZN2at6native18radixSortKVInPlaceILin1ELin1ELi512ELi8EslmEEvNS_4cuda6detail10TensorInfoIT3_T5_EES6_S6_S6_NS4_IT4_S6_EES6_b,"axG",@progbits,_ZN2at6native18radixSortKVInPlaceILin1ELin1ELi512ELi8EslmEEvNS_4cuda6detail10TensorInfoIT3_T5_EES6_S6_S6_NS4_IT4_S6_EES6_b,comdat
	.protected	_ZN2at6native18radixSortKVInPlaceILin1ELin1ELi512ELi8EslmEEvNS_4cuda6detail10TensorInfoIT3_T5_EES6_S6_S6_NS4_IT4_S6_EES6_b ; -- Begin function _ZN2at6native18radixSortKVInPlaceILin1ELin1ELi512ELi8EslmEEvNS_4cuda6detail10TensorInfoIT3_T5_EES6_S6_S6_NS4_IT4_S6_EES6_b
	.globl	_ZN2at6native18radixSortKVInPlaceILin1ELin1ELi512ELi8EslmEEvNS_4cuda6detail10TensorInfoIT3_T5_EES6_S6_S6_NS4_IT4_S6_EES6_b
	.p2align	8
	.type	_ZN2at6native18radixSortKVInPlaceILin1ELin1ELi512ELi8EslmEEvNS_4cuda6detail10TensorInfoIT3_T5_EES6_S6_S6_NS4_IT4_S6_EES6_b,@function
_ZN2at6native18radixSortKVInPlaceILin1ELin1ELi512ELi8EslmEEvNS_4cuda6detail10TensorInfoIT3_T5_EES6_S6_S6_NS4_IT4_S6_EES6_b: ; @_ZN2at6native18radixSortKVInPlaceILin1ELin1ELi512ELi8EslmEEvNS_4cuda6detail10TensorInfoIT3_T5_EES6_S6_S6_NS4_IT4_S6_EES6_b
; %bb.0:
	s_load_dwordx4 s[12:15], s[4:5], 0x1a0
	s_load_dwordx2 s[0:1], s[4:5], 0x368
	s_add_u32 s52, s4, 0x368
	s_addc_u32 s53, s5, 0
	s_waitcnt lgkmcnt(0)
	v_mov_b32_e32 v2, s12
	s_mul_i32 s1, s1, s8
	s_add_i32 s1, s1, s7
	s_mul_i32 s0, s1, s0
	v_mov_b32_e32 v3, s13
	s_add_i32 s6, s0, s6
	s_mov_b32 s7, 0
	v_cmp_ge_u64_e32 vcc, s[6:7], v[2:3]
	s_cbranch_vccnz .LBB175_160
; %bb.1:
	s_load_dword s0, s[4:5], 0x198
	s_load_dwordx2 s[48:49], s[4:5], 0x1b0
	s_mov_b64 s[2:3], 0
	s_mov_b64 s[8:9], s[6:7]
	s_waitcnt lgkmcnt(0)
	s_cmp_lt_i32 s0, 2
	s_cbranch_scc1 .LBB175_9
; %bb.2:
	s_mov_b32 s10, 0
	s_add_i32 s15, s0, 1
	s_add_i32 s0, s0, -1
	s_mov_b32 s1, s10
	s_lshl_b64 s[0:1], s[0:1], 3
	s_add_u32 s0, s0, s4
	s_addc_u32 s1, s1, s5
	s_add_u32 s12, s0, 8
	s_addc_u32 s13, s1, 0
	s_mov_b64 s[16:17], s[6:7]
.LBB175_3:                              ; =>This Inner Loop Header: Depth=1
	s_load_dwordx2 s[18:19], s[12:13], 0x0
	s_waitcnt lgkmcnt(0)
	s_or_b64 s[0:1], s[16:17], s[18:19]
	s_mov_b32 s11, s1
	s_cmp_lg_u64 s[10:11], 0
	s_cbranch_scc0 .LBB175_8
; %bb.4:                                ;   in Loop: Header=BB175_3 Depth=1
	v_cvt_f32_u32_e32 v1, s18
	v_cvt_f32_u32_e32 v2, s19
	s_sub_u32 s0, 0, s18
	s_subb_u32 s1, 0, s19
	v_mac_f32_e32 v1, 0x4f800000, v2
	v_rcp_f32_e32 v1, v1
	v_mul_f32_e32 v1, 0x5f7ffffc, v1
	v_mul_f32_e32 v2, 0x2f800000, v1
	v_trunc_f32_e32 v2, v2
	v_mac_f32_e32 v1, 0xcf800000, v2
	v_cvt_u32_f32_e32 v2, v2
	v_cvt_u32_f32_e32 v1, v1
	v_readfirstlane_b32 s8, v2
	v_readfirstlane_b32 s9, v1
	s_mul_i32 s11, s0, s8
	s_mul_hi_u32 s21, s0, s9
	s_mul_i32 s20, s1, s9
	s_add_i32 s11, s21, s11
	s_mul_i32 s22, s0, s9
	s_add_i32 s11, s11, s20
	s_mul_hi_u32 s20, s9, s11
	s_mul_i32 s21, s9, s11
	s_mul_hi_u32 s9, s9, s22
	s_add_u32 s9, s9, s21
	s_addc_u32 s20, 0, s20
	s_mul_hi_u32 s23, s8, s22
	s_mul_i32 s22, s8, s22
	s_add_u32 s9, s9, s22
	s_mul_hi_u32 s21, s8, s11
	s_addc_u32 s9, s20, s23
	s_addc_u32 s20, s21, 0
	s_mul_i32 s11, s8, s11
	s_add_u32 s9, s9, s11
	s_addc_u32 s11, 0, s20
	v_add_co_u32_e32 v1, vcc, s9, v1
	s_cmp_lg_u64 vcc, 0
	s_addc_u32 s8, s8, s11
	v_readfirstlane_b32 s11, v1
	s_mul_i32 s9, s0, s8
	s_mul_hi_u32 s20, s0, s11
	s_add_i32 s9, s20, s9
	s_mul_i32 s1, s1, s11
	s_add_i32 s9, s9, s1
	s_mul_i32 s0, s0, s11
	s_mul_hi_u32 s20, s8, s0
	s_mul_i32 s21, s8, s0
	s_mul_i32 s23, s11, s9
	s_mul_hi_u32 s0, s11, s0
	s_mul_hi_u32 s22, s11, s9
	s_add_u32 s0, s0, s23
	s_addc_u32 s11, 0, s22
	s_add_u32 s0, s0, s21
	s_mul_hi_u32 s1, s8, s9
	s_addc_u32 s0, s11, s20
	s_addc_u32 s1, s1, 0
	s_mul_i32 s9, s8, s9
	s_add_u32 s0, s0, s9
	s_addc_u32 s1, 0, s1
	v_add_co_u32_e32 v1, vcc, s0, v1
	s_cmp_lg_u64 vcc, 0
	s_addc_u32 s0, s8, s1
	v_readfirstlane_b32 s9, v1
	s_mul_i32 s8, s16, s0
	s_mul_hi_u32 s11, s16, s9
	s_mul_hi_u32 s1, s16, s0
	s_add_u32 s8, s11, s8
	s_addc_u32 s1, 0, s1
	s_mul_hi_u32 s20, s17, s9
	s_mul_i32 s9, s17, s9
	s_add_u32 s8, s8, s9
	s_mul_hi_u32 s11, s17, s0
	s_addc_u32 s1, s1, s20
	s_addc_u32 s8, s11, 0
	s_mul_i32 s0, s17, s0
	s_add_u32 s11, s1, s0
	s_addc_u32 s8, 0, s8
	s_mul_i32 s0, s18, s8
	s_mul_hi_u32 s1, s18, s11
	s_add_i32 s0, s1, s0
	s_mul_i32 s1, s19, s11
	s_add_i32 s9, s0, s1
	s_mul_i32 s1, s18, s11
	v_mov_b32_e32 v1, s1
	s_sub_i32 s0, s17, s9
	v_sub_co_u32_e32 v1, vcc, s16, v1
	s_cmp_lg_u64 vcc, 0
	s_subb_u32 s20, s0, s19
	v_subrev_co_u32_e64 v2, s[0:1], s18, v1
	s_cmp_lg_u64 s[0:1], 0
	s_subb_u32 s0, s20, 0
	s_cmp_ge_u32 s0, s19
	v_readfirstlane_b32 s20, v2
	s_cselect_b32 s1, -1, 0
	s_cmp_ge_u32 s20, s18
	s_cselect_b32 s20, -1, 0
	s_cmp_eq_u32 s0, s19
	s_cselect_b32 s0, s20, s1
	s_add_u32 s1, s11, 1
	s_addc_u32 s20, s8, 0
	s_add_u32 s21, s11, 2
	s_addc_u32 s22, s8, 0
	s_cmp_lg_u32 s0, 0
	s_cselect_b32 s0, s21, s1
	s_cselect_b32 s1, s22, s20
	s_cmp_lg_u64 vcc, 0
	s_subb_u32 s9, s17, s9
	s_cmp_ge_u32 s9, s19
	v_readfirstlane_b32 s21, v1
	s_cselect_b32 s20, -1, 0
	s_cmp_ge_u32 s21, s18
	s_cselect_b32 s21, -1, 0
	s_cmp_eq_u32 s9, s19
	s_cselect_b32 s9, s21, s20
	s_cmp_lg_u32 s9, 0
	s_cselect_b32 s9, s1, s8
	s_cselect_b32 s8, s0, s11
	s_cbranch_execnz .LBB175_6
.LBB175_5:                              ;   in Loop: Header=BB175_3 Depth=1
	v_cvt_f32_u32_e32 v1, s18
	s_sub_i32 s0, 0, s18
	v_rcp_iflag_f32_e32 v1, v1
	v_mul_f32_e32 v1, 0x4f7ffffe, v1
	v_cvt_u32_f32_e32 v1, v1
	v_readfirstlane_b32 s1, v1
	s_mul_i32 s0, s0, s1
	s_mul_hi_u32 s0, s1, s0
	s_add_i32 s1, s1, s0
	s_mul_hi_u32 s0, s16, s1
	s_mul_i32 s8, s0, s18
	s_sub_i32 s8, s16, s8
	s_add_i32 s1, s0, 1
	s_sub_i32 s9, s8, s18
	s_cmp_ge_u32 s8, s18
	s_cselect_b32 s0, s1, s0
	s_cselect_b32 s8, s9, s8
	s_add_i32 s1, s0, 1
	s_cmp_ge_u32 s8, s18
	s_cselect_b32 s8, s1, s0
	s_mov_b32 s9, s10
.LBB175_6:                              ;   in Loop: Header=BB175_3 Depth=1
	s_mul_i32 s0, s8, s19
	s_mul_hi_u32 s1, s8, s18
	s_add_i32 s11, s1, s0
	s_load_dwordx2 s[0:1], s[12:13], 0xc8
	s_mul_i32 s19, s9, s18
	s_add_i32 s11, s11, s19
	s_mul_i32 s18, s8, s18
	s_sub_u32 s16, s16, s18
	s_subb_u32 s11, s17, s11
	s_waitcnt lgkmcnt(0)
	s_mul_i32 s11, s0, s11
	s_mul_hi_u32 s17, s0, s16
	s_add_i32 s11, s17, s11
	s_mul_i32 s1, s1, s16
	s_add_i32 s11, s11, s1
	s_mul_i32 s0, s0, s16
	s_add_u32 s2, s0, s2
	s_addc_u32 s3, s11, s3
	s_add_i32 s15, s15, -1
	s_add_u32 s12, s12, -8
	s_addc_u32 s13, s13, -1
	s_cmp_gt_u32 s15, 2
	s_cbranch_scc0 .LBB175_9
; %bb.7:                                ;   in Loop: Header=BB175_3 Depth=1
	s_mov_b64 s[16:17], s[8:9]
	s_branch .LBB175_3
.LBB175_8:                              ;   in Loop: Header=BB175_3 Depth=1
                                        ; implicit-def: $sgpr8_sgpr9
	s_branch .LBB175_5
.LBB175_9:
	s_load_dword s0, s[4:5], 0x350
	s_load_dwordx2 s[10:11], s[4:5], 0xd0
	s_mov_b64 s[16:17], 0
	s_waitcnt lgkmcnt(0)
	s_cmp_lt_i32 s0, 2
	s_cbranch_scc1 .LBB175_17
; %bb.10:
	s_mov_b32 s12, 0
	s_add_i32 s15, s0, 1
	s_add_i32 s0, s0, -1
	s_mov_b32 s1, s12
	s_lshl_b64 s[0:1], s[0:1], 3
	s_add_u32 s0, s0, s4
	s_addc_u32 s1, s1, s5
	s_add_u32 s20, s0, 0x1c0
	s_addc_u32 s21, s1, 0
.LBB175_11:                             ; =>This Inner Loop Header: Depth=1
	s_load_dwordx2 s[22:23], s[20:21], 0x0
	s_waitcnt lgkmcnt(0)
	s_or_b64 s[0:1], s[6:7], s[22:23]
	s_mov_b32 s13, s1
	s_cmp_lg_u64 s[12:13], 0
	s_cbranch_scc0 .LBB175_16
; %bb.12:                               ;   in Loop: Header=BB175_11 Depth=1
	v_cvt_f32_u32_e32 v1, s22
	v_cvt_f32_u32_e32 v2, s23
	s_sub_u32 s0, 0, s22
	s_subb_u32 s1, 0, s23
	v_mac_f32_e32 v1, 0x4f800000, v2
	v_rcp_f32_e32 v1, v1
	v_mul_f32_e32 v1, 0x5f7ffffc, v1
	v_mul_f32_e32 v2, 0x2f800000, v1
	v_trunc_f32_e32 v2, v2
	v_mac_f32_e32 v1, 0xcf800000, v2
	v_cvt_u32_f32_e32 v2, v2
	v_cvt_u32_f32_e32 v1, v1
	v_readfirstlane_b32 s13, v2
	v_readfirstlane_b32 s18, v1
	s_mul_i32 s19, s0, s13
	s_mul_hi_u32 s25, s0, s18
	s_mul_i32 s24, s1, s18
	s_add_i32 s19, s25, s19
	s_mul_i32 s26, s0, s18
	s_add_i32 s19, s19, s24
	s_mul_hi_u32 s24, s18, s19
	s_mul_i32 s25, s18, s19
	s_mul_hi_u32 s18, s18, s26
	s_add_u32 s18, s18, s25
	s_addc_u32 s24, 0, s24
	s_mul_hi_u32 s27, s13, s26
	s_mul_i32 s26, s13, s26
	s_add_u32 s18, s18, s26
	s_mul_hi_u32 s25, s13, s19
	s_addc_u32 s18, s24, s27
	s_addc_u32 s24, s25, 0
	s_mul_i32 s19, s13, s19
	s_add_u32 s18, s18, s19
	s_addc_u32 s19, 0, s24
	v_add_co_u32_e32 v1, vcc, s18, v1
	s_cmp_lg_u64 vcc, 0
	s_addc_u32 s13, s13, s19
	v_readfirstlane_b32 s19, v1
	s_mul_i32 s18, s0, s13
	s_mul_hi_u32 s24, s0, s19
	s_add_i32 s18, s24, s18
	s_mul_i32 s1, s1, s19
	s_add_i32 s18, s18, s1
	s_mul_i32 s0, s0, s19
	s_mul_hi_u32 s24, s13, s0
	s_mul_i32 s25, s13, s0
	s_mul_i32 s27, s19, s18
	s_mul_hi_u32 s0, s19, s0
	s_mul_hi_u32 s26, s19, s18
	s_add_u32 s0, s0, s27
	s_addc_u32 s19, 0, s26
	s_add_u32 s0, s0, s25
	s_mul_hi_u32 s1, s13, s18
	s_addc_u32 s0, s19, s24
	s_addc_u32 s1, s1, 0
	s_mul_i32 s18, s13, s18
	s_add_u32 s0, s0, s18
	s_addc_u32 s1, 0, s1
	v_add_co_u32_e32 v1, vcc, s0, v1
	s_cmp_lg_u64 vcc, 0
	s_addc_u32 s0, s13, s1
	v_readfirstlane_b32 s18, v1
	s_mul_i32 s13, s6, s0
	s_mul_hi_u32 s19, s6, s18
	s_mul_hi_u32 s1, s6, s0
	s_add_u32 s13, s19, s13
	s_addc_u32 s1, 0, s1
	s_mul_hi_u32 s24, s7, s18
	s_mul_i32 s18, s7, s18
	s_add_u32 s13, s13, s18
	s_mul_hi_u32 s19, s7, s0
	s_addc_u32 s1, s1, s24
	s_addc_u32 s13, s19, 0
	s_mul_i32 s0, s7, s0
	s_add_u32 s18, s1, s0
	s_addc_u32 s13, 0, s13
	s_mul_i32 s0, s22, s13
	s_mul_hi_u32 s1, s22, s18
	s_add_i32 s0, s1, s0
	s_mul_i32 s1, s23, s18
	s_add_i32 s19, s0, s1
	s_mul_i32 s1, s22, s18
	v_mov_b32_e32 v1, s1
	s_sub_i32 s0, s7, s19
	v_sub_co_u32_e32 v1, vcc, s6, v1
	s_cmp_lg_u64 vcc, 0
	s_subb_u32 s24, s0, s23
	v_subrev_co_u32_e64 v2, s[0:1], s22, v1
	s_cmp_lg_u64 s[0:1], 0
	s_subb_u32 s0, s24, 0
	s_cmp_ge_u32 s0, s23
	v_readfirstlane_b32 s24, v2
	s_cselect_b32 s1, -1, 0
	s_cmp_ge_u32 s24, s22
	s_cselect_b32 s24, -1, 0
	s_cmp_eq_u32 s0, s23
	s_cselect_b32 s0, s24, s1
	s_add_u32 s1, s18, 1
	s_addc_u32 s24, s13, 0
	s_add_u32 s25, s18, 2
	s_addc_u32 s26, s13, 0
	s_cmp_lg_u32 s0, 0
	s_cselect_b32 s0, s25, s1
	s_cselect_b32 s1, s26, s24
	s_cmp_lg_u64 vcc, 0
	s_subb_u32 s19, s7, s19
	s_cmp_ge_u32 s19, s23
	v_readfirstlane_b32 s25, v1
	s_cselect_b32 s24, -1, 0
	s_cmp_ge_u32 s25, s22
	s_cselect_b32 s25, -1, 0
	s_cmp_eq_u32 s19, s23
	s_cselect_b32 s19, s25, s24
	s_cmp_lg_u32 s19, 0
	s_cselect_b32 s19, s1, s13
	s_cselect_b32 s18, s0, s18
	s_cbranch_execnz .LBB175_14
.LBB175_13:                             ;   in Loop: Header=BB175_11 Depth=1
	v_cvt_f32_u32_e32 v1, s22
	s_sub_i32 s0, 0, s22
	s_mov_b32 s19, s12
	v_rcp_iflag_f32_e32 v1, v1
	v_mul_f32_e32 v1, 0x4f7ffffe, v1
	v_cvt_u32_f32_e32 v1, v1
	v_readfirstlane_b32 s1, v1
	s_mul_i32 s0, s0, s1
	s_mul_hi_u32 s0, s1, s0
	s_add_i32 s1, s1, s0
	s_mul_hi_u32 s0, s6, s1
	s_mul_i32 s13, s0, s22
	s_sub_i32 s13, s6, s13
	s_add_i32 s1, s0, 1
	s_sub_i32 s18, s13, s22
	s_cmp_ge_u32 s13, s22
	s_cselect_b32 s0, s1, s0
	s_cselect_b32 s13, s18, s13
	s_add_i32 s1, s0, 1
	s_cmp_ge_u32 s13, s22
	s_cselect_b32 s18, s1, s0
.LBB175_14:                             ;   in Loop: Header=BB175_11 Depth=1
	s_mul_i32 s0, s18, s23
	s_mul_hi_u32 s1, s18, s22
	s_add_i32 s13, s1, s0
	s_load_dwordx2 s[0:1], s[20:21], 0xc8
	s_mul_i32 s23, s19, s22
	s_add_i32 s13, s13, s23
	s_mul_i32 s22, s18, s22
	s_sub_u32 s6, s6, s22
	s_subb_u32 s7, s7, s13
	s_waitcnt lgkmcnt(0)
	s_mul_i32 s7, s0, s7
	s_mul_hi_u32 s13, s0, s6
	s_add_i32 s7, s13, s7
	s_mul_i32 s1, s1, s6
	s_add_i32 s7, s7, s1
	s_mul_i32 s0, s0, s6
	s_add_u32 s16, s0, s16
	s_addc_u32 s17, s7, s17
	s_add_i32 s15, s15, -1
	s_add_u32 s20, s20, -8
	s_addc_u32 s21, s21, -1
	s_cmp_gt_u32 s15, 2
	s_cbranch_scc0 .LBB175_18
; %bb.15:                               ;   in Loop: Header=BB175_11 Depth=1
	s_mov_b64 s[6:7], s[18:19]
	s_branch .LBB175_11
.LBB175_16:                             ;   in Loop: Header=BB175_11 Depth=1
                                        ; implicit-def: $sgpr18_sgpr19
	s_branch .LBB175_13
.LBB175_17:
	s_mov_b64 s[18:19], s[6:7]
.LBB175_18:
	s_mul_i32 s0, s10, s9
	s_load_dword s9, s[4:5], 0x360
	s_load_dwordx2 s[6:7], s[4:5], 0x0
	s_mul_hi_u32 s1, s10, s8
	s_add_i32 s0, s1, s0
	s_mul_i32 s1, s11, s8
	s_add_i32 s1, s0, s1
	s_waitcnt lgkmcnt(0)
	s_bitcmp1_b32 s9, 0
	s_cselect_b64 s[34:35], -1, 0
	s_mul_i32 s0, s10, s8
	s_mov_b32 s10, 0x8000
	s_and_b64 s[8:9], s[34:35], exec
	s_cselect_b32 s12, s10, 0x7fff
	s_lshl_b64 s[0:1], s[0:1], 1
	s_add_u32 s6, s6, s0
	s_pack_ll_b32_b16 s8, s12, s12
	s_addc_u32 s7, s7, s1
	s_lshl_b64 s[0:1], s[2:3], 1
	s_mov_b32 s9, s8
	s_add_u32 s33, s6, s0
	v_and_b32_e32 v42, 0x3ff, v0
	s_mov_b32 s10, s8
	s_mov_b32 s11, s8
	v_pk_mov_b32 v[2:3], s[8:9], s[8:9] op_sel:[0,1]
	s_addc_u32 s54, s7, s1
	v_cmp_gt_u32_e64 s[0:1], s14, v42
	v_pk_mov_b32 v[4:5], s[10:11], s[10:11] op_sel:[0,1]
	v_mov_b32_e32 v6, s12
	s_and_saveexec_b64 s[2:3], s[0:1]
	s_cbranch_execz .LBB175_20
; %bb.19:
	v_mad_u64_u32 v[2:3], s[6:7], v42, s48, 0
	v_mov_b32_e32 v4, v3
	v_mad_u64_u32 v[4:5], s[6:7], v42, s49, v[4:5]
	v_mov_b32_e32 v3, v4
	v_lshlrev_b64 v[2:3], 1, v[2:3]
	v_mov_b32_e32 v1, s54
	v_add_co_u32_e32 v2, vcc, s33, v2
	v_addc_co_u32_e32 v3, vcc, v1, v3, vcc
	global_load_ushort v6, v[2:3], off
	s_mov_b32 s6, 0xffff
	v_mov_b32_e32 v1, s8
	v_mov_b32_e32 v3, s8
	;; [unrolled: 1-line block ×4, first 2 shown]
	s_waitcnt vmcnt(0)
	v_bfi_b32 v2, s6, v6, v1
.LBB175_20:
	s_or_b64 exec, exec, s[2:3]
	v_add_u32_e32 v1, 0x200, v42
	v_cmp_gt_u32_e64 s[2:3], s14, v1
	s_and_saveexec_b64 s[6:7], s[2:3]
	s_cbranch_execz .LBB175_22
; %bb.21:
	v_mad_u64_u32 v[8:9], s[8:9], v1, s48, 0
	v_mov_b32_e32 v10, v9
	v_mad_u64_u32 v[10:11], s[8:9], v1, s49, v[10:11]
	v_mov_b32_e32 v9, v10
	v_lshlrev_b64 v[8:9], 1, v[8:9]
	v_mov_b32_e32 v7, s54
	v_add_co_u32_e32 v8, vcc, s33, v8
	v_addc_co_u32_e32 v9, vcc, v7, v9, vcc
	global_load_ushort v7, v[8:9], off
	s_mov_b32 s8, 0x5040100
	s_waitcnt vmcnt(0)
	v_perm_b32 v2, v7, v2, s8
.LBB175_22:
	s_or_b64 exec, exec, s[6:7]
	v_or_b32_e32 v22, 0x400, v42
	v_cmp_gt_u32_e64 s[44:45], s14, v22
	s_and_saveexec_b64 s[6:7], s[44:45]
	s_cbranch_execz .LBB175_24
; %bb.23:
	v_mad_u64_u32 v[8:9], s[8:9], v22, s48, 0
	v_mov_b32_e32 v10, v9
	v_mad_u64_u32 v[10:11], s[8:9], v22, s49, v[10:11]
	v_mov_b32_e32 v9, v10
	v_lshlrev_b64 v[8:9], 1, v[8:9]
	v_mov_b32_e32 v7, s54
	v_add_co_u32_e32 v8, vcc, s33, v8
	v_addc_co_u32_e32 v9, vcc, v7, v9, vcc
	global_load_ushort v7, v[8:9], off
	s_mov_b32 s8, 0xffff
	s_waitcnt vmcnt(0)
	v_bfi_b32 v3, s8, v7, v3
.LBB175_24:
	s_or_b64 exec, exec, s[6:7]
	v_add_u32_e32 v23, 0x600, v42
	v_cmp_gt_u32_e64 s[6:7], s14, v23
	s_and_saveexec_b64 s[8:9], s[6:7]
	s_cbranch_execz .LBB175_26
; %bb.25:
	v_mad_u64_u32 v[8:9], s[10:11], v23, s48, 0
	v_mov_b32_e32 v10, v9
	v_mad_u64_u32 v[10:11], s[10:11], v23, s49, v[10:11]
	v_mov_b32_e32 v9, v10
	v_lshlrev_b64 v[8:9], 1, v[8:9]
	v_mov_b32_e32 v7, s54
	v_add_co_u32_e32 v8, vcc, s33, v8
	v_addc_co_u32_e32 v9, vcc, v7, v9, vcc
	global_load_ushort v7, v[8:9], off
	s_mov_b32 s10, 0x5040100
	s_waitcnt vmcnt(0)
	v_perm_b32 v3, v7, v3, s10
.LBB175_26:
	s_or_b64 exec, exec, s[8:9]
	v_or_b32_e32 v24, 0x800, v42
	v_cmp_gt_u32_e64 s[8:9], s14, v24
	s_and_saveexec_b64 s[10:11], s[8:9]
	s_cbranch_execz .LBB175_28
; %bb.27:
	v_mad_u64_u32 v[8:9], s[12:13], v24, s48, 0
	v_mov_b32_e32 v10, v9
	v_mad_u64_u32 v[10:11], s[12:13], v24, s49, v[10:11]
	v_mov_b32_e32 v9, v10
	v_lshlrev_b64 v[8:9], 1, v[8:9]
	v_mov_b32_e32 v7, s54
	v_add_co_u32_e32 v8, vcc, s33, v8
	v_addc_co_u32_e32 v9, vcc, v7, v9, vcc
	global_load_ushort v7, v[8:9], off
	s_mov_b32 s12, 0xffff
	s_waitcnt vmcnt(0)
	v_bfi_b32 v4, s12, v7, v4
.LBB175_28:
	s_or_b64 exec, exec, s[10:11]
	v_add_u32_e32 v25, 0xa00, v42
	v_cmp_gt_u32_e64 s[10:11], s14, v25
	s_and_saveexec_b64 s[12:13], s[10:11]
	s_cbranch_execz .LBB175_30
; %bb.29:
	v_mad_u64_u32 v[8:9], s[20:21], v25, s48, 0
	v_mov_b32_e32 v10, v9
	v_mad_u64_u32 v[10:11], s[20:21], v25, s49, v[10:11]
	v_mov_b32_e32 v9, v10
	v_lshlrev_b64 v[8:9], 1, v[8:9]
	v_mov_b32_e32 v7, s54
	v_add_co_u32_e32 v8, vcc, s33, v8
	v_addc_co_u32_e32 v9, vcc, v7, v9, vcc
	global_load_ushort v7, v[8:9], off
	s_mov_b32 s15, 0x5040100
	s_waitcnt vmcnt(0)
	v_perm_b32 v4, v7, v4, s15
.LBB175_30:
	s_or_b64 exec, exec, s[12:13]
	s_load_dwordx2 s[22:23], s[4:5], 0x288
	s_load_dwordx2 s[20:21], s[4:5], 0x1b8
	v_or_b32_e32 v26, 0xc00, v42
	v_cmp_gt_u32_e64 s[12:13], s14, v26
	s_and_saveexec_b64 s[24:25], s[12:13]
	s_cbranch_execz .LBB175_32
; %bb.31:
	v_mad_u64_u32 v[8:9], s[26:27], v26, s48, 0
	v_mov_b32_e32 v10, v9
	v_mad_u64_u32 v[10:11], s[26:27], v26, s49, v[10:11]
	v_mov_b32_e32 v9, v10
	v_lshlrev_b64 v[8:9], 1, v[8:9]
	v_mov_b32_e32 v7, s54
	v_add_co_u32_e32 v8, vcc, s33, v8
	v_addc_co_u32_e32 v9, vcc, v7, v9, vcc
	global_load_ushort v7, v[8:9], off
	s_mov_b32 s15, 0xffff
	s_waitcnt vmcnt(0)
	v_bfi_b32 v5, s15, v7, v5
.LBB175_32:
	s_or_b64 exec, exec, s[24:25]
	v_add_u32_e32 v27, 0xe00, v42
	v_cmp_gt_u32_e64 s[14:15], s14, v27
	s_and_saveexec_b64 s[24:25], s[14:15]
	s_cbranch_execz .LBB175_34
; %bb.33:
	v_mad_u64_u32 v[8:9], s[26:27], v27, s48, 0
	v_mov_b32_e32 v10, v9
	v_mad_u64_u32 v[10:11], s[26:27], v27, s49, v[10:11]
	v_mov_b32_e32 v9, v10
	v_lshlrev_b64 v[8:9], 1, v[8:9]
	v_mov_b32_e32 v7, s54
	v_add_co_u32_e32 v8, vcc, s33, v8
	v_addc_co_u32_e32 v9, vcc, v7, v9, vcc
	global_load_ushort v7, v[8:9], off
	s_mov_b32 s26, 0x5040100
	s_waitcnt vmcnt(0)
	v_perm_b32 v5, v7, v5, s26
.LBB175_34:
	s_or_b64 exec, exec, s[24:25]
	v_lshrrev_b32_e32 v36, 5, v42
	v_and_b32_e32 v7, 30, v36
	v_add_lshl_u32 v43, v7, v42, 1
	v_lshrrev_b32_e32 v35, 5, v1
	ds_write_b16 v43, v6
	v_and_b32_e32 v6, 62, v35
	v_add_lshl_u32 v44, v6, v42, 1
	v_lshrrev_b32_e32 v34, 5, v22
	ds_write_b16_d16_hi v44, v2 offset:1024
	v_and_b32_e32 v2, 62, v34
	v_lshrrev_b32_e32 v33, 5, v23
	v_add_lshl_u32 v45, v2, v42, 1
	v_and_b32_e32 v2, 0x7e, v33
	v_lshrrev_b32_e32 v32, 5, v24
	v_add_lshl_u32 v46, v2, v42, 1
	v_and_b32_e32 v2, 0x5e, v32
	v_lshrrev_b32_e32 v31, 5, v25
	s_waitcnt lgkmcnt(0)
	s_mul_i32 s19, s22, s19
	s_mul_hi_u32 s24, s22, s18
	v_add_lshl_u32 v47, v2, v42, 1
	v_and_b32_e32 v2, 0x7e, v31
	v_lshrrev_b32_e32 v29, 5, v26
	s_add_i32 s19, s24, s19
	s_mul_i32 s23, s23, s18
	v_add_lshl_u32 v48, v2, v42, 1
	v_and_b32_e32 v2, 0x7e, v29
	v_lshrrev_b32_e32 v28, 5, v27
	s_add_i32 s19, s19, s23
	s_mul_i32 s18, s22, s18
	v_add_lshl_u32 v49, v2, v42, 1
	v_and_b32_e32 v2, 0xfe, v28
	v_lshrrev_b32_e32 v30, 2, v42
	s_lshl_b64 s[18:19], s[18:19], 3
	v_add_lshl_u32 v50, v2, v42, 1
	v_lshlrev_b32_e32 v53, 3, v42
	v_and_b32_e32 v2, 0xfe, v30
	s_add_u32 s18, s20, s18
	v_add_lshl_u32 v51, v2, v53, 1
	s_addc_u32 s19, s21, s19
	s_lshl_b64 s[16:17], s[16:17], 3
	s_load_dwordx2 s[50:51], s[4:5], 0x358
	ds_write_b16 v45, v3 offset:2048
	ds_write_b16_d16_hi v46, v3 offset:3072
	ds_write_b16 v47, v4 offset:4096
	ds_write_b16_d16_hi v48, v4 offset:5120
	;; [unrolled: 2-line block ×3, first 2 shown]
	s_waitcnt lgkmcnt(0)
	s_barrier
	ds_read_b128 v[18:21], v51
	s_add_u32 s55, s18, s16
	s_mov_b32 s16, 0
	s_addc_u32 s56, s19, s17
	s_mov_b32 s17, s16
	s_mov_b32 s18, s16
	;; [unrolled: 1-line block ×15, first 2 shown]
	v_pk_mov_b32 v[2:3], s[16:17], s[16:17] op_sel:[0,1]
	v_pk_mov_b32 v[4:5], s[18:19], s[18:19] op_sel:[0,1]
	;; [unrolled: 1-line block ×8, first 2 shown]
	v_pk_mov_b32 v[2:3], 0, 0
	s_waitcnt lgkmcnt(0)
	s_barrier
	s_and_saveexec_b64 s[4:5], s[0:1]
	s_cbranch_execnz .LBB175_89
; %bb.35:
	s_or_b64 exec, exec, s[4:5]
	s_and_saveexec_b64 s[4:5], s[2:3]
	s_cbranch_execnz .LBB175_90
.LBB175_36:
	s_or_b64 exec, exec, s[4:5]
	s_and_saveexec_b64 s[4:5], s[44:45]
	s_cbranch_execnz .LBB175_91
.LBB175_37:
	s_or_b64 exec, exec, s[4:5]
	s_and_saveexec_b64 s[4:5], s[6:7]
	s_cbranch_execnz .LBB175_92
.LBB175_38:
	s_or_b64 exec, exec, s[4:5]
	s_and_saveexec_b64 s[4:5], s[8:9]
	s_cbranch_execnz .LBB175_93
.LBB175_39:
	s_or_b64 exec, exec, s[4:5]
	s_and_saveexec_b64 s[4:5], s[10:11]
	s_cbranch_execnz .LBB175_94
.LBB175_40:
	s_or_b64 exec, exec, s[4:5]
	s_and_saveexec_b64 s[4:5], s[12:13]
	s_cbranch_execnz .LBB175_95
.LBB175_41:
	s_or_b64 exec, exec, s[4:5]
	s_xor_b64 s[4:5], s[34:35], -1
	s_and_saveexec_b64 s[16:17], s[14:15]
	s_cbranch_execz .LBB175_43
.LBB175_42:
	v_mad_u64_u32 v[16:17], s[18:19], v27, s50, 0
	v_mov_b32_e32 v22, v17
	v_mad_u64_u32 v[22:23], s[18:19], v27, s51, v[22:23]
	v_mov_b32_e32 v17, v22
	v_lshlrev_b64 v[16:17], 3, v[16:17]
	v_mov_b32_e32 v1, s56
	v_add_co_u32_e32 v16, vcc, s55, v16
	v_addc_co_u32_e32 v17, vcc, v1, v17, vcc
	global_load_dwordx2 v[16:17], v[16:17], off
.LBB175_43:
	s_or_b64 exec, exec, s[16:17]
	v_add_lshl_u32 v52, v36, v42, 3
	v_add_lshl_u32 v54, v35, v42, 3
	;; [unrolled: 1-line block ×9, first 2 shown]
	s_waitcnt vmcnt(0)
	ds_write_b64 v52, v[2:3]
	ds_write_b64 v54, v[4:5] offset:4096
	ds_write_b64 v55, v[6:7] offset:8192
	ds_write_b64 v56, v[8:9] offset:12288
	ds_write_b64 v57, v[10:11] offset:16384
	ds_write_b64 v58, v[12:13] offset:20480
	ds_write_b64 v59, v[14:15] offset:24576
	ds_write_b64 v60, v[16:17] offset:28672
	s_waitcnt lgkmcnt(0)
	s_barrier
	ds_read2_b64 v[14:17], v61 offset1:1
	ds_read2_b64 v[10:13], v61 offset0:2 offset1:3
	ds_read2_b64 v[6:9], v61 offset0:4 offset1:5
	;; [unrolled: 1-line block ×3, first 2 shown]
	v_mbcnt_lo_u32_b32 v1, -1, 0
	v_mbcnt_hi_u32_b32 v63, -1, v1
	v_and_b32_e32 v65, 0x3c0, v42
	v_add_u32_e32 v1, v63, v65
	v_and_b32_e32 v64, 0x1e00, v53
	v_lshlrev_b32_e32 v22, 3, v1
	v_lshlrev_b32_e32 v71, 4, v1
	v_or_b32_e32 v1, v63, v64
	v_lshlrev_b32_e32 v70, 1, v1
	s_and_b64 vcc, exec, s[4:5]
	v_bfe_u32 v66, v0, 10, 10
	v_bfe_u32 v67, v0, 20, 10
	v_lshlrev_b32_e32 v69, 3, v22
	v_lshlrev_b32_e32 v68, 3, v1
	;; [unrolled: 1-line block ×3, first 2 shown]
	s_waitcnt lgkmcnt(0)
	s_barrier
	s_cbranch_vccz .LBB175_96
; %bb.44:
	s_movk_i32 s4, 0x8000
	v_xor_b32_e32 v0, 0xffff8000, v18
	v_xor_b32_sdwa v1, v18, s4 dst_sel:DWORD dst_unused:UNUSED_PAD src0_sel:WORD_1 src1_sel:DWORD
	v_xor_b32_e32 v22, 0xffff8000, v19
	v_xor_b32_sdwa v23, v19, s4 dst_sel:DWORD dst_unused:UNUSED_PAD src0_sel:WORD_1 src1_sel:DWORD
	v_xor_b32_e32 v24, 0xffff8000, v20
	v_xor_b32_sdwa v26, v20, s4 dst_sel:DWORD dst_unused:UNUSED_PAD src0_sel:WORD_1 src1_sel:DWORD
	v_xor_b32_e32 v25, 0xffff8000, v21
	v_xor_b32_sdwa v27, v21, s4 dst_sel:DWORD dst_unused:UNUSED_PAD src0_sel:WORD_1 src1_sel:DWORD
	s_mov_b32 s4, 0x5040100
	v_perm_b32 v25, v27, v25, s4
	v_perm_b32 v24, v26, v24, s4
	;; [unrolled: 1-line block ×4, first 2 shown]
	ds_write_b128 v71, v[22:25]
	; wave barrier
	ds_read_u16 v82, v70
	ds_read_u16 v81, v70 offset:128
	ds_read_u16 v80, v70 offset:256
	;; [unrolled: 1-line block ×7, first 2 shown]
	s_waitcnt lgkmcnt(0)
	s_barrier
	ds_write2_b64 v69, v[14:15], v[16:17] offset1:1
	ds_write2_b64 v69, v[10:11], v[12:13] offset0:2 offset1:3
	ds_write2_b64 v69, v[6:7], v[8:9] offset0:4 offset1:5
	;; [unrolled: 1-line block ×3, first 2 shown]
	; wave barrier
	ds_read2st64_b64 v[34:37], v68 offset1:1
	ds_read2st64_b64 v[30:33], v68 offset0:2 offset1:3
	ds_read2st64_b64 v[26:29], v68 offset0:4 offset1:5
	;; [unrolled: 1-line block ×3, first 2 shown]
	s_waitcnt lgkmcnt(0)
	s_barrier
	s_load_dword s16, s[52:53], 0xc
	s_getpc_b64 s[4:5]
	s_add_u32 s4, s4, _ZN7rocprim17ROCPRIM_400000_NS16block_radix_sortIsLj512ELj8ElLj1ELj1ELj0ELNS0_26block_radix_rank_algorithmE1ELNS0_18block_padding_hintE2ELNS0_4arch9wavefront6targetE1EE19radix_bits_per_passE@rel32@lo+4
	s_addc_u32 s5, s5, _ZN7rocprim17ROCPRIM_400000_NS16block_radix_sortIsLj512ELj8ElLj1ELj1ELj0ELNS0_26block_radix_rank_algorithmE1ELNS0_18block_padding_hintE2ELNS0_4arch9wavefront6targetE1EE19radix_bits_per_passE@rel32@hi+12
	s_load_dword s46, s[4:5], 0x0
	s_waitcnt lgkmcnt(0)
	s_lshr_b32 s4, s16, 16
	s_and_b32 s5, s16, 0xffff
	v_mad_u32_u24 v0, v67, s4, v66
	v_mad_u64_u32 v[0:1], s[4:5], v0, s5, v[42:43]
	s_min_u32 s4, s46, 16
	s_lshl_b32 s4, -1, s4
	s_not_b32 s16, s4
	v_and_b32_sdwa v38, s16, v82 dst_sel:DWORD dst_unused:UNUSED_PAD src0_sel:DWORD src1_sel:WORD_0
	v_lshrrev_b32_e32 v72, 6, v0
	v_lshlrev_b32_e32 v1, 3, v38
	v_add_lshl_u32 v85, v72, v1, 2
	v_and_b32_e32 v1, 1, v38
	v_add_co_u32_e32 v39, vcc, -1, v1
	v_addc_co_u32_e64 v40, s[4:5], 0, -1, vcc
	v_cmp_ne_u32_e32 vcc, 0, v1
	v_xor_b32_e32 v1, vcc_hi, v40
	v_mov_b32_e32 v0, 0
	v_and_b32_e32 v40, exec_hi, v1
	v_lshlrev_b32_e32 v1, 30, v38
	v_xor_b32_e32 v39, vcc_lo, v39
	v_cmp_gt_i64_e32 vcc, 0, v[0:1]
	v_not_b32_e32 v1, v1
	v_ashrrev_i32_e32 v1, 31, v1
	v_and_b32_e32 v39, exec_lo, v39
	v_xor_b32_e32 v41, vcc_hi, v1
	v_xor_b32_e32 v1, vcc_lo, v1
	v_and_b32_e32 v39, v39, v1
	v_lshlrev_b32_e32 v1, 29, v38
	v_cmp_gt_i64_e32 vcc, 0, v[0:1]
	v_not_b32_e32 v1, v1
	v_ashrrev_i32_e32 v1, 31, v1
	v_and_b32_e32 v40, v40, v41
	v_xor_b32_e32 v41, vcc_hi, v1
	v_xor_b32_e32 v1, vcc_lo, v1
	v_and_b32_e32 v39, v39, v1
	v_lshlrev_b32_e32 v1, 28, v38
	v_cmp_gt_i64_e32 vcc, 0, v[0:1]
	v_not_b32_e32 v1, v1
	v_ashrrev_i32_e32 v1, 31, v1
	v_and_b32_e32 v40, v40, v41
	;; [unrolled: 8-line block ×5, first 2 shown]
	v_xor_b32_e32 v41, vcc_hi, v1
	v_xor_b32_e32 v1, vcc_lo, v1
	v_and_b32_e32 v40, v40, v41
	v_and_b32_e32 v41, v39, v1
	v_lshlrev_b32_e32 v1, 24, v38
	v_cmp_gt_i64_e32 vcc, 0, v[0:1]
	v_not_b32_e32 v1, v1
	v_ashrrev_i32_e32 v1, 31, v1
	v_xor_b32_e32 v38, vcc_hi, v1
	v_xor_b32_e32 v1, vcc_lo, v1
	v_and_b32_e32 v39, v40, v38
	v_and_b32_e32 v38, v41, v1
	v_mbcnt_lo_u32_b32 v1, v38, 0
	v_mbcnt_hi_u32_b32 v86, v39, v1
	v_cmp_eq_u32_e32 vcc, 0, v86
	v_cmp_ne_u64_e64 s[4:5], 0, v[38:39]
	s_and_b64 s[18:19], s[4:5], vcc
	ds_write2_b32 v62, v0, v0 offset0:8 offset1:9
	ds_write2_b32 v62, v0, v0 offset0:10 offset1:11
	s_waitcnt lgkmcnt(0)
	s_barrier
	s_waitcnt lgkmcnt(0)
	; wave barrier
	s_and_saveexec_b64 s[4:5], s[18:19]
	s_cbranch_execz .LBB175_46
; %bb.45:
	v_bcnt_u32_b32 v1, v38, 0
	v_bcnt_u32_b32 v1, v39, v1
	ds_write_b32 v85, v1 offset:32
.LBB175_46:
	s_or_b64 exec, exec, s[4:5]
	v_and_b32_sdwa v38, s16, v81 dst_sel:DWORD dst_unused:UNUSED_PAD src0_sel:DWORD src1_sel:WORD_0
	v_lshlrev_b32_e32 v1, 3, v38
	v_add_lshl_u32 v88, v72, v1, 2
	v_and_b32_e32 v1, 1, v38
	v_add_co_u32_e32 v39, vcc, -1, v1
	v_addc_co_u32_e64 v40, s[4:5], 0, -1, vcc
	v_cmp_ne_u32_e32 vcc, 0, v1
	v_xor_b32_e32 v1, vcc_hi, v40
	v_and_b32_e32 v40, exec_hi, v1
	v_lshlrev_b32_e32 v1, 30, v38
	v_xor_b32_e32 v39, vcc_lo, v39
	v_cmp_gt_i64_e32 vcc, 0, v[0:1]
	v_not_b32_e32 v1, v1
	v_ashrrev_i32_e32 v1, 31, v1
	v_and_b32_e32 v39, exec_lo, v39
	v_xor_b32_e32 v41, vcc_hi, v1
	v_xor_b32_e32 v1, vcc_lo, v1
	v_and_b32_e32 v39, v39, v1
	v_lshlrev_b32_e32 v1, 29, v38
	v_cmp_gt_i64_e32 vcc, 0, v[0:1]
	v_not_b32_e32 v1, v1
	v_ashrrev_i32_e32 v1, 31, v1
	v_and_b32_e32 v40, v40, v41
	v_xor_b32_e32 v41, vcc_hi, v1
	v_xor_b32_e32 v1, vcc_lo, v1
	v_and_b32_e32 v39, v39, v1
	v_lshlrev_b32_e32 v1, 28, v38
	v_cmp_gt_i64_e32 vcc, 0, v[0:1]
	v_not_b32_e32 v1, v1
	v_ashrrev_i32_e32 v1, 31, v1
	v_and_b32_e32 v40, v40, v41
	;; [unrolled: 8-line block ×5, first 2 shown]
	v_xor_b32_e32 v41, vcc_hi, v1
	v_xor_b32_e32 v1, vcc_lo, v1
	v_and_b32_e32 v39, v39, v1
	v_lshlrev_b32_e32 v1, 24, v38
	v_cmp_gt_i64_e32 vcc, 0, v[0:1]
	v_not_b32_e32 v0, v1
	v_ashrrev_i32_e32 v0, 31, v0
	v_xor_b32_e32 v1, vcc_hi, v0
	v_xor_b32_e32 v0, vcc_lo, v0
	; wave barrier
	ds_read_b32 v87, v88 offset:32
	v_and_b32_e32 v40, v40, v41
	v_and_b32_e32 v0, v39, v0
	;; [unrolled: 1-line block ×3, first 2 shown]
	v_mbcnt_lo_u32_b32 v38, v0, 0
	v_mbcnt_hi_u32_b32 v89, v1, v38
	v_cmp_eq_u32_e32 vcc, 0, v89
	v_cmp_ne_u64_e64 s[4:5], 0, v[0:1]
	s_and_b64 s[18:19], s[4:5], vcc
	; wave barrier
	s_and_saveexec_b64 s[4:5], s[18:19]
	s_cbranch_execz .LBB175_48
; %bb.47:
	v_bcnt_u32_b32 v0, v0, 0
	v_bcnt_u32_b32 v0, v1, v0
	s_waitcnt lgkmcnt(0)
	v_add_u32_e32 v0, v87, v0
	ds_write_b32 v88, v0 offset:32
.LBB175_48:
	s_or_b64 exec, exec, s[4:5]
	v_and_b32_sdwa v38, s16, v80 dst_sel:DWORD dst_unused:UNUSED_PAD src0_sel:DWORD src1_sel:WORD_0
	v_and_b32_e32 v1, 1, v38
	v_add_co_u32_e32 v39, vcc, -1, v1
	v_addc_co_u32_e64 v40, s[4:5], 0, -1, vcc
	v_cmp_ne_u32_e32 vcc, 0, v1
	v_lshlrev_b32_e32 v0, 3, v38
	v_xor_b32_e32 v1, vcc_hi, v40
	v_add_lshl_u32 v91, v72, v0, 2
	v_mov_b32_e32 v0, 0
	v_and_b32_e32 v40, exec_hi, v1
	v_lshlrev_b32_e32 v1, 30, v38
	v_xor_b32_e32 v39, vcc_lo, v39
	v_cmp_gt_i64_e32 vcc, 0, v[0:1]
	v_not_b32_e32 v1, v1
	v_ashrrev_i32_e32 v1, 31, v1
	v_and_b32_e32 v39, exec_lo, v39
	v_xor_b32_e32 v41, vcc_hi, v1
	v_xor_b32_e32 v1, vcc_lo, v1
	v_and_b32_e32 v39, v39, v1
	v_lshlrev_b32_e32 v1, 29, v38
	v_cmp_gt_i64_e32 vcc, 0, v[0:1]
	v_not_b32_e32 v1, v1
	v_ashrrev_i32_e32 v1, 31, v1
	v_and_b32_e32 v40, v40, v41
	v_xor_b32_e32 v41, vcc_hi, v1
	v_xor_b32_e32 v1, vcc_lo, v1
	v_and_b32_e32 v39, v39, v1
	v_lshlrev_b32_e32 v1, 28, v38
	v_cmp_gt_i64_e32 vcc, 0, v[0:1]
	v_not_b32_e32 v1, v1
	v_ashrrev_i32_e32 v1, 31, v1
	v_and_b32_e32 v40, v40, v41
	;; [unrolled: 8-line block ×5, first 2 shown]
	v_xor_b32_e32 v41, vcc_hi, v1
	v_xor_b32_e32 v1, vcc_lo, v1
	v_and_b32_e32 v40, v40, v41
	v_and_b32_e32 v41, v39, v1
	v_lshlrev_b32_e32 v1, 24, v38
	v_cmp_gt_i64_e32 vcc, 0, v[0:1]
	v_not_b32_e32 v1, v1
	v_ashrrev_i32_e32 v1, 31, v1
	v_xor_b32_e32 v38, vcc_hi, v1
	v_xor_b32_e32 v1, vcc_lo, v1
	; wave barrier
	ds_read_b32 v90, v91 offset:32
	v_and_b32_e32 v39, v40, v38
	v_and_b32_e32 v38, v41, v1
	v_mbcnt_lo_u32_b32 v1, v38, 0
	v_mbcnt_hi_u32_b32 v92, v39, v1
	v_cmp_eq_u32_e32 vcc, 0, v92
	v_cmp_ne_u64_e64 s[4:5], 0, v[38:39]
	s_and_b64 s[18:19], s[4:5], vcc
	; wave barrier
	s_and_saveexec_b64 s[4:5], s[18:19]
	s_cbranch_execz .LBB175_50
; %bb.49:
	v_bcnt_u32_b32 v1, v38, 0
	v_bcnt_u32_b32 v1, v39, v1
	s_waitcnt lgkmcnt(0)
	v_add_u32_e32 v1, v90, v1
	ds_write_b32 v91, v1 offset:32
.LBB175_50:
	s_or_b64 exec, exec, s[4:5]
	v_and_b32_sdwa v38, s16, v79 dst_sel:DWORD dst_unused:UNUSED_PAD src0_sel:DWORD src1_sel:WORD_0
	v_lshlrev_b32_e32 v1, 3, v38
	v_add_lshl_u32 v94, v72, v1, 2
	v_and_b32_e32 v1, 1, v38
	v_add_co_u32_e32 v39, vcc, -1, v1
	v_addc_co_u32_e64 v40, s[4:5], 0, -1, vcc
	v_cmp_ne_u32_e32 vcc, 0, v1
	v_xor_b32_e32 v1, vcc_hi, v40
	v_and_b32_e32 v40, exec_hi, v1
	v_lshlrev_b32_e32 v1, 30, v38
	v_xor_b32_e32 v39, vcc_lo, v39
	v_cmp_gt_i64_e32 vcc, 0, v[0:1]
	v_not_b32_e32 v1, v1
	v_ashrrev_i32_e32 v1, 31, v1
	v_and_b32_e32 v39, exec_lo, v39
	v_xor_b32_e32 v41, vcc_hi, v1
	v_xor_b32_e32 v1, vcc_lo, v1
	v_and_b32_e32 v39, v39, v1
	v_lshlrev_b32_e32 v1, 29, v38
	v_cmp_gt_i64_e32 vcc, 0, v[0:1]
	v_not_b32_e32 v1, v1
	v_ashrrev_i32_e32 v1, 31, v1
	v_and_b32_e32 v40, v40, v41
	v_xor_b32_e32 v41, vcc_hi, v1
	v_xor_b32_e32 v1, vcc_lo, v1
	v_and_b32_e32 v39, v39, v1
	v_lshlrev_b32_e32 v1, 28, v38
	v_cmp_gt_i64_e32 vcc, 0, v[0:1]
	v_not_b32_e32 v1, v1
	v_ashrrev_i32_e32 v1, 31, v1
	v_and_b32_e32 v40, v40, v41
	;; [unrolled: 8-line block ×5, first 2 shown]
	v_xor_b32_e32 v41, vcc_hi, v1
	v_xor_b32_e32 v1, vcc_lo, v1
	v_and_b32_e32 v39, v39, v1
	v_lshlrev_b32_e32 v1, 24, v38
	v_cmp_gt_i64_e32 vcc, 0, v[0:1]
	v_not_b32_e32 v0, v1
	v_ashrrev_i32_e32 v0, 31, v0
	v_xor_b32_e32 v1, vcc_hi, v0
	v_xor_b32_e32 v0, vcc_lo, v0
	; wave barrier
	ds_read_b32 v93, v94 offset:32
	v_and_b32_e32 v40, v40, v41
	v_and_b32_e32 v0, v39, v0
	;; [unrolled: 1-line block ×3, first 2 shown]
	v_mbcnt_lo_u32_b32 v38, v0, 0
	v_mbcnt_hi_u32_b32 v95, v1, v38
	v_cmp_eq_u32_e32 vcc, 0, v95
	v_cmp_ne_u64_e64 s[4:5], 0, v[0:1]
	s_and_b64 s[18:19], s[4:5], vcc
	; wave barrier
	s_and_saveexec_b64 s[4:5], s[18:19]
	s_cbranch_execz .LBB175_52
; %bb.51:
	v_bcnt_u32_b32 v0, v0, 0
	v_bcnt_u32_b32 v0, v1, v0
	s_waitcnt lgkmcnt(0)
	v_add_u32_e32 v0, v93, v0
	ds_write_b32 v94, v0 offset:32
.LBB175_52:
	s_or_b64 exec, exec, s[4:5]
	v_and_b32_sdwa v38, s16, v78 dst_sel:DWORD dst_unused:UNUSED_PAD src0_sel:DWORD src1_sel:WORD_0
	v_and_b32_e32 v1, 1, v38
	v_add_co_u32_e32 v39, vcc, -1, v1
	v_addc_co_u32_e64 v40, s[4:5], 0, -1, vcc
	v_cmp_ne_u32_e32 vcc, 0, v1
	v_lshlrev_b32_e32 v0, 3, v38
	v_xor_b32_e32 v1, vcc_hi, v40
	v_add_lshl_u32 v97, v72, v0, 2
	v_mov_b32_e32 v0, 0
	v_and_b32_e32 v40, exec_hi, v1
	v_lshlrev_b32_e32 v1, 30, v38
	v_xor_b32_e32 v39, vcc_lo, v39
	v_cmp_gt_i64_e32 vcc, 0, v[0:1]
	v_not_b32_e32 v1, v1
	v_ashrrev_i32_e32 v1, 31, v1
	v_and_b32_e32 v39, exec_lo, v39
	v_xor_b32_e32 v41, vcc_hi, v1
	v_xor_b32_e32 v1, vcc_lo, v1
	v_and_b32_e32 v39, v39, v1
	v_lshlrev_b32_e32 v1, 29, v38
	v_cmp_gt_i64_e32 vcc, 0, v[0:1]
	v_not_b32_e32 v1, v1
	v_ashrrev_i32_e32 v1, 31, v1
	v_and_b32_e32 v40, v40, v41
	v_xor_b32_e32 v41, vcc_hi, v1
	v_xor_b32_e32 v1, vcc_lo, v1
	v_and_b32_e32 v39, v39, v1
	v_lshlrev_b32_e32 v1, 28, v38
	v_cmp_gt_i64_e32 vcc, 0, v[0:1]
	v_not_b32_e32 v1, v1
	v_ashrrev_i32_e32 v1, 31, v1
	v_and_b32_e32 v40, v40, v41
	v_xor_b32_e32 v41, vcc_hi, v1
	v_xor_b32_e32 v1, vcc_lo, v1
	v_and_b32_e32 v39, v39, v1
	v_lshlrev_b32_e32 v1, 27, v38
	v_cmp_gt_i64_e32 vcc, 0, v[0:1]
	v_not_b32_e32 v1, v1
	v_ashrrev_i32_e32 v1, 31, v1
	v_and_b32_e32 v40, v40, v41
	v_xor_b32_e32 v41, vcc_hi, v1
	v_xor_b32_e32 v1, vcc_lo, v1
	v_and_b32_e32 v39, v39, v1
	v_lshlrev_b32_e32 v1, 26, v38
	v_cmp_gt_i64_e32 vcc, 0, v[0:1]
	v_not_b32_e32 v1, v1
	v_ashrrev_i32_e32 v1, 31, v1
	v_and_b32_e32 v40, v40, v41
	v_xor_b32_e32 v41, vcc_hi, v1
	v_xor_b32_e32 v1, vcc_lo, v1
	v_and_b32_e32 v39, v39, v1
	v_lshlrev_b32_e32 v1, 25, v38
	v_cmp_gt_i64_e32 vcc, 0, v[0:1]
	v_not_b32_e32 v1, v1
	v_ashrrev_i32_e32 v1, 31, v1
	v_and_b32_e32 v40, v40, v41
	v_xor_b32_e32 v41, vcc_hi, v1
	v_xor_b32_e32 v1, vcc_lo, v1
	v_and_b32_e32 v40, v40, v41
	v_and_b32_e32 v41, v39, v1
	v_lshlrev_b32_e32 v1, 24, v38
	v_cmp_gt_i64_e32 vcc, 0, v[0:1]
	v_not_b32_e32 v1, v1
	v_ashrrev_i32_e32 v1, 31, v1
	v_xor_b32_e32 v38, vcc_hi, v1
	v_xor_b32_e32 v1, vcc_lo, v1
	; wave barrier
	ds_read_b32 v96, v97 offset:32
	v_and_b32_e32 v39, v40, v38
	v_and_b32_e32 v38, v41, v1
	v_mbcnt_lo_u32_b32 v1, v38, 0
	v_mbcnt_hi_u32_b32 v98, v39, v1
	v_cmp_eq_u32_e32 vcc, 0, v98
	v_cmp_ne_u64_e64 s[4:5], 0, v[38:39]
	s_and_b64 s[18:19], s[4:5], vcc
	; wave barrier
	s_and_saveexec_b64 s[4:5], s[18:19]
	s_cbranch_execz .LBB175_54
; %bb.53:
	v_bcnt_u32_b32 v1, v38, 0
	v_bcnt_u32_b32 v1, v39, v1
	s_waitcnt lgkmcnt(0)
	v_add_u32_e32 v1, v96, v1
	ds_write_b32 v97, v1 offset:32
.LBB175_54:
	s_or_b64 exec, exec, s[4:5]
	v_and_b32_sdwa v38, s16, v77 dst_sel:DWORD dst_unused:UNUSED_PAD src0_sel:DWORD src1_sel:WORD_0
	v_lshlrev_b32_e32 v1, 3, v38
	v_add_lshl_u32 v100, v72, v1, 2
	v_and_b32_e32 v1, 1, v38
	v_add_co_u32_e32 v39, vcc, -1, v1
	v_addc_co_u32_e64 v40, s[4:5], 0, -1, vcc
	v_cmp_ne_u32_e32 vcc, 0, v1
	v_xor_b32_e32 v1, vcc_hi, v40
	v_and_b32_e32 v40, exec_hi, v1
	v_lshlrev_b32_e32 v1, 30, v38
	v_xor_b32_e32 v39, vcc_lo, v39
	v_cmp_gt_i64_e32 vcc, 0, v[0:1]
	v_not_b32_e32 v1, v1
	v_ashrrev_i32_e32 v1, 31, v1
	v_and_b32_e32 v39, exec_lo, v39
	v_xor_b32_e32 v41, vcc_hi, v1
	v_xor_b32_e32 v1, vcc_lo, v1
	v_and_b32_e32 v39, v39, v1
	v_lshlrev_b32_e32 v1, 29, v38
	v_cmp_gt_i64_e32 vcc, 0, v[0:1]
	v_not_b32_e32 v1, v1
	v_ashrrev_i32_e32 v1, 31, v1
	v_and_b32_e32 v40, v40, v41
	v_xor_b32_e32 v41, vcc_hi, v1
	v_xor_b32_e32 v1, vcc_lo, v1
	v_and_b32_e32 v39, v39, v1
	v_lshlrev_b32_e32 v1, 28, v38
	v_cmp_gt_i64_e32 vcc, 0, v[0:1]
	v_not_b32_e32 v1, v1
	v_ashrrev_i32_e32 v1, 31, v1
	v_and_b32_e32 v40, v40, v41
	v_xor_b32_e32 v41, vcc_hi, v1
	v_xor_b32_e32 v1, vcc_lo, v1
	v_and_b32_e32 v39, v39, v1
	v_lshlrev_b32_e32 v1, 27, v38
	v_cmp_gt_i64_e32 vcc, 0, v[0:1]
	v_not_b32_e32 v1, v1
	v_ashrrev_i32_e32 v1, 31, v1
	v_and_b32_e32 v40, v40, v41
	v_xor_b32_e32 v41, vcc_hi, v1
	v_xor_b32_e32 v1, vcc_lo, v1
	v_and_b32_e32 v39, v39, v1
	v_lshlrev_b32_e32 v1, 26, v38
	v_cmp_gt_i64_e32 vcc, 0, v[0:1]
	v_not_b32_e32 v1, v1
	v_ashrrev_i32_e32 v1, 31, v1
	v_and_b32_e32 v40, v40, v41
	v_xor_b32_e32 v41, vcc_hi, v1
	v_xor_b32_e32 v1, vcc_lo, v1
	v_and_b32_e32 v39, v39, v1
	v_lshlrev_b32_e32 v1, 25, v38
	v_cmp_gt_i64_e32 vcc, 0, v[0:1]
	v_not_b32_e32 v1, v1
	v_ashrrev_i32_e32 v1, 31, v1
	v_and_b32_e32 v40, v40, v41
	v_xor_b32_e32 v41, vcc_hi, v1
	v_xor_b32_e32 v1, vcc_lo, v1
	v_and_b32_e32 v39, v39, v1
	v_lshlrev_b32_e32 v1, 24, v38
	v_cmp_gt_i64_e32 vcc, 0, v[0:1]
	v_not_b32_e32 v0, v1
	v_ashrrev_i32_e32 v0, 31, v0
	v_xor_b32_e32 v1, vcc_hi, v0
	v_xor_b32_e32 v0, vcc_lo, v0
	; wave barrier
	ds_read_b32 v99, v100 offset:32
	v_and_b32_e32 v40, v40, v41
	v_and_b32_e32 v0, v39, v0
	;; [unrolled: 1-line block ×3, first 2 shown]
	v_mbcnt_lo_u32_b32 v38, v0, 0
	v_mbcnt_hi_u32_b32 v101, v1, v38
	v_cmp_eq_u32_e32 vcc, 0, v101
	v_cmp_ne_u64_e64 s[4:5], 0, v[0:1]
	s_and_b64 s[18:19], s[4:5], vcc
	; wave barrier
	s_and_saveexec_b64 s[4:5], s[18:19]
	s_cbranch_execz .LBB175_56
; %bb.55:
	v_bcnt_u32_b32 v0, v0, 0
	v_bcnt_u32_b32 v0, v1, v0
	s_waitcnt lgkmcnt(0)
	v_add_u32_e32 v0, v99, v0
	ds_write_b32 v100, v0 offset:32
.LBB175_56:
	s_or_b64 exec, exec, s[4:5]
	v_and_b32_sdwa v38, s16, v76 dst_sel:DWORD dst_unused:UNUSED_PAD src0_sel:DWORD src1_sel:WORD_0
	v_and_b32_e32 v1, 1, v38
	v_add_co_u32_e32 v39, vcc, -1, v1
	v_addc_co_u32_e64 v40, s[4:5], 0, -1, vcc
	v_cmp_ne_u32_e32 vcc, 0, v1
	v_lshlrev_b32_e32 v0, 3, v38
	v_xor_b32_e32 v1, vcc_hi, v40
	v_add_lshl_u32 v103, v72, v0, 2
	v_mov_b32_e32 v0, 0
	v_and_b32_e32 v40, exec_hi, v1
	v_lshlrev_b32_e32 v1, 30, v38
	v_xor_b32_e32 v39, vcc_lo, v39
	v_cmp_gt_i64_e32 vcc, 0, v[0:1]
	v_not_b32_e32 v1, v1
	v_ashrrev_i32_e32 v1, 31, v1
	v_and_b32_e32 v39, exec_lo, v39
	v_xor_b32_e32 v41, vcc_hi, v1
	v_xor_b32_e32 v1, vcc_lo, v1
	v_and_b32_e32 v39, v39, v1
	v_lshlrev_b32_e32 v1, 29, v38
	v_cmp_gt_i64_e32 vcc, 0, v[0:1]
	v_not_b32_e32 v1, v1
	v_ashrrev_i32_e32 v1, 31, v1
	v_and_b32_e32 v40, v40, v41
	v_xor_b32_e32 v41, vcc_hi, v1
	v_xor_b32_e32 v1, vcc_lo, v1
	v_and_b32_e32 v39, v39, v1
	v_lshlrev_b32_e32 v1, 28, v38
	v_cmp_gt_i64_e32 vcc, 0, v[0:1]
	v_not_b32_e32 v1, v1
	v_ashrrev_i32_e32 v1, 31, v1
	v_and_b32_e32 v40, v40, v41
	;; [unrolled: 8-line block ×5, first 2 shown]
	v_xor_b32_e32 v41, vcc_hi, v1
	v_xor_b32_e32 v1, vcc_lo, v1
	v_and_b32_e32 v40, v40, v41
	v_and_b32_e32 v41, v39, v1
	v_lshlrev_b32_e32 v1, 24, v38
	v_cmp_gt_i64_e32 vcc, 0, v[0:1]
	v_not_b32_e32 v1, v1
	v_ashrrev_i32_e32 v1, 31, v1
	v_xor_b32_e32 v38, vcc_hi, v1
	v_xor_b32_e32 v1, vcc_lo, v1
	; wave barrier
	ds_read_b32 v102, v103 offset:32
	v_and_b32_e32 v39, v40, v38
	v_and_b32_e32 v38, v41, v1
	v_mbcnt_lo_u32_b32 v1, v38, 0
	v_mbcnt_hi_u32_b32 v104, v39, v1
	v_cmp_eq_u32_e32 vcc, 0, v104
	v_cmp_ne_u64_e64 s[4:5], 0, v[38:39]
	s_and_b64 s[18:19], s[4:5], vcc
	; wave barrier
	s_and_saveexec_b64 s[4:5], s[18:19]
	s_cbranch_execz .LBB175_58
; %bb.57:
	v_bcnt_u32_b32 v1, v38, 0
	v_bcnt_u32_b32 v1, v39, v1
	s_waitcnt lgkmcnt(0)
	v_add_u32_e32 v1, v102, v1
	ds_write_b32 v103, v1 offset:32
.LBB175_58:
	s_or_b64 exec, exec, s[4:5]
	v_and_b32_sdwa v38, s16, v75 dst_sel:DWORD dst_unused:UNUSED_PAD src0_sel:DWORD src1_sel:WORD_0
	v_lshlrev_b32_e32 v1, 3, v38
	v_add_lshl_u32 v106, v72, v1, 2
	v_and_b32_e32 v1, 1, v38
	v_add_co_u32_e32 v39, vcc, -1, v1
	v_addc_co_u32_e64 v40, s[4:5], 0, -1, vcc
	v_cmp_ne_u32_e32 vcc, 0, v1
	v_xor_b32_e32 v1, vcc_hi, v40
	v_and_b32_e32 v40, exec_hi, v1
	v_lshlrev_b32_e32 v1, 30, v38
	v_xor_b32_e32 v39, vcc_lo, v39
	v_cmp_gt_i64_e32 vcc, 0, v[0:1]
	v_not_b32_e32 v1, v1
	v_ashrrev_i32_e32 v1, 31, v1
	v_and_b32_e32 v39, exec_lo, v39
	v_xor_b32_e32 v41, vcc_hi, v1
	v_xor_b32_e32 v1, vcc_lo, v1
	v_and_b32_e32 v39, v39, v1
	v_lshlrev_b32_e32 v1, 29, v38
	v_cmp_gt_i64_e32 vcc, 0, v[0:1]
	v_not_b32_e32 v1, v1
	v_ashrrev_i32_e32 v1, 31, v1
	v_and_b32_e32 v40, v40, v41
	v_xor_b32_e32 v41, vcc_hi, v1
	v_xor_b32_e32 v1, vcc_lo, v1
	v_and_b32_e32 v39, v39, v1
	v_lshlrev_b32_e32 v1, 28, v38
	v_cmp_gt_i64_e32 vcc, 0, v[0:1]
	v_not_b32_e32 v1, v1
	v_ashrrev_i32_e32 v1, 31, v1
	v_and_b32_e32 v40, v40, v41
	;; [unrolled: 8-line block ×5, first 2 shown]
	v_xor_b32_e32 v41, vcc_hi, v1
	v_xor_b32_e32 v1, vcc_lo, v1
	v_and_b32_e32 v39, v39, v1
	v_lshlrev_b32_e32 v1, 24, v38
	v_cmp_gt_i64_e32 vcc, 0, v[0:1]
	v_not_b32_e32 v0, v1
	v_ashrrev_i32_e32 v0, 31, v0
	v_xor_b32_e32 v1, vcc_hi, v0
	v_xor_b32_e32 v0, vcc_lo, v0
	; wave barrier
	ds_read_b32 v105, v106 offset:32
	v_and_b32_e32 v40, v40, v41
	v_and_b32_e32 v0, v39, v0
	;; [unrolled: 1-line block ×3, first 2 shown]
	v_mbcnt_lo_u32_b32 v38, v0, 0
	v_mbcnt_hi_u32_b32 v107, v1, v38
	v_cmp_eq_u32_e32 vcc, 0, v107
	v_cmp_ne_u64_e64 s[4:5], 0, v[0:1]
	v_add_u32_e32 v73, 32, v62
	v_lshrrev_b32_e32 v74, 6, v42
	v_min_u32_e32 v83, 0x1c0, v65
	s_and_b64 s[16:17], s[4:5], vcc
	; wave barrier
	s_and_saveexec_b64 s[4:5], s[16:17]
	s_cbranch_execz .LBB175_60
; %bb.59:
	v_bcnt_u32_b32 v0, v0, 0
	v_bcnt_u32_b32 v0, v1, v0
	s_waitcnt lgkmcnt(0)
	v_add_u32_e32 v0, v105, v0
	ds_write_b32 v106, v0 offset:32
.LBB175_60:
	s_or_b64 exec, exec, s[4:5]
	; wave barrier
	s_waitcnt lgkmcnt(0)
	s_barrier
	ds_read2_b32 v[38:39], v62 offset0:8 offset1:9
	ds_read2_b32 v[40:41], v73 offset0:2 offset1:3
	v_and_b32_e32 v1, 16, v63
	v_cmp_eq_u32_e32 vcc, 0, v1
	v_or_b32_e32 v1, 63, v83
	v_cmp_eq_u32_e64 s[16:17], v1, v42
	s_waitcnt lgkmcnt(1)
	v_add_u32_e32 v1, v39, v38
	v_and_b32_e32 v0, 15, v63
	s_waitcnt lgkmcnt(0)
	v_add3_u32 v1, v1, v40, v41
	v_cmp_eq_u32_e64 s[24:25], 0, v0
	v_cmp_lt_u32_e64 s[26:27], 1, v0
	v_mov_b32_dpp v41, v1 row_shr:1 row_mask:0xf bank_mask:0xf
	v_cndmask_b32_e64 v41, v41, 0, s[24:25]
	v_add_u32_e32 v1, v41, v1
	v_cmp_lt_u32_e64 s[30:31], 3, v0
	v_cmp_lt_u32_e64 s[34:35], 7, v0
	v_mov_b32_dpp v41, v1 row_shr:2 row_mask:0xf bank_mask:0xf
	v_cndmask_b32_e64 v41, 0, v41, s[26:27]
	v_add_u32_e32 v1, v1, v41
	v_bfe_i32 v84, v63, 4, 1
	v_cmp_lt_u32_e64 s[36:37], 31, v63
	v_mov_b32_dpp v41, v1 row_shr:4 row_mask:0xf bank_mask:0xf
	v_cndmask_b32_e64 v41, 0, v41, s[30:31]
	v_add_u32_e32 v1, v1, v41
	v_lshlrev_b32_e32 v74, 2, v74
	s_nop 0
	v_mov_b32_dpp v41, v1 row_shr:8 row_mask:0xf bank_mask:0xf
	v_cndmask_b32_e64 v0, 0, v41, s[34:35]
	v_add_u32_e32 v0, v1, v0
	s_nop 1
	v_mov_b32_dpp v1, v0 row_bcast:15 row_mask:0xf bank_mask:0xf
	v_and_b32_e32 v1, v84, v1
	v_add_u32_e32 v0, v0, v1
	s_nop 1
	v_mov_b32_dpp v1, v0 row_bcast:31 row_mask:0xf bank_mask:0xf
	v_cndmask_b32_e64 v1, 0, v1, s[36:37]
	v_add_u32_e32 v1, v0, v1
	s_and_saveexec_b64 s[4:5], s[16:17]
	s_cbranch_execz .LBB175_62
; %bb.61:
	ds_write_b32 v74, v1
.LBB175_62:
	s_or_b64 exec, exec, s[4:5]
	v_and_b32_e32 v0, 7, v63
	v_cmp_gt_u32_e64 s[28:29], 8, v42
	v_lshlrev_b32_e32 v41, 2, v42
	v_cmp_eq_u32_e64 s[22:23], 0, v0
	v_cmp_lt_u32_e64 s[20:21], 1, v0
	v_cmp_lt_u32_e64 s[18:19], 3, v0
	s_waitcnt lgkmcnt(0)
	s_barrier
	s_and_saveexec_b64 s[4:5], s[28:29]
	s_cbranch_execz .LBB175_64
; %bb.63:
	ds_read_b32 v0, v41
	s_waitcnt lgkmcnt(0)
	s_nop 0
	v_mov_b32_dpp v83, v0 row_shr:1 row_mask:0xf bank_mask:0xf
	v_cndmask_b32_e64 v83, v83, 0, s[22:23]
	v_add_u32_e32 v0, v83, v0
	s_nop 1
	v_mov_b32_dpp v83, v0 row_shr:2 row_mask:0xf bank_mask:0xf
	v_cndmask_b32_e64 v83, 0, v83, s[20:21]
	v_add_u32_e32 v0, v0, v83
	;; [unrolled: 4-line block ×3, first 2 shown]
	ds_write_b32 v41, v0
.LBB175_64:
	s_or_b64 exec, exec, s[4:5]
	v_cmp_lt_u32_e64 s[38:39], 63, v42
	v_add_u32_e32 v83, -4, v74
	v_mov_b32_e32 v0, 0
	v_mov_b32_e32 v108, 0
	s_waitcnt lgkmcnt(0)
	s_barrier
	s_and_saveexec_b64 s[4:5], s[38:39]
	s_cbranch_execz .LBB175_66
; %bb.65:
	ds_read_b32 v108, v83
.LBB175_66:
	s_or_b64 exec, exec, s[4:5]
	v_add_u32_e32 v84, -1, v63
	v_and_b32_e32 v109, 64, v63
	v_cmp_lt_i32_e64 s[4:5], v84, v109
	v_cndmask_b32_e64 v84, v84, v63, s[4:5]
	v_lshlrev_b32_e32 v84, 2, v84
	s_waitcnt lgkmcnt(0)
	v_add_u32_e32 v1, v108, v1
	ds_bpermute_b32 v1, v84, v1
	v_cmp_eq_u32_e64 s[40:41], 0, v63
	v_cmp_eq_u32_e64 s[42:43], 0, v42
	v_and_or_b32 v109, v63, 63, v64
	v_lshlrev_b32_e32 v110, 1, v109
	s_waitcnt lgkmcnt(0)
	v_cndmask_b32_e64 v1, v1, v108, s[40:41]
	v_cndmask_b32_e64 v1, v1, 0, s[42:43]
	v_add_u32_e32 v38, v1, v38
	v_add_u32_e32 v39, v38, v39
	;; [unrolled: 1-line block ×3, first 2 shown]
	ds_write2_b32 v62, v1, v38 offset0:8 offset1:9
	ds_write2_b32 v73, v39, v40 offset0:2 offset1:3
	s_waitcnt lgkmcnt(0)
	s_barrier
	ds_read_b32 v1, v85 offset:32
	ds_read_b32 v38, v88 offset:32
	;; [unrolled: 1-line block ×8, first 2 shown]
	s_waitcnt lgkmcnt(7)
	v_add_u32_e32 v1, v1, v86
	s_waitcnt lgkmcnt(6)
	v_add3_u32 v38, v89, v87, v38
	s_waitcnt lgkmcnt(4)
	v_add3_u32 v86, v95, v93, v40
	v_lshlrev_b32_e32 v40, 1, v1
	v_add3_u32 v39, v92, v90, v39
	s_waitcnt lgkmcnt(0)
	s_barrier
	ds_write_b16 v40, v82
	v_lshlrev_b32_e32 v40, 1, v38
	ds_write_b16 v40, v81
	v_lshlrev_b32_e32 v40, 1, v39
	v_add3_u32 v85, v98, v96, v85
	ds_write_b16 v40, v80
	v_lshlrev_b32_e32 v40, 1, v86
	v_add3_u32 v87, v101, v99, v88
	;; [unrolled: 3-line block ×4, first 2 shown]
	ds_write_b16 v40, v77
	v_lshlrev_b32_e32 v40, 1, v88
	ds_write_b16 v40, v76
	v_lshlrev_b32_e32 v40, 1, v89
	v_lshlrev_b32_e32 v1, 3, v1
	ds_write_b16 v40, v75
	s_waitcnt lgkmcnt(0)
	s_barrier
	ds_read_u16 v81, v110
	ds_read_u16 v80, v110 offset:128
	ds_read_u16 v79, v110 offset:256
	;; [unrolled: 1-line block ×7, first 2 shown]
	s_waitcnt lgkmcnt(0)
	s_barrier
	ds_write_b64 v1, v[34:35]
	v_lshlrev_b32_e32 v1, 3, v38
	ds_write_b64 v1, v[36:37]
	v_lshlrev_b32_e32 v1, 3, v39
	;; [unrolled: 2-line block ×4, first 2 shown]
	s_min_u32 s4, s46, 8
	ds_write_b64 v1, v[26:27]
	v_lshlrev_b32_e32 v1, 3, v87
	s_lshl_b32 s4, -1, s4
	ds_write_b64 v1, v[28:29]
	v_lshlrev_b32_e32 v1, 3, v88
	s_not_b32 s57, s4
	ds_write_b64 v1, v[22:23]
	v_lshlrev_b32_e32 v1, 3, v89
	v_and_b32_sdwa v38, v81, s57 dst_sel:DWORD dst_unused:UNUSED_PAD src0_sel:BYTE_1 src1_sel:DWORD
	ds_write_b64 v1, v[24:25]
	v_lshlrev_b32_e32 v1, 3, v38
	v_add_lshl_u32 v82, v1, v72, 2
	v_and_b32_e32 v1, 1, v38
	v_add_co_u32_e64 v39, s[4:5], -1, v1
	v_addc_co_u32_e64 v85, s[4:5], 0, -1, s[4:5]
	v_cmp_ne_u32_e64 s[4:5], 0, v1
	v_xor_b32_e32 v1, s5, v85
	v_and_b32_e32 v85, exec_hi, v1
	v_lshlrev_b32_e32 v1, 30, v38
	v_xor_b32_e32 v39, s4, v39
	v_cmp_gt_i64_e64 s[4:5], 0, v[0:1]
	v_not_b32_e32 v1, v1
	v_ashrrev_i32_e32 v1, 31, v1
	v_and_b32_e32 v39, exec_lo, v39
	v_xor_b32_e32 v86, s5, v1
	v_xor_b32_e32 v1, s4, v1
	v_and_b32_e32 v39, v39, v1
	v_lshlrev_b32_e32 v1, 29, v38
	v_cmp_gt_i64_e64 s[4:5], 0, v[0:1]
	v_not_b32_e32 v1, v1
	v_ashrrev_i32_e32 v1, 31, v1
	v_and_b32_e32 v85, v85, v86
	v_xor_b32_e32 v86, s5, v1
	v_xor_b32_e32 v1, s4, v1
	v_and_b32_e32 v39, v39, v1
	v_lshlrev_b32_e32 v1, 28, v38
	v_cmp_gt_i64_e64 s[4:5], 0, v[0:1]
	v_not_b32_e32 v1, v1
	v_ashrrev_i32_e32 v1, 31, v1
	v_and_b32_e32 v85, v85, v86
	;; [unrolled: 8-line block ×5, first 2 shown]
	v_xor_b32_e32 v86, s5, v1
	v_xor_b32_e32 v1, s4, v1
	v_lshlrev_b32_e32 v109, 3, v109
	v_and_b32_e32 v39, v39, v1
	v_lshlrev_b32_e32 v1, 24, v38
	s_waitcnt lgkmcnt(0)
	s_barrier
	ds_read2st64_b64 v[34:37], v109 offset1:1
	ds_read2st64_b64 v[30:33], v109 offset0:2 offset1:3
	ds_read2st64_b64 v[26:29], v109 offset0:4 offset1:5
	;; [unrolled: 1-line block ×3, first 2 shown]
	s_waitcnt lgkmcnt(0)
	s_barrier
	ds_write2_b32 v62, v0, v0 offset0:8 offset1:9
	ds_write2_b32 v73, v0, v0 offset0:2 offset1:3
	v_cmp_gt_i64_e64 s[4:5], 0, v[0:1]
	v_not_b32_e32 v0, v1
	v_ashrrev_i32_e32 v0, 31, v0
	v_xor_b32_e32 v1, s5, v0
	v_xor_b32_e32 v0, s4, v0
	v_and_b32_e32 v85, v85, v86
	v_and_b32_e32 v0, v39, v0
	;; [unrolled: 1-line block ×3, first 2 shown]
	v_mbcnt_lo_u32_b32 v38, v0, 0
	v_mbcnt_hi_u32_b32 v85, v1, v38
	v_cmp_eq_u32_e64 s[4:5], 0, v85
	v_cmp_ne_u64_e64 s[46:47], 0, v[0:1]
	s_and_b64 s[46:47], s[46:47], s[4:5]
	s_waitcnt lgkmcnt(0)
	s_barrier
	s_waitcnt lgkmcnt(0)
	; wave barrier
	s_and_saveexec_b64 s[4:5], s[46:47]
	s_cbranch_execz .LBB175_68
; %bb.67:
	v_bcnt_u32_b32 v0, v0, 0
	v_bcnt_u32_b32 v0, v1, v0
	ds_write_b32 v82, v0 offset:32
.LBB175_68:
	s_or_b64 exec, exec, s[4:5]
	v_and_b32_sdwa v38, v80, s57 dst_sel:DWORD dst_unused:UNUSED_PAD src0_sel:BYTE_1 src1_sel:DWORD
	v_and_b32_e32 v1, 1, v38
	v_add_co_u32_e64 v39, s[4:5], -1, v1
	v_addc_co_u32_e64 v88, s[4:5], 0, -1, s[4:5]
	v_cmp_ne_u32_e64 s[4:5], 0, v1
	v_lshlrev_b32_e32 v0, 3, v38
	v_xor_b32_e32 v1, s5, v88
	v_add_lshl_u32 v87, v0, v72, 2
	v_mov_b32_e32 v0, 0
	v_and_b32_e32 v88, exec_hi, v1
	v_lshlrev_b32_e32 v1, 30, v38
	v_xor_b32_e32 v39, s4, v39
	v_cmp_gt_i64_e64 s[4:5], 0, v[0:1]
	v_not_b32_e32 v1, v1
	v_ashrrev_i32_e32 v1, 31, v1
	v_and_b32_e32 v39, exec_lo, v39
	v_xor_b32_e32 v89, s5, v1
	v_xor_b32_e32 v1, s4, v1
	v_and_b32_e32 v39, v39, v1
	v_lshlrev_b32_e32 v1, 29, v38
	v_cmp_gt_i64_e64 s[4:5], 0, v[0:1]
	v_not_b32_e32 v1, v1
	v_ashrrev_i32_e32 v1, 31, v1
	v_and_b32_e32 v88, v88, v89
	v_xor_b32_e32 v89, s5, v1
	v_xor_b32_e32 v1, s4, v1
	v_and_b32_e32 v39, v39, v1
	v_lshlrev_b32_e32 v1, 28, v38
	v_cmp_gt_i64_e64 s[4:5], 0, v[0:1]
	v_not_b32_e32 v1, v1
	v_ashrrev_i32_e32 v1, 31, v1
	v_and_b32_e32 v88, v88, v89
	;; [unrolled: 8-line block ×5, first 2 shown]
	v_xor_b32_e32 v89, s5, v1
	v_xor_b32_e32 v1, s4, v1
	v_and_b32_e32 v88, v88, v89
	v_and_b32_e32 v89, v39, v1
	v_lshlrev_b32_e32 v1, 24, v38
	v_cmp_gt_i64_e64 s[4:5], 0, v[0:1]
	v_not_b32_e32 v1, v1
	v_ashrrev_i32_e32 v1, 31, v1
	v_xor_b32_e32 v38, s5, v1
	v_xor_b32_e32 v1, s4, v1
	; wave barrier
	ds_read_b32 v86, v87 offset:32
	v_and_b32_e32 v39, v88, v38
	v_and_b32_e32 v38, v89, v1
	v_mbcnt_lo_u32_b32 v1, v38, 0
	v_mbcnt_hi_u32_b32 v88, v39, v1
	v_cmp_eq_u32_e64 s[4:5], 0, v88
	v_cmp_ne_u64_e64 s[46:47], 0, v[38:39]
	s_and_b64 s[46:47], s[46:47], s[4:5]
	; wave barrier
	s_and_saveexec_b64 s[4:5], s[46:47]
	s_cbranch_execz .LBB175_70
; %bb.69:
	v_bcnt_u32_b32 v1, v38, 0
	v_bcnt_u32_b32 v1, v39, v1
	s_waitcnt lgkmcnt(0)
	v_add_u32_e32 v1, v86, v1
	ds_write_b32 v87, v1 offset:32
.LBB175_70:
	s_or_b64 exec, exec, s[4:5]
	v_and_b32_sdwa v38, v79, s57 dst_sel:DWORD dst_unused:UNUSED_PAD src0_sel:BYTE_1 src1_sel:DWORD
	v_lshlrev_b32_e32 v1, 3, v38
	v_add_lshl_u32 v90, v1, v72, 2
	v_and_b32_e32 v1, 1, v38
	v_add_co_u32_e64 v39, s[4:5], -1, v1
	v_addc_co_u32_e64 v91, s[4:5], 0, -1, s[4:5]
	v_cmp_ne_u32_e64 s[4:5], 0, v1
	v_xor_b32_e32 v1, s5, v91
	v_and_b32_e32 v91, exec_hi, v1
	v_lshlrev_b32_e32 v1, 30, v38
	v_xor_b32_e32 v39, s4, v39
	v_cmp_gt_i64_e64 s[4:5], 0, v[0:1]
	v_not_b32_e32 v1, v1
	v_ashrrev_i32_e32 v1, 31, v1
	v_and_b32_e32 v39, exec_lo, v39
	v_xor_b32_e32 v92, s5, v1
	v_xor_b32_e32 v1, s4, v1
	v_and_b32_e32 v39, v39, v1
	v_lshlrev_b32_e32 v1, 29, v38
	v_cmp_gt_i64_e64 s[4:5], 0, v[0:1]
	v_not_b32_e32 v1, v1
	v_ashrrev_i32_e32 v1, 31, v1
	v_and_b32_e32 v91, v91, v92
	v_xor_b32_e32 v92, s5, v1
	v_xor_b32_e32 v1, s4, v1
	v_and_b32_e32 v39, v39, v1
	v_lshlrev_b32_e32 v1, 28, v38
	v_cmp_gt_i64_e64 s[4:5], 0, v[0:1]
	v_not_b32_e32 v1, v1
	v_ashrrev_i32_e32 v1, 31, v1
	v_and_b32_e32 v91, v91, v92
	;; [unrolled: 8-line block ×5, first 2 shown]
	v_xor_b32_e32 v92, s5, v1
	v_xor_b32_e32 v1, s4, v1
	v_and_b32_e32 v39, v39, v1
	v_lshlrev_b32_e32 v1, 24, v38
	v_cmp_gt_i64_e64 s[4:5], 0, v[0:1]
	v_not_b32_e32 v0, v1
	v_ashrrev_i32_e32 v0, 31, v0
	v_xor_b32_e32 v1, s5, v0
	v_xor_b32_e32 v0, s4, v0
	; wave barrier
	ds_read_b32 v89, v90 offset:32
	v_and_b32_e32 v91, v91, v92
	v_and_b32_e32 v0, v39, v0
	;; [unrolled: 1-line block ×3, first 2 shown]
	v_mbcnt_lo_u32_b32 v38, v0, 0
	v_mbcnt_hi_u32_b32 v91, v1, v38
	v_cmp_eq_u32_e64 s[4:5], 0, v91
	v_cmp_ne_u64_e64 s[46:47], 0, v[0:1]
	s_and_b64 s[46:47], s[46:47], s[4:5]
	; wave barrier
	s_and_saveexec_b64 s[4:5], s[46:47]
	s_cbranch_execz .LBB175_72
; %bb.71:
	v_bcnt_u32_b32 v0, v0, 0
	v_bcnt_u32_b32 v0, v1, v0
	s_waitcnt lgkmcnt(0)
	v_add_u32_e32 v0, v89, v0
	ds_write_b32 v90, v0 offset:32
.LBB175_72:
	s_or_b64 exec, exec, s[4:5]
	v_and_b32_sdwa v38, v78, s57 dst_sel:DWORD dst_unused:UNUSED_PAD src0_sel:BYTE_1 src1_sel:DWORD
	v_and_b32_e32 v1, 1, v38
	v_add_co_u32_e64 v39, s[4:5], -1, v1
	v_addc_co_u32_e64 v94, s[4:5], 0, -1, s[4:5]
	v_cmp_ne_u32_e64 s[4:5], 0, v1
	v_lshlrev_b32_e32 v0, 3, v38
	v_xor_b32_e32 v1, s5, v94
	v_add_lshl_u32 v93, v0, v72, 2
	v_mov_b32_e32 v0, 0
	v_and_b32_e32 v94, exec_hi, v1
	v_lshlrev_b32_e32 v1, 30, v38
	v_xor_b32_e32 v39, s4, v39
	v_cmp_gt_i64_e64 s[4:5], 0, v[0:1]
	v_not_b32_e32 v1, v1
	v_ashrrev_i32_e32 v1, 31, v1
	v_and_b32_e32 v39, exec_lo, v39
	v_xor_b32_e32 v95, s5, v1
	v_xor_b32_e32 v1, s4, v1
	v_and_b32_e32 v39, v39, v1
	v_lshlrev_b32_e32 v1, 29, v38
	v_cmp_gt_i64_e64 s[4:5], 0, v[0:1]
	v_not_b32_e32 v1, v1
	v_ashrrev_i32_e32 v1, 31, v1
	v_and_b32_e32 v94, v94, v95
	v_xor_b32_e32 v95, s5, v1
	v_xor_b32_e32 v1, s4, v1
	v_and_b32_e32 v39, v39, v1
	v_lshlrev_b32_e32 v1, 28, v38
	v_cmp_gt_i64_e64 s[4:5], 0, v[0:1]
	v_not_b32_e32 v1, v1
	v_ashrrev_i32_e32 v1, 31, v1
	v_and_b32_e32 v94, v94, v95
	;; [unrolled: 8-line block ×5, first 2 shown]
	v_xor_b32_e32 v95, s5, v1
	v_xor_b32_e32 v1, s4, v1
	v_and_b32_e32 v94, v94, v95
	v_and_b32_e32 v95, v39, v1
	v_lshlrev_b32_e32 v1, 24, v38
	v_cmp_gt_i64_e64 s[4:5], 0, v[0:1]
	v_not_b32_e32 v1, v1
	v_ashrrev_i32_e32 v1, 31, v1
	v_xor_b32_e32 v38, s5, v1
	v_xor_b32_e32 v1, s4, v1
	; wave barrier
	ds_read_b32 v92, v93 offset:32
	v_and_b32_e32 v39, v94, v38
	v_and_b32_e32 v38, v95, v1
	v_mbcnt_lo_u32_b32 v1, v38, 0
	v_mbcnt_hi_u32_b32 v94, v39, v1
	v_cmp_eq_u32_e64 s[4:5], 0, v94
	v_cmp_ne_u64_e64 s[46:47], 0, v[38:39]
	s_and_b64 s[46:47], s[46:47], s[4:5]
	; wave barrier
	s_and_saveexec_b64 s[4:5], s[46:47]
	s_cbranch_execz .LBB175_74
; %bb.73:
	v_bcnt_u32_b32 v1, v38, 0
	v_bcnt_u32_b32 v1, v39, v1
	s_waitcnt lgkmcnt(0)
	v_add_u32_e32 v1, v92, v1
	ds_write_b32 v93, v1 offset:32
.LBB175_74:
	s_or_b64 exec, exec, s[4:5]
	v_and_b32_sdwa v38, v77, s57 dst_sel:DWORD dst_unused:UNUSED_PAD src0_sel:BYTE_1 src1_sel:DWORD
	v_lshlrev_b32_e32 v1, 3, v38
	v_add_lshl_u32 v96, v1, v72, 2
	v_and_b32_e32 v1, 1, v38
	v_add_co_u32_e64 v39, s[4:5], -1, v1
	v_addc_co_u32_e64 v97, s[4:5], 0, -1, s[4:5]
	v_cmp_ne_u32_e64 s[4:5], 0, v1
	v_xor_b32_e32 v1, s5, v97
	v_and_b32_e32 v97, exec_hi, v1
	v_lshlrev_b32_e32 v1, 30, v38
	v_xor_b32_e32 v39, s4, v39
	v_cmp_gt_i64_e64 s[4:5], 0, v[0:1]
	v_not_b32_e32 v1, v1
	v_ashrrev_i32_e32 v1, 31, v1
	v_and_b32_e32 v39, exec_lo, v39
	v_xor_b32_e32 v98, s5, v1
	v_xor_b32_e32 v1, s4, v1
	v_and_b32_e32 v39, v39, v1
	v_lshlrev_b32_e32 v1, 29, v38
	v_cmp_gt_i64_e64 s[4:5], 0, v[0:1]
	v_not_b32_e32 v1, v1
	v_ashrrev_i32_e32 v1, 31, v1
	v_and_b32_e32 v97, v97, v98
	v_xor_b32_e32 v98, s5, v1
	v_xor_b32_e32 v1, s4, v1
	v_and_b32_e32 v39, v39, v1
	v_lshlrev_b32_e32 v1, 28, v38
	v_cmp_gt_i64_e64 s[4:5], 0, v[0:1]
	v_not_b32_e32 v1, v1
	v_ashrrev_i32_e32 v1, 31, v1
	v_and_b32_e32 v97, v97, v98
	;; [unrolled: 8-line block ×5, first 2 shown]
	v_xor_b32_e32 v98, s5, v1
	v_xor_b32_e32 v1, s4, v1
	v_and_b32_e32 v39, v39, v1
	v_lshlrev_b32_e32 v1, 24, v38
	v_cmp_gt_i64_e64 s[4:5], 0, v[0:1]
	v_not_b32_e32 v0, v1
	v_ashrrev_i32_e32 v0, 31, v0
	v_xor_b32_e32 v1, s5, v0
	v_xor_b32_e32 v0, s4, v0
	; wave barrier
	ds_read_b32 v95, v96 offset:32
	v_and_b32_e32 v97, v97, v98
	v_and_b32_e32 v0, v39, v0
	;; [unrolled: 1-line block ×3, first 2 shown]
	v_mbcnt_lo_u32_b32 v38, v0, 0
	v_mbcnt_hi_u32_b32 v97, v1, v38
	v_cmp_eq_u32_e64 s[4:5], 0, v97
	v_cmp_ne_u64_e64 s[46:47], 0, v[0:1]
	s_and_b64 s[46:47], s[46:47], s[4:5]
	; wave barrier
	s_and_saveexec_b64 s[4:5], s[46:47]
	s_cbranch_execz .LBB175_76
; %bb.75:
	v_bcnt_u32_b32 v0, v0, 0
	v_bcnt_u32_b32 v0, v1, v0
	s_waitcnt lgkmcnt(0)
	v_add_u32_e32 v0, v95, v0
	ds_write_b32 v96, v0 offset:32
.LBB175_76:
	s_or_b64 exec, exec, s[4:5]
	v_and_b32_sdwa v38, v76, s57 dst_sel:DWORD dst_unused:UNUSED_PAD src0_sel:BYTE_1 src1_sel:DWORD
	v_and_b32_e32 v1, 1, v38
	v_add_co_u32_e64 v39, s[4:5], -1, v1
	v_addc_co_u32_e64 v100, s[4:5], 0, -1, s[4:5]
	v_cmp_ne_u32_e64 s[4:5], 0, v1
	v_lshlrev_b32_e32 v0, 3, v38
	v_xor_b32_e32 v1, s5, v100
	v_add_lshl_u32 v99, v0, v72, 2
	v_mov_b32_e32 v0, 0
	v_and_b32_e32 v100, exec_hi, v1
	v_lshlrev_b32_e32 v1, 30, v38
	v_xor_b32_e32 v39, s4, v39
	v_cmp_gt_i64_e64 s[4:5], 0, v[0:1]
	v_not_b32_e32 v1, v1
	v_ashrrev_i32_e32 v1, 31, v1
	v_and_b32_e32 v39, exec_lo, v39
	v_xor_b32_e32 v101, s5, v1
	v_xor_b32_e32 v1, s4, v1
	v_and_b32_e32 v39, v39, v1
	v_lshlrev_b32_e32 v1, 29, v38
	v_cmp_gt_i64_e64 s[4:5], 0, v[0:1]
	v_not_b32_e32 v1, v1
	v_ashrrev_i32_e32 v1, 31, v1
	v_and_b32_e32 v100, v100, v101
	v_xor_b32_e32 v101, s5, v1
	v_xor_b32_e32 v1, s4, v1
	v_and_b32_e32 v39, v39, v1
	v_lshlrev_b32_e32 v1, 28, v38
	v_cmp_gt_i64_e64 s[4:5], 0, v[0:1]
	v_not_b32_e32 v1, v1
	v_ashrrev_i32_e32 v1, 31, v1
	v_and_b32_e32 v100, v100, v101
	;; [unrolled: 8-line block ×5, first 2 shown]
	v_xor_b32_e32 v101, s5, v1
	v_xor_b32_e32 v1, s4, v1
	v_and_b32_e32 v100, v100, v101
	v_and_b32_e32 v101, v39, v1
	v_lshlrev_b32_e32 v1, 24, v38
	v_cmp_gt_i64_e64 s[4:5], 0, v[0:1]
	v_not_b32_e32 v1, v1
	v_ashrrev_i32_e32 v1, 31, v1
	v_xor_b32_e32 v38, s5, v1
	v_xor_b32_e32 v1, s4, v1
	; wave barrier
	ds_read_b32 v98, v99 offset:32
	v_and_b32_e32 v39, v100, v38
	v_and_b32_e32 v38, v101, v1
	v_mbcnt_lo_u32_b32 v1, v38, 0
	v_mbcnt_hi_u32_b32 v100, v39, v1
	v_cmp_eq_u32_e64 s[4:5], 0, v100
	v_cmp_ne_u64_e64 s[46:47], 0, v[38:39]
	s_and_b64 s[46:47], s[46:47], s[4:5]
	; wave barrier
	s_and_saveexec_b64 s[4:5], s[46:47]
	s_cbranch_execz .LBB175_78
; %bb.77:
	v_bcnt_u32_b32 v1, v38, 0
	v_bcnt_u32_b32 v1, v39, v1
	s_waitcnt lgkmcnt(0)
	v_add_u32_e32 v1, v98, v1
	ds_write_b32 v99, v1 offset:32
.LBB175_78:
	s_or_b64 exec, exec, s[4:5]
	v_and_b32_sdwa v38, v75, s57 dst_sel:DWORD dst_unused:UNUSED_PAD src0_sel:BYTE_1 src1_sel:DWORD
	v_lshlrev_b32_e32 v1, 3, v38
	v_add_lshl_u32 v102, v1, v72, 2
	v_and_b32_e32 v1, 1, v38
	v_add_co_u32_e64 v39, s[4:5], -1, v1
	v_addc_co_u32_e64 v103, s[4:5], 0, -1, s[4:5]
	v_cmp_ne_u32_e64 s[4:5], 0, v1
	v_xor_b32_e32 v1, s5, v103
	v_and_b32_e32 v103, exec_hi, v1
	v_lshlrev_b32_e32 v1, 30, v38
	v_xor_b32_e32 v39, s4, v39
	v_cmp_gt_i64_e64 s[4:5], 0, v[0:1]
	v_not_b32_e32 v1, v1
	v_ashrrev_i32_e32 v1, 31, v1
	v_and_b32_e32 v39, exec_lo, v39
	v_xor_b32_e32 v104, s5, v1
	v_xor_b32_e32 v1, s4, v1
	v_and_b32_e32 v39, v39, v1
	v_lshlrev_b32_e32 v1, 29, v38
	v_cmp_gt_i64_e64 s[4:5], 0, v[0:1]
	v_not_b32_e32 v1, v1
	v_ashrrev_i32_e32 v1, 31, v1
	v_and_b32_e32 v103, v103, v104
	v_xor_b32_e32 v104, s5, v1
	v_xor_b32_e32 v1, s4, v1
	v_and_b32_e32 v39, v39, v1
	v_lshlrev_b32_e32 v1, 28, v38
	v_cmp_gt_i64_e64 s[4:5], 0, v[0:1]
	v_not_b32_e32 v1, v1
	v_ashrrev_i32_e32 v1, 31, v1
	v_and_b32_e32 v103, v103, v104
	;; [unrolled: 8-line block ×5, first 2 shown]
	v_xor_b32_e32 v104, s5, v1
	v_xor_b32_e32 v1, s4, v1
	v_and_b32_e32 v39, v39, v1
	v_lshlrev_b32_e32 v1, 24, v38
	v_cmp_gt_i64_e64 s[4:5], 0, v[0:1]
	v_not_b32_e32 v0, v1
	v_ashrrev_i32_e32 v0, 31, v0
	v_xor_b32_e32 v1, s5, v0
	v_xor_b32_e32 v0, s4, v0
	; wave barrier
	ds_read_b32 v101, v102 offset:32
	v_and_b32_e32 v103, v103, v104
	v_and_b32_e32 v0, v39, v0
	v_and_b32_e32 v1, v103, v1
	v_mbcnt_lo_u32_b32 v38, v0, 0
	v_mbcnt_hi_u32_b32 v103, v1, v38
	v_cmp_eq_u32_e64 s[4:5], 0, v103
	v_cmp_ne_u64_e64 s[46:47], 0, v[0:1]
	s_and_b64 s[46:47], s[46:47], s[4:5]
	; wave barrier
	s_and_saveexec_b64 s[4:5], s[46:47]
	s_cbranch_execz .LBB175_80
; %bb.79:
	v_bcnt_u32_b32 v0, v0, 0
	v_bcnt_u32_b32 v0, v1, v0
	s_waitcnt lgkmcnt(0)
	v_add_u32_e32 v0, v101, v0
	ds_write_b32 v102, v0 offset:32
.LBB175_80:
	s_or_b64 exec, exec, s[4:5]
	v_and_b32_sdwa v38, v40, s57 dst_sel:DWORD dst_unused:UNUSED_PAD src0_sel:BYTE_1 src1_sel:DWORD
	v_and_b32_e32 v1, 1, v38
	v_add_co_u32_e64 v39, s[4:5], -1, v1
	v_addc_co_u32_e64 v105, s[4:5], 0, -1, s[4:5]
	v_cmp_ne_u32_e64 s[4:5], 0, v1
	v_lshlrev_b32_e32 v0, 3, v38
	v_xor_b32_e32 v1, s5, v105
	v_add_lshl_u32 v104, v0, v72, 2
	v_mov_b32_e32 v0, 0
	v_and_b32_e32 v105, exec_hi, v1
	v_lshlrev_b32_e32 v1, 30, v38
	v_xor_b32_e32 v39, s4, v39
	v_cmp_gt_i64_e64 s[4:5], 0, v[0:1]
	v_not_b32_e32 v1, v1
	v_ashrrev_i32_e32 v1, 31, v1
	v_and_b32_e32 v39, exec_lo, v39
	v_xor_b32_e32 v106, s5, v1
	v_xor_b32_e32 v1, s4, v1
	v_and_b32_e32 v39, v39, v1
	v_lshlrev_b32_e32 v1, 29, v38
	v_cmp_gt_i64_e64 s[4:5], 0, v[0:1]
	v_not_b32_e32 v1, v1
	v_ashrrev_i32_e32 v1, 31, v1
	v_and_b32_e32 v105, v105, v106
	v_xor_b32_e32 v106, s5, v1
	v_xor_b32_e32 v1, s4, v1
	v_and_b32_e32 v39, v39, v1
	v_lshlrev_b32_e32 v1, 28, v38
	v_cmp_gt_i64_e64 s[4:5], 0, v[0:1]
	v_not_b32_e32 v1, v1
	v_ashrrev_i32_e32 v1, 31, v1
	v_and_b32_e32 v105, v105, v106
	;; [unrolled: 8-line block ×5, first 2 shown]
	v_xor_b32_e32 v106, s5, v1
	v_xor_b32_e32 v1, s4, v1
	v_and_b32_e32 v39, v39, v1
	v_lshlrev_b32_e32 v1, 24, v38
	v_cmp_gt_i64_e64 s[4:5], 0, v[0:1]
	v_not_b32_e32 v0, v1
	v_ashrrev_i32_e32 v0, 31, v0
	v_xor_b32_e32 v1, s5, v0
	v_xor_b32_e32 v0, s4, v0
	; wave barrier
	ds_read_b32 v72, v104 offset:32
	v_and_b32_e32 v105, v105, v106
	v_and_b32_e32 v0, v39, v0
	;; [unrolled: 1-line block ×3, first 2 shown]
	v_mbcnt_lo_u32_b32 v38, v0, 0
	v_mbcnt_hi_u32_b32 v105, v1, v38
	v_cmp_eq_u32_e64 s[4:5], 0, v105
	v_cmp_ne_u64_e64 s[46:47], 0, v[0:1]
	s_and_b64 s[46:47], s[46:47], s[4:5]
	; wave barrier
	s_and_saveexec_b64 s[4:5], s[46:47]
	s_cbranch_execz .LBB175_82
; %bb.81:
	v_bcnt_u32_b32 v0, v0, 0
	v_bcnt_u32_b32 v0, v1, v0
	s_waitcnt lgkmcnt(0)
	v_add_u32_e32 v0, v72, v0
	ds_write_b32 v104, v0 offset:32
.LBB175_82:
	s_or_b64 exec, exec, s[4:5]
	; wave barrier
	s_waitcnt lgkmcnt(0)
	s_barrier
	ds_read2_b32 v[38:39], v62 offset0:8 offset1:9
	ds_read2_b32 v[0:1], v73 offset0:2 offset1:3
	s_waitcnt lgkmcnt(1)
	v_add_u32_e32 v106, v39, v38
	s_waitcnt lgkmcnt(0)
	v_add3_u32 v1, v106, v0, v1
	s_nop 1
	v_mov_b32_dpp v106, v1 row_shr:1 row_mask:0xf bank_mask:0xf
	v_cndmask_b32_e64 v106, v106, 0, s[24:25]
	v_add_u32_e32 v1, v106, v1
	s_nop 1
	v_mov_b32_dpp v106, v1 row_shr:2 row_mask:0xf bank_mask:0xf
	v_cndmask_b32_e64 v106, 0, v106, s[26:27]
	v_add_u32_e32 v1, v1, v106
	s_nop 1
	v_mov_b32_dpp v106, v1 row_shr:4 row_mask:0xf bank_mask:0xf
	v_cndmask_b32_e64 v106, 0, v106, s[30:31]
	v_add_u32_e32 v1, v1, v106
	s_nop 1
	v_mov_b32_dpp v106, v1 row_shr:8 row_mask:0xf bank_mask:0xf
	v_cndmask_b32_e64 v106, 0, v106, s[34:35]
	v_add_u32_e32 v1, v1, v106
	s_nop 1
	v_mov_b32_dpp v106, v1 row_bcast:15 row_mask:0xf bank_mask:0xf
	v_cndmask_b32_e64 v106, v106, 0, vcc
	v_add_u32_e32 v1, v1, v106
	s_nop 1
	v_mov_b32_dpp v106, v1 row_bcast:31 row_mask:0xf bank_mask:0xf
	v_cndmask_b32_e64 v106, 0, v106, s[36:37]
	v_add_u32_e32 v1, v1, v106
	s_and_saveexec_b64 s[4:5], s[16:17]
	s_cbranch_execz .LBB175_84
; %bb.83:
	ds_write_b32 v74, v1
.LBB175_84:
	s_or_b64 exec, exec, s[4:5]
	s_waitcnt lgkmcnt(0)
	s_barrier
	s_and_saveexec_b64 s[4:5], s[28:29]
	s_cbranch_execz .LBB175_86
; %bb.85:
	ds_read_b32 v74, v41
	s_waitcnt lgkmcnt(0)
	s_nop 0
	v_mov_b32_dpp v106, v74 row_shr:1 row_mask:0xf bank_mask:0xf
	v_cndmask_b32_e64 v106, v106, 0, s[22:23]
	v_add_u32_e32 v74, v106, v74
	s_nop 1
	v_mov_b32_dpp v106, v74 row_shr:2 row_mask:0xf bank_mask:0xf
	v_cndmask_b32_e64 v106, 0, v106, s[20:21]
	v_add_u32_e32 v74, v74, v106
	;; [unrolled: 4-line block ×3, first 2 shown]
	ds_write_b32 v41, v74
.LBB175_86:
	s_or_b64 exec, exec, s[4:5]
	v_mov_b32_e32 v41, 0
	s_waitcnt lgkmcnt(0)
	s_barrier
	s_and_saveexec_b64 s[4:5], s[38:39]
	s_cbranch_execz .LBB175_88
; %bb.87:
	ds_read_b32 v41, v83
.LBB175_88:
	s_or_b64 exec, exec, s[4:5]
	s_waitcnt lgkmcnt(0)
	v_add_u32_e32 v1, v41, v1
	ds_bpermute_b32 v1, v84, v1
	s_waitcnt lgkmcnt(0)
	v_cndmask_b32_e64 v1, v1, v41, s[40:41]
	v_cndmask_b32_e64 v1, v1, 0, s[42:43]
	v_add_u32_e32 v38, v1, v38
	v_add_u32_e32 v39, v38, v39
	;; [unrolled: 1-line block ×3, first 2 shown]
	ds_write2_b32 v62, v1, v38 offset0:8 offset1:9
	ds_write2_b32 v73, v39, v0 offset0:2 offset1:3
	s_waitcnt lgkmcnt(0)
	s_barrier
	ds_read_b32 v0, v104 offset:32
	ds_read_b32 v1, v102 offset:32
	;; [unrolled: 1-line block ×4, first 2 shown]
	s_waitcnt lgkmcnt(3)
	v_add3_u32 v0, v105, v72, v0
	s_waitcnt lgkmcnt(2)
	v_add3_u32 v1, v103, v101, v1
	;; [unrolled: 2-line block ×3, first 2 shown]
	ds_read_b32 v38, v93 offset:32
	ds_read_b32 v41, v90 offset:32
	;; [unrolled: 1-line block ×4, first 2 shown]
	s_waitcnt lgkmcnt(0)
	s_barrier
	v_add3_u32 v41, v91, v89, v41
	v_add3_u32 v73, v88, v86, v73
	v_add_u32_e32 v74, v74, v85
	v_lshlrev_b32_e32 v82, 1, v74
	ds_write_b16 v82, v81
	v_lshlrev_b32_e32 v81, 1, v73
	v_add3_u32 v38, v94, v92, v38
	ds_write_b16 v81, v80
	v_lshlrev_b32_e32 v80, 1, v41
	v_add3_u32 v39, v97, v95, v39
	ds_write_b16 v80, v79
	v_lshlrev_b32_e32 v79, 1, v38
	ds_write_b16 v79, v78
	v_lshlrev_b32_e32 v78, 1, v39
	;; [unrolled: 2-line block ×6, first 2 shown]
	v_lshlrev_b32_e32 v74, 3, v74
	v_lshlrev_b32_e32 v78, 3, v53
	s_waitcnt lgkmcnt(0)
	s_barrier
	v_lshlrev_b32_e32 v73, 3, v73
	v_lshlrev_b32_e32 v75, 3, v41
	;; [unrolled: 1-line block ×4, first 2 shown]
	ds_read_b128 v[38:41], v40
	v_lshlrev_b32_e32 v72, 3, v72
	v_lshlrev_b32_e32 v1, 3, v1
	;; [unrolled: 1-line block ×3, first 2 shown]
	s_waitcnt lgkmcnt(0)
	s_barrier
	ds_write_b64 v74, v[34:35]
	ds_write_b64 v73, v[36:37]
	;; [unrolled: 1-line block ×8, first 2 shown]
	s_waitcnt lgkmcnt(0)
	s_barrier
	ds_read2_b64 v[22:25], v78 offset1:1
	ds_read2_b64 v[26:29], v78 offset0:2 offset1:3
	ds_read2_b64 v[30:33], v78 offset0:4 offset1:5
	ds_read2_b64 v[34:37], v78 offset0:6 offset1:7
	v_xor_b32_e32 v38, 0x80008000, v38
	v_xor_b32_e32 v39, 0x80008000, v39
	;; [unrolled: 1-line block ×4, first 2 shown]
	s_branch .LBB175_142
.LBB175_89:
	v_mad_u64_u32 v[2:3], s[16:17], v42, s50, 0
	v_mov_b32_e32 v4, v3
	v_mad_u64_u32 v[4:5], s[16:17], v42, s51, v[4:5]
	v_mov_b32_e32 v3, v4
	v_lshlrev_b64 v[2:3], 3, v[2:3]
	v_mov_b32_e32 v4, s56
	v_add_co_u32_e32 v2, vcc, s55, v2
	v_addc_co_u32_e32 v3, vcc, v4, v3, vcc
	global_load_dwordx2 v[2:3], v[2:3], off
	v_mov_b32_e32 v4, 0
	v_mov_b32_e32 v5, v4
	;; [unrolled: 1-line block ×14, first 2 shown]
	s_or_b64 exec, exec, s[4:5]
	s_and_saveexec_b64 s[4:5], s[2:3]
	s_cbranch_execz .LBB175_36
.LBB175_90:
	v_mad_u64_u32 v[4:5], s[16:17], v1, s50, 0
	v_mov_b32_e32 v38, v5
	v_mad_u64_u32 v[38:39], s[16:17], v1, s51, v[38:39]
	v_mov_b32_e32 v5, v38
	v_lshlrev_b64 v[4:5], 3, v[4:5]
	v_mov_b32_e32 v1, s56
	v_add_co_u32_e32 v4, vcc, s55, v4
	v_addc_co_u32_e32 v5, vcc, v1, v5, vcc
	global_load_dwordx2 v[4:5], v[4:5], off
	s_or_b64 exec, exec, s[4:5]
	s_and_saveexec_b64 s[4:5], s[44:45]
	s_cbranch_execz .LBB175_37
.LBB175_91:
	v_mad_u64_u32 v[6:7], s[16:17], v22, s50, 0
	v_mov_b32_e32 v38, v7
	v_mad_u64_u32 v[38:39], s[16:17], v22, s51, v[38:39]
	v_mov_b32_e32 v7, v38
	v_lshlrev_b64 v[6:7], 3, v[6:7]
	v_mov_b32_e32 v1, s56
	v_add_co_u32_e32 v6, vcc, s55, v6
	v_addc_co_u32_e32 v7, vcc, v1, v7, vcc
	global_load_dwordx2 v[6:7], v[6:7], off
	s_or_b64 exec, exec, s[4:5]
	s_and_saveexec_b64 s[4:5], s[6:7]
	s_cbranch_execz .LBB175_38
.LBB175_92:
	v_mad_u64_u32 v[8:9], s[16:17], v23, s50, 0
	v_mov_b32_e32 v22, v9
	v_mad_u64_u32 v[22:23], s[16:17], v23, s51, v[22:23]
	v_mov_b32_e32 v9, v22
	v_lshlrev_b64 v[8:9], 3, v[8:9]
	v_mov_b32_e32 v1, s56
	v_add_co_u32_e32 v8, vcc, s55, v8
	v_addc_co_u32_e32 v9, vcc, v1, v9, vcc
	global_load_dwordx2 v[8:9], v[8:9], off
	s_or_b64 exec, exec, s[4:5]
	s_and_saveexec_b64 s[4:5], s[8:9]
	s_cbranch_execz .LBB175_39
.LBB175_93:
	v_mad_u64_u32 v[10:11], s[16:17], v24, s50, 0
	v_mov_b32_e32 v22, v11
	v_mad_u64_u32 v[22:23], s[16:17], v24, s51, v[22:23]
	v_mov_b32_e32 v11, v22
	v_lshlrev_b64 v[10:11], 3, v[10:11]
	v_mov_b32_e32 v1, s56
	v_add_co_u32_e32 v10, vcc, s55, v10
	v_addc_co_u32_e32 v11, vcc, v1, v11, vcc
	global_load_dwordx2 v[10:11], v[10:11], off
	s_or_b64 exec, exec, s[4:5]
	s_and_saveexec_b64 s[4:5], s[10:11]
	s_cbranch_execz .LBB175_40
.LBB175_94:
	v_mad_u64_u32 v[12:13], s[16:17], v25, s50, 0
	v_mov_b32_e32 v22, v13
	v_mad_u64_u32 v[22:23], s[16:17], v25, s51, v[22:23]
	v_mov_b32_e32 v13, v22
	v_lshlrev_b64 v[12:13], 3, v[12:13]
	v_mov_b32_e32 v1, s56
	v_add_co_u32_e32 v12, vcc, s55, v12
	v_addc_co_u32_e32 v13, vcc, v1, v13, vcc
	global_load_dwordx2 v[12:13], v[12:13], off
	s_or_b64 exec, exec, s[4:5]
	s_and_saveexec_b64 s[4:5], s[12:13]
	s_cbranch_execz .LBB175_41
.LBB175_95:
	v_mad_u64_u32 v[14:15], s[16:17], v26, s50, 0
	v_mov_b32_e32 v22, v15
	v_mad_u64_u32 v[22:23], s[16:17], v26, s51, v[22:23]
	v_mov_b32_e32 v15, v22
	v_lshlrev_b64 v[14:15], 3, v[14:15]
	v_mov_b32_e32 v1, s56
	v_add_co_u32_e32 v14, vcc, s55, v14
	v_addc_co_u32_e32 v15, vcc, v1, v15, vcc
	global_load_dwordx2 v[14:15], v[14:15], off
	s_or_b64 exec, exec, s[4:5]
	s_xor_b64 s[4:5], s[34:35], -1
	s_and_saveexec_b64 s[16:17], s[14:15]
	s_cbranch_execnz .LBB175_42
	s_branch .LBB175_43
.LBB175_96:
                                        ; implicit-def: $vgpr41
                                        ; implicit-def: $vgpr36_vgpr37
                                        ; implicit-def: $vgpr32_vgpr33
                                        ; implicit-def: $vgpr28_vgpr29
                                        ; implicit-def: $vgpr24_vgpr25
	s_cbranch_execz .LBB175_142
; %bb.97:
	s_movk_i32 s4, 0x7fff
	v_xor_b32_e32 v0, 0x7fff, v18
	v_xor_b32_sdwa v1, v18, s4 dst_sel:DWORD dst_unused:UNUSED_PAD src0_sel:WORD_1 src1_sel:DWORD
	v_xor_b32_e32 v18, 0x7fff, v19
	v_xor_b32_sdwa v19, v19, s4 dst_sel:DWORD dst_unused:UNUSED_PAD src0_sel:WORD_1 src1_sel:DWORD
	s_waitcnt lgkmcnt(3)
	v_xor_b32_e32 v22, 0x7fff, v20
	v_xor_b32_sdwa v20, v20, s4 dst_sel:DWORD dst_unused:UNUSED_PAD src0_sel:WORD_1 src1_sel:DWORD
	v_xor_b32_e32 v23, 0x7fff, v21
	v_xor_b32_sdwa v21, v21, s4 dst_sel:DWORD dst_unused:UNUSED_PAD src0_sel:WORD_1 src1_sel:DWORD
	s_mov_b32 s4, 0x5040100
	v_perm_b32 v21, v21, v23, s4
	v_perm_b32 v20, v20, v22, s4
	;; [unrolled: 1-line block ×4, first 2 shown]
	ds_write_b128 v71, v[18:21]
	; wave barrier
	s_waitcnt lgkmcnt(2)
	ds_read_u16 v32, v70
	ds_read_u16 v31, v70 offset:128
	ds_read_u16 v30, v70 offset:256
	;; [unrolled: 1-line block ×7, first 2 shown]
	s_waitcnt lgkmcnt(0)
	s_barrier
	ds_write2_b64 v69, v[14:15], v[16:17] offset1:1
	ds_write2_b64 v69, v[10:11], v[12:13] offset0:2 offset1:3
	ds_write2_b64 v69, v[6:7], v[8:9] offset0:4 offset1:5
	;; [unrolled: 1-line block ×3, first 2 shown]
	; wave barrier
	ds_read2st64_b64 v[12:15], v68 offset1:1
	ds_read2st64_b64 v[8:11], v68 offset0:2 offset1:3
	ds_read2st64_b64 v[4:7], v68 offset0:4 offset1:5
	;; [unrolled: 1-line block ×3, first 2 shown]
	s_waitcnt lgkmcnt(0)
	s_barrier
	s_load_dword s16, s[52:53], 0xc
	s_getpc_b64 s[4:5]
	s_add_u32 s4, s4, _ZN7rocprim17ROCPRIM_400000_NS16block_radix_sortIsLj512ELj8ElLj1ELj1ELj0ELNS0_26block_radix_rank_algorithmE1ELNS0_18block_padding_hintE2ELNS0_4arch9wavefront6targetE1EE19radix_bits_per_passE@rel32@lo+4
	s_addc_u32 s5, s5, _ZN7rocprim17ROCPRIM_400000_NS16block_radix_sortIsLj512ELj8ElLj1ELj1ELj0ELNS0_26block_radix_rank_algorithmE1ELNS0_18block_padding_hintE2ELNS0_4arch9wavefront6targetE1EE19radix_bits_per_passE@rel32@hi+12
	s_load_dword s46, s[4:5], 0x0
	s_waitcnt lgkmcnt(0)
	s_lshr_b32 s4, s16, 16
	s_and_b32 s5, s16, 0xffff
	v_mad_u32_u24 v16, v67, s4, v66
	v_mad_u64_u32 v[16:17], s[4:5], v16, s5, v[42:43]
	s_min_u32 s4, s46, 16
	s_lshl_b32 s4, -1, s4
	s_not_b32 s16, s4
	v_and_b32_sdwa v18, s16, v32 dst_sel:DWORD dst_unused:UNUSED_PAD src0_sel:DWORD src1_sel:WORD_0
	v_lshrrev_b32_e32 v22, 6, v16
	v_lshlrev_b32_e32 v17, 3, v18
	v_add_lshl_u32 v35, v22, v17, 2
	v_and_b32_e32 v17, 1, v18
	v_add_co_u32_e32 v19, vcc, -1, v17
	v_addc_co_u32_e64 v20, s[4:5], 0, -1, vcc
	v_cmp_ne_u32_e32 vcc, 0, v17
	v_xor_b32_e32 v17, vcc_hi, v20
	v_mov_b32_e32 v16, 0
	v_and_b32_e32 v20, exec_hi, v17
	v_lshlrev_b32_e32 v17, 30, v18
	v_xor_b32_e32 v19, vcc_lo, v19
	v_cmp_gt_i64_e32 vcc, 0, v[16:17]
	v_not_b32_e32 v17, v17
	v_ashrrev_i32_e32 v17, 31, v17
	v_and_b32_e32 v19, exec_lo, v19
	v_xor_b32_e32 v21, vcc_hi, v17
	v_xor_b32_e32 v17, vcc_lo, v17
	v_and_b32_e32 v19, v19, v17
	v_lshlrev_b32_e32 v17, 29, v18
	v_cmp_gt_i64_e32 vcc, 0, v[16:17]
	v_not_b32_e32 v17, v17
	v_ashrrev_i32_e32 v17, 31, v17
	v_and_b32_e32 v20, v20, v21
	v_xor_b32_e32 v21, vcc_hi, v17
	v_xor_b32_e32 v17, vcc_lo, v17
	v_and_b32_e32 v19, v19, v17
	v_lshlrev_b32_e32 v17, 28, v18
	v_cmp_gt_i64_e32 vcc, 0, v[16:17]
	v_not_b32_e32 v17, v17
	v_ashrrev_i32_e32 v17, 31, v17
	v_and_b32_e32 v20, v20, v21
	;; [unrolled: 8-line block ×5, first 2 shown]
	v_xor_b32_e32 v21, vcc_hi, v17
	v_xor_b32_e32 v17, vcc_lo, v17
	v_and_b32_e32 v20, v20, v21
	v_and_b32_e32 v21, v19, v17
	v_lshlrev_b32_e32 v17, 24, v18
	v_cmp_gt_i64_e32 vcc, 0, v[16:17]
	v_not_b32_e32 v17, v17
	v_ashrrev_i32_e32 v17, 31, v17
	v_xor_b32_e32 v18, vcc_hi, v17
	v_xor_b32_e32 v17, vcc_lo, v17
	v_and_b32_e32 v19, v20, v18
	v_and_b32_e32 v18, v21, v17
	v_mbcnt_lo_u32_b32 v17, v18, 0
	v_mbcnt_hi_u32_b32 v36, v19, v17
	v_cmp_eq_u32_e32 vcc, 0, v36
	v_cmp_ne_u64_e64 s[4:5], 0, v[18:19]
	s_and_b64 s[18:19], s[4:5], vcc
	ds_write2_b32 v62, v16, v16 offset0:8 offset1:9
	ds_write2_b32 v62, v16, v16 offset0:10 offset1:11
	s_waitcnt lgkmcnt(0)
	s_barrier
	s_waitcnt lgkmcnt(0)
	; wave barrier
	s_and_saveexec_b64 s[4:5], s[18:19]
	s_cbranch_execz .LBB175_99
; %bb.98:
	v_bcnt_u32_b32 v17, v18, 0
	v_bcnt_u32_b32 v17, v19, v17
	ds_write_b32 v35, v17 offset:32
.LBB175_99:
	s_or_b64 exec, exec, s[4:5]
	v_and_b32_sdwa v18, s16, v31 dst_sel:DWORD dst_unused:UNUSED_PAD src0_sel:DWORD src1_sel:WORD_0
	v_lshlrev_b32_e32 v17, 3, v18
	v_add_lshl_u32 v38, v22, v17, 2
	v_and_b32_e32 v17, 1, v18
	v_add_co_u32_e32 v19, vcc, -1, v17
	v_addc_co_u32_e64 v20, s[4:5], 0, -1, vcc
	v_cmp_ne_u32_e32 vcc, 0, v17
	v_xor_b32_e32 v17, vcc_hi, v20
	v_and_b32_e32 v20, exec_hi, v17
	v_lshlrev_b32_e32 v17, 30, v18
	v_xor_b32_e32 v19, vcc_lo, v19
	v_cmp_gt_i64_e32 vcc, 0, v[16:17]
	v_not_b32_e32 v17, v17
	v_ashrrev_i32_e32 v17, 31, v17
	v_and_b32_e32 v19, exec_lo, v19
	v_xor_b32_e32 v21, vcc_hi, v17
	v_xor_b32_e32 v17, vcc_lo, v17
	v_and_b32_e32 v19, v19, v17
	v_lshlrev_b32_e32 v17, 29, v18
	v_cmp_gt_i64_e32 vcc, 0, v[16:17]
	v_not_b32_e32 v17, v17
	v_ashrrev_i32_e32 v17, 31, v17
	v_and_b32_e32 v20, v20, v21
	v_xor_b32_e32 v21, vcc_hi, v17
	v_xor_b32_e32 v17, vcc_lo, v17
	v_and_b32_e32 v19, v19, v17
	v_lshlrev_b32_e32 v17, 28, v18
	v_cmp_gt_i64_e32 vcc, 0, v[16:17]
	v_not_b32_e32 v17, v17
	v_ashrrev_i32_e32 v17, 31, v17
	v_and_b32_e32 v20, v20, v21
	v_xor_b32_e32 v21, vcc_hi, v17
	v_xor_b32_e32 v17, vcc_lo, v17
	v_and_b32_e32 v19, v19, v17
	v_lshlrev_b32_e32 v17, 27, v18
	v_cmp_gt_i64_e32 vcc, 0, v[16:17]
	v_not_b32_e32 v17, v17
	v_ashrrev_i32_e32 v17, 31, v17
	v_and_b32_e32 v20, v20, v21
	v_xor_b32_e32 v21, vcc_hi, v17
	v_xor_b32_e32 v17, vcc_lo, v17
	v_and_b32_e32 v19, v19, v17
	v_lshlrev_b32_e32 v17, 26, v18
	v_cmp_gt_i64_e32 vcc, 0, v[16:17]
	v_not_b32_e32 v17, v17
	v_ashrrev_i32_e32 v17, 31, v17
	v_and_b32_e32 v20, v20, v21
	v_xor_b32_e32 v21, vcc_hi, v17
	v_xor_b32_e32 v17, vcc_lo, v17
	v_and_b32_e32 v19, v19, v17
	v_lshlrev_b32_e32 v17, 25, v18
	v_cmp_gt_i64_e32 vcc, 0, v[16:17]
	v_not_b32_e32 v17, v17
	v_ashrrev_i32_e32 v17, 31, v17
	v_and_b32_e32 v20, v20, v21
	v_xor_b32_e32 v21, vcc_hi, v17
	v_xor_b32_e32 v17, vcc_lo, v17
	v_and_b32_e32 v19, v19, v17
	v_lshlrev_b32_e32 v17, 24, v18
	v_cmp_gt_i64_e32 vcc, 0, v[16:17]
	v_not_b32_e32 v16, v17
	v_ashrrev_i32_e32 v16, 31, v16
	v_xor_b32_e32 v17, vcc_hi, v16
	v_xor_b32_e32 v16, vcc_lo, v16
	; wave barrier
	ds_read_b32 v37, v38 offset:32
	v_and_b32_e32 v20, v20, v21
	v_and_b32_e32 v16, v19, v16
	;; [unrolled: 1-line block ×3, first 2 shown]
	v_mbcnt_lo_u32_b32 v18, v16, 0
	v_mbcnt_hi_u32_b32 v39, v17, v18
	v_cmp_eq_u32_e32 vcc, 0, v39
	v_cmp_ne_u64_e64 s[4:5], 0, v[16:17]
	s_and_b64 s[18:19], s[4:5], vcc
	; wave barrier
	s_and_saveexec_b64 s[4:5], s[18:19]
	s_cbranch_execz .LBB175_101
; %bb.100:
	v_bcnt_u32_b32 v16, v16, 0
	v_bcnt_u32_b32 v16, v17, v16
	s_waitcnt lgkmcnt(0)
	v_add_u32_e32 v16, v37, v16
	ds_write_b32 v38, v16 offset:32
.LBB175_101:
	s_or_b64 exec, exec, s[4:5]
	v_and_b32_sdwa v18, s16, v30 dst_sel:DWORD dst_unused:UNUSED_PAD src0_sel:DWORD src1_sel:WORD_0
	v_and_b32_e32 v17, 1, v18
	v_add_co_u32_e32 v19, vcc, -1, v17
	v_addc_co_u32_e64 v20, s[4:5], 0, -1, vcc
	v_cmp_ne_u32_e32 vcc, 0, v17
	v_lshlrev_b32_e32 v16, 3, v18
	v_xor_b32_e32 v17, vcc_hi, v20
	v_add_lshl_u32 v41, v22, v16, 2
	v_mov_b32_e32 v16, 0
	v_and_b32_e32 v20, exec_hi, v17
	v_lshlrev_b32_e32 v17, 30, v18
	v_xor_b32_e32 v19, vcc_lo, v19
	v_cmp_gt_i64_e32 vcc, 0, v[16:17]
	v_not_b32_e32 v17, v17
	v_ashrrev_i32_e32 v17, 31, v17
	v_and_b32_e32 v19, exec_lo, v19
	v_xor_b32_e32 v21, vcc_hi, v17
	v_xor_b32_e32 v17, vcc_lo, v17
	v_and_b32_e32 v19, v19, v17
	v_lshlrev_b32_e32 v17, 29, v18
	v_cmp_gt_i64_e32 vcc, 0, v[16:17]
	v_not_b32_e32 v17, v17
	v_ashrrev_i32_e32 v17, 31, v17
	v_and_b32_e32 v20, v20, v21
	v_xor_b32_e32 v21, vcc_hi, v17
	v_xor_b32_e32 v17, vcc_lo, v17
	v_and_b32_e32 v19, v19, v17
	v_lshlrev_b32_e32 v17, 28, v18
	v_cmp_gt_i64_e32 vcc, 0, v[16:17]
	v_not_b32_e32 v17, v17
	v_ashrrev_i32_e32 v17, 31, v17
	v_and_b32_e32 v20, v20, v21
	;; [unrolled: 8-line block ×5, first 2 shown]
	v_xor_b32_e32 v21, vcc_hi, v17
	v_xor_b32_e32 v17, vcc_lo, v17
	v_and_b32_e32 v20, v20, v21
	v_and_b32_e32 v21, v19, v17
	v_lshlrev_b32_e32 v17, 24, v18
	v_cmp_gt_i64_e32 vcc, 0, v[16:17]
	v_not_b32_e32 v17, v17
	v_ashrrev_i32_e32 v17, 31, v17
	v_xor_b32_e32 v18, vcc_hi, v17
	v_xor_b32_e32 v17, vcc_lo, v17
	; wave barrier
	ds_read_b32 v40, v41 offset:32
	v_and_b32_e32 v19, v20, v18
	v_and_b32_e32 v18, v21, v17
	v_mbcnt_lo_u32_b32 v17, v18, 0
	v_mbcnt_hi_u32_b32 v66, v19, v17
	v_cmp_eq_u32_e32 vcc, 0, v66
	v_cmp_ne_u64_e64 s[4:5], 0, v[18:19]
	s_and_b64 s[18:19], s[4:5], vcc
	; wave barrier
	s_and_saveexec_b64 s[4:5], s[18:19]
	s_cbranch_execz .LBB175_103
; %bb.102:
	v_bcnt_u32_b32 v17, v18, 0
	v_bcnt_u32_b32 v17, v19, v17
	s_waitcnt lgkmcnt(0)
	v_add_u32_e32 v17, v40, v17
	ds_write_b32 v41, v17 offset:32
.LBB175_103:
	s_or_b64 exec, exec, s[4:5]
	v_and_b32_sdwa v18, s16, v29 dst_sel:DWORD dst_unused:UNUSED_PAD src0_sel:DWORD src1_sel:WORD_0
	v_lshlrev_b32_e32 v17, 3, v18
	v_add_lshl_u32 v68, v22, v17, 2
	v_and_b32_e32 v17, 1, v18
	v_add_co_u32_e32 v19, vcc, -1, v17
	v_addc_co_u32_e64 v20, s[4:5], 0, -1, vcc
	v_cmp_ne_u32_e32 vcc, 0, v17
	v_xor_b32_e32 v17, vcc_hi, v20
	v_and_b32_e32 v20, exec_hi, v17
	v_lshlrev_b32_e32 v17, 30, v18
	v_xor_b32_e32 v19, vcc_lo, v19
	v_cmp_gt_i64_e32 vcc, 0, v[16:17]
	v_not_b32_e32 v17, v17
	v_ashrrev_i32_e32 v17, 31, v17
	v_and_b32_e32 v19, exec_lo, v19
	v_xor_b32_e32 v21, vcc_hi, v17
	v_xor_b32_e32 v17, vcc_lo, v17
	v_and_b32_e32 v19, v19, v17
	v_lshlrev_b32_e32 v17, 29, v18
	v_cmp_gt_i64_e32 vcc, 0, v[16:17]
	v_not_b32_e32 v17, v17
	v_ashrrev_i32_e32 v17, 31, v17
	v_and_b32_e32 v20, v20, v21
	v_xor_b32_e32 v21, vcc_hi, v17
	v_xor_b32_e32 v17, vcc_lo, v17
	v_and_b32_e32 v19, v19, v17
	v_lshlrev_b32_e32 v17, 28, v18
	v_cmp_gt_i64_e32 vcc, 0, v[16:17]
	v_not_b32_e32 v17, v17
	v_ashrrev_i32_e32 v17, 31, v17
	v_and_b32_e32 v20, v20, v21
	;; [unrolled: 8-line block ×5, first 2 shown]
	v_xor_b32_e32 v21, vcc_hi, v17
	v_xor_b32_e32 v17, vcc_lo, v17
	v_and_b32_e32 v19, v19, v17
	v_lshlrev_b32_e32 v17, 24, v18
	v_cmp_gt_i64_e32 vcc, 0, v[16:17]
	v_not_b32_e32 v16, v17
	v_ashrrev_i32_e32 v16, 31, v16
	v_xor_b32_e32 v17, vcc_hi, v16
	v_xor_b32_e32 v16, vcc_lo, v16
	; wave barrier
	ds_read_b32 v67, v68 offset:32
	v_and_b32_e32 v20, v20, v21
	v_and_b32_e32 v16, v19, v16
	;; [unrolled: 1-line block ×3, first 2 shown]
	v_mbcnt_lo_u32_b32 v18, v16, 0
	v_mbcnt_hi_u32_b32 v69, v17, v18
	v_cmp_eq_u32_e32 vcc, 0, v69
	v_cmp_ne_u64_e64 s[4:5], 0, v[16:17]
	s_and_b64 s[18:19], s[4:5], vcc
	; wave barrier
	s_and_saveexec_b64 s[4:5], s[18:19]
	s_cbranch_execz .LBB175_105
; %bb.104:
	v_bcnt_u32_b32 v16, v16, 0
	v_bcnt_u32_b32 v16, v17, v16
	s_waitcnt lgkmcnt(0)
	v_add_u32_e32 v16, v67, v16
	ds_write_b32 v68, v16 offset:32
.LBB175_105:
	s_or_b64 exec, exec, s[4:5]
	v_and_b32_sdwa v18, s16, v28 dst_sel:DWORD dst_unused:UNUSED_PAD src0_sel:DWORD src1_sel:WORD_0
	v_and_b32_e32 v17, 1, v18
	v_add_co_u32_e32 v19, vcc, -1, v17
	v_addc_co_u32_e64 v20, s[4:5], 0, -1, vcc
	v_cmp_ne_u32_e32 vcc, 0, v17
	v_lshlrev_b32_e32 v16, 3, v18
	v_xor_b32_e32 v17, vcc_hi, v20
	v_add_lshl_u32 v71, v22, v16, 2
	v_mov_b32_e32 v16, 0
	v_and_b32_e32 v20, exec_hi, v17
	v_lshlrev_b32_e32 v17, 30, v18
	v_xor_b32_e32 v19, vcc_lo, v19
	v_cmp_gt_i64_e32 vcc, 0, v[16:17]
	v_not_b32_e32 v17, v17
	v_ashrrev_i32_e32 v17, 31, v17
	v_and_b32_e32 v19, exec_lo, v19
	v_xor_b32_e32 v21, vcc_hi, v17
	v_xor_b32_e32 v17, vcc_lo, v17
	v_and_b32_e32 v19, v19, v17
	v_lshlrev_b32_e32 v17, 29, v18
	v_cmp_gt_i64_e32 vcc, 0, v[16:17]
	v_not_b32_e32 v17, v17
	v_ashrrev_i32_e32 v17, 31, v17
	v_and_b32_e32 v20, v20, v21
	v_xor_b32_e32 v21, vcc_hi, v17
	v_xor_b32_e32 v17, vcc_lo, v17
	v_and_b32_e32 v19, v19, v17
	v_lshlrev_b32_e32 v17, 28, v18
	v_cmp_gt_i64_e32 vcc, 0, v[16:17]
	v_not_b32_e32 v17, v17
	v_ashrrev_i32_e32 v17, 31, v17
	v_and_b32_e32 v20, v20, v21
	;; [unrolled: 8-line block ×5, first 2 shown]
	v_xor_b32_e32 v21, vcc_hi, v17
	v_xor_b32_e32 v17, vcc_lo, v17
	v_and_b32_e32 v20, v20, v21
	v_and_b32_e32 v21, v19, v17
	v_lshlrev_b32_e32 v17, 24, v18
	v_cmp_gt_i64_e32 vcc, 0, v[16:17]
	v_not_b32_e32 v17, v17
	v_ashrrev_i32_e32 v17, 31, v17
	v_xor_b32_e32 v18, vcc_hi, v17
	v_xor_b32_e32 v17, vcc_lo, v17
	; wave barrier
	ds_read_b32 v70, v71 offset:32
	v_and_b32_e32 v19, v20, v18
	v_and_b32_e32 v18, v21, v17
	v_mbcnt_lo_u32_b32 v17, v18, 0
	v_mbcnt_hi_u32_b32 v72, v19, v17
	v_cmp_eq_u32_e32 vcc, 0, v72
	v_cmp_ne_u64_e64 s[4:5], 0, v[18:19]
	s_and_b64 s[18:19], s[4:5], vcc
	; wave barrier
	s_and_saveexec_b64 s[4:5], s[18:19]
	s_cbranch_execz .LBB175_107
; %bb.106:
	v_bcnt_u32_b32 v17, v18, 0
	v_bcnt_u32_b32 v17, v19, v17
	s_waitcnt lgkmcnt(0)
	v_add_u32_e32 v17, v70, v17
	ds_write_b32 v71, v17 offset:32
.LBB175_107:
	s_or_b64 exec, exec, s[4:5]
	v_and_b32_sdwa v18, s16, v27 dst_sel:DWORD dst_unused:UNUSED_PAD src0_sel:DWORD src1_sel:WORD_0
	v_lshlrev_b32_e32 v17, 3, v18
	v_add_lshl_u32 v74, v22, v17, 2
	v_and_b32_e32 v17, 1, v18
	v_add_co_u32_e32 v19, vcc, -1, v17
	v_addc_co_u32_e64 v20, s[4:5], 0, -1, vcc
	v_cmp_ne_u32_e32 vcc, 0, v17
	v_xor_b32_e32 v17, vcc_hi, v20
	v_and_b32_e32 v20, exec_hi, v17
	v_lshlrev_b32_e32 v17, 30, v18
	v_xor_b32_e32 v19, vcc_lo, v19
	v_cmp_gt_i64_e32 vcc, 0, v[16:17]
	v_not_b32_e32 v17, v17
	v_ashrrev_i32_e32 v17, 31, v17
	v_and_b32_e32 v19, exec_lo, v19
	v_xor_b32_e32 v21, vcc_hi, v17
	v_xor_b32_e32 v17, vcc_lo, v17
	v_and_b32_e32 v19, v19, v17
	v_lshlrev_b32_e32 v17, 29, v18
	v_cmp_gt_i64_e32 vcc, 0, v[16:17]
	v_not_b32_e32 v17, v17
	v_ashrrev_i32_e32 v17, 31, v17
	v_and_b32_e32 v20, v20, v21
	v_xor_b32_e32 v21, vcc_hi, v17
	v_xor_b32_e32 v17, vcc_lo, v17
	v_and_b32_e32 v19, v19, v17
	v_lshlrev_b32_e32 v17, 28, v18
	v_cmp_gt_i64_e32 vcc, 0, v[16:17]
	v_not_b32_e32 v17, v17
	v_ashrrev_i32_e32 v17, 31, v17
	v_and_b32_e32 v20, v20, v21
	;; [unrolled: 8-line block ×5, first 2 shown]
	v_xor_b32_e32 v21, vcc_hi, v17
	v_xor_b32_e32 v17, vcc_lo, v17
	v_and_b32_e32 v19, v19, v17
	v_lshlrev_b32_e32 v17, 24, v18
	v_cmp_gt_i64_e32 vcc, 0, v[16:17]
	v_not_b32_e32 v16, v17
	v_ashrrev_i32_e32 v16, 31, v16
	v_xor_b32_e32 v17, vcc_hi, v16
	v_xor_b32_e32 v16, vcc_lo, v16
	; wave barrier
	ds_read_b32 v73, v74 offset:32
	v_and_b32_e32 v20, v20, v21
	v_and_b32_e32 v16, v19, v16
	;; [unrolled: 1-line block ×3, first 2 shown]
	v_mbcnt_lo_u32_b32 v18, v16, 0
	v_mbcnt_hi_u32_b32 v75, v17, v18
	v_cmp_eq_u32_e32 vcc, 0, v75
	v_cmp_ne_u64_e64 s[4:5], 0, v[16:17]
	s_and_b64 s[18:19], s[4:5], vcc
	; wave barrier
	s_and_saveexec_b64 s[4:5], s[18:19]
	s_cbranch_execz .LBB175_109
; %bb.108:
	v_bcnt_u32_b32 v16, v16, 0
	v_bcnt_u32_b32 v16, v17, v16
	s_waitcnt lgkmcnt(0)
	v_add_u32_e32 v16, v73, v16
	ds_write_b32 v74, v16 offset:32
.LBB175_109:
	s_or_b64 exec, exec, s[4:5]
	v_and_b32_sdwa v18, s16, v26 dst_sel:DWORD dst_unused:UNUSED_PAD src0_sel:DWORD src1_sel:WORD_0
	v_and_b32_e32 v17, 1, v18
	v_add_co_u32_e32 v19, vcc, -1, v17
	v_addc_co_u32_e64 v20, s[4:5], 0, -1, vcc
	v_cmp_ne_u32_e32 vcc, 0, v17
	v_lshlrev_b32_e32 v16, 3, v18
	v_xor_b32_e32 v17, vcc_hi, v20
	v_add_lshl_u32 v77, v22, v16, 2
	v_mov_b32_e32 v16, 0
	v_and_b32_e32 v20, exec_hi, v17
	v_lshlrev_b32_e32 v17, 30, v18
	v_xor_b32_e32 v19, vcc_lo, v19
	v_cmp_gt_i64_e32 vcc, 0, v[16:17]
	v_not_b32_e32 v17, v17
	v_ashrrev_i32_e32 v17, 31, v17
	v_and_b32_e32 v19, exec_lo, v19
	v_xor_b32_e32 v21, vcc_hi, v17
	v_xor_b32_e32 v17, vcc_lo, v17
	v_and_b32_e32 v19, v19, v17
	v_lshlrev_b32_e32 v17, 29, v18
	v_cmp_gt_i64_e32 vcc, 0, v[16:17]
	v_not_b32_e32 v17, v17
	v_ashrrev_i32_e32 v17, 31, v17
	v_and_b32_e32 v20, v20, v21
	v_xor_b32_e32 v21, vcc_hi, v17
	v_xor_b32_e32 v17, vcc_lo, v17
	v_and_b32_e32 v19, v19, v17
	v_lshlrev_b32_e32 v17, 28, v18
	v_cmp_gt_i64_e32 vcc, 0, v[16:17]
	v_not_b32_e32 v17, v17
	v_ashrrev_i32_e32 v17, 31, v17
	v_and_b32_e32 v20, v20, v21
	;; [unrolled: 8-line block ×5, first 2 shown]
	v_xor_b32_e32 v21, vcc_hi, v17
	v_xor_b32_e32 v17, vcc_lo, v17
	v_and_b32_e32 v20, v20, v21
	v_and_b32_e32 v21, v19, v17
	v_lshlrev_b32_e32 v17, 24, v18
	v_cmp_gt_i64_e32 vcc, 0, v[16:17]
	v_not_b32_e32 v17, v17
	v_ashrrev_i32_e32 v17, 31, v17
	v_xor_b32_e32 v18, vcc_hi, v17
	v_xor_b32_e32 v17, vcc_lo, v17
	; wave barrier
	ds_read_b32 v76, v77 offset:32
	v_and_b32_e32 v19, v20, v18
	v_and_b32_e32 v18, v21, v17
	v_mbcnt_lo_u32_b32 v17, v18, 0
	v_mbcnt_hi_u32_b32 v78, v19, v17
	v_cmp_eq_u32_e32 vcc, 0, v78
	v_cmp_ne_u64_e64 s[4:5], 0, v[18:19]
	s_and_b64 s[18:19], s[4:5], vcc
	; wave barrier
	s_and_saveexec_b64 s[4:5], s[18:19]
	s_cbranch_execz .LBB175_111
; %bb.110:
	v_bcnt_u32_b32 v17, v18, 0
	v_bcnt_u32_b32 v17, v19, v17
	s_waitcnt lgkmcnt(0)
	v_add_u32_e32 v17, v76, v17
	ds_write_b32 v77, v17 offset:32
.LBB175_111:
	s_or_b64 exec, exec, s[4:5]
	v_and_b32_sdwa v18, s16, v25 dst_sel:DWORD dst_unused:UNUSED_PAD src0_sel:DWORD src1_sel:WORD_0
	v_lshlrev_b32_e32 v17, 3, v18
	v_add_lshl_u32 v79, v22, v17, 2
	v_and_b32_e32 v17, 1, v18
	v_add_co_u32_e32 v19, vcc, -1, v17
	v_addc_co_u32_e64 v20, s[4:5], 0, -1, vcc
	v_cmp_ne_u32_e32 vcc, 0, v17
	v_xor_b32_e32 v17, vcc_hi, v20
	v_and_b32_e32 v20, exec_hi, v17
	v_lshlrev_b32_e32 v17, 30, v18
	v_xor_b32_e32 v19, vcc_lo, v19
	v_cmp_gt_i64_e32 vcc, 0, v[16:17]
	v_not_b32_e32 v17, v17
	v_ashrrev_i32_e32 v17, 31, v17
	v_and_b32_e32 v19, exec_lo, v19
	v_xor_b32_e32 v21, vcc_hi, v17
	v_xor_b32_e32 v17, vcc_lo, v17
	v_and_b32_e32 v19, v19, v17
	v_lshlrev_b32_e32 v17, 29, v18
	v_cmp_gt_i64_e32 vcc, 0, v[16:17]
	v_not_b32_e32 v17, v17
	v_ashrrev_i32_e32 v17, 31, v17
	v_and_b32_e32 v20, v20, v21
	v_xor_b32_e32 v21, vcc_hi, v17
	v_xor_b32_e32 v17, vcc_lo, v17
	v_and_b32_e32 v19, v19, v17
	v_lshlrev_b32_e32 v17, 28, v18
	v_cmp_gt_i64_e32 vcc, 0, v[16:17]
	v_not_b32_e32 v17, v17
	v_ashrrev_i32_e32 v17, 31, v17
	v_and_b32_e32 v20, v20, v21
	v_xor_b32_e32 v21, vcc_hi, v17
	v_xor_b32_e32 v17, vcc_lo, v17
	v_and_b32_e32 v19, v19, v17
	v_lshlrev_b32_e32 v17, 27, v18
	v_cmp_gt_i64_e32 vcc, 0, v[16:17]
	v_not_b32_e32 v17, v17
	v_ashrrev_i32_e32 v17, 31, v17
	v_and_b32_e32 v20, v20, v21
	v_xor_b32_e32 v21, vcc_hi, v17
	v_xor_b32_e32 v17, vcc_lo, v17
	v_and_b32_e32 v19, v19, v17
	v_lshlrev_b32_e32 v17, 26, v18
	v_cmp_gt_i64_e32 vcc, 0, v[16:17]
	v_not_b32_e32 v17, v17
	v_ashrrev_i32_e32 v17, 31, v17
	v_and_b32_e32 v20, v20, v21
	v_xor_b32_e32 v21, vcc_hi, v17
	v_xor_b32_e32 v17, vcc_lo, v17
	v_and_b32_e32 v19, v19, v17
	v_lshlrev_b32_e32 v17, 25, v18
	v_cmp_gt_i64_e32 vcc, 0, v[16:17]
	v_not_b32_e32 v17, v17
	v_ashrrev_i32_e32 v17, 31, v17
	v_and_b32_e32 v20, v20, v21
	v_xor_b32_e32 v21, vcc_hi, v17
	v_xor_b32_e32 v17, vcc_lo, v17
	v_and_b32_e32 v19, v19, v17
	v_lshlrev_b32_e32 v17, 24, v18
	v_cmp_gt_i64_e32 vcc, 0, v[16:17]
	v_not_b32_e32 v16, v17
	v_ashrrev_i32_e32 v16, 31, v16
	v_xor_b32_e32 v17, vcc_hi, v16
	v_xor_b32_e32 v16, vcc_lo, v16
	v_min_u32_e32 v33, 0x1c0, v65
	; wave barrier
	ds_read_b32 v65, v79 offset:32
	v_and_b32_e32 v20, v20, v21
	v_and_b32_e32 v16, v19, v16
	;; [unrolled: 1-line block ×3, first 2 shown]
	v_mbcnt_lo_u32_b32 v18, v16, 0
	v_mbcnt_hi_u32_b32 v80, v17, v18
	v_cmp_eq_u32_e32 vcc, 0, v80
	v_cmp_ne_u64_e64 s[4:5], 0, v[16:17]
	v_add_u32_e32 v23, 32, v62
	v_lshrrev_b32_e32 v24, 6, v42
	s_and_b64 s[16:17], s[4:5], vcc
	; wave barrier
	s_and_saveexec_b64 s[4:5], s[16:17]
	s_cbranch_execz .LBB175_113
; %bb.112:
	v_bcnt_u32_b32 v16, v16, 0
	v_bcnt_u32_b32 v16, v17, v16
	s_waitcnt lgkmcnt(0)
	v_add_u32_e32 v16, v65, v16
	ds_write_b32 v79, v16 offset:32
.LBB175_113:
	s_or_b64 exec, exec, s[4:5]
	; wave barrier
	s_waitcnt lgkmcnt(0)
	s_barrier
	ds_read2_b32 v[18:19], v62 offset0:8 offset1:9
	ds_read2_b32 v[20:21], v23 offset0:2 offset1:3
	v_and_b32_e32 v17, 16, v63
	v_cmp_eq_u32_e32 vcc, 0, v17
	v_or_b32_e32 v17, 63, v33
	v_cmp_eq_u32_e64 s[16:17], v17, v42
	s_waitcnt lgkmcnt(1)
	v_add_u32_e32 v17, v19, v18
	v_and_b32_e32 v16, 15, v63
	s_waitcnt lgkmcnt(0)
	v_add3_u32 v17, v17, v20, v21
	v_cmp_eq_u32_e64 s[24:25], 0, v16
	v_cmp_lt_u32_e64 s[26:27], 1, v16
	v_mov_b32_dpp v21, v17 row_shr:1 row_mask:0xf bank_mask:0xf
	v_cndmask_b32_e64 v21, v21, 0, s[24:25]
	v_add_u32_e32 v17, v21, v17
	v_cmp_lt_u32_e64 s[30:31], 3, v16
	v_cmp_lt_u32_e64 s[34:35], 7, v16
	v_mov_b32_dpp v21, v17 row_shr:2 row_mask:0xf bank_mask:0xf
	v_cndmask_b32_e64 v21, 0, v21, s[26:27]
	v_add_u32_e32 v17, v17, v21
	v_bfe_i32 v34, v63, 4, 1
	v_cmp_lt_u32_e64 s[36:37], 31, v63
	v_mov_b32_dpp v21, v17 row_shr:4 row_mask:0xf bank_mask:0xf
	v_cndmask_b32_e64 v21, 0, v21, s[30:31]
	v_add_u32_e32 v17, v17, v21
	v_lshlrev_b32_e32 v24, 2, v24
	s_nop 0
	v_mov_b32_dpp v21, v17 row_shr:8 row_mask:0xf bank_mask:0xf
	v_cndmask_b32_e64 v16, 0, v21, s[34:35]
	v_add_u32_e32 v16, v17, v16
	s_nop 1
	v_mov_b32_dpp v17, v16 row_bcast:15 row_mask:0xf bank_mask:0xf
	v_and_b32_e32 v17, v34, v17
	v_add_u32_e32 v16, v16, v17
	s_nop 1
	v_mov_b32_dpp v17, v16 row_bcast:31 row_mask:0xf bank_mask:0xf
	v_cndmask_b32_e64 v17, 0, v17, s[36:37]
	v_add_u32_e32 v17, v16, v17
	s_and_saveexec_b64 s[4:5], s[16:17]
	s_cbranch_execz .LBB175_115
; %bb.114:
	ds_write_b32 v24, v17
.LBB175_115:
	s_or_b64 exec, exec, s[4:5]
	v_and_b32_e32 v16, 7, v63
	v_cmp_gt_u32_e64 s[28:29], 8, v42
	v_lshlrev_b32_e32 v21, 2, v42
	v_cmp_eq_u32_e64 s[22:23], 0, v16
	v_cmp_lt_u32_e64 s[20:21], 1, v16
	v_cmp_lt_u32_e64 s[18:19], 3, v16
	s_waitcnt lgkmcnt(0)
	s_barrier
	s_and_saveexec_b64 s[4:5], s[28:29]
	s_cbranch_execz .LBB175_117
; %bb.116:
	ds_read_b32 v16, v21
	s_waitcnt lgkmcnt(0)
	s_nop 0
	v_mov_b32_dpp v33, v16 row_shr:1 row_mask:0xf bank_mask:0xf
	v_cndmask_b32_e64 v33, v33, 0, s[22:23]
	v_add_u32_e32 v16, v33, v16
	s_nop 1
	v_mov_b32_dpp v33, v16 row_shr:2 row_mask:0xf bank_mask:0xf
	v_cndmask_b32_e64 v33, 0, v33, s[20:21]
	v_add_u32_e32 v16, v16, v33
	;; [unrolled: 4-line block ×3, first 2 shown]
	ds_write_b32 v21, v16
.LBB175_117:
	s_or_b64 exec, exec, s[4:5]
	v_cmp_lt_u32_e64 s[38:39], 63, v42
	v_add_u32_e32 v33, -4, v24
	v_mov_b32_e32 v16, 0
	v_mov_b32_e32 v81, 0
	s_waitcnt lgkmcnt(0)
	s_barrier
	s_and_saveexec_b64 s[4:5], s[38:39]
	s_cbranch_execz .LBB175_119
; %bb.118:
	ds_read_b32 v81, v33
.LBB175_119:
	s_or_b64 exec, exec, s[4:5]
	v_add_u32_e32 v34, -1, v63
	v_and_b32_e32 v82, 64, v63
	v_cmp_lt_i32_e64 s[4:5], v34, v82
	v_cndmask_b32_e64 v34, v34, v63, s[4:5]
	v_lshlrev_b32_e32 v34, 2, v34
	s_waitcnt lgkmcnt(0)
	v_add_u32_e32 v17, v81, v17
	ds_bpermute_b32 v17, v34, v17
	v_cmp_eq_u32_e64 s[40:41], 0, v63
	v_cmp_eq_u32_e64 s[42:43], 0, v42
	v_and_or_b32 v64, v63, 63, v64
	s_min_u32 s4, s46, 8
	s_waitcnt lgkmcnt(0)
	v_cndmask_b32_e64 v17, v17, v81, s[40:41]
	v_cndmask_b32_e64 v17, v17, 0, s[42:43]
	v_add_u32_e32 v18, v17, v18
	v_add_u32_e32 v19, v18, v19
	;; [unrolled: 1-line block ×3, first 2 shown]
	ds_write2_b32 v62, v17, v18 offset0:8 offset1:9
	ds_write2_b32 v23, v19, v20 offset0:2 offset1:3
	s_waitcnt lgkmcnt(0)
	s_barrier
	ds_read_b32 v17, v35 offset:32
	ds_read_b32 v18, v38 offset:32
	ds_read_b32 v19, v41 offset:32
	ds_read_b32 v20, v68 offset:32
	ds_read_b32 v35, v71 offset:32
	ds_read_b32 v38, v74 offset:32
	ds_read_b32 v41, v77 offset:32
	ds_read_b32 v63, v79 offset:32
	s_waitcnt lgkmcnt(7)
	v_add_u32_e32 v17, v17, v36
	s_waitcnt lgkmcnt(6)
	v_add3_u32 v18, v39, v37, v18
	s_waitcnt lgkmcnt(4)
	v_add3_u32 v36, v69, v67, v20
	v_lshlrev_b32_e32 v20, 1, v17
	v_add3_u32 v19, v66, v40, v19
	s_waitcnt lgkmcnt(0)
	s_barrier
	ds_write_b16 v20, v32
	v_lshlrev_b32_e32 v20, 1, v18
	ds_write_b16 v20, v31
	v_lshlrev_b32_e32 v20, 1, v19
	v_add3_u32 v35, v72, v70, v35
	ds_write_b16 v20, v30
	v_lshlrev_b32_e32 v20, 1, v36
	v_add3_u32 v37, v75, v73, v38
	;; [unrolled: 3-line block ×4, first 2 shown]
	ds_write_b16 v20, v27
	v_lshlrev_b32_e32 v20, 1, v38
	s_lshl_b32 s4, -1, s4
	v_lshlrev_b32_e32 v82, 1, v64
	ds_write_b16 v20, v26
	v_lshlrev_b32_e32 v20, 1, v39
	v_lshlrev_b32_e32 v17, 3, v17
	s_not_b32 s52, s4
	ds_write_b16 v20, v25
	s_waitcnt lgkmcnt(0)
	s_barrier
	ds_read_u16 v31, v82
	ds_read_u16 v30, v82 offset:128
	ds_read_u16 v29, v82 offset:256
	;; [unrolled: 1-line block ×7, first 2 shown]
	s_waitcnt lgkmcnt(0)
	s_barrier
	ds_write_b64 v17, v[12:13]
	v_lshlrev_b32_e32 v12, 3, v18
	v_and_b32_sdwa v18, v31, s52 dst_sel:DWORD dst_unused:UNUSED_PAD src0_sel:BYTE_1 src1_sel:DWORD
	v_lshlrev_b32_e32 v17, 3, v18
	ds_write_b64 v12, v[14:15]
	v_lshlrev_b32_e32 v12, 3, v19
	v_add_lshl_u32 v32, v17, v22, 2
	v_and_b32_e32 v17, 1, v18
	ds_write_b64 v12, v[8:9]
	v_lshlrev_b32_e32 v8, 3, v36
	v_add_co_u32_e64 v19, s[4:5], -1, v17
	ds_write_b64 v8, v[10:11]
	v_lshlrev_b32_e32 v8, 3, v35
	v_addc_co_u32_e64 v35, s[4:5], 0, -1, s[4:5]
	v_cmp_ne_u32_e64 s[4:5], 0, v17
	v_xor_b32_e32 v17, s5, v35
	v_and_b32_e32 v35, exec_hi, v17
	v_lshlrev_b32_e32 v17, 30, v18
	v_xor_b32_e32 v19, s4, v19
	v_cmp_gt_i64_e64 s[4:5], 0, v[16:17]
	v_not_b32_e32 v17, v17
	v_ashrrev_i32_e32 v17, 31, v17
	v_and_b32_e32 v19, exec_lo, v19
	v_xor_b32_e32 v36, s5, v17
	v_xor_b32_e32 v17, s4, v17
	v_and_b32_e32 v19, v19, v17
	v_lshlrev_b32_e32 v17, 29, v18
	v_cmp_gt_i64_e64 s[4:5], 0, v[16:17]
	v_not_b32_e32 v17, v17
	v_ashrrev_i32_e32 v17, 31, v17
	v_and_b32_e32 v35, v35, v36
	v_xor_b32_e32 v36, s5, v17
	v_xor_b32_e32 v17, s4, v17
	v_and_b32_e32 v19, v19, v17
	v_lshlrev_b32_e32 v17, 28, v18
	v_cmp_gt_i64_e64 s[4:5], 0, v[16:17]
	v_not_b32_e32 v17, v17
	v_ashrrev_i32_e32 v17, 31, v17
	v_and_b32_e32 v35, v35, v36
	;; [unrolled: 8-line block ×4, first 2 shown]
	v_xor_b32_e32 v36, s5, v17
	v_xor_b32_e32 v17, s4, v17
	v_and_b32_e32 v19, v19, v17
	v_lshlrev_b32_e32 v17, 25, v18
	v_cmp_gt_i64_e64 s[4:5], 0, v[16:17]
	v_not_b32_e32 v17, v17
	ds_write_b64 v8, v[4:5]
	v_lshlrev_b32_e32 v4, 3, v37
	v_ashrrev_i32_e32 v17, 31, v17
	ds_write_b64 v4, v[6:7]
	v_lshlrev_b32_e32 v4, 3, v38
	v_and_b32_e32 v35, v35, v36
	v_xor_b32_e32 v36, s5, v17
	v_xor_b32_e32 v17, s4, v17
	v_lshlrev_b32_e32 v64, 3, v64
	ds_write_b64 v4, v[0:1]
	v_lshlrev_b32_e32 v0, 3, v39
	v_and_b32_e32 v19, v19, v17
	v_lshlrev_b32_e32 v17, 24, v18
	ds_write_b64 v0, v[2:3]
	s_waitcnt lgkmcnt(0)
	s_barrier
	ds_read2st64_b64 v[12:15], v64 offset1:1
	ds_read2st64_b64 v[8:11], v64 offset0:2 offset1:3
	ds_read2st64_b64 v[4:7], v64 offset0:4 offset1:5
	;; [unrolled: 1-line block ×3, first 2 shown]
	s_waitcnt lgkmcnt(0)
	s_barrier
	ds_write2_b32 v62, v16, v16 offset0:8 offset1:9
	ds_write2_b32 v23, v16, v16 offset0:2 offset1:3
	v_cmp_gt_i64_e64 s[4:5], 0, v[16:17]
	v_not_b32_e32 v16, v17
	v_ashrrev_i32_e32 v16, 31, v16
	v_xor_b32_e32 v17, s5, v16
	v_xor_b32_e32 v16, s4, v16
	v_and_b32_e32 v35, v35, v36
	v_and_b32_e32 v16, v19, v16
	;; [unrolled: 1-line block ×3, first 2 shown]
	v_mbcnt_lo_u32_b32 v18, v16, 0
	v_mbcnt_hi_u32_b32 v35, v17, v18
	v_cmp_eq_u32_e64 s[4:5], 0, v35
	v_cmp_ne_u64_e64 s[46:47], 0, v[16:17]
	s_and_b64 s[46:47], s[46:47], s[4:5]
	s_waitcnt lgkmcnt(0)
	s_barrier
	s_waitcnt lgkmcnt(0)
	; wave barrier
	s_and_saveexec_b64 s[4:5], s[46:47]
	s_cbranch_execz .LBB175_121
; %bb.120:
	v_bcnt_u32_b32 v16, v16, 0
	v_bcnt_u32_b32 v16, v17, v16
	ds_write_b32 v32, v16 offset:32
.LBB175_121:
	s_or_b64 exec, exec, s[4:5]
	v_and_b32_sdwa v18, v30, s52 dst_sel:DWORD dst_unused:UNUSED_PAD src0_sel:BYTE_1 src1_sel:DWORD
	v_and_b32_e32 v17, 1, v18
	v_add_co_u32_e64 v19, s[4:5], -1, v17
	v_addc_co_u32_e64 v38, s[4:5], 0, -1, s[4:5]
	v_cmp_ne_u32_e64 s[4:5], 0, v17
	v_lshlrev_b32_e32 v16, 3, v18
	v_xor_b32_e32 v17, s5, v38
	v_add_lshl_u32 v37, v16, v22, 2
	v_mov_b32_e32 v16, 0
	v_and_b32_e32 v38, exec_hi, v17
	v_lshlrev_b32_e32 v17, 30, v18
	v_xor_b32_e32 v19, s4, v19
	v_cmp_gt_i64_e64 s[4:5], 0, v[16:17]
	v_not_b32_e32 v17, v17
	v_ashrrev_i32_e32 v17, 31, v17
	v_and_b32_e32 v19, exec_lo, v19
	v_xor_b32_e32 v39, s5, v17
	v_xor_b32_e32 v17, s4, v17
	v_and_b32_e32 v19, v19, v17
	v_lshlrev_b32_e32 v17, 29, v18
	v_cmp_gt_i64_e64 s[4:5], 0, v[16:17]
	v_not_b32_e32 v17, v17
	v_ashrrev_i32_e32 v17, 31, v17
	v_and_b32_e32 v38, v38, v39
	v_xor_b32_e32 v39, s5, v17
	v_xor_b32_e32 v17, s4, v17
	v_and_b32_e32 v19, v19, v17
	v_lshlrev_b32_e32 v17, 28, v18
	v_cmp_gt_i64_e64 s[4:5], 0, v[16:17]
	v_not_b32_e32 v17, v17
	v_ashrrev_i32_e32 v17, 31, v17
	v_and_b32_e32 v38, v38, v39
	;; [unrolled: 8-line block ×5, first 2 shown]
	v_xor_b32_e32 v39, s5, v17
	v_xor_b32_e32 v17, s4, v17
	v_and_b32_e32 v38, v38, v39
	v_and_b32_e32 v39, v19, v17
	v_lshlrev_b32_e32 v17, 24, v18
	v_cmp_gt_i64_e64 s[4:5], 0, v[16:17]
	v_not_b32_e32 v17, v17
	v_ashrrev_i32_e32 v17, 31, v17
	v_xor_b32_e32 v18, s5, v17
	v_xor_b32_e32 v17, s4, v17
	; wave barrier
	ds_read_b32 v36, v37 offset:32
	v_and_b32_e32 v19, v38, v18
	v_and_b32_e32 v18, v39, v17
	v_mbcnt_lo_u32_b32 v17, v18, 0
	v_mbcnt_hi_u32_b32 v38, v19, v17
	v_cmp_eq_u32_e64 s[4:5], 0, v38
	v_cmp_ne_u64_e64 s[46:47], 0, v[18:19]
	s_and_b64 s[46:47], s[46:47], s[4:5]
	; wave barrier
	s_and_saveexec_b64 s[4:5], s[46:47]
	s_cbranch_execz .LBB175_123
; %bb.122:
	v_bcnt_u32_b32 v17, v18, 0
	v_bcnt_u32_b32 v17, v19, v17
	s_waitcnt lgkmcnt(0)
	v_add_u32_e32 v17, v36, v17
	ds_write_b32 v37, v17 offset:32
.LBB175_123:
	s_or_b64 exec, exec, s[4:5]
	v_and_b32_sdwa v18, v29, s52 dst_sel:DWORD dst_unused:UNUSED_PAD src0_sel:BYTE_1 src1_sel:DWORD
	v_lshlrev_b32_e32 v17, 3, v18
	v_add_lshl_u32 v40, v17, v22, 2
	v_and_b32_e32 v17, 1, v18
	v_add_co_u32_e64 v19, s[4:5], -1, v17
	v_addc_co_u32_e64 v41, s[4:5], 0, -1, s[4:5]
	v_cmp_ne_u32_e64 s[4:5], 0, v17
	v_xor_b32_e32 v17, s5, v41
	v_and_b32_e32 v41, exec_hi, v17
	v_lshlrev_b32_e32 v17, 30, v18
	v_xor_b32_e32 v19, s4, v19
	v_cmp_gt_i64_e64 s[4:5], 0, v[16:17]
	v_not_b32_e32 v17, v17
	v_ashrrev_i32_e32 v17, 31, v17
	v_and_b32_e32 v19, exec_lo, v19
	v_xor_b32_e32 v63, s5, v17
	v_xor_b32_e32 v17, s4, v17
	v_and_b32_e32 v19, v19, v17
	v_lshlrev_b32_e32 v17, 29, v18
	v_cmp_gt_i64_e64 s[4:5], 0, v[16:17]
	v_not_b32_e32 v17, v17
	v_ashrrev_i32_e32 v17, 31, v17
	v_and_b32_e32 v41, v41, v63
	v_xor_b32_e32 v63, s5, v17
	v_xor_b32_e32 v17, s4, v17
	v_and_b32_e32 v19, v19, v17
	v_lshlrev_b32_e32 v17, 28, v18
	v_cmp_gt_i64_e64 s[4:5], 0, v[16:17]
	v_not_b32_e32 v17, v17
	v_ashrrev_i32_e32 v17, 31, v17
	v_and_b32_e32 v41, v41, v63
	;; [unrolled: 8-line block ×5, first 2 shown]
	v_xor_b32_e32 v63, s5, v17
	v_xor_b32_e32 v17, s4, v17
	v_and_b32_e32 v19, v19, v17
	v_lshlrev_b32_e32 v17, 24, v18
	v_cmp_gt_i64_e64 s[4:5], 0, v[16:17]
	v_not_b32_e32 v16, v17
	v_ashrrev_i32_e32 v16, 31, v16
	v_xor_b32_e32 v17, s5, v16
	v_xor_b32_e32 v16, s4, v16
	; wave barrier
	ds_read_b32 v39, v40 offset:32
	v_and_b32_e32 v41, v41, v63
	v_and_b32_e32 v16, v19, v16
	;; [unrolled: 1-line block ×3, first 2 shown]
	v_mbcnt_lo_u32_b32 v18, v16, 0
	v_mbcnt_hi_u32_b32 v41, v17, v18
	v_cmp_eq_u32_e64 s[4:5], 0, v41
	v_cmp_ne_u64_e64 s[46:47], 0, v[16:17]
	s_and_b64 s[46:47], s[46:47], s[4:5]
	; wave barrier
	s_and_saveexec_b64 s[4:5], s[46:47]
	s_cbranch_execz .LBB175_125
; %bb.124:
	v_bcnt_u32_b32 v16, v16, 0
	v_bcnt_u32_b32 v16, v17, v16
	s_waitcnt lgkmcnt(0)
	v_add_u32_e32 v16, v39, v16
	ds_write_b32 v40, v16 offset:32
.LBB175_125:
	s_or_b64 exec, exec, s[4:5]
	v_and_b32_sdwa v18, v28, s52 dst_sel:DWORD dst_unused:UNUSED_PAD src0_sel:BYTE_1 src1_sel:DWORD
	v_and_b32_e32 v17, 1, v18
	v_add_co_u32_e64 v19, s[4:5], -1, v17
	v_addc_co_u32_e64 v65, s[4:5], 0, -1, s[4:5]
	v_cmp_ne_u32_e64 s[4:5], 0, v17
	v_lshlrev_b32_e32 v16, 3, v18
	v_xor_b32_e32 v17, s5, v65
	v_add_lshl_u32 v64, v16, v22, 2
	v_mov_b32_e32 v16, 0
	v_and_b32_e32 v65, exec_hi, v17
	v_lshlrev_b32_e32 v17, 30, v18
	v_xor_b32_e32 v19, s4, v19
	v_cmp_gt_i64_e64 s[4:5], 0, v[16:17]
	v_not_b32_e32 v17, v17
	v_ashrrev_i32_e32 v17, 31, v17
	v_and_b32_e32 v19, exec_lo, v19
	v_xor_b32_e32 v66, s5, v17
	v_xor_b32_e32 v17, s4, v17
	v_and_b32_e32 v19, v19, v17
	v_lshlrev_b32_e32 v17, 29, v18
	v_cmp_gt_i64_e64 s[4:5], 0, v[16:17]
	v_not_b32_e32 v17, v17
	v_ashrrev_i32_e32 v17, 31, v17
	v_and_b32_e32 v65, v65, v66
	v_xor_b32_e32 v66, s5, v17
	v_xor_b32_e32 v17, s4, v17
	v_and_b32_e32 v19, v19, v17
	v_lshlrev_b32_e32 v17, 28, v18
	v_cmp_gt_i64_e64 s[4:5], 0, v[16:17]
	v_not_b32_e32 v17, v17
	v_ashrrev_i32_e32 v17, 31, v17
	v_and_b32_e32 v65, v65, v66
	;; [unrolled: 8-line block ×5, first 2 shown]
	v_xor_b32_e32 v66, s5, v17
	v_xor_b32_e32 v17, s4, v17
	v_and_b32_e32 v65, v65, v66
	v_and_b32_e32 v66, v19, v17
	v_lshlrev_b32_e32 v17, 24, v18
	v_cmp_gt_i64_e64 s[4:5], 0, v[16:17]
	v_not_b32_e32 v17, v17
	v_ashrrev_i32_e32 v17, 31, v17
	v_xor_b32_e32 v18, s5, v17
	v_xor_b32_e32 v17, s4, v17
	; wave barrier
	ds_read_b32 v63, v64 offset:32
	v_and_b32_e32 v19, v65, v18
	v_and_b32_e32 v18, v66, v17
	v_mbcnt_lo_u32_b32 v17, v18, 0
	v_mbcnt_hi_u32_b32 v65, v19, v17
	v_cmp_eq_u32_e64 s[4:5], 0, v65
	v_cmp_ne_u64_e64 s[46:47], 0, v[18:19]
	s_and_b64 s[46:47], s[46:47], s[4:5]
	; wave barrier
	s_and_saveexec_b64 s[4:5], s[46:47]
	s_cbranch_execz .LBB175_127
; %bb.126:
	v_bcnt_u32_b32 v17, v18, 0
	v_bcnt_u32_b32 v17, v19, v17
	s_waitcnt lgkmcnt(0)
	v_add_u32_e32 v17, v63, v17
	ds_write_b32 v64, v17 offset:32
.LBB175_127:
	s_or_b64 exec, exec, s[4:5]
	v_and_b32_sdwa v18, v27, s52 dst_sel:DWORD dst_unused:UNUSED_PAD src0_sel:BYTE_1 src1_sel:DWORD
	v_lshlrev_b32_e32 v17, 3, v18
	v_add_lshl_u32 v67, v17, v22, 2
	v_and_b32_e32 v17, 1, v18
	v_add_co_u32_e64 v19, s[4:5], -1, v17
	v_addc_co_u32_e64 v68, s[4:5], 0, -1, s[4:5]
	v_cmp_ne_u32_e64 s[4:5], 0, v17
	v_xor_b32_e32 v17, s5, v68
	v_and_b32_e32 v68, exec_hi, v17
	v_lshlrev_b32_e32 v17, 30, v18
	v_xor_b32_e32 v19, s4, v19
	v_cmp_gt_i64_e64 s[4:5], 0, v[16:17]
	v_not_b32_e32 v17, v17
	v_ashrrev_i32_e32 v17, 31, v17
	v_and_b32_e32 v19, exec_lo, v19
	v_xor_b32_e32 v69, s5, v17
	v_xor_b32_e32 v17, s4, v17
	v_and_b32_e32 v19, v19, v17
	v_lshlrev_b32_e32 v17, 29, v18
	v_cmp_gt_i64_e64 s[4:5], 0, v[16:17]
	v_not_b32_e32 v17, v17
	v_ashrrev_i32_e32 v17, 31, v17
	v_and_b32_e32 v68, v68, v69
	v_xor_b32_e32 v69, s5, v17
	v_xor_b32_e32 v17, s4, v17
	v_and_b32_e32 v19, v19, v17
	v_lshlrev_b32_e32 v17, 28, v18
	v_cmp_gt_i64_e64 s[4:5], 0, v[16:17]
	v_not_b32_e32 v17, v17
	v_ashrrev_i32_e32 v17, 31, v17
	v_and_b32_e32 v68, v68, v69
	v_xor_b32_e32 v69, s5, v17
	v_xor_b32_e32 v17, s4, v17
	v_and_b32_e32 v19, v19, v17
	v_lshlrev_b32_e32 v17, 27, v18
	v_cmp_gt_i64_e64 s[4:5], 0, v[16:17]
	v_not_b32_e32 v17, v17
	v_ashrrev_i32_e32 v17, 31, v17
	v_and_b32_e32 v68, v68, v69
	v_xor_b32_e32 v69, s5, v17
	v_xor_b32_e32 v17, s4, v17
	v_and_b32_e32 v19, v19, v17
	v_lshlrev_b32_e32 v17, 26, v18
	v_cmp_gt_i64_e64 s[4:5], 0, v[16:17]
	v_not_b32_e32 v17, v17
	v_ashrrev_i32_e32 v17, 31, v17
	v_and_b32_e32 v68, v68, v69
	v_xor_b32_e32 v69, s5, v17
	v_xor_b32_e32 v17, s4, v17
	v_and_b32_e32 v19, v19, v17
	v_lshlrev_b32_e32 v17, 25, v18
	v_cmp_gt_i64_e64 s[4:5], 0, v[16:17]
	v_not_b32_e32 v17, v17
	v_ashrrev_i32_e32 v17, 31, v17
	v_and_b32_e32 v68, v68, v69
	v_xor_b32_e32 v69, s5, v17
	v_xor_b32_e32 v17, s4, v17
	v_and_b32_e32 v19, v19, v17
	v_lshlrev_b32_e32 v17, 24, v18
	v_cmp_gt_i64_e64 s[4:5], 0, v[16:17]
	v_not_b32_e32 v16, v17
	v_ashrrev_i32_e32 v16, 31, v16
	v_xor_b32_e32 v17, s5, v16
	v_xor_b32_e32 v16, s4, v16
	; wave barrier
	ds_read_b32 v66, v67 offset:32
	v_and_b32_e32 v68, v68, v69
	v_and_b32_e32 v16, v19, v16
	v_and_b32_e32 v17, v68, v17
	v_mbcnt_lo_u32_b32 v18, v16, 0
	v_mbcnt_hi_u32_b32 v68, v17, v18
	v_cmp_eq_u32_e64 s[4:5], 0, v68
	v_cmp_ne_u64_e64 s[46:47], 0, v[16:17]
	s_and_b64 s[46:47], s[46:47], s[4:5]
	; wave barrier
	s_and_saveexec_b64 s[4:5], s[46:47]
	s_cbranch_execz .LBB175_129
; %bb.128:
	v_bcnt_u32_b32 v16, v16, 0
	v_bcnt_u32_b32 v16, v17, v16
	s_waitcnt lgkmcnt(0)
	v_add_u32_e32 v16, v66, v16
	ds_write_b32 v67, v16 offset:32
.LBB175_129:
	s_or_b64 exec, exec, s[4:5]
	v_and_b32_sdwa v18, v26, s52 dst_sel:DWORD dst_unused:UNUSED_PAD src0_sel:BYTE_1 src1_sel:DWORD
	v_and_b32_e32 v17, 1, v18
	v_add_co_u32_e64 v19, s[4:5], -1, v17
	v_addc_co_u32_e64 v71, s[4:5], 0, -1, s[4:5]
	v_cmp_ne_u32_e64 s[4:5], 0, v17
	v_lshlrev_b32_e32 v16, 3, v18
	v_xor_b32_e32 v17, s5, v71
	v_add_lshl_u32 v70, v16, v22, 2
	v_mov_b32_e32 v16, 0
	v_and_b32_e32 v71, exec_hi, v17
	v_lshlrev_b32_e32 v17, 30, v18
	v_xor_b32_e32 v19, s4, v19
	v_cmp_gt_i64_e64 s[4:5], 0, v[16:17]
	v_not_b32_e32 v17, v17
	v_ashrrev_i32_e32 v17, 31, v17
	v_and_b32_e32 v19, exec_lo, v19
	v_xor_b32_e32 v72, s5, v17
	v_xor_b32_e32 v17, s4, v17
	v_and_b32_e32 v19, v19, v17
	v_lshlrev_b32_e32 v17, 29, v18
	v_cmp_gt_i64_e64 s[4:5], 0, v[16:17]
	v_not_b32_e32 v17, v17
	v_ashrrev_i32_e32 v17, 31, v17
	v_and_b32_e32 v71, v71, v72
	v_xor_b32_e32 v72, s5, v17
	v_xor_b32_e32 v17, s4, v17
	v_and_b32_e32 v19, v19, v17
	v_lshlrev_b32_e32 v17, 28, v18
	v_cmp_gt_i64_e64 s[4:5], 0, v[16:17]
	v_not_b32_e32 v17, v17
	v_ashrrev_i32_e32 v17, 31, v17
	v_and_b32_e32 v71, v71, v72
	;; [unrolled: 8-line block ×5, first 2 shown]
	v_xor_b32_e32 v72, s5, v17
	v_xor_b32_e32 v17, s4, v17
	v_and_b32_e32 v71, v71, v72
	v_and_b32_e32 v72, v19, v17
	v_lshlrev_b32_e32 v17, 24, v18
	v_cmp_gt_i64_e64 s[4:5], 0, v[16:17]
	v_not_b32_e32 v17, v17
	v_ashrrev_i32_e32 v17, 31, v17
	v_xor_b32_e32 v18, s5, v17
	v_xor_b32_e32 v17, s4, v17
	; wave barrier
	ds_read_b32 v69, v70 offset:32
	v_and_b32_e32 v19, v71, v18
	v_and_b32_e32 v18, v72, v17
	v_mbcnt_lo_u32_b32 v17, v18, 0
	v_mbcnt_hi_u32_b32 v71, v19, v17
	v_cmp_eq_u32_e64 s[4:5], 0, v71
	v_cmp_ne_u64_e64 s[46:47], 0, v[18:19]
	s_and_b64 s[46:47], s[46:47], s[4:5]
	; wave barrier
	s_and_saveexec_b64 s[4:5], s[46:47]
	s_cbranch_execz .LBB175_131
; %bb.130:
	v_bcnt_u32_b32 v17, v18, 0
	v_bcnt_u32_b32 v17, v19, v17
	s_waitcnt lgkmcnt(0)
	v_add_u32_e32 v17, v69, v17
	ds_write_b32 v70, v17 offset:32
.LBB175_131:
	s_or_b64 exec, exec, s[4:5]
	v_and_b32_sdwa v18, v25, s52 dst_sel:DWORD dst_unused:UNUSED_PAD src0_sel:BYTE_1 src1_sel:DWORD
	v_lshlrev_b32_e32 v17, 3, v18
	v_add_lshl_u32 v73, v17, v22, 2
	v_and_b32_e32 v17, 1, v18
	v_add_co_u32_e64 v19, s[4:5], -1, v17
	v_addc_co_u32_e64 v74, s[4:5], 0, -1, s[4:5]
	v_cmp_ne_u32_e64 s[4:5], 0, v17
	v_xor_b32_e32 v17, s5, v74
	v_and_b32_e32 v74, exec_hi, v17
	v_lshlrev_b32_e32 v17, 30, v18
	v_xor_b32_e32 v19, s4, v19
	v_cmp_gt_i64_e64 s[4:5], 0, v[16:17]
	v_not_b32_e32 v17, v17
	v_ashrrev_i32_e32 v17, 31, v17
	v_and_b32_e32 v19, exec_lo, v19
	v_xor_b32_e32 v75, s5, v17
	v_xor_b32_e32 v17, s4, v17
	v_and_b32_e32 v19, v19, v17
	v_lshlrev_b32_e32 v17, 29, v18
	v_cmp_gt_i64_e64 s[4:5], 0, v[16:17]
	v_not_b32_e32 v17, v17
	v_ashrrev_i32_e32 v17, 31, v17
	v_and_b32_e32 v74, v74, v75
	v_xor_b32_e32 v75, s5, v17
	v_xor_b32_e32 v17, s4, v17
	v_and_b32_e32 v19, v19, v17
	v_lshlrev_b32_e32 v17, 28, v18
	v_cmp_gt_i64_e64 s[4:5], 0, v[16:17]
	v_not_b32_e32 v17, v17
	v_ashrrev_i32_e32 v17, 31, v17
	v_and_b32_e32 v74, v74, v75
	;; [unrolled: 8-line block ×5, first 2 shown]
	v_xor_b32_e32 v75, s5, v17
	v_xor_b32_e32 v17, s4, v17
	v_and_b32_e32 v19, v19, v17
	v_lshlrev_b32_e32 v17, 24, v18
	v_cmp_gt_i64_e64 s[4:5], 0, v[16:17]
	v_not_b32_e32 v16, v17
	v_ashrrev_i32_e32 v16, 31, v16
	v_xor_b32_e32 v17, s5, v16
	v_xor_b32_e32 v16, s4, v16
	; wave barrier
	ds_read_b32 v72, v73 offset:32
	v_and_b32_e32 v74, v74, v75
	v_and_b32_e32 v16, v19, v16
	;; [unrolled: 1-line block ×3, first 2 shown]
	v_mbcnt_lo_u32_b32 v18, v16, 0
	v_mbcnt_hi_u32_b32 v74, v17, v18
	v_cmp_eq_u32_e64 s[4:5], 0, v74
	v_cmp_ne_u64_e64 s[46:47], 0, v[16:17]
	s_and_b64 s[46:47], s[46:47], s[4:5]
	; wave barrier
	s_and_saveexec_b64 s[4:5], s[46:47]
	s_cbranch_execz .LBB175_133
; %bb.132:
	v_bcnt_u32_b32 v16, v16, 0
	v_bcnt_u32_b32 v16, v17, v16
	s_waitcnt lgkmcnt(0)
	v_add_u32_e32 v16, v72, v16
	ds_write_b32 v73, v16 offset:32
.LBB175_133:
	s_or_b64 exec, exec, s[4:5]
	v_and_b32_sdwa v18, v20, s52 dst_sel:DWORD dst_unused:UNUSED_PAD src0_sel:BYTE_1 src1_sel:DWORD
	v_and_b32_e32 v17, 1, v18
	v_add_co_u32_e64 v19, s[4:5], -1, v17
	v_addc_co_u32_e64 v76, s[4:5], 0, -1, s[4:5]
	v_cmp_ne_u32_e64 s[4:5], 0, v17
	v_lshlrev_b32_e32 v16, 3, v18
	v_xor_b32_e32 v17, s5, v76
	v_add_lshl_u32 v75, v16, v22, 2
	v_mov_b32_e32 v16, 0
	v_and_b32_e32 v76, exec_hi, v17
	v_lshlrev_b32_e32 v17, 30, v18
	v_xor_b32_e32 v19, s4, v19
	v_cmp_gt_i64_e64 s[4:5], 0, v[16:17]
	v_not_b32_e32 v17, v17
	v_ashrrev_i32_e32 v17, 31, v17
	v_and_b32_e32 v19, exec_lo, v19
	v_xor_b32_e32 v77, s5, v17
	v_xor_b32_e32 v17, s4, v17
	v_and_b32_e32 v19, v19, v17
	v_lshlrev_b32_e32 v17, 29, v18
	v_cmp_gt_i64_e64 s[4:5], 0, v[16:17]
	v_not_b32_e32 v17, v17
	v_ashrrev_i32_e32 v17, 31, v17
	v_and_b32_e32 v76, v76, v77
	v_xor_b32_e32 v77, s5, v17
	v_xor_b32_e32 v17, s4, v17
	v_and_b32_e32 v19, v19, v17
	v_lshlrev_b32_e32 v17, 28, v18
	v_cmp_gt_i64_e64 s[4:5], 0, v[16:17]
	v_not_b32_e32 v17, v17
	v_ashrrev_i32_e32 v17, 31, v17
	v_and_b32_e32 v76, v76, v77
	;; [unrolled: 8-line block ×5, first 2 shown]
	v_xor_b32_e32 v77, s5, v17
	v_xor_b32_e32 v17, s4, v17
	v_and_b32_e32 v19, v19, v17
	v_lshlrev_b32_e32 v17, 24, v18
	v_cmp_gt_i64_e64 s[4:5], 0, v[16:17]
	v_not_b32_e32 v16, v17
	v_ashrrev_i32_e32 v16, 31, v16
	v_xor_b32_e32 v17, s5, v16
	v_xor_b32_e32 v16, s4, v16
	; wave barrier
	ds_read_b32 v22, v75 offset:32
	v_and_b32_e32 v76, v76, v77
	v_and_b32_e32 v16, v19, v16
	;; [unrolled: 1-line block ×3, first 2 shown]
	v_mbcnt_lo_u32_b32 v18, v16, 0
	v_mbcnt_hi_u32_b32 v76, v17, v18
	v_cmp_eq_u32_e64 s[4:5], 0, v76
	v_cmp_ne_u64_e64 s[46:47], 0, v[16:17]
	s_and_b64 s[46:47], s[46:47], s[4:5]
	; wave barrier
	s_and_saveexec_b64 s[4:5], s[46:47]
	s_cbranch_execz .LBB175_135
; %bb.134:
	v_bcnt_u32_b32 v16, v16, 0
	v_bcnt_u32_b32 v16, v17, v16
	s_waitcnt lgkmcnt(0)
	v_add_u32_e32 v16, v22, v16
	ds_write_b32 v75, v16 offset:32
.LBB175_135:
	s_or_b64 exec, exec, s[4:5]
	; wave barrier
	s_waitcnt lgkmcnt(0)
	s_barrier
	ds_read2_b32 v[18:19], v62 offset0:8 offset1:9
	ds_read2_b32 v[16:17], v23 offset0:2 offset1:3
	s_waitcnt lgkmcnt(1)
	v_add_u32_e32 v77, v19, v18
	s_waitcnt lgkmcnt(0)
	v_add3_u32 v17, v77, v16, v17
	s_nop 1
	v_mov_b32_dpp v77, v17 row_shr:1 row_mask:0xf bank_mask:0xf
	v_cndmask_b32_e64 v77, v77, 0, s[24:25]
	v_add_u32_e32 v17, v77, v17
	s_nop 1
	v_mov_b32_dpp v77, v17 row_shr:2 row_mask:0xf bank_mask:0xf
	v_cndmask_b32_e64 v77, 0, v77, s[26:27]
	v_add_u32_e32 v17, v17, v77
	;; [unrolled: 4-line block ×4, first 2 shown]
	s_nop 1
	v_mov_b32_dpp v77, v17 row_bcast:15 row_mask:0xf bank_mask:0xf
	v_cndmask_b32_e64 v77, v77, 0, vcc
	v_add_u32_e32 v17, v17, v77
	s_nop 1
	v_mov_b32_dpp v77, v17 row_bcast:31 row_mask:0xf bank_mask:0xf
	v_cndmask_b32_e64 v77, 0, v77, s[36:37]
	v_add_u32_e32 v17, v17, v77
	s_and_saveexec_b64 s[4:5], s[16:17]
	s_cbranch_execz .LBB175_137
; %bb.136:
	ds_write_b32 v24, v17
.LBB175_137:
	s_or_b64 exec, exec, s[4:5]
	s_waitcnt lgkmcnt(0)
	s_barrier
	s_and_saveexec_b64 s[4:5], s[28:29]
	s_cbranch_execz .LBB175_139
; %bb.138:
	ds_read_b32 v24, v21
	s_waitcnt lgkmcnt(0)
	s_nop 0
	v_mov_b32_dpp v77, v24 row_shr:1 row_mask:0xf bank_mask:0xf
	v_cndmask_b32_e64 v77, v77, 0, s[22:23]
	v_add_u32_e32 v24, v77, v24
	s_nop 1
	v_mov_b32_dpp v77, v24 row_shr:2 row_mask:0xf bank_mask:0xf
	v_cndmask_b32_e64 v77, 0, v77, s[20:21]
	v_add_u32_e32 v24, v24, v77
	;; [unrolled: 4-line block ×3, first 2 shown]
	ds_write_b32 v21, v24
.LBB175_139:
	s_or_b64 exec, exec, s[4:5]
	v_mov_b32_e32 v21, 0
	s_waitcnt lgkmcnt(0)
	s_barrier
	s_and_saveexec_b64 s[4:5], s[38:39]
	s_cbranch_execz .LBB175_141
; %bb.140:
	ds_read_b32 v21, v33
.LBB175_141:
	s_or_b64 exec, exec, s[4:5]
	s_waitcnt lgkmcnt(0)
	v_add_u32_e32 v17, v21, v17
	ds_bpermute_b32 v17, v34, v17
	v_lshlrev_b32_e32 v34, 3, v53
	s_waitcnt lgkmcnt(0)
	v_cndmask_b32_e64 v17, v17, v21, s[40:41]
	v_cndmask_b32_e64 v17, v17, 0, s[42:43]
	v_add_u32_e32 v18, v17, v18
	v_add_u32_e32 v19, v18, v19
	;; [unrolled: 1-line block ×3, first 2 shown]
	ds_write2_b32 v62, v17, v18 offset0:8 offset1:9
	ds_write2_b32 v23, v19, v16 offset0:2 offset1:3
	s_waitcnt lgkmcnt(0)
	s_barrier
	ds_read_b32 v16, v75 offset:32
	ds_read_b32 v17, v73 offset:32
	;; [unrolled: 1-line block ×4, first 2 shown]
	s_waitcnt lgkmcnt(3)
	v_add3_u32 v16, v76, v22, v16
	ds_read_b32 v21, v64 offset:32
	ds_read_b32 v22, v40 offset:32
	ds_read_b32 v23, v37 offset:32
	ds_read_b32 v24, v32 offset:32
	s_waitcnt lgkmcnt(0)
	s_barrier
	v_add3_u32 v22, v41, v39, v22
	v_add3_u32 v23, v38, v36, v23
	v_add_u32_e32 v24, v24, v35
	v_lshlrev_b32_e32 v32, 1, v24
	ds_write_b16 v32, v31
	v_lshlrev_b32_e32 v31, 1, v23
	v_add3_u32 v21, v65, v63, v21
	ds_write_b16 v31, v30
	v_lshlrev_b32_e32 v30, 1, v22
	v_add3_u32 v19, v68, v66, v19
	;; [unrolled: 3-line block ×4, first 2 shown]
	ds_write_b16 v28, v27
	v_lshlrev_b32_e32 v27, 1, v18
	ds_write_b16 v27, v26
	v_lshlrev_b32_e32 v26, 1, v17
	;; [unrolled: 2-line block ×4, first 2 shown]
	v_lshlrev_b32_e32 v24, 3, v24
	v_lshlrev_b32_e32 v23, 3, v23
	v_lshlrev_b32_e32 v22, 3, v22
	v_lshlrev_b32_e32 v25, 3, v19
	v_lshlrev_b32_e32 v26, 3, v18
	v_lshlrev_b32_e32 v27, 3, v17
	v_lshlrev_b32_e32 v28, 3, v16
	s_waitcnt lgkmcnt(0)
	s_barrier
	v_lshlrev_b32_e32 v21, 3, v21
	ds_read_b128 v[16:19], v20
	s_waitcnt lgkmcnt(0)
	s_barrier
	ds_write_b64 v24, v[12:13]
	ds_write_b64 v23, v[14:15]
	;; [unrolled: 1-line block ×8, first 2 shown]
	s_waitcnt lgkmcnt(0)
	s_barrier
	ds_read2_b64 v[22:25], v34 offset1:1
	ds_read2_b64 v[26:29], v34 offset0:2 offset1:3
	ds_read2_b64 v[30:33], v34 offset0:4 offset1:5
	;; [unrolled: 1-line block ×3, first 2 shown]
	v_xor_b32_e32 v38, 0x7fff7fff, v16
	v_xor_b32_e32 v39, 0x7fff7fff, v17
	;; [unrolled: 1-line block ×4, first 2 shown]
.LBB175_142:
	s_waitcnt lgkmcnt(0)
	s_barrier
	ds_write_b128 v51, v[38:41]
	s_waitcnt lgkmcnt(0)
	s_barrier
	ds_read_u16 v8, v44 offset:1024
	ds_read_u16 v7, v45 offset:2048
	;; [unrolled: 1-line block ×7, first 2 shown]
	v_mad_u64_u32 v[0:1], s[4:5], v42, s48, 0
	v_mov_b32_e32 v10, v1
	v_mad_u64_u32 v[10:11], s[4:5], v42, s49, v[10:11]
	v_mov_b32_e32 v1, v10
	v_lshlrev_b64 v[0:1], 1, v[0:1]
	v_mov_b32_e32 v9, s54
	v_add_co_u32_e32 v0, vcc, s33, v0
	v_addc_co_u32_e32 v1, vcc, v9, v1, vcc
	s_and_saveexec_b64 s[4:5], s[0:1]
	s_cbranch_execnz .LBB175_161
; %bb.143:
	s_or_b64 exec, exec, s[4:5]
	s_and_saveexec_b64 s[4:5], s[2:3]
	s_cbranch_execnz .LBB175_162
.LBB175_144:
	s_or_b64 exec, exec, s[4:5]
	s_and_saveexec_b64 s[4:5], s[44:45]
	s_cbranch_execnz .LBB175_163
.LBB175_145:
	s_or_b64 exec, exec, s[4:5]
	s_and_saveexec_b64 s[4:5], s[6:7]
	s_cbranch_execnz .LBB175_164
.LBB175_146:
	s_or_b64 exec, exec, s[4:5]
	s_and_saveexec_b64 s[4:5], s[8:9]
	s_cbranch_execnz .LBB175_165
.LBB175_147:
	s_or_b64 exec, exec, s[4:5]
	s_and_saveexec_b64 s[4:5], s[10:11]
	s_cbranch_execnz .LBB175_166
.LBB175_148:
	s_or_b64 exec, exec, s[4:5]
	s_and_saveexec_b64 s[4:5], s[12:13]
	s_cbranch_execnz .LBB175_167
.LBB175_149:
	s_or_b64 exec, exec, s[4:5]
	s_and_saveexec_b64 s[4:5], s[14:15]
	s_cbranch_execz .LBB175_151
.LBB175_150:
	s_waitcnt lgkmcnt(1)
	v_mov_b32_e32 v3, 0x1c00
	v_mad_u64_u32 v[0:1], s[16:17], s48, v3, v[0:1]
	s_mul_i32 s16, s49, 0x1c00
	v_add_u32_e32 v1, s16, v1
	s_waitcnt lgkmcnt(0)
	global_store_short v[0:1], v2, off
.LBB175_151:
	s_or_b64 exec, exec, s[4:5]
	s_waitcnt lgkmcnt(0)
	s_barrier
	ds_write2_b64 v61, v[22:23], v[24:25] offset1:1
	ds_write2_b64 v61, v[26:27], v[28:29] offset0:2 offset1:3
	ds_write2_b64 v61, v[30:31], v[32:33] offset0:4 offset1:5
	;; [unrolled: 1-line block ×3, first 2 shown]
	s_waitcnt lgkmcnt(0)
	s_barrier
	ds_read_b64 v[14:15], v54 offset:4096
	ds_read_b64 v[12:13], v55 offset:8192
	;; [unrolled: 1-line block ×7, first 2 shown]
	v_mad_u64_u32 v[4:5], s[4:5], v42, s50, 0
	v_mov_b32_e32 v16, v5
	v_mad_u64_u32 v[16:17], s[4:5], v42, s51, v[16:17]
	v_mov_b32_e32 v5, v16
	v_lshlrev_b64 v[4:5], 3, v[4:5]
	v_mov_b32_e32 v16, s56
	v_add_co_u32_e32 v4, vcc, s55, v4
	v_addc_co_u32_e32 v5, vcc, v16, v5, vcc
	s_and_saveexec_b64 s[4:5], s[0:1]
	s_cbranch_execnz .LBB175_168
; %bb.152:
	s_or_b64 exec, exec, s[4:5]
	s_and_saveexec_b64 s[0:1], s[2:3]
	s_cbranch_execnz .LBB175_169
.LBB175_153:
	s_or_b64 exec, exec, s[0:1]
	s_and_saveexec_b64 s[0:1], s[44:45]
	s_cbranch_execnz .LBB175_170
.LBB175_154:
	s_or_b64 exec, exec, s[0:1]
	s_and_saveexec_b64 s[0:1], s[6:7]
	s_cbranch_execnz .LBB175_171
.LBB175_155:
	s_or_b64 exec, exec, s[0:1]
	s_and_saveexec_b64 s[0:1], s[8:9]
	s_cbranch_execnz .LBB175_172
.LBB175_156:
	s_or_b64 exec, exec, s[0:1]
	s_and_saveexec_b64 s[0:1], s[10:11]
	s_cbranch_execnz .LBB175_173
.LBB175_157:
	s_or_b64 exec, exec, s[0:1]
	s_and_saveexec_b64 s[0:1], s[12:13]
	s_cbranch_execnz .LBB175_174
.LBB175_158:
	s_or_b64 exec, exec, s[0:1]
	s_and_saveexec_b64 s[0:1], s[14:15]
	s_cbranch_execz .LBB175_160
.LBB175_159:
	s_waitcnt lgkmcnt(1)
	v_mov_b32_e32 v2, 0x7000
	v_mad_u64_u32 v[2:3], s[0:1], s50, v2, v[4:5]
	s_mul_i32 s0, s51, 0x7000
	v_add_u32_e32 v3, s0, v3
	s_waitcnt lgkmcnt(0)
	global_store_dwordx2 v[2:3], v[0:1], off
.LBB175_160:
	s_endpgm
.LBB175_161:
	ds_read_u16 v9, v43
	s_waitcnt lgkmcnt(0)
	global_store_short v[0:1], v9, off
	s_or_b64 exec, exec, s[4:5]
	s_and_saveexec_b64 s[4:5], s[2:3]
	s_cbranch_execz .LBB175_144
.LBB175_162:
	s_lshl_b64 s[16:17], s[48:49], 10
	v_mov_b32_e32 v9, s17
	v_add_co_u32_e32 v10, vcc, s16, v0
	v_addc_co_u32_e32 v11, vcc, v1, v9, vcc
	s_waitcnt lgkmcnt(6)
	global_store_short v[10:11], v8, off
	s_or_b64 exec, exec, s[4:5]
	s_and_saveexec_b64 s[4:5], s[44:45]
	s_cbranch_execz .LBB175_145
.LBB175_163:
	s_lshl_b64 s[16:17], s[48:49], 11
	v_mov_b32_e32 v9, s17
	s_waitcnt lgkmcnt(6)
	v_add_co_u32_e32 v8, vcc, s16, v0
	v_addc_co_u32_e32 v9, vcc, v1, v9, vcc
	s_waitcnt lgkmcnt(5)
	global_store_short v[8:9], v7, off
	s_or_b64 exec, exec, s[4:5]
	s_and_saveexec_b64 s[4:5], s[6:7]
	s_cbranch_execz .LBB175_146
.LBB175_164:
	s_waitcnt lgkmcnt(5)
	v_mov_b32_e32 v7, 0xc00
	v_mad_u64_u32 v[8:9], s[16:17], s48, v7, v[0:1]
	s_mul_i32 s16, s49, 0xc00
	v_add_u32_e32 v9, s16, v9
	s_waitcnt lgkmcnt(4)
	global_store_short v[8:9], v6, off
	s_or_b64 exec, exec, s[4:5]
	s_and_saveexec_b64 s[4:5], s[8:9]
	s_cbranch_execz .LBB175_147
.LBB175_165:
	s_lshl_b64 s[16:17], s[48:49], 12
	s_waitcnt lgkmcnt(5)
	v_mov_b32_e32 v7, s17
	s_waitcnt lgkmcnt(4)
	v_add_co_u32_e32 v6, vcc, s16, v0
	v_addc_co_u32_e32 v7, vcc, v1, v7, vcc
	s_waitcnt lgkmcnt(3)
	global_store_short v[6:7], v5, off
	s_or_b64 exec, exec, s[4:5]
	s_and_saveexec_b64 s[4:5], s[10:11]
	s_cbranch_execz .LBB175_148
.LBB175_166:
	s_waitcnt lgkmcnt(3)
	v_mov_b32_e32 v5, 0x1400
	v_mad_u64_u32 v[6:7], s[16:17], s48, v5, v[0:1]
	s_mul_i32 s16, s49, 0x1400
	v_add_u32_e32 v7, s16, v7
	s_waitcnt lgkmcnt(2)
	global_store_short v[6:7], v4, off
	s_or_b64 exec, exec, s[4:5]
	s_and_saveexec_b64 s[4:5], s[12:13]
	s_cbranch_execz .LBB175_149
.LBB175_167:
	s_waitcnt lgkmcnt(2)
	v_mov_b32_e32 v4, 0x1800
	v_mad_u64_u32 v[4:5], s[16:17], s48, v4, v[0:1]
	s_mul_i32 s16, s49, 0x1800
	v_add_u32_e32 v5, s16, v5
	s_waitcnt lgkmcnt(1)
	global_store_short v[4:5], v3, off
	s_or_b64 exec, exec, s[4:5]
	s_and_saveexec_b64 s[4:5], s[14:15]
	s_cbranch_execnz .LBB175_150
	s_branch .LBB175_151
.LBB175_168:
	ds_read_b64 v[16:17], v52
	s_waitcnt lgkmcnt(0)
	global_store_dwordx2 v[4:5], v[16:17], off
	s_or_b64 exec, exec, s[4:5]
	s_and_saveexec_b64 s[0:1], s[2:3]
	s_cbranch_execz .LBB175_153
.LBB175_169:
	s_lshl_b64 s[2:3], s[50:51], 12
	v_mov_b32_e32 v17, s3
	v_add_co_u32_e32 v16, vcc, s2, v4
	v_addc_co_u32_e32 v17, vcc, v5, v17, vcc
	s_waitcnt lgkmcnt(6)
	global_store_dwordx2 v[16:17], v[14:15], off
	s_or_b64 exec, exec, s[0:1]
	s_and_saveexec_b64 s[0:1], s[44:45]
	s_cbranch_execz .LBB175_154
.LBB175_170:
	s_lshl_b64 s[2:3], s[50:51], 13
	s_waitcnt lgkmcnt(6)
	v_mov_b32_e32 v15, s3
	v_add_co_u32_e32 v14, vcc, s2, v4
	v_addc_co_u32_e32 v15, vcc, v5, v15, vcc
	s_waitcnt lgkmcnt(5)
	global_store_dwordx2 v[14:15], v[12:13], off
	s_or_b64 exec, exec, s[0:1]
	s_and_saveexec_b64 s[0:1], s[6:7]
	s_cbranch_execz .LBB175_155
.LBB175_171:
	s_waitcnt lgkmcnt(5)
	v_mov_b32_e32 v12, 0x3000
	v_mad_u64_u32 v[12:13], s[2:3], s50, v12, v[4:5]
	s_mul_i32 s2, s51, 0x3000
	v_add_u32_e32 v13, s2, v13
	s_waitcnt lgkmcnt(4)
	global_store_dwordx2 v[12:13], v[10:11], off
	s_or_b64 exec, exec, s[0:1]
	s_and_saveexec_b64 s[0:1], s[8:9]
	s_cbranch_execz .LBB175_156
.LBB175_172:
	s_lshl_b64 s[2:3], s[50:51], 14
	s_waitcnt lgkmcnt(4)
	v_mov_b32_e32 v11, s3
	v_add_co_u32_e32 v10, vcc, s2, v4
	v_addc_co_u32_e32 v11, vcc, v5, v11, vcc
	s_waitcnt lgkmcnt(3)
	global_store_dwordx2 v[10:11], v[8:9], off
	s_or_b64 exec, exec, s[0:1]
	s_and_saveexec_b64 s[0:1], s[10:11]
	s_cbranch_execz .LBB175_157
.LBB175_173:
	s_waitcnt lgkmcnt(3)
	v_mov_b32_e32 v8, 0x5000
	v_mad_u64_u32 v[8:9], s[2:3], s50, v8, v[4:5]
	s_mul_i32 s2, s51, 0x5000
	v_add_u32_e32 v9, s2, v9
	s_waitcnt lgkmcnt(2)
	global_store_dwordx2 v[8:9], v[6:7], off
	s_or_b64 exec, exec, s[0:1]
	s_and_saveexec_b64 s[0:1], s[12:13]
	s_cbranch_execz .LBB175_158
.LBB175_174:
	s_waitcnt lgkmcnt(2)
	v_mov_b32_e32 v6, 0x6000
	v_mad_u64_u32 v[6:7], s[2:3], s50, v6, v[4:5]
	s_mul_i32 s2, s51, 0x6000
	v_add_u32_e32 v7, s2, v7
	s_waitcnt lgkmcnt(1)
	global_store_dwordx2 v[6:7], v[2:3], off
	s_or_b64 exec, exec, s[0:1]
	s_and_saveexec_b64 s[0:1], s[14:15]
	s_cbranch_execnz .LBB175_159
	s_branch .LBB175_160
	.section	.rodata,"a",@progbits
	.p2align	6, 0x0
	.amdhsa_kernel _ZN2at6native18radixSortKVInPlaceILin1ELin1ELi512ELi8EslmEEvNS_4cuda6detail10TensorInfoIT3_T5_EES6_S6_S6_NS4_IT4_S6_EES6_b
		.amdhsa_group_segment_fixed_size 33792
		.amdhsa_private_segment_fixed_size 0
		.amdhsa_kernarg_size 1128
		.amdhsa_user_sgpr_count 6
		.amdhsa_user_sgpr_private_segment_buffer 1
		.amdhsa_user_sgpr_dispatch_ptr 0
		.amdhsa_user_sgpr_queue_ptr 0
		.amdhsa_user_sgpr_kernarg_segment_ptr 1
		.amdhsa_user_sgpr_dispatch_id 0
		.amdhsa_user_sgpr_flat_scratch_init 0
		.amdhsa_user_sgpr_kernarg_preload_length 0
		.amdhsa_user_sgpr_kernarg_preload_offset 0
		.amdhsa_user_sgpr_private_segment_size 0
		.amdhsa_uses_dynamic_stack 0
		.amdhsa_system_sgpr_private_segment_wavefront_offset 0
		.amdhsa_system_sgpr_workgroup_id_x 1
		.amdhsa_system_sgpr_workgroup_id_y 1
		.amdhsa_system_sgpr_workgroup_id_z 1
		.amdhsa_system_sgpr_workgroup_info 0
		.amdhsa_system_vgpr_workitem_id 2
		.amdhsa_next_free_vgpr 111
		.amdhsa_next_free_sgpr 58
		.amdhsa_accum_offset 112
		.amdhsa_reserve_vcc 1
		.amdhsa_reserve_flat_scratch 0
		.amdhsa_float_round_mode_32 0
		.amdhsa_float_round_mode_16_64 0
		.amdhsa_float_denorm_mode_32 3
		.amdhsa_float_denorm_mode_16_64 3
		.amdhsa_dx10_clamp 1
		.amdhsa_ieee_mode 1
		.amdhsa_fp16_overflow 0
		.amdhsa_tg_split 0
		.amdhsa_exception_fp_ieee_invalid_op 0
		.amdhsa_exception_fp_denorm_src 0
		.amdhsa_exception_fp_ieee_div_zero 0
		.amdhsa_exception_fp_ieee_overflow 0
		.amdhsa_exception_fp_ieee_underflow 0
		.amdhsa_exception_fp_ieee_inexact 0
		.amdhsa_exception_int_div_zero 0
	.end_amdhsa_kernel
	.section	.text._ZN2at6native18radixSortKVInPlaceILin1ELin1ELi512ELi8EslmEEvNS_4cuda6detail10TensorInfoIT3_T5_EES6_S6_S6_NS4_IT4_S6_EES6_b,"axG",@progbits,_ZN2at6native18radixSortKVInPlaceILin1ELin1ELi512ELi8EslmEEvNS_4cuda6detail10TensorInfoIT3_T5_EES6_S6_S6_NS4_IT4_S6_EES6_b,comdat
.Lfunc_end175:
	.size	_ZN2at6native18radixSortKVInPlaceILin1ELin1ELi512ELi8EslmEEvNS_4cuda6detail10TensorInfoIT3_T5_EES6_S6_S6_NS4_IT4_S6_EES6_b, .Lfunc_end175-_ZN2at6native18radixSortKVInPlaceILin1ELin1ELi512ELi8EslmEEvNS_4cuda6detail10TensorInfoIT3_T5_EES6_S6_S6_NS4_IT4_S6_EES6_b
                                        ; -- End function
	.section	.AMDGPU.csdata,"",@progbits
; Kernel info:
; codeLenInByte = 22232
; NumSgprs: 62
; NumVgprs: 111
; NumAgprs: 0
; TotalNumVgprs: 111
; ScratchSize: 0
; MemoryBound: 0
; FloatMode: 240
; IeeeMode: 1
; LDSByteSize: 33792 bytes/workgroup (compile time only)
; SGPRBlocks: 7
; VGPRBlocks: 13
; NumSGPRsForWavesPerEU: 62
; NumVGPRsForWavesPerEU: 111
; AccumOffset: 112
; Occupancy: 2
; WaveLimiterHint : 1
; COMPUTE_PGM_RSRC2:SCRATCH_EN: 0
; COMPUTE_PGM_RSRC2:USER_SGPR: 6
; COMPUTE_PGM_RSRC2:TRAP_HANDLER: 0
; COMPUTE_PGM_RSRC2:TGID_X_EN: 1
; COMPUTE_PGM_RSRC2:TGID_Y_EN: 1
; COMPUTE_PGM_RSRC2:TGID_Z_EN: 1
; COMPUTE_PGM_RSRC2:TIDIG_COMP_CNT: 2
; COMPUTE_PGM_RSRC3_GFX90A:ACCUM_OFFSET: 27
; COMPUTE_PGM_RSRC3_GFX90A:TG_SPLIT: 0
	.section	.text._ZN2at6native18radixSortKVInPlaceILin1ELin1ELi256ELi8EslmEEvNS_4cuda6detail10TensorInfoIT3_T5_EES6_S6_S6_NS4_IT4_S6_EES6_b,"axG",@progbits,_ZN2at6native18radixSortKVInPlaceILin1ELin1ELi256ELi8EslmEEvNS_4cuda6detail10TensorInfoIT3_T5_EES6_S6_S6_NS4_IT4_S6_EES6_b,comdat
	.protected	_ZN2at6native18radixSortKVInPlaceILin1ELin1ELi256ELi8EslmEEvNS_4cuda6detail10TensorInfoIT3_T5_EES6_S6_S6_NS4_IT4_S6_EES6_b ; -- Begin function _ZN2at6native18radixSortKVInPlaceILin1ELin1ELi256ELi8EslmEEvNS_4cuda6detail10TensorInfoIT3_T5_EES6_S6_S6_NS4_IT4_S6_EES6_b
	.globl	_ZN2at6native18radixSortKVInPlaceILin1ELin1ELi256ELi8EslmEEvNS_4cuda6detail10TensorInfoIT3_T5_EES6_S6_S6_NS4_IT4_S6_EES6_b
	.p2align	8
	.type	_ZN2at6native18radixSortKVInPlaceILin1ELin1ELi256ELi8EslmEEvNS_4cuda6detail10TensorInfoIT3_T5_EES6_S6_S6_NS4_IT4_S6_EES6_b,@function
_ZN2at6native18radixSortKVInPlaceILin1ELin1ELi256ELi8EslmEEvNS_4cuda6detail10TensorInfoIT3_T5_EES6_S6_S6_NS4_IT4_S6_EES6_b: ; @_ZN2at6native18radixSortKVInPlaceILin1ELin1ELi256ELi8EslmEEvNS_4cuda6detail10TensorInfoIT3_T5_EES6_S6_S6_NS4_IT4_S6_EES6_b
; %bb.0:
	s_load_dwordx4 s[12:15], s[4:5], 0x1a0
	s_load_dwordx2 s[0:1], s[4:5], 0x368
	s_add_u32 s50, s4, 0x368
	s_addc_u32 s51, s5, 0
	s_waitcnt lgkmcnt(0)
	v_mov_b32_e32 v2, s12
	s_mul_i32 s1, s1, s8
	s_add_i32 s1, s1, s7
	s_mul_i32 s0, s1, s0
	v_mov_b32_e32 v3, s13
	s_add_i32 s6, s0, s6
	s_mov_b32 s7, 0
	v_cmp_ge_u64_e32 vcc, s[6:7], v[2:3]
	s_cbranch_vccnz .LBB176_160
; %bb.1:
	s_load_dword s0, s[4:5], 0x198
	s_load_dwordx2 s[46:47], s[4:5], 0x1b0
	s_mov_b64 s[2:3], 0
	s_mov_b64 s[8:9], s[6:7]
	s_waitcnt lgkmcnt(0)
	s_cmp_lt_i32 s0, 2
	s_cbranch_scc1 .LBB176_9
; %bb.2:
	s_mov_b32 s10, 0
	s_add_i32 s15, s0, 1
	s_add_i32 s0, s0, -1
	s_mov_b32 s1, s10
	s_lshl_b64 s[0:1], s[0:1], 3
	s_add_u32 s0, s0, s4
	s_addc_u32 s1, s1, s5
	s_add_u32 s12, s0, 8
	s_addc_u32 s13, s1, 0
	s_mov_b64 s[16:17], s[6:7]
.LBB176_3:                              ; =>This Inner Loop Header: Depth=1
	s_load_dwordx2 s[18:19], s[12:13], 0x0
	s_waitcnt lgkmcnt(0)
	s_or_b64 s[0:1], s[16:17], s[18:19]
	s_mov_b32 s11, s1
	s_cmp_lg_u64 s[10:11], 0
	s_cbranch_scc0 .LBB176_8
; %bb.4:                                ;   in Loop: Header=BB176_3 Depth=1
	v_cvt_f32_u32_e32 v1, s18
	v_cvt_f32_u32_e32 v2, s19
	s_sub_u32 s0, 0, s18
	s_subb_u32 s1, 0, s19
	v_mac_f32_e32 v1, 0x4f800000, v2
	v_rcp_f32_e32 v1, v1
	v_mul_f32_e32 v1, 0x5f7ffffc, v1
	v_mul_f32_e32 v2, 0x2f800000, v1
	v_trunc_f32_e32 v2, v2
	v_mac_f32_e32 v1, 0xcf800000, v2
	v_cvt_u32_f32_e32 v2, v2
	v_cvt_u32_f32_e32 v1, v1
	v_readfirstlane_b32 s8, v2
	v_readfirstlane_b32 s9, v1
	s_mul_i32 s11, s0, s8
	s_mul_hi_u32 s21, s0, s9
	s_mul_i32 s20, s1, s9
	s_add_i32 s11, s21, s11
	s_mul_i32 s22, s0, s9
	s_add_i32 s11, s11, s20
	s_mul_hi_u32 s20, s9, s11
	s_mul_i32 s21, s9, s11
	s_mul_hi_u32 s9, s9, s22
	s_add_u32 s9, s9, s21
	s_addc_u32 s20, 0, s20
	s_mul_hi_u32 s23, s8, s22
	s_mul_i32 s22, s8, s22
	s_add_u32 s9, s9, s22
	s_mul_hi_u32 s21, s8, s11
	s_addc_u32 s9, s20, s23
	s_addc_u32 s20, s21, 0
	s_mul_i32 s11, s8, s11
	s_add_u32 s9, s9, s11
	s_addc_u32 s11, 0, s20
	v_add_co_u32_e32 v1, vcc, s9, v1
	s_cmp_lg_u64 vcc, 0
	s_addc_u32 s8, s8, s11
	v_readfirstlane_b32 s11, v1
	s_mul_i32 s9, s0, s8
	s_mul_hi_u32 s20, s0, s11
	s_add_i32 s9, s20, s9
	s_mul_i32 s1, s1, s11
	s_add_i32 s9, s9, s1
	s_mul_i32 s0, s0, s11
	s_mul_hi_u32 s20, s8, s0
	s_mul_i32 s21, s8, s0
	s_mul_i32 s23, s11, s9
	s_mul_hi_u32 s0, s11, s0
	s_mul_hi_u32 s22, s11, s9
	s_add_u32 s0, s0, s23
	s_addc_u32 s11, 0, s22
	s_add_u32 s0, s0, s21
	s_mul_hi_u32 s1, s8, s9
	s_addc_u32 s0, s11, s20
	s_addc_u32 s1, s1, 0
	s_mul_i32 s9, s8, s9
	s_add_u32 s0, s0, s9
	s_addc_u32 s1, 0, s1
	v_add_co_u32_e32 v1, vcc, s0, v1
	s_cmp_lg_u64 vcc, 0
	s_addc_u32 s0, s8, s1
	v_readfirstlane_b32 s9, v1
	s_mul_i32 s8, s16, s0
	s_mul_hi_u32 s11, s16, s9
	s_mul_hi_u32 s1, s16, s0
	s_add_u32 s8, s11, s8
	s_addc_u32 s1, 0, s1
	s_mul_hi_u32 s20, s17, s9
	s_mul_i32 s9, s17, s9
	s_add_u32 s8, s8, s9
	s_mul_hi_u32 s11, s17, s0
	s_addc_u32 s1, s1, s20
	s_addc_u32 s8, s11, 0
	s_mul_i32 s0, s17, s0
	s_add_u32 s11, s1, s0
	s_addc_u32 s8, 0, s8
	s_mul_i32 s0, s18, s8
	s_mul_hi_u32 s1, s18, s11
	s_add_i32 s0, s1, s0
	s_mul_i32 s1, s19, s11
	s_add_i32 s9, s0, s1
	s_mul_i32 s1, s18, s11
	v_mov_b32_e32 v1, s1
	s_sub_i32 s0, s17, s9
	v_sub_co_u32_e32 v1, vcc, s16, v1
	s_cmp_lg_u64 vcc, 0
	s_subb_u32 s20, s0, s19
	v_subrev_co_u32_e64 v2, s[0:1], s18, v1
	s_cmp_lg_u64 s[0:1], 0
	s_subb_u32 s0, s20, 0
	s_cmp_ge_u32 s0, s19
	v_readfirstlane_b32 s20, v2
	s_cselect_b32 s1, -1, 0
	s_cmp_ge_u32 s20, s18
	s_cselect_b32 s20, -1, 0
	s_cmp_eq_u32 s0, s19
	s_cselect_b32 s0, s20, s1
	s_add_u32 s1, s11, 1
	s_addc_u32 s20, s8, 0
	s_add_u32 s21, s11, 2
	s_addc_u32 s22, s8, 0
	s_cmp_lg_u32 s0, 0
	s_cselect_b32 s0, s21, s1
	s_cselect_b32 s1, s22, s20
	s_cmp_lg_u64 vcc, 0
	s_subb_u32 s9, s17, s9
	s_cmp_ge_u32 s9, s19
	v_readfirstlane_b32 s21, v1
	s_cselect_b32 s20, -1, 0
	s_cmp_ge_u32 s21, s18
	s_cselect_b32 s21, -1, 0
	s_cmp_eq_u32 s9, s19
	s_cselect_b32 s9, s21, s20
	s_cmp_lg_u32 s9, 0
	s_cselect_b32 s9, s1, s8
	s_cselect_b32 s8, s0, s11
	s_cbranch_execnz .LBB176_6
.LBB176_5:                              ;   in Loop: Header=BB176_3 Depth=1
	v_cvt_f32_u32_e32 v1, s18
	s_sub_i32 s0, 0, s18
	v_rcp_iflag_f32_e32 v1, v1
	v_mul_f32_e32 v1, 0x4f7ffffe, v1
	v_cvt_u32_f32_e32 v1, v1
	v_readfirstlane_b32 s1, v1
	s_mul_i32 s0, s0, s1
	s_mul_hi_u32 s0, s1, s0
	s_add_i32 s1, s1, s0
	s_mul_hi_u32 s0, s16, s1
	s_mul_i32 s8, s0, s18
	s_sub_i32 s8, s16, s8
	s_add_i32 s1, s0, 1
	s_sub_i32 s9, s8, s18
	s_cmp_ge_u32 s8, s18
	s_cselect_b32 s0, s1, s0
	s_cselect_b32 s8, s9, s8
	s_add_i32 s1, s0, 1
	s_cmp_ge_u32 s8, s18
	s_cselect_b32 s8, s1, s0
	s_mov_b32 s9, s10
.LBB176_6:                              ;   in Loop: Header=BB176_3 Depth=1
	s_mul_i32 s0, s8, s19
	s_mul_hi_u32 s1, s8, s18
	s_add_i32 s11, s1, s0
	s_load_dwordx2 s[0:1], s[12:13], 0xc8
	s_mul_i32 s19, s9, s18
	s_add_i32 s11, s11, s19
	s_mul_i32 s18, s8, s18
	s_sub_u32 s16, s16, s18
	s_subb_u32 s11, s17, s11
	s_waitcnt lgkmcnt(0)
	s_mul_i32 s11, s0, s11
	s_mul_hi_u32 s17, s0, s16
	s_add_i32 s11, s17, s11
	s_mul_i32 s1, s1, s16
	s_add_i32 s11, s11, s1
	s_mul_i32 s0, s0, s16
	s_add_u32 s2, s0, s2
	s_addc_u32 s3, s11, s3
	s_add_i32 s15, s15, -1
	s_add_u32 s12, s12, -8
	s_addc_u32 s13, s13, -1
	s_cmp_gt_u32 s15, 2
	s_cbranch_scc0 .LBB176_9
; %bb.7:                                ;   in Loop: Header=BB176_3 Depth=1
	s_mov_b64 s[16:17], s[8:9]
	s_branch .LBB176_3
.LBB176_8:                              ;   in Loop: Header=BB176_3 Depth=1
                                        ; implicit-def: $sgpr8_sgpr9
	s_branch .LBB176_5
.LBB176_9:
	s_load_dword s0, s[4:5], 0x350
	s_load_dwordx2 s[10:11], s[4:5], 0xd0
	s_mov_b64 s[16:17], 0
	s_waitcnt lgkmcnt(0)
	s_cmp_lt_i32 s0, 2
	s_cbranch_scc1 .LBB176_17
; %bb.10:
	s_mov_b32 s12, 0
	s_add_i32 s15, s0, 1
	s_add_i32 s0, s0, -1
	s_mov_b32 s1, s12
	s_lshl_b64 s[0:1], s[0:1], 3
	s_add_u32 s0, s0, s4
	s_addc_u32 s1, s1, s5
	s_add_u32 s20, s0, 0x1c0
	s_addc_u32 s21, s1, 0
.LBB176_11:                             ; =>This Inner Loop Header: Depth=1
	s_load_dwordx2 s[22:23], s[20:21], 0x0
	s_waitcnt lgkmcnt(0)
	s_or_b64 s[0:1], s[6:7], s[22:23]
	s_mov_b32 s13, s1
	s_cmp_lg_u64 s[12:13], 0
	s_cbranch_scc0 .LBB176_16
; %bb.12:                               ;   in Loop: Header=BB176_11 Depth=1
	v_cvt_f32_u32_e32 v1, s22
	v_cvt_f32_u32_e32 v2, s23
	s_sub_u32 s0, 0, s22
	s_subb_u32 s1, 0, s23
	v_mac_f32_e32 v1, 0x4f800000, v2
	v_rcp_f32_e32 v1, v1
	v_mul_f32_e32 v1, 0x5f7ffffc, v1
	v_mul_f32_e32 v2, 0x2f800000, v1
	v_trunc_f32_e32 v2, v2
	v_mac_f32_e32 v1, 0xcf800000, v2
	v_cvt_u32_f32_e32 v2, v2
	v_cvt_u32_f32_e32 v1, v1
	v_readfirstlane_b32 s13, v2
	v_readfirstlane_b32 s18, v1
	s_mul_i32 s19, s0, s13
	s_mul_hi_u32 s25, s0, s18
	s_mul_i32 s24, s1, s18
	s_add_i32 s19, s25, s19
	s_mul_i32 s26, s0, s18
	s_add_i32 s19, s19, s24
	s_mul_hi_u32 s24, s18, s19
	s_mul_i32 s25, s18, s19
	s_mul_hi_u32 s18, s18, s26
	s_add_u32 s18, s18, s25
	s_addc_u32 s24, 0, s24
	s_mul_hi_u32 s27, s13, s26
	s_mul_i32 s26, s13, s26
	s_add_u32 s18, s18, s26
	s_mul_hi_u32 s25, s13, s19
	s_addc_u32 s18, s24, s27
	s_addc_u32 s24, s25, 0
	s_mul_i32 s19, s13, s19
	s_add_u32 s18, s18, s19
	s_addc_u32 s19, 0, s24
	v_add_co_u32_e32 v1, vcc, s18, v1
	s_cmp_lg_u64 vcc, 0
	s_addc_u32 s13, s13, s19
	v_readfirstlane_b32 s19, v1
	s_mul_i32 s18, s0, s13
	s_mul_hi_u32 s24, s0, s19
	s_add_i32 s18, s24, s18
	s_mul_i32 s1, s1, s19
	s_add_i32 s18, s18, s1
	s_mul_i32 s0, s0, s19
	s_mul_hi_u32 s24, s13, s0
	s_mul_i32 s25, s13, s0
	s_mul_i32 s27, s19, s18
	s_mul_hi_u32 s0, s19, s0
	s_mul_hi_u32 s26, s19, s18
	s_add_u32 s0, s0, s27
	s_addc_u32 s19, 0, s26
	s_add_u32 s0, s0, s25
	s_mul_hi_u32 s1, s13, s18
	s_addc_u32 s0, s19, s24
	s_addc_u32 s1, s1, 0
	s_mul_i32 s18, s13, s18
	s_add_u32 s0, s0, s18
	s_addc_u32 s1, 0, s1
	v_add_co_u32_e32 v1, vcc, s0, v1
	s_cmp_lg_u64 vcc, 0
	s_addc_u32 s0, s13, s1
	v_readfirstlane_b32 s18, v1
	s_mul_i32 s13, s6, s0
	s_mul_hi_u32 s19, s6, s18
	s_mul_hi_u32 s1, s6, s0
	s_add_u32 s13, s19, s13
	s_addc_u32 s1, 0, s1
	s_mul_hi_u32 s24, s7, s18
	s_mul_i32 s18, s7, s18
	s_add_u32 s13, s13, s18
	s_mul_hi_u32 s19, s7, s0
	s_addc_u32 s1, s1, s24
	s_addc_u32 s13, s19, 0
	s_mul_i32 s0, s7, s0
	s_add_u32 s18, s1, s0
	s_addc_u32 s13, 0, s13
	s_mul_i32 s0, s22, s13
	s_mul_hi_u32 s1, s22, s18
	s_add_i32 s0, s1, s0
	s_mul_i32 s1, s23, s18
	s_add_i32 s19, s0, s1
	s_mul_i32 s1, s22, s18
	v_mov_b32_e32 v1, s1
	s_sub_i32 s0, s7, s19
	v_sub_co_u32_e32 v1, vcc, s6, v1
	s_cmp_lg_u64 vcc, 0
	s_subb_u32 s24, s0, s23
	v_subrev_co_u32_e64 v2, s[0:1], s22, v1
	s_cmp_lg_u64 s[0:1], 0
	s_subb_u32 s0, s24, 0
	s_cmp_ge_u32 s0, s23
	v_readfirstlane_b32 s24, v2
	s_cselect_b32 s1, -1, 0
	s_cmp_ge_u32 s24, s22
	s_cselect_b32 s24, -1, 0
	s_cmp_eq_u32 s0, s23
	s_cselect_b32 s0, s24, s1
	s_add_u32 s1, s18, 1
	s_addc_u32 s24, s13, 0
	s_add_u32 s25, s18, 2
	s_addc_u32 s26, s13, 0
	s_cmp_lg_u32 s0, 0
	s_cselect_b32 s0, s25, s1
	s_cselect_b32 s1, s26, s24
	s_cmp_lg_u64 vcc, 0
	s_subb_u32 s19, s7, s19
	s_cmp_ge_u32 s19, s23
	v_readfirstlane_b32 s25, v1
	s_cselect_b32 s24, -1, 0
	s_cmp_ge_u32 s25, s22
	s_cselect_b32 s25, -1, 0
	s_cmp_eq_u32 s19, s23
	s_cselect_b32 s19, s25, s24
	s_cmp_lg_u32 s19, 0
	s_cselect_b32 s19, s1, s13
	s_cselect_b32 s18, s0, s18
	s_cbranch_execnz .LBB176_14
.LBB176_13:                             ;   in Loop: Header=BB176_11 Depth=1
	v_cvt_f32_u32_e32 v1, s22
	s_sub_i32 s0, 0, s22
	s_mov_b32 s19, s12
	v_rcp_iflag_f32_e32 v1, v1
	v_mul_f32_e32 v1, 0x4f7ffffe, v1
	v_cvt_u32_f32_e32 v1, v1
	v_readfirstlane_b32 s1, v1
	s_mul_i32 s0, s0, s1
	s_mul_hi_u32 s0, s1, s0
	s_add_i32 s1, s1, s0
	s_mul_hi_u32 s0, s6, s1
	s_mul_i32 s13, s0, s22
	s_sub_i32 s13, s6, s13
	s_add_i32 s1, s0, 1
	s_sub_i32 s18, s13, s22
	s_cmp_ge_u32 s13, s22
	s_cselect_b32 s0, s1, s0
	s_cselect_b32 s13, s18, s13
	s_add_i32 s1, s0, 1
	s_cmp_ge_u32 s13, s22
	s_cselect_b32 s18, s1, s0
.LBB176_14:                             ;   in Loop: Header=BB176_11 Depth=1
	s_mul_i32 s0, s18, s23
	s_mul_hi_u32 s1, s18, s22
	s_add_i32 s13, s1, s0
	s_load_dwordx2 s[0:1], s[20:21], 0xc8
	s_mul_i32 s23, s19, s22
	s_add_i32 s13, s13, s23
	s_mul_i32 s22, s18, s22
	s_sub_u32 s6, s6, s22
	s_subb_u32 s7, s7, s13
	s_waitcnt lgkmcnt(0)
	s_mul_i32 s7, s0, s7
	s_mul_hi_u32 s13, s0, s6
	s_add_i32 s7, s13, s7
	s_mul_i32 s1, s1, s6
	s_add_i32 s7, s7, s1
	s_mul_i32 s0, s0, s6
	s_add_u32 s16, s0, s16
	s_addc_u32 s17, s7, s17
	s_add_i32 s15, s15, -1
	s_add_u32 s20, s20, -8
	s_addc_u32 s21, s21, -1
	s_cmp_gt_u32 s15, 2
	s_cbranch_scc0 .LBB176_18
; %bb.15:                               ;   in Loop: Header=BB176_11 Depth=1
	s_mov_b64 s[6:7], s[18:19]
	s_branch .LBB176_11
.LBB176_16:                             ;   in Loop: Header=BB176_11 Depth=1
                                        ; implicit-def: $sgpr18_sgpr19
	s_branch .LBB176_13
.LBB176_17:
	s_mov_b64 s[18:19], s[6:7]
.LBB176_18:
	s_mul_i32 s0, s10, s9
	s_load_dword s9, s[4:5], 0x360
	s_load_dwordx2 s[6:7], s[4:5], 0x0
	s_mul_hi_u32 s1, s10, s8
	s_add_i32 s0, s1, s0
	s_mul_i32 s1, s11, s8
	s_add_i32 s1, s0, s1
	s_waitcnt lgkmcnt(0)
	s_bitcmp1_b32 s9, 0
	s_cselect_b64 s[34:35], -1, 0
	s_mul_i32 s0, s10, s8
	s_mov_b32 s10, 0x8000
	s_and_b64 s[8:9], s[34:35], exec
	s_cselect_b32 s12, s10, 0x7fff
	s_lshl_b64 s[0:1], s[0:1], 1
	s_add_u32 s6, s6, s0
	s_pack_ll_b32_b16 s8, s12, s12
	s_addc_u32 s7, s7, s1
	s_lshl_b64 s[0:1], s[2:3], 1
	s_mov_b32 s9, s8
	s_add_u32 s33, s6, s0
	v_and_b32_e32 v42, 0x3ff, v0
	s_mov_b32 s10, s8
	s_mov_b32 s11, s8
	v_pk_mov_b32 v[2:3], s[8:9], s[8:9] op_sel:[0,1]
	s_addc_u32 s52, s7, s1
	v_cmp_gt_u32_e64 s[0:1], s14, v42
	v_pk_mov_b32 v[4:5], s[10:11], s[10:11] op_sel:[0,1]
	v_mov_b32_e32 v6, s12
	s_and_saveexec_b64 s[2:3], s[0:1]
	s_cbranch_execz .LBB176_20
; %bb.19:
	v_mad_u64_u32 v[2:3], s[6:7], v42, s46, 0
	v_mov_b32_e32 v4, v3
	v_mad_u64_u32 v[4:5], s[6:7], v42, s47, v[4:5]
	v_mov_b32_e32 v3, v4
	v_lshlrev_b64 v[2:3], 1, v[2:3]
	v_mov_b32_e32 v1, s52
	v_add_co_u32_e32 v2, vcc, s33, v2
	v_addc_co_u32_e32 v3, vcc, v1, v3, vcc
	global_load_ushort v6, v[2:3], off
	s_mov_b32 s6, 0xffff
	v_mov_b32_e32 v1, s8
	v_mov_b32_e32 v3, s8
	;; [unrolled: 1-line block ×4, first 2 shown]
	s_waitcnt vmcnt(0)
	v_bfi_b32 v2, s6, v6, v1
.LBB176_20:
	s_or_b64 exec, exec, s[2:3]
	v_add_u32_e32 v1, 0x100, v42
	v_cmp_gt_u32_e64 s[2:3], s14, v1
	s_and_saveexec_b64 s[6:7], s[2:3]
	s_cbranch_execz .LBB176_22
; %bb.21:
	v_mad_u64_u32 v[8:9], s[8:9], v1, s46, 0
	v_mov_b32_e32 v10, v9
	v_mad_u64_u32 v[10:11], s[8:9], v1, s47, v[10:11]
	v_mov_b32_e32 v9, v10
	v_lshlrev_b64 v[8:9], 1, v[8:9]
	v_mov_b32_e32 v7, s52
	v_add_co_u32_e32 v8, vcc, s33, v8
	v_addc_co_u32_e32 v9, vcc, v7, v9, vcc
	global_load_ushort v7, v[8:9], off
	s_mov_b32 s8, 0x5040100
	s_waitcnt vmcnt(0)
	v_perm_b32 v2, v7, v2, s8
.LBB176_22:
	s_or_b64 exec, exec, s[6:7]
	v_add_u32_e32 v22, 0x200, v42
	v_cmp_gt_u32_e64 s[42:43], s14, v22
	s_and_saveexec_b64 s[6:7], s[42:43]
	s_cbranch_execz .LBB176_24
; %bb.23:
	v_mad_u64_u32 v[8:9], s[8:9], v22, s46, 0
	v_mov_b32_e32 v10, v9
	v_mad_u64_u32 v[10:11], s[8:9], v22, s47, v[10:11]
	v_mov_b32_e32 v9, v10
	v_lshlrev_b64 v[8:9], 1, v[8:9]
	v_mov_b32_e32 v7, s52
	v_add_co_u32_e32 v8, vcc, s33, v8
	v_addc_co_u32_e32 v9, vcc, v7, v9, vcc
	global_load_ushort v7, v[8:9], off
	s_mov_b32 s8, 0xffff
	s_waitcnt vmcnt(0)
	v_bfi_b32 v3, s8, v7, v3
.LBB176_24:
	s_or_b64 exec, exec, s[6:7]
	v_add_u32_e32 v23, 0x300, v42
	v_cmp_gt_u32_e64 s[6:7], s14, v23
	s_and_saveexec_b64 s[8:9], s[6:7]
	s_cbranch_execz .LBB176_26
; %bb.25:
	v_mad_u64_u32 v[8:9], s[10:11], v23, s46, 0
	v_mov_b32_e32 v10, v9
	v_mad_u64_u32 v[10:11], s[10:11], v23, s47, v[10:11]
	v_mov_b32_e32 v9, v10
	v_lshlrev_b64 v[8:9], 1, v[8:9]
	v_mov_b32_e32 v7, s52
	v_add_co_u32_e32 v8, vcc, s33, v8
	v_addc_co_u32_e32 v9, vcc, v7, v9, vcc
	global_load_ushort v7, v[8:9], off
	s_mov_b32 s10, 0x5040100
	s_waitcnt vmcnt(0)
	v_perm_b32 v3, v7, v3, s10
.LBB176_26:
	s_or_b64 exec, exec, s[8:9]
	v_or_b32_e32 v24, 0x400, v42
	v_cmp_gt_u32_e64 s[8:9], s14, v24
	s_and_saveexec_b64 s[10:11], s[8:9]
	s_cbranch_execz .LBB176_28
; %bb.27:
	v_mad_u64_u32 v[8:9], s[12:13], v24, s46, 0
	v_mov_b32_e32 v10, v9
	v_mad_u64_u32 v[10:11], s[12:13], v24, s47, v[10:11]
	v_mov_b32_e32 v9, v10
	v_lshlrev_b64 v[8:9], 1, v[8:9]
	v_mov_b32_e32 v7, s52
	v_add_co_u32_e32 v8, vcc, s33, v8
	v_addc_co_u32_e32 v9, vcc, v7, v9, vcc
	global_load_ushort v7, v[8:9], off
	s_mov_b32 s12, 0xffff
	s_waitcnt vmcnt(0)
	v_bfi_b32 v4, s12, v7, v4
.LBB176_28:
	s_or_b64 exec, exec, s[10:11]
	v_add_u32_e32 v25, 0x500, v42
	v_cmp_gt_u32_e64 s[10:11], s14, v25
	s_and_saveexec_b64 s[12:13], s[10:11]
	s_cbranch_execz .LBB176_30
; %bb.29:
	v_mad_u64_u32 v[8:9], s[20:21], v25, s46, 0
	v_mov_b32_e32 v10, v9
	v_mad_u64_u32 v[10:11], s[20:21], v25, s47, v[10:11]
	v_mov_b32_e32 v9, v10
	v_lshlrev_b64 v[8:9], 1, v[8:9]
	v_mov_b32_e32 v7, s52
	v_add_co_u32_e32 v8, vcc, s33, v8
	v_addc_co_u32_e32 v9, vcc, v7, v9, vcc
	global_load_ushort v7, v[8:9], off
	s_mov_b32 s15, 0x5040100
	s_waitcnt vmcnt(0)
	v_perm_b32 v4, v7, v4, s15
.LBB176_30:
	s_or_b64 exec, exec, s[12:13]
	s_load_dwordx2 s[22:23], s[4:5], 0x288
	s_load_dwordx2 s[20:21], s[4:5], 0x1b8
	v_add_u32_e32 v26, 0x600, v42
	v_cmp_gt_u32_e64 s[12:13], s14, v26
	s_and_saveexec_b64 s[24:25], s[12:13]
	s_cbranch_execz .LBB176_32
; %bb.31:
	v_mad_u64_u32 v[8:9], s[26:27], v26, s46, 0
	v_mov_b32_e32 v10, v9
	v_mad_u64_u32 v[10:11], s[26:27], v26, s47, v[10:11]
	v_mov_b32_e32 v9, v10
	v_lshlrev_b64 v[8:9], 1, v[8:9]
	v_mov_b32_e32 v7, s52
	v_add_co_u32_e32 v8, vcc, s33, v8
	v_addc_co_u32_e32 v9, vcc, v7, v9, vcc
	global_load_ushort v7, v[8:9], off
	s_mov_b32 s15, 0xffff
	s_waitcnt vmcnt(0)
	v_bfi_b32 v5, s15, v7, v5
.LBB176_32:
	s_or_b64 exec, exec, s[24:25]
	v_add_u32_e32 v27, 0x700, v42
	v_cmp_gt_u32_e64 s[14:15], s14, v27
	s_and_saveexec_b64 s[24:25], s[14:15]
	s_cbranch_execz .LBB176_34
; %bb.33:
	v_mad_u64_u32 v[8:9], s[26:27], v27, s46, 0
	v_mov_b32_e32 v10, v9
	v_mad_u64_u32 v[10:11], s[26:27], v27, s47, v[10:11]
	v_mov_b32_e32 v9, v10
	v_lshlrev_b64 v[8:9], 1, v[8:9]
	v_mov_b32_e32 v7, s52
	v_add_co_u32_e32 v8, vcc, s33, v8
	v_addc_co_u32_e32 v9, vcc, v7, v9, vcc
	global_load_ushort v7, v[8:9], off
	s_mov_b32 s26, 0x5040100
	s_waitcnt vmcnt(0)
	v_perm_b32 v5, v7, v5, s26
.LBB176_34:
	s_or_b64 exec, exec, s[24:25]
	v_lshrrev_b32_e32 v36, 5, v42
	v_and_b32_e32 v7, 30, v36
	v_add_lshl_u32 v43, v7, v42, 1
	v_lshrrev_b32_e32 v35, 5, v1
	ds_write_b16 v43, v6
	v_and_b32_e32 v6, 62, v35
	v_add_lshl_u32 v44, v6, v42, 1
	v_lshrrev_b32_e32 v34, 5, v22
	ds_write_b16_d16_hi v44, v2 offset:512
	v_and_b32_e32 v2, 62, v34
	v_lshrrev_b32_e32 v33, 5, v23
	v_add_lshl_u32 v45, v2, v42, 1
	v_and_b32_e32 v2, 62, v33
	v_lshrrev_b32_e32 v32, 5, v24
	v_add_lshl_u32 v46, v2, v42, 1
	v_and_b32_e32 v2, 62, v32
	v_lshrrev_b32_e32 v31, 5, v25
	s_waitcnt lgkmcnt(0)
	s_mul_i32 s19, s22, s19
	s_mul_hi_u32 s24, s22, s18
	v_add_lshl_u32 v47, v2, v42, 1
	v_and_b32_e32 v2, 0x7e, v31
	v_lshrrev_b32_e32 v29, 5, v26
	s_add_i32 s19, s24, s19
	s_mul_i32 s23, s23, s18
	v_add_lshl_u32 v48, v2, v42, 1
	v_and_b32_e32 v2, 0x7e, v29
	v_lshrrev_b32_e32 v28, 5, v27
	s_add_i32 s19, s19, s23
	s_mul_i32 s18, s22, s18
	v_add_lshl_u32 v49, v2, v42, 1
	v_and_b32_e32 v2, 0x7e, v28
	v_lshrrev_b32_e32 v30, 2, v42
	s_lshl_b64 s[18:19], s[18:19], 3
	v_add_lshl_u32 v50, v2, v42, 1
	v_lshlrev_b32_e32 v53, 3, v42
	v_and_b32_e32 v2, 0xfe, v30
	s_add_u32 s18, s20, s18
	v_add_lshl_u32 v51, v2, v53, 1
	s_addc_u32 s19, s21, s19
	s_lshl_b64 s[16:17], s[16:17], 3
	s_load_dwordx2 s[48:49], s[4:5], 0x358
	ds_write_b16 v45, v3 offset:1024
	ds_write_b16_d16_hi v46, v3 offset:1536
	ds_write_b16 v47, v4 offset:2048
	ds_write_b16_d16_hi v48, v4 offset:2560
	;; [unrolled: 2-line block ×3, first 2 shown]
	s_waitcnt lgkmcnt(0)
	s_barrier
	ds_read_b128 v[18:21], v51
	s_add_u32 s53, s18, s16
	s_mov_b32 s16, 0
	s_addc_u32 s54, s19, s17
	s_mov_b32 s17, s16
	s_mov_b32 s18, s16
	;; [unrolled: 1-line block ×15, first 2 shown]
	v_pk_mov_b32 v[2:3], s[16:17], s[16:17] op_sel:[0,1]
	v_pk_mov_b32 v[4:5], s[18:19], s[18:19] op_sel:[0,1]
	;; [unrolled: 1-line block ×8, first 2 shown]
	v_pk_mov_b32 v[2:3], 0, 0
	s_waitcnt lgkmcnt(0)
	s_barrier
	s_and_saveexec_b64 s[4:5], s[0:1]
	s_cbranch_execnz .LBB176_89
; %bb.35:
	s_or_b64 exec, exec, s[4:5]
	s_and_saveexec_b64 s[4:5], s[2:3]
	s_cbranch_execnz .LBB176_90
.LBB176_36:
	s_or_b64 exec, exec, s[4:5]
	s_and_saveexec_b64 s[4:5], s[42:43]
	s_cbranch_execnz .LBB176_91
.LBB176_37:
	s_or_b64 exec, exec, s[4:5]
	s_and_saveexec_b64 s[4:5], s[6:7]
	s_cbranch_execnz .LBB176_92
.LBB176_38:
	s_or_b64 exec, exec, s[4:5]
	s_and_saveexec_b64 s[4:5], s[8:9]
	s_cbranch_execnz .LBB176_93
.LBB176_39:
	s_or_b64 exec, exec, s[4:5]
	s_and_saveexec_b64 s[4:5], s[10:11]
	s_cbranch_execnz .LBB176_94
.LBB176_40:
	s_or_b64 exec, exec, s[4:5]
	s_and_saveexec_b64 s[4:5], s[12:13]
	s_cbranch_execnz .LBB176_95
.LBB176_41:
	s_or_b64 exec, exec, s[4:5]
	s_xor_b64 s[4:5], s[34:35], -1
	s_and_saveexec_b64 s[16:17], s[14:15]
	s_cbranch_execz .LBB176_43
.LBB176_42:
	v_mad_u64_u32 v[16:17], s[18:19], v27, s48, 0
	v_mov_b32_e32 v22, v17
	v_mad_u64_u32 v[22:23], s[18:19], v27, s49, v[22:23]
	v_mov_b32_e32 v17, v22
	v_lshlrev_b64 v[16:17], 3, v[16:17]
	v_mov_b32_e32 v1, s54
	v_add_co_u32_e32 v16, vcc, s53, v16
	v_addc_co_u32_e32 v17, vcc, v1, v17, vcc
	global_load_dwordx2 v[16:17], v[16:17], off
.LBB176_43:
	s_or_b64 exec, exec, s[16:17]
	v_add_lshl_u32 v52, v36, v42, 3
	v_add_lshl_u32 v54, v35, v42, 3
	;; [unrolled: 1-line block ×9, first 2 shown]
	s_waitcnt vmcnt(0)
	ds_write_b64 v52, v[2:3]
	ds_write_b64 v54, v[4:5] offset:2048
	ds_write_b64 v55, v[6:7] offset:4096
	;; [unrolled: 1-line block ×7, first 2 shown]
	s_waitcnt lgkmcnt(0)
	s_barrier
	ds_read2_b64 v[14:17], v61 offset1:1
	ds_read2_b64 v[10:13], v61 offset0:2 offset1:3
	ds_read2_b64 v[6:9], v61 offset0:4 offset1:5
	;; [unrolled: 1-line block ×3, first 2 shown]
	v_mbcnt_lo_u32_b32 v1, -1, 0
	v_mbcnt_hi_u32_b32 v63, -1, v1
	v_and_b32_e32 v65, 0x3c0, v42
	v_add_u32_e32 v1, v63, v65
	v_and_b32_e32 v64, 0x1e00, v53
	v_lshlrev_b32_e32 v22, 3, v1
	v_lshlrev_b32_e32 v71, 4, v1
	v_or_b32_e32 v1, v63, v64
	v_lshlrev_b32_e32 v70, 1, v1
	s_and_b64 vcc, exec, s[4:5]
	v_bfe_u32 v66, v0, 10, 10
	v_bfe_u32 v67, v0, 20, 10
	v_lshlrev_b32_e32 v69, 3, v22
	v_lshlrev_b32_e32 v68, 3, v1
	;; [unrolled: 1-line block ×3, first 2 shown]
	s_waitcnt lgkmcnt(0)
	s_barrier
	s_cbranch_vccz .LBB176_96
; %bb.44:
	s_movk_i32 s4, 0x8000
	v_xor_b32_e32 v0, 0xffff8000, v18
	v_xor_b32_sdwa v1, v18, s4 dst_sel:DWORD dst_unused:UNUSED_PAD src0_sel:WORD_1 src1_sel:DWORD
	v_xor_b32_e32 v22, 0xffff8000, v19
	v_xor_b32_sdwa v23, v19, s4 dst_sel:DWORD dst_unused:UNUSED_PAD src0_sel:WORD_1 src1_sel:DWORD
	;; [unrolled: 2-line block ×4, first 2 shown]
	s_mov_b32 s4, 0x5040100
	v_perm_b32 v25, v27, v25, s4
	v_perm_b32 v24, v26, v24, s4
	;; [unrolled: 1-line block ×4, first 2 shown]
	ds_write_b128 v71, v[22:25]
	; wave barrier
	ds_read_u16 v82, v70
	ds_read_u16 v81, v70 offset:128
	ds_read_u16 v80, v70 offset:256
	;; [unrolled: 1-line block ×7, first 2 shown]
	s_waitcnt lgkmcnt(0)
	s_barrier
	ds_write2_b64 v69, v[14:15], v[16:17] offset1:1
	ds_write2_b64 v69, v[10:11], v[12:13] offset0:2 offset1:3
	ds_write2_b64 v69, v[6:7], v[8:9] offset0:4 offset1:5
	;; [unrolled: 1-line block ×3, first 2 shown]
	; wave barrier
	ds_read2st64_b64 v[34:37], v68 offset1:1
	ds_read2st64_b64 v[30:33], v68 offset0:2 offset1:3
	ds_read2st64_b64 v[26:29], v68 offset0:4 offset1:5
	;; [unrolled: 1-line block ×3, first 2 shown]
	s_waitcnt lgkmcnt(0)
	s_barrier
	s_load_dword s16, s[50:51], 0xc
	s_getpc_b64 s[4:5]
	s_add_u32 s4, s4, _ZN7rocprim17ROCPRIM_400000_NS16block_radix_sortIsLj256ELj8ElLj1ELj1ELj0ELNS0_26block_radix_rank_algorithmE1ELNS0_18block_padding_hintE2ELNS0_4arch9wavefront6targetE1EE19radix_bits_per_passE@rel32@lo+4
	s_addc_u32 s5, s5, _ZN7rocprim17ROCPRIM_400000_NS16block_radix_sortIsLj256ELj8ElLj1ELj1ELj0ELNS0_26block_radix_rank_algorithmE1ELNS0_18block_padding_hintE2ELNS0_4arch9wavefront6targetE1EE19radix_bits_per_passE@rel32@hi+12
	s_load_dword s44, s[4:5], 0x0
	s_waitcnt lgkmcnt(0)
	s_lshr_b32 s4, s16, 16
	s_and_b32 s5, s16, 0xffff
	v_mad_u32_u24 v0, v67, s4, v66
	v_mad_u64_u32 v[0:1], s[4:5], v0, s5, v[42:43]
	s_min_u32 s4, s44, 16
	s_lshl_b32 s4, -1, s4
	s_not_b32 s16, s4
	v_and_b32_sdwa v38, s16, v82 dst_sel:DWORD dst_unused:UNUSED_PAD src0_sel:DWORD src1_sel:WORD_0
	v_lshrrev_b32_e32 v72, 6, v0
	v_lshlrev_b32_e32 v1, 2, v38
	v_add_lshl_u32 v85, v72, v1, 2
	v_and_b32_e32 v1, 1, v38
	v_add_co_u32_e32 v39, vcc, -1, v1
	v_addc_co_u32_e64 v40, s[4:5], 0, -1, vcc
	v_cmp_ne_u32_e32 vcc, 0, v1
	v_xor_b32_e32 v1, vcc_hi, v40
	v_mov_b32_e32 v0, 0
	v_and_b32_e32 v40, exec_hi, v1
	v_lshlrev_b32_e32 v1, 30, v38
	v_xor_b32_e32 v39, vcc_lo, v39
	v_cmp_gt_i64_e32 vcc, 0, v[0:1]
	v_not_b32_e32 v1, v1
	v_ashrrev_i32_e32 v1, 31, v1
	v_and_b32_e32 v39, exec_lo, v39
	v_xor_b32_e32 v41, vcc_hi, v1
	v_xor_b32_e32 v1, vcc_lo, v1
	v_and_b32_e32 v39, v39, v1
	v_lshlrev_b32_e32 v1, 29, v38
	v_cmp_gt_i64_e32 vcc, 0, v[0:1]
	v_not_b32_e32 v1, v1
	v_ashrrev_i32_e32 v1, 31, v1
	v_and_b32_e32 v40, v40, v41
	v_xor_b32_e32 v41, vcc_hi, v1
	v_xor_b32_e32 v1, vcc_lo, v1
	v_and_b32_e32 v39, v39, v1
	v_lshlrev_b32_e32 v1, 28, v38
	v_cmp_gt_i64_e32 vcc, 0, v[0:1]
	v_not_b32_e32 v1, v1
	v_ashrrev_i32_e32 v1, 31, v1
	v_and_b32_e32 v40, v40, v41
	;; [unrolled: 8-line block ×5, first 2 shown]
	v_xor_b32_e32 v41, vcc_hi, v1
	v_xor_b32_e32 v1, vcc_lo, v1
	v_and_b32_e32 v40, v40, v41
	v_and_b32_e32 v41, v39, v1
	v_lshlrev_b32_e32 v1, 24, v38
	v_cmp_gt_i64_e32 vcc, 0, v[0:1]
	v_not_b32_e32 v1, v1
	v_ashrrev_i32_e32 v1, 31, v1
	v_xor_b32_e32 v38, vcc_hi, v1
	v_xor_b32_e32 v1, vcc_lo, v1
	v_and_b32_e32 v39, v40, v38
	v_and_b32_e32 v38, v41, v1
	v_mbcnt_lo_u32_b32 v1, v38, 0
	v_mbcnt_hi_u32_b32 v86, v39, v1
	v_cmp_eq_u32_e32 vcc, 0, v86
	v_cmp_ne_u64_e64 s[4:5], 0, v[38:39]
	s_and_b64 s[18:19], s[4:5], vcc
	ds_write2_b32 v62, v0, v0 offset0:4 offset1:5
	ds_write2_b32 v62, v0, v0 offset0:6 offset1:7
	s_waitcnt lgkmcnt(0)
	s_barrier
	s_waitcnt lgkmcnt(0)
	; wave barrier
	s_and_saveexec_b64 s[4:5], s[18:19]
	s_cbranch_execz .LBB176_46
; %bb.45:
	v_bcnt_u32_b32 v1, v38, 0
	v_bcnt_u32_b32 v1, v39, v1
	ds_write_b32 v85, v1 offset:16
.LBB176_46:
	s_or_b64 exec, exec, s[4:5]
	v_and_b32_sdwa v38, s16, v81 dst_sel:DWORD dst_unused:UNUSED_PAD src0_sel:DWORD src1_sel:WORD_0
	v_lshlrev_b32_e32 v1, 2, v38
	v_add_lshl_u32 v88, v72, v1, 2
	v_and_b32_e32 v1, 1, v38
	v_add_co_u32_e32 v39, vcc, -1, v1
	v_addc_co_u32_e64 v40, s[4:5], 0, -1, vcc
	v_cmp_ne_u32_e32 vcc, 0, v1
	v_xor_b32_e32 v1, vcc_hi, v40
	v_and_b32_e32 v40, exec_hi, v1
	v_lshlrev_b32_e32 v1, 30, v38
	v_xor_b32_e32 v39, vcc_lo, v39
	v_cmp_gt_i64_e32 vcc, 0, v[0:1]
	v_not_b32_e32 v1, v1
	v_ashrrev_i32_e32 v1, 31, v1
	v_and_b32_e32 v39, exec_lo, v39
	v_xor_b32_e32 v41, vcc_hi, v1
	v_xor_b32_e32 v1, vcc_lo, v1
	v_and_b32_e32 v39, v39, v1
	v_lshlrev_b32_e32 v1, 29, v38
	v_cmp_gt_i64_e32 vcc, 0, v[0:1]
	v_not_b32_e32 v1, v1
	v_ashrrev_i32_e32 v1, 31, v1
	v_and_b32_e32 v40, v40, v41
	v_xor_b32_e32 v41, vcc_hi, v1
	v_xor_b32_e32 v1, vcc_lo, v1
	v_and_b32_e32 v39, v39, v1
	v_lshlrev_b32_e32 v1, 28, v38
	v_cmp_gt_i64_e32 vcc, 0, v[0:1]
	v_not_b32_e32 v1, v1
	v_ashrrev_i32_e32 v1, 31, v1
	v_and_b32_e32 v40, v40, v41
	;; [unrolled: 8-line block ×5, first 2 shown]
	v_xor_b32_e32 v41, vcc_hi, v1
	v_xor_b32_e32 v1, vcc_lo, v1
	v_and_b32_e32 v39, v39, v1
	v_lshlrev_b32_e32 v1, 24, v38
	v_cmp_gt_i64_e32 vcc, 0, v[0:1]
	v_not_b32_e32 v0, v1
	v_ashrrev_i32_e32 v0, 31, v0
	v_xor_b32_e32 v1, vcc_hi, v0
	v_xor_b32_e32 v0, vcc_lo, v0
	; wave barrier
	ds_read_b32 v87, v88 offset:16
	v_and_b32_e32 v40, v40, v41
	v_and_b32_e32 v0, v39, v0
	;; [unrolled: 1-line block ×3, first 2 shown]
	v_mbcnt_lo_u32_b32 v38, v0, 0
	v_mbcnt_hi_u32_b32 v89, v1, v38
	v_cmp_eq_u32_e32 vcc, 0, v89
	v_cmp_ne_u64_e64 s[4:5], 0, v[0:1]
	s_and_b64 s[18:19], s[4:5], vcc
	; wave barrier
	s_and_saveexec_b64 s[4:5], s[18:19]
	s_cbranch_execz .LBB176_48
; %bb.47:
	v_bcnt_u32_b32 v0, v0, 0
	v_bcnt_u32_b32 v0, v1, v0
	s_waitcnt lgkmcnt(0)
	v_add_u32_e32 v0, v87, v0
	ds_write_b32 v88, v0 offset:16
.LBB176_48:
	s_or_b64 exec, exec, s[4:5]
	v_and_b32_sdwa v38, s16, v80 dst_sel:DWORD dst_unused:UNUSED_PAD src0_sel:DWORD src1_sel:WORD_0
	v_and_b32_e32 v1, 1, v38
	v_add_co_u32_e32 v39, vcc, -1, v1
	v_addc_co_u32_e64 v40, s[4:5], 0, -1, vcc
	v_cmp_ne_u32_e32 vcc, 0, v1
	v_lshlrev_b32_e32 v0, 2, v38
	v_xor_b32_e32 v1, vcc_hi, v40
	v_add_lshl_u32 v91, v72, v0, 2
	v_mov_b32_e32 v0, 0
	v_and_b32_e32 v40, exec_hi, v1
	v_lshlrev_b32_e32 v1, 30, v38
	v_xor_b32_e32 v39, vcc_lo, v39
	v_cmp_gt_i64_e32 vcc, 0, v[0:1]
	v_not_b32_e32 v1, v1
	v_ashrrev_i32_e32 v1, 31, v1
	v_and_b32_e32 v39, exec_lo, v39
	v_xor_b32_e32 v41, vcc_hi, v1
	v_xor_b32_e32 v1, vcc_lo, v1
	v_and_b32_e32 v39, v39, v1
	v_lshlrev_b32_e32 v1, 29, v38
	v_cmp_gt_i64_e32 vcc, 0, v[0:1]
	v_not_b32_e32 v1, v1
	v_ashrrev_i32_e32 v1, 31, v1
	v_and_b32_e32 v40, v40, v41
	v_xor_b32_e32 v41, vcc_hi, v1
	v_xor_b32_e32 v1, vcc_lo, v1
	v_and_b32_e32 v39, v39, v1
	v_lshlrev_b32_e32 v1, 28, v38
	v_cmp_gt_i64_e32 vcc, 0, v[0:1]
	v_not_b32_e32 v1, v1
	v_ashrrev_i32_e32 v1, 31, v1
	v_and_b32_e32 v40, v40, v41
	;; [unrolled: 8-line block ×5, first 2 shown]
	v_xor_b32_e32 v41, vcc_hi, v1
	v_xor_b32_e32 v1, vcc_lo, v1
	v_and_b32_e32 v40, v40, v41
	v_and_b32_e32 v41, v39, v1
	v_lshlrev_b32_e32 v1, 24, v38
	v_cmp_gt_i64_e32 vcc, 0, v[0:1]
	v_not_b32_e32 v1, v1
	v_ashrrev_i32_e32 v1, 31, v1
	v_xor_b32_e32 v38, vcc_hi, v1
	v_xor_b32_e32 v1, vcc_lo, v1
	; wave barrier
	ds_read_b32 v90, v91 offset:16
	v_and_b32_e32 v39, v40, v38
	v_and_b32_e32 v38, v41, v1
	v_mbcnt_lo_u32_b32 v1, v38, 0
	v_mbcnt_hi_u32_b32 v92, v39, v1
	v_cmp_eq_u32_e32 vcc, 0, v92
	v_cmp_ne_u64_e64 s[4:5], 0, v[38:39]
	s_and_b64 s[18:19], s[4:5], vcc
	; wave barrier
	s_and_saveexec_b64 s[4:5], s[18:19]
	s_cbranch_execz .LBB176_50
; %bb.49:
	v_bcnt_u32_b32 v1, v38, 0
	v_bcnt_u32_b32 v1, v39, v1
	s_waitcnt lgkmcnt(0)
	v_add_u32_e32 v1, v90, v1
	ds_write_b32 v91, v1 offset:16
.LBB176_50:
	s_or_b64 exec, exec, s[4:5]
	v_and_b32_sdwa v38, s16, v79 dst_sel:DWORD dst_unused:UNUSED_PAD src0_sel:DWORD src1_sel:WORD_0
	v_lshlrev_b32_e32 v1, 2, v38
	v_add_lshl_u32 v94, v72, v1, 2
	v_and_b32_e32 v1, 1, v38
	v_add_co_u32_e32 v39, vcc, -1, v1
	v_addc_co_u32_e64 v40, s[4:5], 0, -1, vcc
	v_cmp_ne_u32_e32 vcc, 0, v1
	v_xor_b32_e32 v1, vcc_hi, v40
	v_and_b32_e32 v40, exec_hi, v1
	v_lshlrev_b32_e32 v1, 30, v38
	v_xor_b32_e32 v39, vcc_lo, v39
	v_cmp_gt_i64_e32 vcc, 0, v[0:1]
	v_not_b32_e32 v1, v1
	v_ashrrev_i32_e32 v1, 31, v1
	v_and_b32_e32 v39, exec_lo, v39
	v_xor_b32_e32 v41, vcc_hi, v1
	v_xor_b32_e32 v1, vcc_lo, v1
	v_and_b32_e32 v39, v39, v1
	v_lshlrev_b32_e32 v1, 29, v38
	v_cmp_gt_i64_e32 vcc, 0, v[0:1]
	v_not_b32_e32 v1, v1
	v_ashrrev_i32_e32 v1, 31, v1
	v_and_b32_e32 v40, v40, v41
	v_xor_b32_e32 v41, vcc_hi, v1
	v_xor_b32_e32 v1, vcc_lo, v1
	v_and_b32_e32 v39, v39, v1
	v_lshlrev_b32_e32 v1, 28, v38
	v_cmp_gt_i64_e32 vcc, 0, v[0:1]
	v_not_b32_e32 v1, v1
	v_ashrrev_i32_e32 v1, 31, v1
	v_and_b32_e32 v40, v40, v41
	;; [unrolled: 8-line block ×5, first 2 shown]
	v_xor_b32_e32 v41, vcc_hi, v1
	v_xor_b32_e32 v1, vcc_lo, v1
	v_and_b32_e32 v39, v39, v1
	v_lshlrev_b32_e32 v1, 24, v38
	v_cmp_gt_i64_e32 vcc, 0, v[0:1]
	v_not_b32_e32 v0, v1
	v_ashrrev_i32_e32 v0, 31, v0
	v_xor_b32_e32 v1, vcc_hi, v0
	v_xor_b32_e32 v0, vcc_lo, v0
	; wave barrier
	ds_read_b32 v93, v94 offset:16
	v_and_b32_e32 v40, v40, v41
	v_and_b32_e32 v0, v39, v0
	v_and_b32_e32 v1, v40, v1
	v_mbcnt_lo_u32_b32 v38, v0, 0
	v_mbcnt_hi_u32_b32 v95, v1, v38
	v_cmp_eq_u32_e32 vcc, 0, v95
	v_cmp_ne_u64_e64 s[4:5], 0, v[0:1]
	s_and_b64 s[18:19], s[4:5], vcc
	; wave barrier
	s_and_saveexec_b64 s[4:5], s[18:19]
	s_cbranch_execz .LBB176_52
; %bb.51:
	v_bcnt_u32_b32 v0, v0, 0
	v_bcnt_u32_b32 v0, v1, v0
	s_waitcnt lgkmcnt(0)
	v_add_u32_e32 v0, v93, v0
	ds_write_b32 v94, v0 offset:16
.LBB176_52:
	s_or_b64 exec, exec, s[4:5]
	v_and_b32_sdwa v38, s16, v78 dst_sel:DWORD dst_unused:UNUSED_PAD src0_sel:DWORD src1_sel:WORD_0
	v_and_b32_e32 v1, 1, v38
	v_add_co_u32_e32 v39, vcc, -1, v1
	v_addc_co_u32_e64 v40, s[4:5], 0, -1, vcc
	v_cmp_ne_u32_e32 vcc, 0, v1
	v_lshlrev_b32_e32 v0, 2, v38
	v_xor_b32_e32 v1, vcc_hi, v40
	v_add_lshl_u32 v97, v72, v0, 2
	v_mov_b32_e32 v0, 0
	v_and_b32_e32 v40, exec_hi, v1
	v_lshlrev_b32_e32 v1, 30, v38
	v_xor_b32_e32 v39, vcc_lo, v39
	v_cmp_gt_i64_e32 vcc, 0, v[0:1]
	v_not_b32_e32 v1, v1
	v_ashrrev_i32_e32 v1, 31, v1
	v_and_b32_e32 v39, exec_lo, v39
	v_xor_b32_e32 v41, vcc_hi, v1
	v_xor_b32_e32 v1, vcc_lo, v1
	v_and_b32_e32 v39, v39, v1
	v_lshlrev_b32_e32 v1, 29, v38
	v_cmp_gt_i64_e32 vcc, 0, v[0:1]
	v_not_b32_e32 v1, v1
	v_ashrrev_i32_e32 v1, 31, v1
	v_and_b32_e32 v40, v40, v41
	v_xor_b32_e32 v41, vcc_hi, v1
	v_xor_b32_e32 v1, vcc_lo, v1
	v_and_b32_e32 v39, v39, v1
	v_lshlrev_b32_e32 v1, 28, v38
	v_cmp_gt_i64_e32 vcc, 0, v[0:1]
	v_not_b32_e32 v1, v1
	v_ashrrev_i32_e32 v1, 31, v1
	v_and_b32_e32 v40, v40, v41
	;; [unrolled: 8-line block ×5, first 2 shown]
	v_xor_b32_e32 v41, vcc_hi, v1
	v_xor_b32_e32 v1, vcc_lo, v1
	v_and_b32_e32 v40, v40, v41
	v_and_b32_e32 v41, v39, v1
	v_lshlrev_b32_e32 v1, 24, v38
	v_cmp_gt_i64_e32 vcc, 0, v[0:1]
	v_not_b32_e32 v1, v1
	v_ashrrev_i32_e32 v1, 31, v1
	v_xor_b32_e32 v38, vcc_hi, v1
	v_xor_b32_e32 v1, vcc_lo, v1
	; wave barrier
	ds_read_b32 v96, v97 offset:16
	v_and_b32_e32 v39, v40, v38
	v_and_b32_e32 v38, v41, v1
	v_mbcnt_lo_u32_b32 v1, v38, 0
	v_mbcnt_hi_u32_b32 v98, v39, v1
	v_cmp_eq_u32_e32 vcc, 0, v98
	v_cmp_ne_u64_e64 s[4:5], 0, v[38:39]
	s_and_b64 s[18:19], s[4:5], vcc
	; wave barrier
	s_and_saveexec_b64 s[4:5], s[18:19]
	s_cbranch_execz .LBB176_54
; %bb.53:
	v_bcnt_u32_b32 v1, v38, 0
	v_bcnt_u32_b32 v1, v39, v1
	s_waitcnt lgkmcnt(0)
	v_add_u32_e32 v1, v96, v1
	ds_write_b32 v97, v1 offset:16
.LBB176_54:
	s_or_b64 exec, exec, s[4:5]
	v_and_b32_sdwa v38, s16, v77 dst_sel:DWORD dst_unused:UNUSED_PAD src0_sel:DWORD src1_sel:WORD_0
	v_lshlrev_b32_e32 v1, 2, v38
	v_add_lshl_u32 v100, v72, v1, 2
	v_and_b32_e32 v1, 1, v38
	v_add_co_u32_e32 v39, vcc, -1, v1
	v_addc_co_u32_e64 v40, s[4:5], 0, -1, vcc
	v_cmp_ne_u32_e32 vcc, 0, v1
	v_xor_b32_e32 v1, vcc_hi, v40
	v_and_b32_e32 v40, exec_hi, v1
	v_lshlrev_b32_e32 v1, 30, v38
	v_xor_b32_e32 v39, vcc_lo, v39
	v_cmp_gt_i64_e32 vcc, 0, v[0:1]
	v_not_b32_e32 v1, v1
	v_ashrrev_i32_e32 v1, 31, v1
	v_and_b32_e32 v39, exec_lo, v39
	v_xor_b32_e32 v41, vcc_hi, v1
	v_xor_b32_e32 v1, vcc_lo, v1
	v_and_b32_e32 v39, v39, v1
	v_lshlrev_b32_e32 v1, 29, v38
	v_cmp_gt_i64_e32 vcc, 0, v[0:1]
	v_not_b32_e32 v1, v1
	v_ashrrev_i32_e32 v1, 31, v1
	v_and_b32_e32 v40, v40, v41
	v_xor_b32_e32 v41, vcc_hi, v1
	v_xor_b32_e32 v1, vcc_lo, v1
	v_and_b32_e32 v39, v39, v1
	v_lshlrev_b32_e32 v1, 28, v38
	v_cmp_gt_i64_e32 vcc, 0, v[0:1]
	v_not_b32_e32 v1, v1
	v_ashrrev_i32_e32 v1, 31, v1
	v_and_b32_e32 v40, v40, v41
	v_xor_b32_e32 v41, vcc_hi, v1
	v_xor_b32_e32 v1, vcc_lo, v1
	v_and_b32_e32 v39, v39, v1
	v_lshlrev_b32_e32 v1, 27, v38
	v_cmp_gt_i64_e32 vcc, 0, v[0:1]
	v_not_b32_e32 v1, v1
	v_ashrrev_i32_e32 v1, 31, v1
	v_and_b32_e32 v40, v40, v41
	v_xor_b32_e32 v41, vcc_hi, v1
	v_xor_b32_e32 v1, vcc_lo, v1
	v_and_b32_e32 v39, v39, v1
	v_lshlrev_b32_e32 v1, 26, v38
	v_cmp_gt_i64_e32 vcc, 0, v[0:1]
	v_not_b32_e32 v1, v1
	v_ashrrev_i32_e32 v1, 31, v1
	v_and_b32_e32 v40, v40, v41
	v_xor_b32_e32 v41, vcc_hi, v1
	v_xor_b32_e32 v1, vcc_lo, v1
	v_and_b32_e32 v39, v39, v1
	v_lshlrev_b32_e32 v1, 25, v38
	v_cmp_gt_i64_e32 vcc, 0, v[0:1]
	v_not_b32_e32 v1, v1
	v_ashrrev_i32_e32 v1, 31, v1
	v_and_b32_e32 v40, v40, v41
	v_xor_b32_e32 v41, vcc_hi, v1
	v_xor_b32_e32 v1, vcc_lo, v1
	v_and_b32_e32 v39, v39, v1
	v_lshlrev_b32_e32 v1, 24, v38
	v_cmp_gt_i64_e32 vcc, 0, v[0:1]
	v_not_b32_e32 v0, v1
	v_ashrrev_i32_e32 v0, 31, v0
	v_xor_b32_e32 v1, vcc_hi, v0
	v_xor_b32_e32 v0, vcc_lo, v0
	; wave barrier
	ds_read_b32 v99, v100 offset:16
	v_and_b32_e32 v40, v40, v41
	v_and_b32_e32 v0, v39, v0
	;; [unrolled: 1-line block ×3, first 2 shown]
	v_mbcnt_lo_u32_b32 v38, v0, 0
	v_mbcnt_hi_u32_b32 v101, v1, v38
	v_cmp_eq_u32_e32 vcc, 0, v101
	v_cmp_ne_u64_e64 s[4:5], 0, v[0:1]
	s_and_b64 s[18:19], s[4:5], vcc
	; wave barrier
	s_and_saveexec_b64 s[4:5], s[18:19]
	s_cbranch_execz .LBB176_56
; %bb.55:
	v_bcnt_u32_b32 v0, v0, 0
	v_bcnt_u32_b32 v0, v1, v0
	s_waitcnt lgkmcnt(0)
	v_add_u32_e32 v0, v99, v0
	ds_write_b32 v100, v0 offset:16
.LBB176_56:
	s_or_b64 exec, exec, s[4:5]
	v_and_b32_sdwa v38, s16, v76 dst_sel:DWORD dst_unused:UNUSED_PAD src0_sel:DWORD src1_sel:WORD_0
	v_and_b32_e32 v1, 1, v38
	v_add_co_u32_e32 v39, vcc, -1, v1
	v_addc_co_u32_e64 v40, s[4:5], 0, -1, vcc
	v_cmp_ne_u32_e32 vcc, 0, v1
	v_lshlrev_b32_e32 v0, 2, v38
	v_xor_b32_e32 v1, vcc_hi, v40
	v_add_lshl_u32 v103, v72, v0, 2
	v_mov_b32_e32 v0, 0
	v_and_b32_e32 v40, exec_hi, v1
	v_lshlrev_b32_e32 v1, 30, v38
	v_xor_b32_e32 v39, vcc_lo, v39
	v_cmp_gt_i64_e32 vcc, 0, v[0:1]
	v_not_b32_e32 v1, v1
	v_ashrrev_i32_e32 v1, 31, v1
	v_and_b32_e32 v39, exec_lo, v39
	v_xor_b32_e32 v41, vcc_hi, v1
	v_xor_b32_e32 v1, vcc_lo, v1
	v_and_b32_e32 v39, v39, v1
	v_lshlrev_b32_e32 v1, 29, v38
	v_cmp_gt_i64_e32 vcc, 0, v[0:1]
	v_not_b32_e32 v1, v1
	v_ashrrev_i32_e32 v1, 31, v1
	v_and_b32_e32 v40, v40, v41
	v_xor_b32_e32 v41, vcc_hi, v1
	v_xor_b32_e32 v1, vcc_lo, v1
	v_and_b32_e32 v39, v39, v1
	v_lshlrev_b32_e32 v1, 28, v38
	v_cmp_gt_i64_e32 vcc, 0, v[0:1]
	v_not_b32_e32 v1, v1
	v_ashrrev_i32_e32 v1, 31, v1
	v_and_b32_e32 v40, v40, v41
	;; [unrolled: 8-line block ×5, first 2 shown]
	v_xor_b32_e32 v41, vcc_hi, v1
	v_xor_b32_e32 v1, vcc_lo, v1
	v_and_b32_e32 v40, v40, v41
	v_and_b32_e32 v41, v39, v1
	v_lshlrev_b32_e32 v1, 24, v38
	v_cmp_gt_i64_e32 vcc, 0, v[0:1]
	v_not_b32_e32 v1, v1
	v_ashrrev_i32_e32 v1, 31, v1
	v_xor_b32_e32 v38, vcc_hi, v1
	v_xor_b32_e32 v1, vcc_lo, v1
	; wave barrier
	ds_read_b32 v102, v103 offset:16
	v_and_b32_e32 v39, v40, v38
	v_and_b32_e32 v38, v41, v1
	v_mbcnt_lo_u32_b32 v1, v38, 0
	v_mbcnt_hi_u32_b32 v104, v39, v1
	v_cmp_eq_u32_e32 vcc, 0, v104
	v_cmp_ne_u64_e64 s[4:5], 0, v[38:39]
	s_and_b64 s[18:19], s[4:5], vcc
	; wave barrier
	s_and_saveexec_b64 s[4:5], s[18:19]
	s_cbranch_execz .LBB176_58
; %bb.57:
	v_bcnt_u32_b32 v1, v38, 0
	v_bcnt_u32_b32 v1, v39, v1
	s_waitcnt lgkmcnt(0)
	v_add_u32_e32 v1, v102, v1
	ds_write_b32 v103, v1 offset:16
.LBB176_58:
	s_or_b64 exec, exec, s[4:5]
	v_and_b32_sdwa v38, s16, v75 dst_sel:DWORD dst_unused:UNUSED_PAD src0_sel:DWORD src1_sel:WORD_0
	v_lshlrev_b32_e32 v1, 2, v38
	v_add_lshl_u32 v106, v72, v1, 2
	v_and_b32_e32 v1, 1, v38
	v_add_co_u32_e32 v39, vcc, -1, v1
	v_addc_co_u32_e64 v40, s[4:5], 0, -1, vcc
	v_cmp_ne_u32_e32 vcc, 0, v1
	v_xor_b32_e32 v1, vcc_hi, v40
	v_and_b32_e32 v40, exec_hi, v1
	v_lshlrev_b32_e32 v1, 30, v38
	v_xor_b32_e32 v39, vcc_lo, v39
	v_cmp_gt_i64_e32 vcc, 0, v[0:1]
	v_not_b32_e32 v1, v1
	v_ashrrev_i32_e32 v1, 31, v1
	v_and_b32_e32 v39, exec_lo, v39
	v_xor_b32_e32 v41, vcc_hi, v1
	v_xor_b32_e32 v1, vcc_lo, v1
	v_and_b32_e32 v39, v39, v1
	v_lshlrev_b32_e32 v1, 29, v38
	v_cmp_gt_i64_e32 vcc, 0, v[0:1]
	v_not_b32_e32 v1, v1
	v_ashrrev_i32_e32 v1, 31, v1
	v_and_b32_e32 v40, v40, v41
	v_xor_b32_e32 v41, vcc_hi, v1
	v_xor_b32_e32 v1, vcc_lo, v1
	v_and_b32_e32 v39, v39, v1
	v_lshlrev_b32_e32 v1, 28, v38
	v_cmp_gt_i64_e32 vcc, 0, v[0:1]
	v_not_b32_e32 v1, v1
	v_ashrrev_i32_e32 v1, 31, v1
	v_and_b32_e32 v40, v40, v41
	;; [unrolled: 8-line block ×5, first 2 shown]
	v_xor_b32_e32 v41, vcc_hi, v1
	v_xor_b32_e32 v1, vcc_lo, v1
	v_and_b32_e32 v39, v39, v1
	v_lshlrev_b32_e32 v1, 24, v38
	v_cmp_gt_i64_e32 vcc, 0, v[0:1]
	v_not_b32_e32 v0, v1
	v_ashrrev_i32_e32 v0, 31, v0
	v_xor_b32_e32 v1, vcc_hi, v0
	v_xor_b32_e32 v0, vcc_lo, v0
	; wave barrier
	ds_read_b32 v105, v106 offset:16
	v_and_b32_e32 v40, v40, v41
	v_and_b32_e32 v0, v39, v0
	;; [unrolled: 1-line block ×3, first 2 shown]
	v_mbcnt_lo_u32_b32 v38, v0, 0
	v_mbcnt_hi_u32_b32 v107, v1, v38
	v_cmp_eq_u32_e32 vcc, 0, v107
	v_cmp_ne_u64_e64 s[4:5], 0, v[0:1]
	v_add_u32_e32 v73, 16, v62
	v_lshrrev_b32_e32 v74, 6, v42
	v_min_u32_e32 v83, 0xc0, v65
	s_and_b64 s[16:17], s[4:5], vcc
	; wave barrier
	s_and_saveexec_b64 s[4:5], s[16:17]
	s_cbranch_execz .LBB176_60
; %bb.59:
	v_bcnt_u32_b32 v0, v0, 0
	v_bcnt_u32_b32 v0, v1, v0
	s_waitcnt lgkmcnt(0)
	v_add_u32_e32 v0, v105, v0
	ds_write_b32 v106, v0 offset:16
.LBB176_60:
	s_or_b64 exec, exec, s[4:5]
	; wave barrier
	s_waitcnt lgkmcnt(0)
	s_barrier
	ds_read2_b32 v[38:39], v62 offset0:4 offset1:5
	ds_read2_b32 v[40:41], v73 offset0:2 offset1:3
	v_and_b32_e32 v1, 16, v63
	v_cmp_eq_u32_e32 vcc, 0, v1
	v_or_b32_e32 v1, 63, v83
	v_cmp_eq_u32_e64 s[16:17], v1, v42
	s_waitcnt lgkmcnt(1)
	v_add_u32_e32 v1, v39, v38
	v_and_b32_e32 v0, 15, v63
	s_waitcnt lgkmcnt(0)
	v_add3_u32 v1, v1, v40, v41
	v_cmp_eq_u32_e64 s[22:23], 0, v0
	v_cmp_lt_u32_e64 s[24:25], 1, v0
	v_mov_b32_dpp v41, v1 row_shr:1 row_mask:0xf bank_mask:0xf
	v_cndmask_b32_e64 v41, v41, 0, s[22:23]
	v_add_u32_e32 v1, v41, v1
	v_cmp_lt_u32_e64 s[28:29], 3, v0
	v_cmp_lt_u32_e64 s[30:31], 7, v0
	v_mov_b32_dpp v41, v1 row_shr:2 row_mask:0xf bank_mask:0xf
	v_cndmask_b32_e64 v41, 0, v41, s[24:25]
	v_add_u32_e32 v1, v1, v41
	v_bfe_i32 v84, v63, 4, 1
	v_cmp_lt_u32_e64 s[34:35], 31, v63
	v_mov_b32_dpp v41, v1 row_shr:4 row_mask:0xf bank_mask:0xf
	v_cndmask_b32_e64 v41, 0, v41, s[28:29]
	v_add_u32_e32 v1, v1, v41
	v_lshlrev_b32_e32 v74, 2, v74
	s_nop 0
	v_mov_b32_dpp v41, v1 row_shr:8 row_mask:0xf bank_mask:0xf
	v_cndmask_b32_e64 v0, 0, v41, s[30:31]
	v_add_u32_e32 v0, v1, v0
	s_nop 1
	v_mov_b32_dpp v1, v0 row_bcast:15 row_mask:0xf bank_mask:0xf
	v_and_b32_e32 v1, v84, v1
	v_add_u32_e32 v0, v0, v1
	s_nop 1
	v_mov_b32_dpp v1, v0 row_bcast:31 row_mask:0xf bank_mask:0xf
	v_cndmask_b32_e64 v1, 0, v1, s[34:35]
	v_add_u32_e32 v1, v0, v1
	s_and_saveexec_b64 s[4:5], s[16:17]
	s_cbranch_execz .LBB176_62
; %bb.61:
	ds_write_b32 v74, v1
.LBB176_62:
	s_or_b64 exec, exec, s[4:5]
	v_and_b32_e32 v0, 3, v63
	v_cmp_gt_u32_e64 s[26:27], 4, v42
	v_lshlrev_b32_e32 v41, 2, v42
	v_cmp_eq_u32_e64 s[20:21], 0, v0
	v_cmp_lt_u32_e64 s[18:19], 1, v0
	s_waitcnt lgkmcnt(0)
	s_barrier
	s_and_saveexec_b64 s[4:5], s[26:27]
	s_cbranch_execz .LBB176_64
; %bb.63:
	ds_read_b32 v0, v41
	s_waitcnt lgkmcnt(0)
	s_nop 0
	v_mov_b32_dpp v83, v0 row_shr:1 row_mask:0xf bank_mask:0xf
	v_cndmask_b32_e64 v83, v83, 0, s[20:21]
	v_add_u32_e32 v0, v83, v0
	s_nop 1
	v_mov_b32_dpp v83, v0 row_shr:2 row_mask:0xf bank_mask:0xf
	v_cndmask_b32_e64 v83, 0, v83, s[18:19]
	v_add_u32_e32 v0, v0, v83
	ds_write_b32 v41, v0
.LBB176_64:
	s_or_b64 exec, exec, s[4:5]
	v_cmp_lt_u32_e64 s[36:37], 63, v42
	v_add_u32_e32 v83, -4, v74
	v_mov_b32_e32 v0, 0
	v_mov_b32_e32 v108, 0
	s_waitcnt lgkmcnt(0)
	s_barrier
	s_and_saveexec_b64 s[4:5], s[36:37]
	s_cbranch_execz .LBB176_66
; %bb.65:
	ds_read_b32 v108, v83
.LBB176_66:
	s_or_b64 exec, exec, s[4:5]
	v_add_u32_e32 v84, -1, v63
	v_and_b32_e32 v109, 64, v63
	v_cmp_lt_i32_e64 s[4:5], v84, v109
	v_cndmask_b32_e64 v84, v84, v63, s[4:5]
	v_lshlrev_b32_e32 v84, 2, v84
	s_waitcnt lgkmcnt(0)
	v_add_u32_e32 v1, v108, v1
	ds_bpermute_b32 v1, v84, v1
	v_cmp_eq_u32_e64 s[38:39], 0, v63
	v_cmp_eq_u32_e64 s[40:41], 0, v42
	v_and_or_b32 v109, v63, 63, v64
	v_lshlrev_b32_e32 v110, 1, v109
	s_waitcnt lgkmcnt(0)
	v_cndmask_b32_e64 v1, v1, v108, s[38:39]
	v_cndmask_b32_e64 v1, v1, 0, s[40:41]
	v_add_u32_e32 v38, v1, v38
	v_add_u32_e32 v39, v38, v39
	;; [unrolled: 1-line block ×3, first 2 shown]
	ds_write2_b32 v62, v1, v38 offset0:4 offset1:5
	ds_write2_b32 v73, v39, v40 offset0:2 offset1:3
	s_waitcnt lgkmcnt(0)
	s_barrier
	ds_read_b32 v1, v85 offset:16
	ds_read_b32 v38, v88 offset:16
	;; [unrolled: 1-line block ×8, first 2 shown]
	s_waitcnt lgkmcnt(7)
	v_add_u32_e32 v1, v1, v86
	s_waitcnt lgkmcnt(6)
	v_add3_u32 v38, v89, v87, v38
	s_waitcnt lgkmcnt(4)
	v_add3_u32 v86, v95, v93, v40
	v_lshlrev_b32_e32 v40, 1, v1
	v_add3_u32 v39, v92, v90, v39
	s_waitcnt lgkmcnt(0)
	s_barrier
	ds_write_b16 v40, v82
	v_lshlrev_b32_e32 v40, 1, v38
	ds_write_b16 v40, v81
	v_lshlrev_b32_e32 v40, 1, v39
	v_add3_u32 v85, v98, v96, v85
	ds_write_b16 v40, v80
	v_lshlrev_b32_e32 v40, 1, v86
	v_add3_u32 v87, v101, v99, v88
	;; [unrolled: 3-line block ×4, first 2 shown]
	ds_write_b16 v40, v77
	v_lshlrev_b32_e32 v40, 1, v88
	ds_write_b16 v40, v76
	v_lshlrev_b32_e32 v40, 1, v89
	v_lshlrev_b32_e32 v1, 3, v1
	ds_write_b16 v40, v75
	s_waitcnt lgkmcnt(0)
	s_barrier
	ds_read_u16 v81, v110
	ds_read_u16 v80, v110 offset:128
	ds_read_u16 v79, v110 offset:256
	;; [unrolled: 1-line block ×7, first 2 shown]
	s_waitcnt lgkmcnt(0)
	s_barrier
	ds_write_b64 v1, v[34:35]
	v_lshlrev_b32_e32 v1, 3, v38
	ds_write_b64 v1, v[36:37]
	v_lshlrev_b32_e32 v1, 3, v39
	;; [unrolled: 2-line block ×4, first 2 shown]
	s_min_u32 s4, s44, 8
	ds_write_b64 v1, v[26:27]
	v_lshlrev_b32_e32 v1, 3, v87
	s_lshl_b32 s4, -1, s4
	ds_write_b64 v1, v[28:29]
	v_lshlrev_b32_e32 v1, 3, v88
	s_not_b32 s55, s4
	ds_write_b64 v1, v[22:23]
	v_lshlrev_b32_e32 v1, 3, v89
	v_and_b32_sdwa v38, v81, s55 dst_sel:DWORD dst_unused:UNUSED_PAD src0_sel:BYTE_1 src1_sel:DWORD
	ds_write_b64 v1, v[24:25]
	v_lshlrev_b32_e32 v1, 2, v38
	v_add_lshl_u32 v82, v1, v72, 2
	v_and_b32_e32 v1, 1, v38
	v_add_co_u32_e64 v39, s[4:5], -1, v1
	v_addc_co_u32_e64 v85, s[4:5], 0, -1, s[4:5]
	v_cmp_ne_u32_e64 s[4:5], 0, v1
	v_xor_b32_e32 v1, s5, v85
	v_and_b32_e32 v85, exec_hi, v1
	v_lshlrev_b32_e32 v1, 30, v38
	v_xor_b32_e32 v39, s4, v39
	v_cmp_gt_i64_e64 s[4:5], 0, v[0:1]
	v_not_b32_e32 v1, v1
	v_ashrrev_i32_e32 v1, 31, v1
	v_and_b32_e32 v39, exec_lo, v39
	v_xor_b32_e32 v86, s5, v1
	v_xor_b32_e32 v1, s4, v1
	v_and_b32_e32 v39, v39, v1
	v_lshlrev_b32_e32 v1, 29, v38
	v_cmp_gt_i64_e64 s[4:5], 0, v[0:1]
	v_not_b32_e32 v1, v1
	v_ashrrev_i32_e32 v1, 31, v1
	v_and_b32_e32 v85, v85, v86
	v_xor_b32_e32 v86, s5, v1
	v_xor_b32_e32 v1, s4, v1
	v_and_b32_e32 v39, v39, v1
	v_lshlrev_b32_e32 v1, 28, v38
	v_cmp_gt_i64_e64 s[4:5], 0, v[0:1]
	v_not_b32_e32 v1, v1
	v_ashrrev_i32_e32 v1, 31, v1
	v_and_b32_e32 v85, v85, v86
	;; [unrolled: 8-line block ×5, first 2 shown]
	v_xor_b32_e32 v86, s5, v1
	v_xor_b32_e32 v1, s4, v1
	v_lshlrev_b32_e32 v109, 3, v109
	v_and_b32_e32 v39, v39, v1
	v_lshlrev_b32_e32 v1, 24, v38
	s_waitcnt lgkmcnt(0)
	s_barrier
	ds_read2st64_b64 v[34:37], v109 offset1:1
	ds_read2st64_b64 v[30:33], v109 offset0:2 offset1:3
	ds_read2st64_b64 v[26:29], v109 offset0:4 offset1:5
	;; [unrolled: 1-line block ×3, first 2 shown]
	s_waitcnt lgkmcnt(0)
	s_barrier
	ds_write2_b32 v62, v0, v0 offset0:4 offset1:5
	ds_write2_b32 v73, v0, v0 offset0:2 offset1:3
	v_cmp_gt_i64_e64 s[4:5], 0, v[0:1]
	v_not_b32_e32 v0, v1
	v_ashrrev_i32_e32 v0, 31, v0
	v_xor_b32_e32 v1, s5, v0
	v_xor_b32_e32 v0, s4, v0
	v_and_b32_e32 v85, v85, v86
	v_and_b32_e32 v0, v39, v0
	;; [unrolled: 1-line block ×3, first 2 shown]
	v_mbcnt_lo_u32_b32 v38, v0, 0
	v_mbcnt_hi_u32_b32 v85, v1, v38
	v_cmp_eq_u32_e64 s[4:5], 0, v85
	v_cmp_ne_u64_e64 s[44:45], 0, v[0:1]
	s_and_b64 s[44:45], s[44:45], s[4:5]
	s_waitcnt lgkmcnt(0)
	s_barrier
	s_waitcnt lgkmcnt(0)
	; wave barrier
	s_and_saveexec_b64 s[4:5], s[44:45]
	s_cbranch_execz .LBB176_68
; %bb.67:
	v_bcnt_u32_b32 v0, v0, 0
	v_bcnt_u32_b32 v0, v1, v0
	ds_write_b32 v82, v0 offset:16
.LBB176_68:
	s_or_b64 exec, exec, s[4:5]
	v_and_b32_sdwa v38, v80, s55 dst_sel:DWORD dst_unused:UNUSED_PAD src0_sel:BYTE_1 src1_sel:DWORD
	v_and_b32_e32 v1, 1, v38
	v_add_co_u32_e64 v39, s[4:5], -1, v1
	v_addc_co_u32_e64 v88, s[4:5], 0, -1, s[4:5]
	v_cmp_ne_u32_e64 s[4:5], 0, v1
	v_lshlrev_b32_e32 v0, 2, v38
	v_xor_b32_e32 v1, s5, v88
	v_add_lshl_u32 v87, v0, v72, 2
	v_mov_b32_e32 v0, 0
	v_and_b32_e32 v88, exec_hi, v1
	v_lshlrev_b32_e32 v1, 30, v38
	v_xor_b32_e32 v39, s4, v39
	v_cmp_gt_i64_e64 s[4:5], 0, v[0:1]
	v_not_b32_e32 v1, v1
	v_ashrrev_i32_e32 v1, 31, v1
	v_and_b32_e32 v39, exec_lo, v39
	v_xor_b32_e32 v89, s5, v1
	v_xor_b32_e32 v1, s4, v1
	v_and_b32_e32 v39, v39, v1
	v_lshlrev_b32_e32 v1, 29, v38
	v_cmp_gt_i64_e64 s[4:5], 0, v[0:1]
	v_not_b32_e32 v1, v1
	v_ashrrev_i32_e32 v1, 31, v1
	v_and_b32_e32 v88, v88, v89
	v_xor_b32_e32 v89, s5, v1
	v_xor_b32_e32 v1, s4, v1
	v_and_b32_e32 v39, v39, v1
	v_lshlrev_b32_e32 v1, 28, v38
	v_cmp_gt_i64_e64 s[4:5], 0, v[0:1]
	v_not_b32_e32 v1, v1
	v_ashrrev_i32_e32 v1, 31, v1
	v_and_b32_e32 v88, v88, v89
	;; [unrolled: 8-line block ×5, first 2 shown]
	v_xor_b32_e32 v89, s5, v1
	v_xor_b32_e32 v1, s4, v1
	v_and_b32_e32 v88, v88, v89
	v_and_b32_e32 v89, v39, v1
	v_lshlrev_b32_e32 v1, 24, v38
	v_cmp_gt_i64_e64 s[4:5], 0, v[0:1]
	v_not_b32_e32 v1, v1
	v_ashrrev_i32_e32 v1, 31, v1
	v_xor_b32_e32 v38, s5, v1
	v_xor_b32_e32 v1, s4, v1
	; wave barrier
	ds_read_b32 v86, v87 offset:16
	v_and_b32_e32 v39, v88, v38
	v_and_b32_e32 v38, v89, v1
	v_mbcnt_lo_u32_b32 v1, v38, 0
	v_mbcnt_hi_u32_b32 v88, v39, v1
	v_cmp_eq_u32_e64 s[4:5], 0, v88
	v_cmp_ne_u64_e64 s[44:45], 0, v[38:39]
	s_and_b64 s[44:45], s[44:45], s[4:5]
	; wave barrier
	s_and_saveexec_b64 s[4:5], s[44:45]
	s_cbranch_execz .LBB176_70
; %bb.69:
	v_bcnt_u32_b32 v1, v38, 0
	v_bcnt_u32_b32 v1, v39, v1
	s_waitcnt lgkmcnt(0)
	v_add_u32_e32 v1, v86, v1
	ds_write_b32 v87, v1 offset:16
.LBB176_70:
	s_or_b64 exec, exec, s[4:5]
	v_and_b32_sdwa v38, v79, s55 dst_sel:DWORD dst_unused:UNUSED_PAD src0_sel:BYTE_1 src1_sel:DWORD
	v_lshlrev_b32_e32 v1, 2, v38
	v_add_lshl_u32 v90, v1, v72, 2
	v_and_b32_e32 v1, 1, v38
	v_add_co_u32_e64 v39, s[4:5], -1, v1
	v_addc_co_u32_e64 v91, s[4:5], 0, -1, s[4:5]
	v_cmp_ne_u32_e64 s[4:5], 0, v1
	v_xor_b32_e32 v1, s5, v91
	v_and_b32_e32 v91, exec_hi, v1
	v_lshlrev_b32_e32 v1, 30, v38
	v_xor_b32_e32 v39, s4, v39
	v_cmp_gt_i64_e64 s[4:5], 0, v[0:1]
	v_not_b32_e32 v1, v1
	v_ashrrev_i32_e32 v1, 31, v1
	v_and_b32_e32 v39, exec_lo, v39
	v_xor_b32_e32 v92, s5, v1
	v_xor_b32_e32 v1, s4, v1
	v_and_b32_e32 v39, v39, v1
	v_lshlrev_b32_e32 v1, 29, v38
	v_cmp_gt_i64_e64 s[4:5], 0, v[0:1]
	v_not_b32_e32 v1, v1
	v_ashrrev_i32_e32 v1, 31, v1
	v_and_b32_e32 v91, v91, v92
	v_xor_b32_e32 v92, s5, v1
	v_xor_b32_e32 v1, s4, v1
	v_and_b32_e32 v39, v39, v1
	v_lshlrev_b32_e32 v1, 28, v38
	v_cmp_gt_i64_e64 s[4:5], 0, v[0:1]
	v_not_b32_e32 v1, v1
	v_ashrrev_i32_e32 v1, 31, v1
	v_and_b32_e32 v91, v91, v92
	;; [unrolled: 8-line block ×5, first 2 shown]
	v_xor_b32_e32 v92, s5, v1
	v_xor_b32_e32 v1, s4, v1
	v_and_b32_e32 v39, v39, v1
	v_lshlrev_b32_e32 v1, 24, v38
	v_cmp_gt_i64_e64 s[4:5], 0, v[0:1]
	v_not_b32_e32 v0, v1
	v_ashrrev_i32_e32 v0, 31, v0
	v_xor_b32_e32 v1, s5, v0
	v_xor_b32_e32 v0, s4, v0
	; wave barrier
	ds_read_b32 v89, v90 offset:16
	v_and_b32_e32 v91, v91, v92
	v_and_b32_e32 v0, v39, v0
	;; [unrolled: 1-line block ×3, first 2 shown]
	v_mbcnt_lo_u32_b32 v38, v0, 0
	v_mbcnt_hi_u32_b32 v91, v1, v38
	v_cmp_eq_u32_e64 s[4:5], 0, v91
	v_cmp_ne_u64_e64 s[44:45], 0, v[0:1]
	s_and_b64 s[44:45], s[44:45], s[4:5]
	; wave barrier
	s_and_saveexec_b64 s[4:5], s[44:45]
	s_cbranch_execz .LBB176_72
; %bb.71:
	v_bcnt_u32_b32 v0, v0, 0
	v_bcnt_u32_b32 v0, v1, v0
	s_waitcnt lgkmcnt(0)
	v_add_u32_e32 v0, v89, v0
	ds_write_b32 v90, v0 offset:16
.LBB176_72:
	s_or_b64 exec, exec, s[4:5]
	v_and_b32_sdwa v38, v78, s55 dst_sel:DWORD dst_unused:UNUSED_PAD src0_sel:BYTE_1 src1_sel:DWORD
	v_and_b32_e32 v1, 1, v38
	v_add_co_u32_e64 v39, s[4:5], -1, v1
	v_addc_co_u32_e64 v94, s[4:5], 0, -1, s[4:5]
	v_cmp_ne_u32_e64 s[4:5], 0, v1
	v_lshlrev_b32_e32 v0, 2, v38
	v_xor_b32_e32 v1, s5, v94
	v_add_lshl_u32 v93, v0, v72, 2
	v_mov_b32_e32 v0, 0
	v_and_b32_e32 v94, exec_hi, v1
	v_lshlrev_b32_e32 v1, 30, v38
	v_xor_b32_e32 v39, s4, v39
	v_cmp_gt_i64_e64 s[4:5], 0, v[0:1]
	v_not_b32_e32 v1, v1
	v_ashrrev_i32_e32 v1, 31, v1
	v_and_b32_e32 v39, exec_lo, v39
	v_xor_b32_e32 v95, s5, v1
	v_xor_b32_e32 v1, s4, v1
	v_and_b32_e32 v39, v39, v1
	v_lshlrev_b32_e32 v1, 29, v38
	v_cmp_gt_i64_e64 s[4:5], 0, v[0:1]
	v_not_b32_e32 v1, v1
	v_ashrrev_i32_e32 v1, 31, v1
	v_and_b32_e32 v94, v94, v95
	v_xor_b32_e32 v95, s5, v1
	v_xor_b32_e32 v1, s4, v1
	v_and_b32_e32 v39, v39, v1
	v_lshlrev_b32_e32 v1, 28, v38
	v_cmp_gt_i64_e64 s[4:5], 0, v[0:1]
	v_not_b32_e32 v1, v1
	v_ashrrev_i32_e32 v1, 31, v1
	v_and_b32_e32 v94, v94, v95
	v_xor_b32_e32 v95, s5, v1
	v_xor_b32_e32 v1, s4, v1
	v_and_b32_e32 v39, v39, v1
	v_lshlrev_b32_e32 v1, 27, v38
	v_cmp_gt_i64_e64 s[4:5], 0, v[0:1]
	v_not_b32_e32 v1, v1
	v_ashrrev_i32_e32 v1, 31, v1
	v_and_b32_e32 v94, v94, v95
	v_xor_b32_e32 v95, s5, v1
	v_xor_b32_e32 v1, s4, v1
	v_and_b32_e32 v39, v39, v1
	v_lshlrev_b32_e32 v1, 26, v38
	v_cmp_gt_i64_e64 s[4:5], 0, v[0:1]
	v_not_b32_e32 v1, v1
	v_ashrrev_i32_e32 v1, 31, v1
	v_and_b32_e32 v94, v94, v95
	v_xor_b32_e32 v95, s5, v1
	v_xor_b32_e32 v1, s4, v1
	v_and_b32_e32 v39, v39, v1
	v_lshlrev_b32_e32 v1, 25, v38
	v_cmp_gt_i64_e64 s[4:5], 0, v[0:1]
	v_not_b32_e32 v1, v1
	v_ashrrev_i32_e32 v1, 31, v1
	v_and_b32_e32 v94, v94, v95
	v_xor_b32_e32 v95, s5, v1
	v_xor_b32_e32 v1, s4, v1
	v_and_b32_e32 v94, v94, v95
	v_and_b32_e32 v95, v39, v1
	v_lshlrev_b32_e32 v1, 24, v38
	v_cmp_gt_i64_e64 s[4:5], 0, v[0:1]
	v_not_b32_e32 v1, v1
	v_ashrrev_i32_e32 v1, 31, v1
	v_xor_b32_e32 v38, s5, v1
	v_xor_b32_e32 v1, s4, v1
	; wave barrier
	ds_read_b32 v92, v93 offset:16
	v_and_b32_e32 v39, v94, v38
	v_and_b32_e32 v38, v95, v1
	v_mbcnt_lo_u32_b32 v1, v38, 0
	v_mbcnt_hi_u32_b32 v94, v39, v1
	v_cmp_eq_u32_e64 s[4:5], 0, v94
	v_cmp_ne_u64_e64 s[44:45], 0, v[38:39]
	s_and_b64 s[44:45], s[44:45], s[4:5]
	; wave barrier
	s_and_saveexec_b64 s[4:5], s[44:45]
	s_cbranch_execz .LBB176_74
; %bb.73:
	v_bcnt_u32_b32 v1, v38, 0
	v_bcnt_u32_b32 v1, v39, v1
	s_waitcnt lgkmcnt(0)
	v_add_u32_e32 v1, v92, v1
	ds_write_b32 v93, v1 offset:16
.LBB176_74:
	s_or_b64 exec, exec, s[4:5]
	v_and_b32_sdwa v38, v77, s55 dst_sel:DWORD dst_unused:UNUSED_PAD src0_sel:BYTE_1 src1_sel:DWORD
	v_lshlrev_b32_e32 v1, 2, v38
	v_add_lshl_u32 v96, v1, v72, 2
	v_and_b32_e32 v1, 1, v38
	v_add_co_u32_e64 v39, s[4:5], -1, v1
	v_addc_co_u32_e64 v97, s[4:5], 0, -1, s[4:5]
	v_cmp_ne_u32_e64 s[4:5], 0, v1
	v_xor_b32_e32 v1, s5, v97
	v_and_b32_e32 v97, exec_hi, v1
	v_lshlrev_b32_e32 v1, 30, v38
	v_xor_b32_e32 v39, s4, v39
	v_cmp_gt_i64_e64 s[4:5], 0, v[0:1]
	v_not_b32_e32 v1, v1
	v_ashrrev_i32_e32 v1, 31, v1
	v_and_b32_e32 v39, exec_lo, v39
	v_xor_b32_e32 v98, s5, v1
	v_xor_b32_e32 v1, s4, v1
	v_and_b32_e32 v39, v39, v1
	v_lshlrev_b32_e32 v1, 29, v38
	v_cmp_gt_i64_e64 s[4:5], 0, v[0:1]
	v_not_b32_e32 v1, v1
	v_ashrrev_i32_e32 v1, 31, v1
	v_and_b32_e32 v97, v97, v98
	v_xor_b32_e32 v98, s5, v1
	v_xor_b32_e32 v1, s4, v1
	v_and_b32_e32 v39, v39, v1
	v_lshlrev_b32_e32 v1, 28, v38
	v_cmp_gt_i64_e64 s[4:5], 0, v[0:1]
	v_not_b32_e32 v1, v1
	v_ashrrev_i32_e32 v1, 31, v1
	v_and_b32_e32 v97, v97, v98
	;; [unrolled: 8-line block ×5, first 2 shown]
	v_xor_b32_e32 v98, s5, v1
	v_xor_b32_e32 v1, s4, v1
	v_and_b32_e32 v39, v39, v1
	v_lshlrev_b32_e32 v1, 24, v38
	v_cmp_gt_i64_e64 s[4:5], 0, v[0:1]
	v_not_b32_e32 v0, v1
	v_ashrrev_i32_e32 v0, 31, v0
	v_xor_b32_e32 v1, s5, v0
	v_xor_b32_e32 v0, s4, v0
	; wave barrier
	ds_read_b32 v95, v96 offset:16
	v_and_b32_e32 v97, v97, v98
	v_and_b32_e32 v0, v39, v0
	;; [unrolled: 1-line block ×3, first 2 shown]
	v_mbcnt_lo_u32_b32 v38, v0, 0
	v_mbcnt_hi_u32_b32 v97, v1, v38
	v_cmp_eq_u32_e64 s[4:5], 0, v97
	v_cmp_ne_u64_e64 s[44:45], 0, v[0:1]
	s_and_b64 s[44:45], s[44:45], s[4:5]
	; wave barrier
	s_and_saveexec_b64 s[4:5], s[44:45]
	s_cbranch_execz .LBB176_76
; %bb.75:
	v_bcnt_u32_b32 v0, v0, 0
	v_bcnt_u32_b32 v0, v1, v0
	s_waitcnt lgkmcnt(0)
	v_add_u32_e32 v0, v95, v0
	ds_write_b32 v96, v0 offset:16
.LBB176_76:
	s_or_b64 exec, exec, s[4:5]
	v_and_b32_sdwa v38, v76, s55 dst_sel:DWORD dst_unused:UNUSED_PAD src0_sel:BYTE_1 src1_sel:DWORD
	v_and_b32_e32 v1, 1, v38
	v_add_co_u32_e64 v39, s[4:5], -1, v1
	v_addc_co_u32_e64 v100, s[4:5], 0, -1, s[4:5]
	v_cmp_ne_u32_e64 s[4:5], 0, v1
	v_lshlrev_b32_e32 v0, 2, v38
	v_xor_b32_e32 v1, s5, v100
	v_add_lshl_u32 v99, v0, v72, 2
	v_mov_b32_e32 v0, 0
	v_and_b32_e32 v100, exec_hi, v1
	v_lshlrev_b32_e32 v1, 30, v38
	v_xor_b32_e32 v39, s4, v39
	v_cmp_gt_i64_e64 s[4:5], 0, v[0:1]
	v_not_b32_e32 v1, v1
	v_ashrrev_i32_e32 v1, 31, v1
	v_and_b32_e32 v39, exec_lo, v39
	v_xor_b32_e32 v101, s5, v1
	v_xor_b32_e32 v1, s4, v1
	v_and_b32_e32 v39, v39, v1
	v_lshlrev_b32_e32 v1, 29, v38
	v_cmp_gt_i64_e64 s[4:5], 0, v[0:1]
	v_not_b32_e32 v1, v1
	v_ashrrev_i32_e32 v1, 31, v1
	v_and_b32_e32 v100, v100, v101
	v_xor_b32_e32 v101, s5, v1
	v_xor_b32_e32 v1, s4, v1
	v_and_b32_e32 v39, v39, v1
	v_lshlrev_b32_e32 v1, 28, v38
	v_cmp_gt_i64_e64 s[4:5], 0, v[0:1]
	v_not_b32_e32 v1, v1
	v_ashrrev_i32_e32 v1, 31, v1
	v_and_b32_e32 v100, v100, v101
	v_xor_b32_e32 v101, s5, v1
	v_xor_b32_e32 v1, s4, v1
	v_and_b32_e32 v39, v39, v1
	v_lshlrev_b32_e32 v1, 27, v38
	v_cmp_gt_i64_e64 s[4:5], 0, v[0:1]
	v_not_b32_e32 v1, v1
	v_ashrrev_i32_e32 v1, 31, v1
	v_and_b32_e32 v100, v100, v101
	v_xor_b32_e32 v101, s5, v1
	v_xor_b32_e32 v1, s4, v1
	v_and_b32_e32 v39, v39, v1
	v_lshlrev_b32_e32 v1, 26, v38
	v_cmp_gt_i64_e64 s[4:5], 0, v[0:1]
	v_not_b32_e32 v1, v1
	v_ashrrev_i32_e32 v1, 31, v1
	v_and_b32_e32 v100, v100, v101
	v_xor_b32_e32 v101, s5, v1
	v_xor_b32_e32 v1, s4, v1
	v_and_b32_e32 v39, v39, v1
	v_lshlrev_b32_e32 v1, 25, v38
	v_cmp_gt_i64_e64 s[4:5], 0, v[0:1]
	v_not_b32_e32 v1, v1
	v_ashrrev_i32_e32 v1, 31, v1
	v_and_b32_e32 v100, v100, v101
	v_xor_b32_e32 v101, s5, v1
	v_xor_b32_e32 v1, s4, v1
	v_and_b32_e32 v100, v100, v101
	v_and_b32_e32 v101, v39, v1
	v_lshlrev_b32_e32 v1, 24, v38
	v_cmp_gt_i64_e64 s[4:5], 0, v[0:1]
	v_not_b32_e32 v1, v1
	v_ashrrev_i32_e32 v1, 31, v1
	v_xor_b32_e32 v38, s5, v1
	v_xor_b32_e32 v1, s4, v1
	; wave barrier
	ds_read_b32 v98, v99 offset:16
	v_and_b32_e32 v39, v100, v38
	v_and_b32_e32 v38, v101, v1
	v_mbcnt_lo_u32_b32 v1, v38, 0
	v_mbcnt_hi_u32_b32 v100, v39, v1
	v_cmp_eq_u32_e64 s[4:5], 0, v100
	v_cmp_ne_u64_e64 s[44:45], 0, v[38:39]
	s_and_b64 s[44:45], s[44:45], s[4:5]
	; wave barrier
	s_and_saveexec_b64 s[4:5], s[44:45]
	s_cbranch_execz .LBB176_78
; %bb.77:
	v_bcnt_u32_b32 v1, v38, 0
	v_bcnt_u32_b32 v1, v39, v1
	s_waitcnt lgkmcnt(0)
	v_add_u32_e32 v1, v98, v1
	ds_write_b32 v99, v1 offset:16
.LBB176_78:
	s_or_b64 exec, exec, s[4:5]
	v_and_b32_sdwa v38, v75, s55 dst_sel:DWORD dst_unused:UNUSED_PAD src0_sel:BYTE_1 src1_sel:DWORD
	v_lshlrev_b32_e32 v1, 2, v38
	v_add_lshl_u32 v102, v1, v72, 2
	v_and_b32_e32 v1, 1, v38
	v_add_co_u32_e64 v39, s[4:5], -1, v1
	v_addc_co_u32_e64 v103, s[4:5], 0, -1, s[4:5]
	v_cmp_ne_u32_e64 s[4:5], 0, v1
	v_xor_b32_e32 v1, s5, v103
	v_and_b32_e32 v103, exec_hi, v1
	v_lshlrev_b32_e32 v1, 30, v38
	v_xor_b32_e32 v39, s4, v39
	v_cmp_gt_i64_e64 s[4:5], 0, v[0:1]
	v_not_b32_e32 v1, v1
	v_ashrrev_i32_e32 v1, 31, v1
	v_and_b32_e32 v39, exec_lo, v39
	v_xor_b32_e32 v104, s5, v1
	v_xor_b32_e32 v1, s4, v1
	v_and_b32_e32 v39, v39, v1
	v_lshlrev_b32_e32 v1, 29, v38
	v_cmp_gt_i64_e64 s[4:5], 0, v[0:1]
	v_not_b32_e32 v1, v1
	v_ashrrev_i32_e32 v1, 31, v1
	v_and_b32_e32 v103, v103, v104
	v_xor_b32_e32 v104, s5, v1
	v_xor_b32_e32 v1, s4, v1
	v_and_b32_e32 v39, v39, v1
	v_lshlrev_b32_e32 v1, 28, v38
	v_cmp_gt_i64_e64 s[4:5], 0, v[0:1]
	v_not_b32_e32 v1, v1
	v_ashrrev_i32_e32 v1, 31, v1
	v_and_b32_e32 v103, v103, v104
	v_xor_b32_e32 v104, s5, v1
	v_xor_b32_e32 v1, s4, v1
	v_and_b32_e32 v39, v39, v1
	v_lshlrev_b32_e32 v1, 27, v38
	v_cmp_gt_i64_e64 s[4:5], 0, v[0:1]
	v_not_b32_e32 v1, v1
	v_ashrrev_i32_e32 v1, 31, v1
	v_and_b32_e32 v103, v103, v104
	v_xor_b32_e32 v104, s5, v1
	v_xor_b32_e32 v1, s4, v1
	v_and_b32_e32 v39, v39, v1
	v_lshlrev_b32_e32 v1, 26, v38
	v_cmp_gt_i64_e64 s[4:5], 0, v[0:1]
	v_not_b32_e32 v1, v1
	v_ashrrev_i32_e32 v1, 31, v1
	v_and_b32_e32 v103, v103, v104
	v_xor_b32_e32 v104, s5, v1
	v_xor_b32_e32 v1, s4, v1
	v_and_b32_e32 v39, v39, v1
	v_lshlrev_b32_e32 v1, 25, v38
	v_cmp_gt_i64_e64 s[4:5], 0, v[0:1]
	v_not_b32_e32 v1, v1
	v_ashrrev_i32_e32 v1, 31, v1
	v_and_b32_e32 v103, v103, v104
	v_xor_b32_e32 v104, s5, v1
	v_xor_b32_e32 v1, s4, v1
	v_and_b32_e32 v39, v39, v1
	v_lshlrev_b32_e32 v1, 24, v38
	v_cmp_gt_i64_e64 s[4:5], 0, v[0:1]
	v_not_b32_e32 v0, v1
	v_ashrrev_i32_e32 v0, 31, v0
	v_xor_b32_e32 v1, s5, v0
	v_xor_b32_e32 v0, s4, v0
	; wave barrier
	ds_read_b32 v101, v102 offset:16
	v_and_b32_e32 v103, v103, v104
	v_and_b32_e32 v0, v39, v0
	;; [unrolled: 1-line block ×3, first 2 shown]
	v_mbcnt_lo_u32_b32 v38, v0, 0
	v_mbcnt_hi_u32_b32 v103, v1, v38
	v_cmp_eq_u32_e64 s[4:5], 0, v103
	v_cmp_ne_u64_e64 s[44:45], 0, v[0:1]
	s_and_b64 s[44:45], s[44:45], s[4:5]
	; wave barrier
	s_and_saveexec_b64 s[4:5], s[44:45]
	s_cbranch_execz .LBB176_80
; %bb.79:
	v_bcnt_u32_b32 v0, v0, 0
	v_bcnt_u32_b32 v0, v1, v0
	s_waitcnt lgkmcnt(0)
	v_add_u32_e32 v0, v101, v0
	ds_write_b32 v102, v0 offset:16
.LBB176_80:
	s_or_b64 exec, exec, s[4:5]
	v_and_b32_sdwa v38, v40, s55 dst_sel:DWORD dst_unused:UNUSED_PAD src0_sel:BYTE_1 src1_sel:DWORD
	v_and_b32_e32 v1, 1, v38
	v_add_co_u32_e64 v39, s[4:5], -1, v1
	v_addc_co_u32_e64 v105, s[4:5], 0, -1, s[4:5]
	v_cmp_ne_u32_e64 s[4:5], 0, v1
	v_lshlrev_b32_e32 v0, 2, v38
	v_xor_b32_e32 v1, s5, v105
	v_add_lshl_u32 v104, v0, v72, 2
	v_mov_b32_e32 v0, 0
	v_and_b32_e32 v105, exec_hi, v1
	v_lshlrev_b32_e32 v1, 30, v38
	v_xor_b32_e32 v39, s4, v39
	v_cmp_gt_i64_e64 s[4:5], 0, v[0:1]
	v_not_b32_e32 v1, v1
	v_ashrrev_i32_e32 v1, 31, v1
	v_and_b32_e32 v39, exec_lo, v39
	v_xor_b32_e32 v106, s5, v1
	v_xor_b32_e32 v1, s4, v1
	v_and_b32_e32 v39, v39, v1
	v_lshlrev_b32_e32 v1, 29, v38
	v_cmp_gt_i64_e64 s[4:5], 0, v[0:1]
	v_not_b32_e32 v1, v1
	v_ashrrev_i32_e32 v1, 31, v1
	v_and_b32_e32 v105, v105, v106
	v_xor_b32_e32 v106, s5, v1
	v_xor_b32_e32 v1, s4, v1
	v_and_b32_e32 v39, v39, v1
	v_lshlrev_b32_e32 v1, 28, v38
	v_cmp_gt_i64_e64 s[4:5], 0, v[0:1]
	v_not_b32_e32 v1, v1
	v_ashrrev_i32_e32 v1, 31, v1
	v_and_b32_e32 v105, v105, v106
	;; [unrolled: 8-line block ×5, first 2 shown]
	v_xor_b32_e32 v106, s5, v1
	v_xor_b32_e32 v1, s4, v1
	v_and_b32_e32 v39, v39, v1
	v_lshlrev_b32_e32 v1, 24, v38
	v_cmp_gt_i64_e64 s[4:5], 0, v[0:1]
	v_not_b32_e32 v0, v1
	v_ashrrev_i32_e32 v0, 31, v0
	v_xor_b32_e32 v1, s5, v0
	v_xor_b32_e32 v0, s4, v0
	; wave barrier
	ds_read_b32 v72, v104 offset:16
	v_and_b32_e32 v105, v105, v106
	v_and_b32_e32 v0, v39, v0
	;; [unrolled: 1-line block ×3, first 2 shown]
	v_mbcnt_lo_u32_b32 v38, v0, 0
	v_mbcnt_hi_u32_b32 v105, v1, v38
	v_cmp_eq_u32_e64 s[4:5], 0, v105
	v_cmp_ne_u64_e64 s[44:45], 0, v[0:1]
	s_and_b64 s[44:45], s[44:45], s[4:5]
	; wave barrier
	s_and_saveexec_b64 s[4:5], s[44:45]
	s_cbranch_execz .LBB176_82
; %bb.81:
	v_bcnt_u32_b32 v0, v0, 0
	v_bcnt_u32_b32 v0, v1, v0
	s_waitcnt lgkmcnt(0)
	v_add_u32_e32 v0, v72, v0
	ds_write_b32 v104, v0 offset:16
.LBB176_82:
	s_or_b64 exec, exec, s[4:5]
	; wave barrier
	s_waitcnt lgkmcnt(0)
	s_barrier
	ds_read2_b32 v[38:39], v62 offset0:4 offset1:5
	ds_read2_b32 v[0:1], v73 offset0:2 offset1:3
	s_waitcnt lgkmcnt(1)
	v_add_u32_e32 v106, v39, v38
	s_waitcnt lgkmcnt(0)
	v_add3_u32 v1, v106, v0, v1
	s_nop 1
	v_mov_b32_dpp v106, v1 row_shr:1 row_mask:0xf bank_mask:0xf
	v_cndmask_b32_e64 v106, v106, 0, s[22:23]
	v_add_u32_e32 v1, v106, v1
	s_nop 1
	v_mov_b32_dpp v106, v1 row_shr:2 row_mask:0xf bank_mask:0xf
	v_cndmask_b32_e64 v106, 0, v106, s[24:25]
	v_add_u32_e32 v1, v1, v106
	s_nop 1
	v_mov_b32_dpp v106, v1 row_shr:4 row_mask:0xf bank_mask:0xf
	v_cndmask_b32_e64 v106, 0, v106, s[28:29]
	v_add_u32_e32 v1, v1, v106
	s_nop 1
	v_mov_b32_dpp v106, v1 row_shr:8 row_mask:0xf bank_mask:0xf
	v_cndmask_b32_e64 v106, 0, v106, s[30:31]
	v_add_u32_e32 v1, v1, v106
	s_nop 1
	v_mov_b32_dpp v106, v1 row_bcast:15 row_mask:0xf bank_mask:0xf
	v_cndmask_b32_e64 v106, v106, 0, vcc
	v_add_u32_e32 v1, v1, v106
	s_nop 1
	v_mov_b32_dpp v106, v1 row_bcast:31 row_mask:0xf bank_mask:0xf
	v_cndmask_b32_e64 v106, 0, v106, s[34:35]
	v_add_u32_e32 v1, v1, v106
	s_and_saveexec_b64 s[4:5], s[16:17]
	s_cbranch_execz .LBB176_84
; %bb.83:
	ds_write_b32 v74, v1
.LBB176_84:
	s_or_b64 exec, exec, s[4:5]
	s_waitcnt lgkmcnt(0)
	s_barrier
	s_and_saveexec_b64 s[4:5], s[26:27]
	s_cbranch_execz .LBB176_86
; %bb.85:
	ds_read_b32 v74, v41
	s_waitcnt lgkmcnt(0)
	s_nop 0
	v_mov_b32_dpp v106, v74 row_shr:1 row_mask:0xf bank_mask:0xf
	v_cndmask_b32_e64 v106, v106, 0, s[20:21]
	v_add_u32_e32 v74, v106, v74
	s_nop 1
	v_mov_b32_dpp v106, v74 row_shr:2 row_mask:0xf bank_mask:0xf
	v_cndmask_b32_e64 v106, 0, v106, s[18:19]
	v_add_u32_e32 v74, v74, v106
	ds_write_b32 v41, v74
.LBB176_86:
	s_or_b64 exec, exec, s[4:5]
	v_mov_b32_e32 v41, 0
	s_waitcnt lgkmcnt(0)
	s_barrier
	s_and_saveexec_b64 s[4:5], s[36:37]
	s_cbranch_execz .LBB176_88
; %bb.87:
	ds_read_b32 v41, v83
.LBB176_88:
	s_or_b64 exec, exec, s[4:5]
	s_waitcnt lgkmcnt(0)
	v_add_u32_e32 v1, v41, v1
	ds_bpermute_b32 v1, v84, v1
	s_waitcnt lgkmcnt(0)
	v_cndmask_b32_e64 v1, v1, v41, s[38:39]
	v_cndmask_b32_e64 v1, v1, 0, s[40:41]
	v_add_u32_e32 v38, v1, v38
	v_add_u32_e32 v39, v38, v39
	;; [unrolled: 1-line block ×3, first 2 shown]
	ds_write2_b32 v62, v1, v38 offset0:4 offset1:5
	ds_write2_b32 v73, v39, v0 offset0:2 offset1:3
	s_waitcnt lgkmcnt(0)
	s_barrier
	ds_read_b32 v0, v104 offset:16
	ds_read_b32 v1, v102 offset:16
	ds_read_b32 v38, v99 offset:16
	ds_read_b32 v39, v96 offset:16
	s_waitcnt lgkmcnt(3)
	v_add3_u32 v0, v105, v72, v0
	s_waitcnt lgkmcnt(2)
	v_add3_u32 v1, v103, v101, v1
	s_waitcnt lgkmcnt(1)
	v_add3_u32 v72, v100, v98, v38
	ds_read_b32 v38, v93 offset:16
	ds_read_b32 v41, v90 offset:16
	;; [unrolled: 1-line block ×4, first 2 shown]
	s_waitcnt lgkmcnt(0)
	s_barrier
	v_add3_u32 v41, v91, v89, v41
	v_add3_u32 v73, v88, v86, v73
	v_add_u32_e32 v74, v74, v85
	v_lshlrev_b32_e32 v82, 1, v74
	ds_write_b16 v82, v81
	v_lshlrev_b32_e32 v81, 1, v73
	v_add3_u32 v38, v94, v92, v38
	ds_write_b16 v81, v80
	v_lshlrev_b32_e32 v80, 1, v41
	v_add3_u32 v39, v97, v95, v39
	ds_write_b16 v80, v79
	v_lshlrev_b32_e32 v79, 1, v38
	ds_write_b16 v79, v78
	v_lshlrev_b32_e32 v78, 1, v39
	;; [unrolled: 2-line block ×6, first 2 shown]
	v_lshlrev_b32_e32 v74, 3, v74
	v_lshlrev_b32_e32 v78, 3, v53
	s_waitcnt lgkmcnt(0)
	s_barrier
	v_lshlrev_b32_e32 v73, 3, v73
	v_lshlrev_b32_e32 v75, 3, v41
	;; [unrolled: 1-line block ×4, first 2 shown]
	ds_read_b128 v[38:41], v40
	v_lshlrev_b32_e32 v72, 3, v72
	v_lshlrev_b32_e32 v1, 3, v1
	v_lshlrev_b32_e32 v0, 3, v0
	s_waitcnt lgkmcnt(0)
	s_barrier
	ds_write_b64 v74, v[34:35]
	ds_write_b64 v73, v[36:37]
	ds_write_b64 v75, v[30:31]
	ds_write_b64 v76, v[32:33]
	ds_write_b64 v77, v[26:27]
	ds_write_b64 v72, v[28:29]
	ds_write_b64 v1, v[22:23]
	ds_write_b64 v0, v[24:25]
	s_waitcnt lgkmcnt(0)
	s_barrier
	ds_read2_b64 v[22:25], v78 offset1:1
	ds_read2_b64 v[26:29], v78 offset0:2 offset1:3
	ds_read2_b64 v[30:33], v78 offset0:4 offset1:5
	;; [unrolled: 1-line block ×3, first 2 shown]
	v_xor_b32_e32 v38, 0x80008000, v38
	v_xor_b32_e32 v39, 0x80008000, v39
	;; [unrolled: 1-line block ×4, first 2 shown]
	s_branch .LBB176_142
.LBB176_89:
	v_mad_u64_u32 v[2:3], s[16:17], v42, s48, 0
	v_mov_b32_e32 v4, v3
	v_mad_u64_u32 v[4:5], s[16:17], v42, s49, v[4:5]
	v_mov_b32_e32 v3, v4
	v_lshlrev_b64 v[2:3], 3, v[2:3]
	v_mov_b32_e32 v4, s54
	v_add_co_u32_e32 v2, vcc, s53, v2
	v_addc_co_u32_e32 v3, vcc, v4, v3, vcc
	global_load_dwordx2 v[2:3], v[2:3], off
	v_mov_b32_e32 v4, 0
	v_mov_b32_e32 v5, v4
	;; [unrolled: 1-line block ×14, first 2 shown]
	s_or_b64 exec, exec, s[4:5]
	s_and_saveexec_b64 s[4:5], s[2:3]
	s_cbranch_execz .LBB176_36
.LBB176_90:
	v_mad_u64_u32 v[4:5], s[16:17], v1, s48, 0
	v_mov_b32_e32 v38, v5
	v_mad_u64_u32 v[38:39], s[16:17], v1, s49, v[38:39]
	v_mov_b32_e32 v5, v38
	v_lshlrev_b64 v[4:5], 3, v[4:5]
	v_mov_b32_e32 v1, s54
	v_add_co_u32_e32 v4, vcc, s53, v4
	v_addc_co_u32_e32 v5, vcc, v1, v5, vcc
	global_load_dwordx2 v[4:5], v[4:5], off
	s_or_b64 exec, exec, s[4:5]
	s_and_saveexec_b64 s[4:5], s[42:43]
	s_cbranch_execz .LBB176_37
.LBB176_91:
	v_mad_u64_u32 v[6:7], s[16:17], v22, s48, 0
	v_mov_b32_e32 v38, v7
	v_mad_u64_u32 v[38:39], s[16:17], v22, s49, v[38:39]
	v_mov_b32_e32 v7, v38
	v_lshlrev_b64 v[6:7], 3, v[6:7]
	v_mov_b32_e32 v1, s54
	v_add_co_u32_e32 v6, vcc, s53, v6
	v_addc_co_u32_e32 v7, vcc, v1, v7, vcc
	global_load_dwordx2 v[6:7], v[6:7], off
	s_or_b64 exec, exec, s[4:5]
	s_and_saveexec_b64 s[4:5], s[6:7]
	s_cbranch_execz .LBB176_38
.LBB176_92:
	v_mad_u64_u32 v[8:9], s[16:17], v23, s48, 0
	v_mov_b32_e32 v22, v9
	v_mad_u64_u32 v[22:23], s[16:17], v23, s49, v[22:23]
	v_mov_b32_e32 v9, v22
	v_lshlrev_b64 v[8:9], 3, v[8:9]
	v_mov_b32_e32 v1, s54
	v_add_co_u32_e32 v8, vcc, s53, v8
	v_addc_co_u32_e32 v9, vcc, v1, v9, vcc
	global_load_dwordx2 v[8:9], v[8:9], off
	s_or_b64 exec, exec, s[4:5]
	s_and_saveexec_b64 s[4:5], s[8:9]
	s_cbranch_execz .LBB176_39
.LBB176_93:
	v_mad_u64_u32 v[10:11], s[16:17], v24, s48, 0
	v_mov_b32_e32 v22, v11
	v_mad_u64_u32 v[22:23], s[16:17], v24, s49, v[22:23]
	v_mov_b32_e32 v11, v22
	v_lshlrev_b64 v[10:11], 3, v[10:11]
	v_mov_b32_e32 v1, s54
	v_add_co_u32_e32 v10, vcc, s53, v10
	v_addc_co_u32_e32 v11, vcc, v1, v11, vcc
	global_load_dwordx2 v[10:11], v[10:11], off
	s_or_b64 exec, exec, s[4:5]
	s_and_saveexec_b64 s[4:5], s[10:11]
	s_cbranch_execz .LBB176_40
.LBB176_94:
	v_mad_u64_u32 v[12:13], s[16:17], v25, s48, 0
	v_mov_b32_e32 v22, v13
	v_mad_u64_u32 v[22:23], s[16:17], v25, s49, v[22:23]
	v_mov_b32_e32 v13, v22
	v_lshlrev_b64 v[12:13], 3, v[12:13]
	v_mov_b32_e32 v1, s54
	v_add_co_u32_e32 v12, vcc, s53, v12
	v_addc_co_u32_e32 v13, vcc, v1, v13, vcc
	global_load_dwordx2 v[12:13], v[12:13], off
	s_or_b64 exec, exec, s[4:5]
	s_and_saveexec_b64 s[4:5], s[12:13]
	s_cbranch_execz .LBB176_41
.LBB176_95:
	v_mad_u64_u32 v[14:15], s[16:17], v26, s48, 0
	v_mov_b32_e32 v22, v15
	v_mad_u64_u32 v[22:23], s[16:17], v26, s49, v[22:23]
	v_mov_b32_e32 v15, v22
	v_lshlrev_b64 v[14:15], 3, v[14:15]
	v_mov_b32_e32 v1, s54
	v_add_co_u32_e32 v14, vcc, s53, v14
	v_addc_co_u32_e32 v15, vcc, v1, v15, vcc
	global_load_dwordx2 v[14:15], v[14:15], off
	s_or_b64 exec, exec, s[4:5]
	s_xor_b64 s[4:5], s[34:35], -1
	s_and_saveexec_b64 s[16:17], s[14:15]
	s_cbranch_execnz .LBB176_42
	s_branch .LBB176_43
.LBB176_96:
                                        ; implicit-def: $vgpr41
                                        ; implicit-def: $vgpr36_vgpr37
                                        ; implicit-def: $vgpr32_vgpr33
                                        ; implicit-def: $vgpr28_vgpr29
                                        ; implicit-def: $vgpr24_vgpr25
	s_cbranch_execz .LBB176_142
; %bb.97:
	s_movk_i32 s4, 0x7fff
	v_xor_b32_e32 v0, 0x7fff, v18
	v_xor_b32_sdwa v1, v18, s4 dst_sel:DWORD dst_unused:UNUSED_PAD src0_sel:WORD_1 src1_sel:DWORD
	v_xor_b32_e32 v18, 0x7fff, v19
	v_xor_b32_sdwa v19, v19, s4 dst_sel:DWORD dst_unused:UNUSED_PAD src0_sel:WORD_1 src1_sel:DWORD
	s_waitcnt lgkmcnt(3)
	v_xor_b32_e32 v22, 0x7fff, v20
	v_xor_b32_sdwa v20, v20, s4 dst_sel:DWORD dst_unused:UNUSED_PAD src0_sel:WORD_1 src1_sel:DWORD
	v_xor_b32_e32 v23, 0x7fff, v21
	v_xor_b32_sdwa v21, v21, s4 dst_sel:DWORD dst_unused:UNUSED_PAD src0_sel:WORD_1 src1_sel:DWORD
	s_mov_b32 s4, 0x5040100
	v_perm_b32 v21, v21, v23, s4
	v_perm_b32 v20, v20, v22, s4
	;; [unrolled: 1-line block ×4, first 2 shown]
	ds_write_b128 v71, v[18:21]
	; wave barrier
	s_waitcnt lgkmcnt(2)
	ds_read_u16 v32, v70
	ds_read_u16 v31, v70 offset:128
	ds_read_u16 v30, v70 offset:256
	;; [unrolled: 1-line block ×7, first 2 shown]
	s_waitcnt lgkmcnt(0)
	s_barrier
	ds_write2_b64 v69, v[14:15], v[16:17] offset1:1
	ds_write2_b64 v69, v[10:11], v[12:13] offset0:2 offset1:3
	ds_write2_b64 v69, v[6:7], v[8:9] offset0:4 offset1:5
	;; [unrolled: 1-line block ×3, first 2 shown]
	; wave barrier
	ds_read2st64_b64 v[12:15], v68 offset1:1
	ds_read2st64_b64 v[8:11], v68 offset0:2 offset1:3
	ds_read2st64_b64 v[4:7], v68 offset0:4 offset1:5
	;; [unrolled: 1-line block ×3, first 2 shown]
	s_waitcnt lgkmcnt(0)
	s_barrier
	s_load_dword s16, s[50:51], 0xc
	s_getpc_b64 s[4:5]
	s_add_u32 s4, s4, _ZN7rocprim17ROCPRIM_400000_NS16block_radix_sortIsLj256ELj8ElLj1ELj1ELj0ELNS0_26block_radix_rank_algorithmE1ELNS0_18block_padding_hintE2ELNS0_4arch9wavefront6targetE1EE19radix_bits_per_passE@rel32@lo+4
	s_addc_u32 s5, s5, _ZN7rocprim17ROCPRIM_400000_NS16block_radix_sortIsLj256ELj8ElLj1ELj1ELj0ELNS0_26block_radix_rank_algorithmE1ELNS0_18block_padding_hintE2ELNS0_4arch9wavefront6targetE1EE19radix_bits_per_passE@rel32@hi+12
	s_load_dword s44, s[4:5], 0x0
	s_waitcnt lgkmcnt(0)
	s_lshr_b32 s4, s16, 16
	s_and_b32 s5, s16, 0xffff
	v_mad_u32_u24 v16, v67, s4, v66
	v_mad_u64_u32 v[16:17], s[4:5], v16, s5, v[42:43]
	s_min_u32 s4, s44, 16
	s_lshl_b32 s4, -1, s4
	s_not_b32 s16, s4
	v_and_b32_sdwa v18, s16, v32 dst_sel:DWORD dst_unused:UNUSED_PAD src0_sel:DWORD src1_sel:WORD_0
	v_lshrrev_b32_e32 v22, 6, v16
	v_lshlrev_b32_e32 v17, 2, v18
	v_add_lshl_u32 v35, v22, v17, 2
	v_and_b32_e32 v17, 1, v18
	v_add_co_u32_e32 v19, vcc, -1, v17
	v_addc_co_u32_e64 v20, s[4:5], 0, -1, vcc
	v_cmp_ne_u32_e32 vcc, 0, v17
	v_xor_b32_e32 v17, vcc_hi, v20
	v_mov_b32_e32 v16, 0
	v_and_b32_e32 v20, exec_hi, v17
	v_lshlrev_b32_e32 v17, 30, v18
	v_xor_b32_e32 v19, vcc_lo, v19
	v_cmp_gt_i64_e32 vcc, 0, v[16:17]
	v_not_b32_e32 v17, v17
	v_ashrrev_i32_e32 v17, 31, v17
	v_and_b32_e32 v19, exec_lo, v19
	v_xor_b32_e32 v21, vcc_hi, v17
	v_xor_b32_e32 v17, vcc_lo, v17
	v_and_b32_e32 v19, v19, v17
	v_lshlrev_b32_e32 v17, 29, v18
	v_cmp_gt_i64_e32 vcc, 0, v[16:17]
	v_not_b32_e32 v17, v17
	v_ashrrev_i32_e32 v17, 31, v17
	v_and_b32_e32 v20, v20, v21
	v_xor_b32_e32 v21, vcc_hi, v17
	v_xor_b32_e32 v17, vcc_lo, v17
	v_and_b32_e32 v19, v19, v17
	v_lshlrev_b32_e32 v17, 28, v18
	v_cmp_gt_i64_e32 vcc, 0, v[16:17]
	v_not_b32_e32 v17, v17
	v_ashrrev_i32_e32 v17, 31, v17
	v_and_b32_e32 v20, v20, v21
	;; [unrolled: 8-line block ×5, first 2 shown]
	v_xor_b32_e32 v21, vcc_hi, v17
	v_xor_b32_e32 v17, vcc_lo, v17
	v_and_b32_e32 v20, v20, v21
	v_and_b32_e32 v21, v19, v17
	v_lshlrev_b32_e32 v17, 24, v18
	v_cmp_gt_i64_e32 vcc, 0, v[16:17]
	v_not_b32_e32 v17, v17
	v_ashrrev_i32_e32 v17, 31, v17
	v_xor_b32_e32 v18, vcc_hi, v17
	v_xor_b32_e32 v17, vcc_lo, v17
	v_and_b32_e32 v19, v20, v18
	v_and_b32_e32 v18, v21, v17
	v_mbcnt_lo_u32_b32 v17, v18, 0
	v_mbcnt_hi_u32_b32 v36, v19, v17
	v_cmp_eq_u32_e32 vcc, 0, v36
	v_cmp_ne_u64_e64 s[4:5], 0, v[18:19]
	s_and_b64 s[18:19], s[4:5], vcc
	ds_write2_b32 v62, v16, v16 offset0:4 offset1:5
	ds_write2_b32 v62, v16, v16 offset0:6 offset1:7
	s_waitcnt lgkmcnt(0)
	s_barrier
	s_waitcnt lgkmcnt(0)
	; wave barrier
	s_and_saveexec_b64 s[4:5], s[18:19]
	s_cbranch_execz .LBB176_99
; %bb.98:
	v_bcnt_u32_b32 v17, v18, 0
	v_bcnt_u32_b32 v17, v19, v17
	ds_write_b32 v35, v17 offset:16
.LBB176_99:
	s_or_b64 exec, exec, s[4:5]
	v_and_b32_sdwa v18, s16, v31 dst_sel:DWORD dst_unused:UNUSED_PAD src0_sel:DWORD src1_sel:WORD_0
	v_lshlrev_b32_e32 v17, 2, v18
	v_add_lshl_u32 v38, v22, v17, 2
	v_and_b32_e32 v17, 1, v18
	v_add_co_u32_e32 v19, vcc, -1, v17
	v_addc_co_u32_e64 v20, s[4:5], 0, -1, vcc
	v_cmp_ne_u32_e32 vcc, 0, v17
	v_xor_b32_e32 v17, vcc_hi, v20
	v_and_b32_e32 v20, exec_hi, v17
	v_lshlrev_b32_e32 v17, 30, v18
	v_xor_b32_e32 v19, vcc_lo, v19
	v_cmp_gt_i64_e32 vcc, 0, v[16:17]
	v_not_b32_e32 v17, v17
	v_ashrrev_i32_e32 v17, 31, v17
	v_and_b32_e32 v19, exec_lo, v19
	v_xor_b32_e32 v21, vcc_hi, v17
	v_xor_b32_e32 v17, vcc_lo, v17
	v_and_b32_e32 v19, v19, v17
	v_lshlrev_b32_e32 v17, 29, v18
	v_cmp_gt_i64_e32 vcc, 0, v[16:17]
	v_not_b32_e32 v17, v17
	v_ashrrev_i32_e32 v17, 31, v17
	v_and_b32_e32 v20, v20, v21
	v_xor_b32_e32 v21, vcc_hi, v17
	v_xor_b32_e32 v17, vcc_lo, v17
	v_and_b32_e32 v19, v19, v17
	v_lshlrev_b32_e32 v17, 28, v18
	v_cmp_gt_i64_e32 vcc, 0, v[16:17]
	v_not_b32_e32 v17, v17
	v_ashrrev_i32_e32 v17, 31, v17
	v_and_b32_e32 v20, v20, v21
	;; [unrolled: 8-line block ×5, first 2 shown]
	v_xor_b32_e32 v21, vcc_hi, v17
	v_xor_b32_e32 v17, vcc_lo, v17
	v_and_b32_e32 v19, v19, v17
	v_lshlrev_b32_e32 v17, 24, v18
	v_cmp_gt_i64_e32 vcc, 0, v[16:17]
	v_not_b32_e32 v16, v17
	v_ashrrev_i32_e32 v16, 31, v16
	v_xor_b32_e32 v17, vcc_hi, v16
	v_xor_b32_e32 v16, vcc_lo, v16
	; wave barrier
	ds_read_b32 v37, v38 offset:16
	v_and_b32_e32 v20, v20, v21
	v_and_b32_e32 v16, v19, v16
	;; [unrolled: 1-line block ×3, first 2 shown]
	v_mbcnt_lo_u32_b32 v18, v16, 0
	v_mbcnt_hi_u32_b32 v39, v17, v18
	v_cmp_eq_u32_e32 vcc, 0, v39
	v_cmp_ne_u64_e64 s[4:5], 0, v[16:17]
	s_and_b64 s[18:19], s[4:5], vcc
	; wave barrier
	s_and_saveexec_b64 s[4:5], s[18:19]
	s_cbranch_execz .LBB176_101
; %bb.100:
	v_bcnt_u32_b32 v16, v16, 0
	v_bcnt_u32_b32 v16, v17, v16
	s_waitcnt lgkmcnt(0)
	v_add_u32_e32 v16, v37, v16
	ds_write_b32 v38, v16 offset:16
.LBB176_101:
	s_or_b64 exec, exec, s[4:5]
	v_and_b32_sdwa v18, s16, v30 dst_sel:DWORD dst_unused:UNUSED_PAD src0_sel:DWORD src1_sel:WORD_0
	v_and_b32_e32 v17, 1, v18
	v_add_co_u32_e32 v19, vcc, -1, v17
	v_addc_co_u32_e64 v20, s[4:5], 0, -1, vcc
	v_cmp_ne_u32_e32 vcc, 0, v17
	v_lshlrev_b32_e32 v16, 2, v18
	v_xor_b32_e32 v17, vcc_hi, v20
	v_add_lshl_u32 v41, v22, v16, 2
	v_mov_b32_e32 v16, 0
	v_and_b32_e32 v20, exec_hi, v17
	v_lshlrev_b32_e32 v17, 30, v18
	v_xor_b32_e32 v19, vcc_lo, v19
	v_cmp_gt_i64_e32 vcc, 0, v[16:17]
	v_not_b32_e32 v17, v17
	v_ashrrev_i32_e32 v17, 31, v17
	v_and_b32_e32 v19, exec_lo, v19
	v_xor_b32_e32 v21, vcc_hi, v17
	v_xor_b32_e32 v17, vcc_lo, v17
	v_and_b32_e32 v19, v19, v17
	v_lshlrev_b32_e32 v17, 29, v18
	v_cmp_gt_i64_e32 vcc, 0, v[16:17]
	v_not_b32_e32 v17, v17
	v_ashrrev_i32_e32 v17, 31, v17
	v_and_b32_e32 v20, v20, v21
	v_xor_b32_e32 v21, vcc_hi, v17
	v_xor_b32_e32 v17, vcc_lo, v17
	v_and_b32_e32 v19, v19, v17
	v_lshlrev_b32_e32 v17, 28, v18
	v_cmp_gt_i64_e32 vcc, 0, v[16:17]
	v_not_b32_e32 v17, v17
	v_ashrrev_i32_e32 v17, 31, v17
	v_and_b32_e32 v20, v20, v21
	;; [unrolled: 8-line block ×5, first 2 shown]
	v_xor_b32_e32 v21, vcc_hi, v17
	v_xor_b32_e32 v17, vcc_lo, v17
	v_and_b32_e32 v20, v20, v21
	v_and_b32_e32 v21, v19, v17
	v_lshlrev_b32_e32 v17, 24, v18
	v_cmp_gt_i64_e32 vcc, 0, v[16:17]
	v_not_b32_e32 v17, v17
	v_ashrrev_i32_e32 v17, 31, v17
	v_xor_b32_e32 v18, vcc_hi, v17
	v_xor_b32_e32 v17, vcc_lo, v17
	; wave barrier
	ds_read_b32 v40, v41 offset:16
	v_and_b32_e32 v19, v20, v18
	v_and_b32_e32 v18, v21, v17
	v_mbcnt_lo_u32_b32 v17, v18, 0
	v_mbcnt_hi_u32_b32 v66, v19, v17
	v_cmp_eq_u32_e32 vcc, 0, v66
	v_cmp_ne_u64_e64 s[4:5], 0, v[18:19]
	s_and_b64 s[18:19], s[4:5], vcc
	; wave barrier
	s_and_saveexec_b64 s[4:5], s[18:19]
	s_cbranch_execz .LBB176_103
; %bb.102:
	v_bcnt_u32_b32 v17, v18, 0
	v_bcnt_u32_b32 v17, v19, v17
	s_waitcnt lgkmcnt(0)
	v_add_u32_e32 v17, v40, v17
	ds_write_b32 v41, v17 offset:16
.LBB176_103:
	s_or_b64 exec, exec, s[4:5]
	v_and_b32_sdwa v18, s16, v29 dst_sel:DWORD dst_unused:UNUSED_PAD src0_sel:DWORD src1_sel:WORD_0
	v_lshlrev_b32_e32 v17, 2, v18
	v_add_lshl_u32 v68, v22, v17, 2
	v_and_b32_e32 v17, 1, v18
	v_add_co_u32_e32 v19, vcc, -1, v17
	v_addc_co_u32_e64 v20, s[4:5], 0, -1, vcc
	v_cmp_ne_u32_e32 vcc, 0, v17
	v_xor_b32_e32 v17, vcc_hi, v20
	v_and_b32_e32 v20, exec_hi, v17
	v_lshlrev_b32_e32 v17, 30, v18
	v_xor_b32_e32 v19, vcc_lo, v19
	v_cmp_gt_i64_e32 vcc, 0, v[16:17]
	v_not_b32_e32 v17, v17
	v_ashrrev_i32_e32 v17, 31, v17
	v_and_b32_e32 v19, exec_lo, v19
	v_xor_b32_e32 v21, vcc_hi, v17
	v_xor_b32_e32 v17, vcc_lo, v17
	v_and_b32_e32 v19, v19, v17
	v_lshlrev_b32_e32 v17, 29, v18
	v_cmp_gt_i64_e32 vcc, 0, v[16:17]
	v_not_b32_e32 v17, v17
	v_ashrrev_i32_e32 v17, 31, v17
	v_and_b32_e32 v20, v20, v21
	v_xor_b32_e32 v21, vcc_hi, v17
	v_xor_b32_e32 v17, vcc_lo, v17
	v_and_b32_e32 v19, v19, v17
	v_lshlrev_b32_e32 v17, 28, v18
	v_cmp_gt_i64_e32 vcc, 0, v[16:17]
	v_not_b32_e32 v17, v17
	v_ashrrev_i32_e32 v17, 31, v17
	v_and_b32_e32 v20, v20, v21
	v_xor_b32_e32 v21, vcc_hi, v17
	v_xor_b32_e32 v17, vcc_lo, v17
	v_and_b32_e32 v19, v19, v17
	v_lshlrev_b32_e32 v17, 27, v18
	v_cmp_gt_i64_e32 vcc, 0, v[16:17]
	v_not_b32_e32 v17, v17
	v_ashrrev_i32_e32 v17, 31, v17
	v_and_b32_e32 v20, v20, v21
	v_xor_b32_e32 v21, vcc_hi, v17
	v_xor_b32_e32 v17, vcc_lo, v17
	v_and_b32_e32 v19, v19, v17
	v_lshlrev_b32_e32 v17, 26, v18
	v_cmp_gt_i64_e32 vcc, 0, v[16:17]
	v_not_b32_e32 v17, v17
	v_ashrrev_i32_e32 v17, 31, v17
	v_and_b32_e32 v20, v20, v21
	v_xor_b32_e32 v21, vcc_hi, v17
	v_xor_b32_e32 v17, vcc_lo, v17
	v_and_b32_e32 v19, v19, v17
	v_lshlrev_b32_e32 v17, 25, v18
	v_cmp_gt_i64_e32 vcc, 0, v[16:17]
	v_not_b32_e32 v17, v17
	v_ashrrev_i32_e32 v17, 31, v17
	v_and_b32_e32 v20, v20, v21
	v_xor_b32_e32 v21, vcc_hi, v17
	v_xor_b32_e32 v17, vcc_lo, v17
	v_and_b32_e32 v19, v19, v17
	v_lshlrev_b32_e32 v17, 24, v18
	v_cmp_gt_i64_e32 vcc, 0, v[16:17]
	v_not_b32_e32 v16, v17
	v_ashrrev_i32_e32 v16, 31, v16
	v_xor_b32_e32 v17, vcc_hi, v16
	v_xor_b32_e32 v16, vcc_lo, v16
	; wave barrier
	ds_read_b32 v67, v68 offset:16
	v_and_b32_e32 v20, v20, v21
	v_and_b32_e32 v16, v19, v16
	;; [unrolled: 1-line block ×3, first 2 shown]
	v_mbcnt_lo_u32_b32 v18, v16, 0
	v_mbcnt_hi_u32_b32 v69, v17, v18
	v_cmp_eq_u32_e32 vcc, 0, v69
	v_cmp_ne_u64_e64 s[4:5], 0, v[16:17]
	s_and_b64 s[18:19], s[4:5], vcc
	; wave barrier
	s_and_saveexec_b64 s[4:5], s[18:19]
	s_cbranch_execz .LBB176_105
; %bb.104:
	v_bcnt_u32_b32 v16, v16, 0
	v_bcnt_u32_b32 v16, v17, v16
	s_waitcnt lgkmcnt(0)
	v_add_u32_e32 v16, v67, v16
	ds_write_b32 v68, v16 offset:16
.LBB176_105:
	s_or_b64 exec, exec, s[4:5]
	v_and_b32_sdwa v18, s16, v28 dst_sel:DWORD dst_unused:UNUSED_PAD src0_sel:DWORD src1_sel:WORD_0
	v_and_b32_e32 v17, 1, v18
	v_add_co_u32_e32 v19, vcc, -1, v17
	v_addc_co_u32_e64 v20, s[4:5], 0, -1, vcc
	v_cmp_ne_u32_e32 vcc, 0, v17
	v_lshlrev_b32_e32 v16, 2, v18
	v_xor_b32_e32 v17, vcc_hi, v20
	v_add_lshl_u32 v71, v22, v16, 2
	v_mov_b32_e32 v16, 0
	v_and_b32_e32 v20, exec_hi, v17
	v_lshlrev_b32_e32 v17, 30, v18
	v_xor_b32_e32 v19, vcc_lo, v19
	v_cmp_gt_i64_e32 vcc, 0, v[16:17]
	v_not_b32_e32 v17, v17
	v_ashrrev_i32_e32 v17, 31, v17
	v_and_b32_e32 v19, exec_lo, v19
	v_xor_b32_e32 v21, vcc_hi, v17
	v_xor_b32_e32 v17, vcc_lo, v17
	v_and_b32_e32 v19, v19, v17
	v_lshlrev_b32_e32 v17, 29, v18
	v_cmp_gt_i64_e32 vcc, 0, v[16:17]
	v_not_b32_e32 v17, v17
	v_ashrrev_i32_e32 v17, 31, v17
	v_and_b32_e32 v20, v20, v21
	v_xor_b32_e32 v21, vcc_hi, v17
	v_xor_b32_e32 v17, vcc_lo, v17
	v_and_b32_e32 v19, v19, v17
	v_lshlrev_b32_e32 v17, 28, v18
	v_cmp_gt_i64_e32 vcc, 0, v[16:17]
	v_not_b32_e32 v17, v17
	v_ashrrev_i32_e32 v17, 31, v17
	v_and_b32_e32 v20, v20, v21
	;; [unrolled: 8-line block ×5, first 2 shown]
	v_xor_b32_e32 v21, vcc_hi, v17
	v_xor_b32_e32 v17, vcc_lo, v17
	v_and_b32_e32 v20, v20, v21
	v_and_b32_e32 v21, v19, v17
	v_lshlrev_b32_e32 v17, 24, v18
	v_cmp_gt_i64_e32 vcc, 0, v[16:17]
	v_not_b32_e32 v17, v17
	v_ashrrev_i32_e32 v17, 31, v17
	v_xor_b32_e32 v18, vcc_hi, v17
	v_xor_b32_e32 v17, vcc_lo, v17
	; wave barrier
	ds_read_b32 v70, v71 offset:16
	v_and_b32_e32 v19, v20, v18
	v_and_b32_e32 v18, v21, v17
	v_mbcnt_lo_u32_b32 v17, v18, 0
	v_mbcnt_hi_u32_b32 v72, v19, v17
	v_cmp_eq_u32_e32 vcc, 0, v72
	v_cmp_ne_u64_e64 s[4:5], 0, v[18:19]
	s_and_b64 s[18:19], s[4:5], vcc
	; wave barrier
	s_and_saveexec_b64 s[4:5], s[18:19]
	s_cbranch_execz .LBB176_107
; %bb.106:
	v_bcnt_u32_b32 v17, v18, 0
	v_bcnt_u32_b32 v17, v19, v17
	s_waitcnt lgkmcnt(0)
	v_add_u32_e32 v17, v70, v17
	ds_write_b32 v71, v17 offset:16
.LBB176_107:
	s_or_b64 exec, exec, s[4:5]
	v_and_b32_sdwa v18, s16, v27 dst_sel:DWORD dst_unused:UNUSED_PAD src0_sel:DWORD src1_sel:WORD_0
	v_lshlrev_b32_e32 v17, 2, v18
	v_add_lshl_u32 v74, v22, v17, 2
	v_and_b32_e32 v17, 1, v18
	v_add_co_u32_e32 v19, vcc, -1, v17
	v_addc_co_u32_e64 v20, s[4:5], 0, -1, vcc
	v_cmp_ne_u32_e32 vcc, 0, v17
	v_xor_b32_e32 v17, vcc_hi, v20
	v_and_b32_e32 v20, exec_hi, v17
	v_lshlrev_b32_e32 v17, 30, v18
	v_xor_b32_e32 v19, vcc_lo, v19
	v_cmp_gt_i64_e32 vcc, 0, v[16:17]
	v_not_b32_e32 v17, v17
	v_ashrrev_i32_e32 v17, 31, v17
	v_and_b32_e32 v19, exec_lo, v19
	v_xor_b32_e32 v21, vcc_hi, v17
	v_xor_b32_e32 v17, vcc_lo, v17
	v_and_b32_e32 v19, v19, v17
	v_lshlrev_b32_e32 v17, 29, v18
	v_cmp_gt_i64_e32 vcc, 0, v[16:17]
	v_not_b32_e32 v17, v17
	v_ashrrev_i32_e32 v17, 31, v17
	v_and_b32_e32 v20, v20, v21
	v_xor_b32_e32 v21, vcc_hi, v17
	v_xor_b32_e32 v17, vcc_lo, v17
	v_and_b32_e32 v19, v19, v17
	v_lshlrev_b32_e32 v17, 28, v18
	v_cmp_gt_i64_e32 vcc, 0, v[16:17]
	v_not_b32_e32 v17, v17
	v_ashrrev_i32_e32 v17, 31, v17
	v_and_b32_e32 v20, v20, v21
	;; [unrolled: 8-line block ×5, first 2 shown]
	v_xor_b32_e32 v21, vcc_hi, v17
	v_xor_b32_e32 v17, vcc_lo, v17
	v_and_b32_e32 v19, v19, v17
	v_lshlrev_b32_e32 v17, 24, v18
	v_cmp_gt_i64_e32 vcc, 0, v[16:17]
	v_not_b32_e32 v16, v17
	v_ashrrev_i32_e32 v16, 31, v16
	v_xor_b32_e32 v17, vcc_hi, v16
	v_xor_b32_e32 v16, vcc_lo, v16
	; wave barrier
	ds_read_b32 v73, v74 offset:16
	v_and_b32_e32 v20, v20, v21
	v_and_b32_e32 v16, v19, v16
	;; [unrolled: 1-line block ×3, first 2 shown]
	v_mbcnt_lo_u32_b32 v18, v16, 0
	v_mbcnt_hi_u32_b32 v75, v17, v18
	v_cmp_eq_u32_e32 vcc, 0, v75
	v_cmp_ne_u64_e64 s[4:5], 0, v[16:17]
	s_and_b64 s[18:19], s[4:5], vcc
	; wave barrier
	s_and_saveexec_b64 s[4:5], s[18:19]
	s_cbranch_execz .LBB176_109
; %bb.108:
	v_bcnt_u32_b32 v16, v16, 0
	v_bcnt_u32_b32 v16, v17, v16
	s_waitcnt lgkmcnt(0)
	v_add_u32_e32 v16, v73, v16
	ds_write_b32 v74, v16 offset:16
.LBB176_109:
	s_or_b64 exec, exec, s[4:5]
	v_and_b32_sdwa v18, s16, v26 dst_sel:DWORD dst_unused:UNUSED_PAD src0_sel:DWORD src1_sel:WORD_0
	v_and_b32_e32 v17, 1, v18
	v_add_co_u32_e32 v19, vcc, -1, v17
	v_addc_co_u32_e64 v20, s[4:5], 0, -1, vcc
	v_cmp_ne_u32_e32 vcc, 0, v17
	v_lshlrev_b32_e32 v16, 2, v18
	v_xor_b32_e32 v17, vcc_hi, v20
	v_add_lshl_u32 v77, v22, v16, 2
	v_mov_b32_e32 v16, 0
	v_and_b32_e32 v20, exec_hi, v17
	v_lshlrev_b32_e32 v17, 30, v18
	v_xor_b32_e32 v19, vcc_lo, v19
	v_cmp_gt_i64_e32 vcc, 0, v[16:17]
	v_not_b32_e32 v17, v17
	v_ashrrev_i32_e32 v17, 31, v17
	v_and_b32_e32 v19, exec_lo, v19
	v_xor_b32_e32 v21, vcc_hi, v17
	v_xor_b32_e32 v17, vcc_lo, v17
	v_and_b32_e32 v19, v19, v17
	v_lshlrev_b32_e32 v17, 29, v18
	v_cmp_gt_i64_e32 vcc, 0, v[16:17]
	v_not_b32_e32 v17, v17
	v_ashrrev_i32_e32 v17, 31, v17
	v_and_b32_e32 v20, v20, v21
	v_xor_b32_e32 v21, vcc_hi, v17
	v_xor_b32_e32 v17, vcc_lo, v17
	v_and_b32_e32 v19, v19, v17
	v_lshlrev_b32_e32 v17, 28, v18
	v_cmp_gt_i64_e32 vcc, 0, v[16:17]
	v_not_b32_e32 v17, v17
	v_ashrrev_i32_e32 v17, 31, v17
	v_and_b32_e32 v20, v20, v21
	;; [unrolled: 8-line block ×5, first 2 shown]
	v_xor_b32_e32 v21, vcc_hi, v17
	v_xor_b32_e32 v17, vcc_lo, v17
	v_and_b32_e32 v20, v20, v21
	v_and_b32_e32 v21, v19, v17
	v_lshlrev_b32_e32 v17, 24, v18
	v_cmp_gt_i64_e32 vcc, 0, v[16:17]
	v_not_b32_e32 v17, v17
	v_ashrrev_i32_e32 v17, 31, v17
	v_xor_b32_e32 v18, vcc_hi, v17
	v_xor_b32_e32 v17, vcc_lo, v17
	; wave barrier
	ds_read_b32 v76, v77 offset:16
	v_and_b32_e32 v19, v20, v18
	v_and_b32_e32 v18, v21, v17
	v_mbcnt_lo_u32_b32 v17, v18, 0
	v_mbcnt_hi_u32_b32 v78, v19, v17
	v_cmp_eq_u32_e32 vcc, 0, v78
	v_cmp_ne_u64_e64 s[4:5], 0, v[18:19]
	s_and_b64 s[18:19], s[4:5], vcc
	; wave barrier
	s_and_saveexec_b64 s[4:5], s[18:19]
	s_cbranch_execz .LBB176_111
; %bb.110:
	v_bcnt_u32_b32 v17, v18, 0
	v_bcnt_u32_b32 v17, v19, v17
	s_waitcnt lgkmcnt(0)
	v_add_u32_e32 v17, v76, v17
	ds_write_b32 v77, v17 offset:16
.LBB176_111:
	s_or_b64 exec, exec, s[4:5]
	v_and_b32_sdwa v18, s16, v25 dst_sel:DWORD dst_unused:UNUSED_PAD src0_sel:DWORD src1_sel:WORD_0
	v_lshlrev_b32_e32 v17, 2, v18
	v_add_lshl_u32 v79, v22, v17, 2
	v_and_b32_e32 v17, 1, v18
	v_add_co_u32_e32 v19, vcc, -1, v17
	v_addc_co_u32_e64 v20, s[4:5], 0, -1, vcc
	v_cmp_ne_u32_e32 vcc, 0, v17
	v_xor_b32_e32 v17, vcc_hi, v20
	v_and_b32_e32 v20, exec_hi, v17
	v_lshlrev_b32_e32 v17, 30, v18
	v_xor_b32_e32 v19, vcc_lo, v19
	v_cmp_gt_i64_e32 vcc, 0, v[16:17]
	v_not_b32_e32 v17, v17
	v_ashrrev_i32_e32 v17, 31, v17
	v_and_b32_e32 v19, exec_lo, v19
	v_xor_b32_e32 v21, vcc_hi, v17
	v_xor_b32_e32 v17, vcc_lo, v17
	v_and_b32_e32 v19, v19, v17
	v_lshlrev_b32_e32 v17, 29, v18
	v_cmp_gt_i64_e32 vcc, 0, v[16:17]
	v_not_b32_e32 v17, v17
	v_ashrrev_i32_e32 v17, 31, v17
	v_and_b32_e32 v20, v20, v21
	v_xor_b32_e32 v21, vcc_hi, v17
	v_xor_b32_e32 v17, vcc_lo, v17
	v_and_b32_e32 v19, v19, v17
	v_lshlrev_b32_e32 v17, 28, v18
	v_cmp_gt_i64_e32 vcc, 0, v[16:17]
	v_not_b32_e32 v17, v17
	v_ashrrev_i32_e32 v17, 31, v17
	v_and_b32_e32 v20, v20, v21
	;; [unrolled: 8-line block ×5, first 2 shown]
	v_xor_b32_e32 v21, vcc_hi, v17
	v_xor_b32_e32 v17, vcc_lo, v17
	v_and_b32_e32 v19, v19, v17
	v_lshlrev_b32_e32 v17, 24, v18
	v_cmp_gt_i64_e32 vcc, 0, v[16:17]
	v_not_b32_e32 v16, v17
	v_ashrrev_i32_e32 v16, 31, v16
	v_xor_b32_e32 v17, vcc_hi, v16
	v_xor_b32_e32 v16, vcc_lo, v16
	v_min_u32_e32 v33, 0xc0, v65
	; wave barrier
	ds_read_b32 v65, v79 offset:16
	v_and_b32_e32 v20, v20, v21
	v_and_b32_e32 v16, v19, v16
	;; [unrolled: 1-line block ×3, first 2 shown]
	v_mbcnt_lo_u32_b32 v18, v16, 0
	v_mbcnt_hi_u32_b32 v80, v17, v18
	v_cmp_eq_u32_e32 vcc, 0, v80
	v_cmp_ne_u64_e64 s[4:5], 0, v[16:17]
	v_add_u32_e32 v23, 16, v62
	v_lshrrev_b32_e32 v24, 6, v42
	s_and_b64 s[16:17], s[4:5], vcc
	; wave barrier
	s_and_saveexec_b64 s[4:5], s[16:17]
	s_cbranch_execz .LBB176_113
; %bb.112:
	v_bcnt_u32_b32 v16, v16, 0
	v_bcnt_u32_b32 v16, v17, v16
	s_waitcnt lgkmcnt(0)
	v_add_u32_e32 v16, v65, v16
	ds_write_b32 v79, v16 offset:16
.LBB176_113:
	s_or_b64 exec, exec, s[4:5]
	; wave barrier
	s_waitcnt lgkmcnt(0)
	s_barrier
	ds_read2_b32 v[18:19], v62 offset0:4 offset1:5
	ds_read2_b32 v[20:21], v23 offset0:2 offset1:3
	v_and_b32_e32 v17, 16, v63
	v_cmp_eq_u32_e32 vcc, 0, v17
	v_or_b32_e32 v17, 63, v33
	v_cmp_eq_u32_e64 s[16:17], v17, v42
	s_waitcnt lgkmcnt(1)
	v_add_u32_e32 v17, v19, v18
	v_and_b32_e32 v16, 15, v63
	s_waitcnt lgkmcnt(0)
	v_add3_u32 v17, v17, v20, v21
	v_cmp_eq_u32_e64 s[22:23], 0, v16
	v_cmp_lt_u32_e64 s[24:25], 1, v16
	v_mov_b32_dpp v21, v17 row_shr:1 row_mask:0xf bank_mask:0xf
	v_cndmask_b32_e64 v21, v21, 0, s[22:23]
	v_add_u32_e32 v17, v21, v17
	v_cmp_lt_u32_e64 s[28:29], 3, v16
	v_cmp_lt_u32_e64 s[30:31], 7, v16
	v_mov_b32_dpp v21, v17 row_shr:2 row_mask:0xf bank_mask:0xf
	v_cndmask_b32_e64 v21, 0, v21, s[24:25]
	v_add_u32_e32 v17, v17, v21
	v_bfe_i32 v34, v63, 4, 1
	v_cmp_lt_u32_e64 s[34:35], 31, v63
	v_mov_b32_dpp v21, v17 row_shr:4 row_mask:0xf bank_mask:0xf
	v_cndmask_b32_e64 v21, 0, v21, s[28:29]
	v_add_u32_e32 v17, v17, v21
	v_lshlrev_b32_e32 v24, 2, v24
	s_nop 0
	v_mov_b32_dpp v21, v17 row_shr:8 row_mask:0xf bank_mask:0xf
	v_cndmask_b32_e64 v16, 0, v21, s[30:31]
	v_add_u32_e32 v16, v17, v16
	s_nop 1
	v_mov_b32_dpp v17, v16 row_bcast:15 row_mask:0xf bank_mask:0xf
	v_and_b32_e32 v17, v34, v17
	v_add_u32_e32 v16, v16, v17
	s_nop 1
	v_mov_b32_dpp v17, v16 row_bcast:31 row_mask:0xf bank_mask:0xf
	v_cndmask_b32_e64 v17, 0, v17, s[34:35]
	v_add_u32_e32 v17, v16, v17
	s_and_saveexec_b64 s[4:5], s[16:17]
	s_cbranch_execz .LBB176_115
; %bb.114:
	ds_write_b32 v24, v17
.LBB176_115:
	s_or_b64 exec, exec, s[4:5]
	v_and_b32_e32 v16, 3, v63
	v_cmp_gt_u32_e64 s[26:27], 4, v42
	v_lshlrev_b32_e32 v21, 2, v42
	v_cmp_eq_u32_e64 s[20:21], 0, v16
	v_cmp_lt_u32_e64 s[18:19], 1, v16
	s_waitcnt lgkmcnt(0)
	s_barrier
	s_and_saveexec_b64 s[4:5], s[26:27]
	s_cbranch_execz .LBB176_117
; %bb.116:
	ds_read_b32 v16, v21
	s_waitcnt lgkmcnt(0)
	s_nop 0
	v_mov_b32_dpp v33, v16 row_shr:1 row_mask:0xf bank_mask:0xf
	v_cndmask_b32_e64 v33, v33, 0, s[20:21]
	v_add_u32_e32 v16, v33, v16
	s_nop 1
	v_mov_b32_dpp v33, v16 row_shr:2 row_mask:0xf bank_mask:0xf
	v_cndmask_b32_e64 v33, 0, v33, s[18:19]
	v_add_u32_e32 v16, v16, v33
	ds_write_b32 v21, v16
.LBB176_117:
	s_or_b64 exec, exec, s[4:5]
	v_cmp_lt_u32_e64 s[36:37], 63, v42
	v_add_u32_e32 v33, -4, v24
	v_mov_b32_e32 v16, 0
	v_mov_b32_e32 v81, 0
	s_waitcnt lgkmcnt(0)
	s_barrier
	s_and_saveexec_b64 s[4:5], s[36:37]
	s_cbranch_execz .LBB176_119
; %bb.118:
	ds_read_b32 v81, v33
.LBB176_119:
	s_or_b64 exec, exec, s[4:5]
	v_add_u32_e32 v34, -1, v63
	v_and_b32_e32 v82, 64, v63
	v_cmp_lt_i32_e64 s[4:5], v34, v82
	v_cndmask_b32_e64 v34, v34, v63, s[4:5]
	v_lshlrev_b32_e32 v34, 2, v34
	s_waitcnt lgkmcnt(0)
	v_add_u32_e32 v17, v81, v17
	ds_bpermute_b32 v17, v34, v17
	v_cmp_eq_u32_e64 s[38:39], 0, v63
	v_cmp_eq_u32_e64 s[40:41], 0, v42
	v_and_or_b32 v64, v63, 63, v64
	s_min_u32 s4, s44, 8
	s_waitcnt lgkmcnt(0)
	v_cndmask_b32_e64 v17, v17, v81, s[38:39]
	v_cndmask_b32_e64 v17, v17, 0, s[40:41]
	v_add_u32_e32 v18, v17, v18
	v_add_u32_e32 v19, v18, v19
	;; [unrolled: 1-line block ×3, first 2 shown]
	ds_write2_b32 v62, v17, v18 offset0:4 offset1:5
	ds_write2_b32 v23, v19, v20 offset0:2 offset1:3
	s_waitcnt lgkmcnt(0)
	s_barrier
	ds_read_b32 v17, v35 offset:16
	ds_read_b32 v18, v38 offset:16
	;; [unrolled: 1-line block ×8, first 2 shown]
	s_waitcnt lgkmcnt(7)
	v_add_u32_e32 v17, v17, v36
	s_waitcnt lgkmcnt(6)
	v_add3_u32 v18, v39, v37, v18
	s_waitcnt lgkmcnt(4)
	v_add3_u32 v36, v69, v67, v20
	v_lshlrev_b32_e32 v20, 1, v17
	v_add3_u32 v19, v66, v40, v19
	s_waitcnt lgkmcnt(0)
	s_barrier
	ds_write_b16 v20, v32
	v_lshlrev_b32_e32 v20, 1, v18
	ds_write_b16 v20, v31
	v_lshlrev_b32_e32 v20, 1, v19
	v_add3_u32 v35, v72, v70, v35
	ds_write_b16 v20, v30
	v_lshlrev_b32_e32 v20, 1, v36
	v_add3_u32 v37, v75, v73, v38
	;; [unrolled: 3-line block ×4, first 2 shown]
	ds_write_b16 v20, v27
	v_lshlrev_b32_e32 v20, 1, v38
	s_lshl_b32 s4, -1, s4
	v_lshlrev_b32_e32 v82, 1, v64
	ds_write_b16 v20, v26
	v_lshlrev_b32_e32 v20, 1, v39
	v_lshlrev_b32_e32 v17, 3, v17
	s_not_b32 s50, s4
	ds_write_b16 v20, v25
	s_waitcnt lgkmcnt(0)
	s_barrier
	ds_read_u16 v31, v82
	ds_read_u16 v30, v82 offset:128
	ds_read_u16 v29, v82 offset:256
	;; [unrolled: 1-line block ×7, first 2 shown]
	s_waitcnt lgkmcnt(0)
	s_barrier
	ds_write_b64 v17, v[12:13]
	v_lshlrev_b32_e32 v12, 3, v18
	v_and_b32_sdwa v18, v31, s50 dst_sel:DWORD dst_unused:UNUSED_PAD src0_sel:BYTE_1 src1_sel:DWORD
	v_lshlrev_b32_e32 v17, 2, v18
	ds_write_b64 v12, v[14:15]
	v_lshlrev_b32_e32 v12, 3, v19
	v_add_lshl_u32 v32, v17, v22, 2
	v_and_b32_e32 v17, 1, v18
	ds_write_b64 v12, v[8:9]
	v_lshlrev_b32_e32 v8, 3, v36
	v_add_co_u32_e64 v19, s[4:5], -1, v17
	ds_write_b64 v8, v[10:11]
	v_lshlrev_b32_e32 v8, 3, v35
	v_addc_co_u32_e64 v35, s[4:5], 0, -1, s[4:5]
	v_cmp_ne_u32_e64 s[4:5], 0, v17
	v_xor_b32_e32 v17, s5, v35
	v_and_b32_e32 v35, exec_hi, v17
	v_lshlrev_b32_e32 v17, 30, v18
	v_xor_b32_e32 v19, s4, v19
	v_cmp_gt_i64_e64 s[4:5], 0, v[16:17]
	v_not_b32_e32 v17, v17
	v_ashrrev_i32_e32 v17, 31, v17
	v_and_b32_e32 v19, exec_lo, v19
	v_xor_b32_e32 v36, s5, v17
	v_xor_b32_e32 v17, s4, v17
	v_and_b32_e32 v19, v19, v17
	v_lshlrev_b32_e32 v17, 29, v18
	v_cmp_gt_i64_e64 s[4:5], 0, v[16:17]
	v_not_b32_e32 v17, v17
	v_ashrrev_i32_e32 v17, 31, v17
	v_and_b32_e32 v35, v35, v36
	v_xor_b32_e32 v36, s5, v17
	v_xor_b32_e32 v17, s4, v17
	v_and_b32_e32 v19, v19, v17
	v_lshlrev_b32_e32 v17, 28, v18
	v_cmp_gt_i64_e64 s[4:5], 0, v[16:17]
	v_not_b32_e32 v17, v17
	v_ashrrev_i32_e32 v17, 31, v17
	v_and_b32_e32 v35, v35, v36
	;; [unrolled: 8-line block ×4, first 2 shown]
	v_xor_b32_e32 v36, s5, v17
	v_xor_b32_e32 v17, s4, v17
	v_and_b32_e32 v19, v19, v17
	v_lshlrev_b32_e32 v17, 25, v18
	v_cmp_gt_i64_e64 s[4:5], 0, v[16:17]
	v_not_b32_e32 v17, v17
	ds_write_b64 v8, v[4:5]
	v_lshlrev_b32_e32 v4, 3, v37
	v_ashrrev_i32_e32 v17, 31, v17
	ds_write_b64 v4, v[6:7]
	v_lshlrev_b32_e32 v4, 3, v38
	v_and_b32_e32 v35, v35, v36
	v_xor_b32_e32 v36, s5, v17
	v_xor_b32_e32 v17, s4, v17
	v_lshlrev_b32_e32 v64, 3, v64
	ds_write_b64 v4, v[0:1]
	v_lshlrev_b32_e32 v0, 3, v39
	v_and_b32_e32 v19, v19, v17
	v_lshlrev_b32_e32 v17, 24, v18
	ds_write_b64 v0, v[2:3]
	s_waitcnt lgkmcnt(0)
	s_barrier
	ds_read2st64_b64 v[12:15], v64 offset1:1
	ds_read2st64_b64 v[8:11], v64 offset0:2 offset1:3
	ds_read2st64_b64 v[4:7], v64 offset0:4 offset1:5
	;; [unrolled: 1-line block ×3, first 2 shown]
	s_waitcnt lgkmcnt(0)
	s_barrier
	ds_write2_b32 v62, v16, v16 offset0:4 offset1:5
	ds_write2_b32 v23, v16, v16 offset0:2 offset1:3
	v_cmp_gt_i64_e64 s[4:5], 0, v[16:17]
	v_not_b32_e32 v16, v17
	v_ashrrev_i32_e32 v16, 31, v16
	v_xor_b32_e32 v17, s5, v16
	v_xor_b32_e32 v16, s4, v16
	v_and_b32_e32 v35, v35, v36
	v_and_b32_e32 v16, v19, v16
	;; [unrolled: 1-line block ×3, first 2 shown]
	v_mbcnt_lo_u32_b32 v18, v16, 0
	v_mbcnt_hi_u32_b32 v35, v17, v18
	v_cmp_eq_u32_e64 s[4:5], 0, v35
	v_cmp_ne_u64_e64 s[44:45], 0, v[16:17]
	s_and_b64 s[44:45], s[44:45], s[4:5]
	s_waitcnt lgkmcnt(0)
	s_barrier
	s_waitcnt lgkmcnt(0)
	; wave barrier
	s_and_saveexec_b64 s[4:5], s[44:45]
	s_cbranch_execz .LBB176_121
; %bb.120:
	v_bcnt_u32_b32 v16, v16, 0
	v_bcnt_u32_b32 v16, v17, v16
	ds_write_b32 v32, v16 offset:16
.LBB176_121:
	s_or_b64 exec, exec, s[4:5]
	v_and_b32_sdwa v18, v30, s50 dst_sel:DWORD dst_unused:UNUSED_PAD src0_sel:BYTE_1 src1_sel:DWORD
	v_and_b32_e32 v17, 1, v18
	v_add_co_u32_e64 v19, s[4:5], -1, v17
	v_addc_co_u32_e64 v38, s[4:5], 0, -1, s[4:5]
	v_cmp_ne_u32_e64 s[4:5], 0, v17
	v_lshlrev_b32_e32 v16, 2, v18
	v_xor_b32_e32 v17, s5, v38
	v_add_lshl_u32 v37, v16, v22, 2
	v_mov_b32_e32 v16, 0
	v_and_b32_e32 v38, exec_hi, v17
	v_lshlrev_b32_e32 v17, 30, v18
	v_xor_b32_e32 v19, s4, v19
	v_cmp_gt_i64_e64 s[4:5], 0, v[16:17]
	v_not_b32_e32 v17, v17
	v_ashrrev_i32_e32 v17, 31, v17
	v_and_b32_e32 v19, exec_lo, v19
	v_xor_b32_e32 v39, s5, v17
	v_xor_b32_e32 v17, s4, v17
	v_and_b32_e32 v19, v19, v17
	v_lshlrev_b32_e32 v17, 29, v18
	v_cmp_gt_i64_e64 s[4:5], 0, v[16:17]
	v_not_b32_e32 v17, v17
	v_ashrrev_i32_e32 v17, 31, v17
	v_and_b32_e32 v38, v38, v39
	v_xor_b32_e32 v39, s5, v17
	v_xor_b32_e32 v17, s4, v17
	v_and_b32_e32 v19, v19, v17
	v_lshlrev_b32_e32 v17, 28, v18
	v_cmp_gt_i64_e64 s[4:5], 0, v[16:17]
	v_not_b32_e32 v17, v17
	v_ashrrev_i32_e32 v17, 31, v17
	v_and_b32_e32 v38, v38, v39
	;; [unrolled: 8-line block ×5, first 2 shown]
	v_xor_b32_e32 v39, s5, v17
	v_xor_b32_e32 v17, s4, v17
	v_and_b32_e32 v38, v38, v39
	v_and_b32_e32 v39, v19, v17
	v_lshlrev_b32_e32 v17, 24, v18
	v_cmp_gt_i64_e64 s[4:5], 0, v[16:17]
	v_not_b32_e32 v17, v17
	v_ashrrev_i32_e32 v17, 31, v17
	v_xor_b32_e32 v18, s5, v17
	v_xor_b32_e32 v17, s4, v17
	; wave barrier
	ds_read_b32 v36, v37 offset:16
	v_and_b32_e32 v19, v38, v18
	v_and_b32_e32 v18, v39, v17
	v_mbcnt_lo_u32_b32 v17, v18, 0
	v_mbcnt_hi_u32_b32 v38, v19, v17
	v_cmp_eq_u32_e64 s[4:5], 0, v38
	v_cmp_ne_u64_e64 s[44:45], 0, v[18:19]
	s_and_b64 s[44:45], s[44:45], s[4:5]
	; wave barrier
	s_and_saveexec_b64 s[4:5], s[44:45]
	s_cbranch_execz .LBB176_123
; %bb.122:
	v_bcnt_u32_b32 v17, v18, 0
	v_bcnt_u32_b32 v17, v19, v17
	s_waitcnt lgkmcnt(0)
	v_add_u32_e32 v17, v36, v17
	ds_write_b32 v37, v17 offset:16
.LBB176_123:
	s_or_b64 exec, exec, s[4:5]
	v_and_b32_sdwa v18, v29, s50 dst_sel:DWORD dst_unused:UNUSED_PAD src0_sel:BYTE_1 src1_sel:DWORD
	v_lshlrev_b32_e32 v17, 2, v18
	v_add_lshl_u32 v40, v17, v22, 2
	v_and_b32_e32 v17, 1, v18
	v_add_co_u32_e64 v19, s[4:5], -1, v17
	v_addc_co_u32_e64 v41, s[4:5], 0, -1, s[4:5]
	v_cmp_ne_u32_e64 s[4:5], 0, v17
	v_xor_b32_e32 v17, s5, v41
	v_and_b32_e32 v41, exec_hi, v17
	v_lshlrev_b32_e32 v17, 30, v18
	v_xor_b32_e32 v19, s4, v19
	v_cmp_gt_i64_e64 s[4:5], 0, v[16:17]
	v_not_b32_e32 v17, v17
	v_ashrrev_i32_e32 v17, 31, v17
	v_and_b32_e32 v19, exec_lo, v19
	v_xor_b32_e32 v63, s5, v17
	v_xor_b32_e32 v17, s4, v17
	v_and_b32_e32 v19, v19, v17
	v_lshlrev_b32_e32 v17, 29, v18
	v_cmp_gt_i64_e64 s[4:5], 0, v[16:17]
	v_not_b32_e32 v17, v17
	v_ashrrev_i32_e32 v17, 31, v17
	v_and_b32_e32 v41, v41, v63
	v_xor_b32_e32 v63, s5, v17
	v_xor_b32_e32 v17, s4, v17
	v_and_b32_e32 v19, v19, v17
	v_lshlrev_b32_e32 v17, 28, v18
	v_cmp_gt_i64_e64 s[4:5], 0, v[16:17]
	v_not_b32_e32 v17, v17
	v_ashrrev_i32_e32 v17, 31, v17
	v_and_b32_e32 v41, v41, v63
	;; [unrolled: 8-line block ×5, first 2 shown]
	v_xor_b32_e32 v63, s5, v17
	v_xor_b32_e32 v17, s4, v17
	v_and_b32_e32 v19, v19, v17
	v_lshlrev_b32_e32 v17, 24, v18
	v_cmp_gt_i64_e64 s[4:5], 0, v[16:17]
	v_not_b32_e32 v16, v17
	v_ashrrev_i32_e32 v16, 31, v16
	v_xor_b32_e32 v17, s5, v16
	v_xor_b32_e32 v16, s4, v16
	; wave barrier
	ds_read_b32 v39, v40 offset:16
	v_and_b32_e32 v41, v41, v63
	v_and_b32_e32 v16, v19, v16
	;; [unrolled: 1-line block ×3, first 2 shown]
	v_mbcnt_lo_u32_b32 v18, v16, 0
	v_mbcnt_hi_u32_b32 v41, v17, v18
	v_cmp_eq_u32_e64 s[4:5], 0, v41
	v_cmp_ne_u64_e64 s[44:45], 0, v[16:17]
	s_and_b64 s[44:45], s[44:45], s[4:5]
	; wave barrier
	s_and_saveexec_b64 s[4:5], s[44:45]
	s_cbranch_execz .LBB176_125
; %bb.124:
	v_bcnt_u32_b32 v16, v16, 0
	v_bcnt_u32_b32 v16, v17, v16
	s_waitcnt lgkmcnt(0)
	v_add_u32_e32 v16, v39, v16
	ds_write_b32 v40, v16 offset:16
.LBB176_125:
	s_or_b64 exec, exec, s[4:5]
	v_and_b32_sdwa v18, v28, s50 dst_sel:DWORD dst_unused:UNUSED_PAD src0_sel:BYTE_1 src1_sel:DWORD
	v_and_b32_e32 v17, 1, v18
	v_add_co_u32_e64 v19, s[4:5], -1, v17
	v_addc_co_u32_e64 v65, s[4:5], 0, -1, s[4:5]
	v_cmp_ne_u32_e64 s[4:5], 0, v17
	v_lshlrev_b32_e32 v16, 2, v18
	v_xor_b32_e32 v17, s5, v65
	v_add_lshl_u32 v64, v16, v22, 2
	v_mov_b32_e32 v16, 0
	v_and_b32_e32 v65, exec_hi, v17
	v_lshlrev_b32_e32 v17, 30, v18
	v_xor_b32_e32 v19, s4, v19
	v_cmp_gt_i64_e64 s[4:5], 0, v[16:17]
	v_not_b32_e32 v17, v17
	v_ashrrev_i32_e32 v17, 31, v17
	v_and_b32_e32 v19, exec_lo, v19
	v_xor_b32_e32 v66, s5, v17
	v_xor_b32_e32 v17, s4, v17
	v_and_b32_e32 v19, v19, v17
	v_lshlrev_b32_e32 v17, 29, v18
	v_cmp_gt_i64_e64 s[4:5], 0, v[16:17]
	v_not_b32_e32 v17, v17
	v_ashrrev_i32_e32 v17, 31, v17
	v_and_b32_e32 v65, v65, v66
	v_xor_b32_e32 v66, s5, v17
	v_xor_b32_e32 v17, s4, v17
	v_and_b32_e32 v19, v19, v17
	v_lshlrev_b32_e32 v17, 28, v18
	v_cmp_gt_i64_e64 s[4:5], 0, v[16:17]
	v_not_b32_e32 v17, v17
	v_ashrrev_i32_e32 v17, 31, v17
	v_and_b32_e32 v65, v65, v66
	;; [unrolled: 8-line block ×5, first 2 shown]
	v_xor_b32_e32 v66, s5, v17
	v_xor_b32_e32 v17, s4, v17
	v_and_b32_e32 v65, v65, v66
	v_and_b32_e32 v66, v19, v17
	v_lshlrev_b32_e32 v17, 24, v18
	v_cmp_gt_i64_e64 s[4:5], 0, v[16:17]
	v_not_b32_e32 v17, v17
	v_ashrrev_i32_e32 v17, 31, v17
	v_xor_b32_e32 v18, s5, v17
	v_xor_b32_e32 v17, s4, v17
	; wave barrier
	ds_read_b32 v63, v64 offset:16
	v_and_b32_e32 v19, v65, v18
	v_and_b32_e32 v18, v66, v17
	v_mbcnt_lo_u32_b32 v17, v18, 0
	v_mbcnt_hi_u32_b32 v65, v19, v17
	v_cmp_eq_u32_e64 s[4:5], 0, v65
	v_cmp_ne_u64_e64 s[44:45], 0, v[18:19]
	s_and_b64 s[44:45], s[44:45], s[4:5]
	; wave barrier
	s_and_saveexec_b64 s[4:5], s[44:45]
	s_cbranch_execz .LBB176_127
; %bb.126:
	v_bcnt_u32_b32 v17, v18, 0
	v_bcnt_u32_b32 v17, v19, v17
	s_waitcnt lgkmcnt(0)
	v_add_u32_e32 v17, v63, v17
	ds_write_b32 v64, v17 offset:16
.LBB176_127:
	s_or_b64 exec, exec, s[4:5]
	v_and_b32_sdwa v18, v27, s50 dst_sel:DWORD dst_unused:UNUSED_PAD src0_sel:BYTE_1 src1_sel:DWORD
	v_lshlrev_b32_e32 v17, 2, v18
	v_add_lshl_u32 v67, v17, v22, 2
	v_and_b32_e32 v17, 1, v18
	v_add_co_u32_e64 v19, s[4:5], -1, v17
	v_addc_co_u32_e64 v68, s[4:5], 0, -1, s[4:5]
	v_cmp_ne_u32_e64 s[4:5], 0, v17
	v_xor_b32_e32 v17, s5, v68
	v_and_b32_e32 v68, exec_hi, v17
	v_lshlrev_b32_e32 v17, 30, v18
	v_xor_b32_e32 v19, s4, v19
	v_cmp_gt_i64_e64 s[4:5], 0, v[16:17]
	v_not_b32_e32 v17, v17
	v_ashrrev_i32_e32 v17, 31, v17
	v_and_b32_e32 v19, exec_lo, v19
	v_xor_b32_e32 v69, s5, v17
	v_xor_b32_e32 v17, s4, v17
	v_and_b32_e32 v19, v19, v17
	v_lshlrev_b32_e32 v17, 29, v18
	v_cmp_gt_i64_e64 s[4:5], 0, v[16:17]
	v_not_b32_e32 v17, v17
	v_ashrrev_i32_e32 v17, 31, v17
	v_and_b32_e32 v68, v68, v69
	v_xor_b32_e32 v69, s5, v17
	v_xor_b32_e32 v17, s4, v17
	v_and_b32_e32 v19, v19, v17
	v_lshlrev_b32_e32 v17, 28, v18
	v_cmp_gt_i64_e64 s[4:5], 0, v[16:17]
	v_not_b32_e32 v17, v17
	v_ashrrev_i32_e32 v17, 31, v17
	v_and_b32_e32 v68, v68, v69
	v_xor_b32_e32 v69, s5, v17
	v_xor_b32_e32 v17, s4, v17
	v_and_b32_e32 v19, v19, v17
	v_lshlrev_b32_e32 v17, 27, v18
	v_cmp_gt_i64_e64 s[4:5], 0, v[16:17]
	v_not_b32_e32 v17, v17
	v_ashrrev_i32_e32 v17, 31, v17
	v_and_b32_e32 v68, v68, v69
	v_xor_b32_e32 v69, s5, v17
	v_xor_b32_e32 v17, s4, v17
	v_and_b32_e32 v19, v19, v17
	v_lshlrev_b32_e32 v17, 26, v18
	v_cmp_gt_i64_e64 s[4:5], 0, v[16:17]
	v_not_b32_e32 v17, v17
	v_ashrrev_i32_e32 v17, 31, v17
	v_and_b32_e32 v68, v68, v69
	v_xor_b32_e32 v69, s5, v17
	v_xor_b32_e32 v17, s4, v17
	v_and_b32_e32 v19, v19, v17
	v_lshlrev_b32_e32 v17, 25, v18
	v_cmp_gt_i64_e64 s[4:5], 0, v[16:17]
	v_not_b32_e32 v17, v17
	v_ashrrev_i32_e32 v17, 31, v17
	v_and_b32_e32 v68, v68, v69
	v_xor_b32_e32 v69, s5, v17
	v_xor_b32_e32 v17, s4, v17
	v_and_b32_e32 v19, v19, v17
	v_lshlrev_b32_e32 v17, 24, v18
	v_cmp_gt_i64_e64 s[4:5], 0, v[16:17]
	v_not_b32_e32 v16, v17
	v_ashrrev_i32_e32 v16, 31, v16
	v_xor_b32_e32 v17, s5, v16
	v_xor_b32_e32 v16, s4, v16
	; wave barrier
	ds_read_b32 v66, v67 offset:16
	v_and_b32_e32 v68, v68, v69
	v_and_b32_e32 v16, v19, v16
	;; [unrolled: 1-line block ×3, first 2 shown]
	v_mbcnt_lo_u32_b32 v18, v16, 0
	v_mbcnt_hi_u32_b32 v68, v17, v18
	v_cmp_eq_u32_e64 s[4:5], 0, v68
	v_cmp_ne_u64_e64 s[44:45], 0, v[16:17]
	s_and_b64 s[44:45], s[44:45], s[4:5]
	; wave barrier
	s_and_saveexec_b64 s[4:5], s[44:45]
	s_cbranch_execz .LBB176_129
; %bb.128:
	v_bcnt_u32_b32 v16, v16, 0
	v_bcnt_u32_b32 v16, v17, v16
	s_waitcnt lgkmcnt(0)
	v_add_u32_e32 v16, v66, v16
	ds_write_b32 v67, v16 offset:16
.LBB176_129:
	s_or_b64 exec, exec, s[4:5]
	v_and_b32_sdwa v18, v26, s50 dst_sel:DWORD dst_unused:UNUSED_PAD src0_sel:BYTE_1 src1_sel:DWORD
	v_and_b32_e32 v17, 1, v18
	v_add_co_u32_e64 v19, s[4:5], -1, v17
	v_addc_co_u32_e64 v71, s[4:5], 0, -1, s[4:5]
	v_cmp_ne_u32_e64 s[4:5], 0, v17
	v_lshlrev_b32_e32 v16, 2, v18
	v_xor_b32_e32 v17, s5, v71
	v_add_lshl_u32 v70, v16, v22, 2
	v_mov_b32_e32 v16, 0
	v_and_b32_e32 v71, exec_hi, v17
	v_lshlrev_b32_e32 v17, 30, v18
	v_xor_b32_e32 v19, s4, v19
	v_cmp_gt_i64_e64 s[4:5], 0, v[16:17]
	v_not_b32_e32 v17, v17
	v_ashrrev_i32_e32 v17, 31, v17
	v_and_b32_e32 v19, exec_lo, v19
	v_xor_b32_e32 v72, s5, v17
	v_xor_b32_e32 v17, s4, v17
	v_and_b32_e32 v19, v19, v17
	v_lshlrev_b32_e32 v17, 29, v18
	v_cmp_gt_i64_e64 s[4:5], 0, v[16:17]
	v_not_b32_e32 v17, v17
	v_ashrrev_i32_e32 v17, 31, v17
	v_and_b32_e32 v71, v71, v72
	v_xor_b32_e32 v72, s5, v17
	v_xor_b32_e32 v17, s4, v17
	v_and_b32_e32 v19, v19, v17
	v_lshlrev_b32_e32 v17, 28, v18
	v_cmp_gt_i64_e64 s[4:5], 0, v[16:17]
	v_not_b32_e32 v17, v17
	v_ashrrev_i32_e32 v17, 31, v17
	v_and_b32_e32 v71, v71, v72
	;; [unrolled: 8-line block ×5, first 2 shown]
	v_xor_b32_e32 v72, s5, v17
	v_xor_b32_e32 v17, s4, v17
	v_and_b32_e32 v71, v71, v72
	v_and_b32_e32 v72, v19, v17
	v_lshlrev_b32_e32 v17, 24, v18
	v_cmp_gt_i64_e64 s[4:5], 0, v[16:17]
	v_not_b32_e32 v17, v17
	v_ashrrev_i32_e32 v17, 31, v17
	v_xor_b32_e32 v18, s5, v17
	v_xor_b32_e32 v17, s4, v17
	; wave barrier
	ds_read_b32 v69, v70 offset:16
	v_and_b32_e32 v19, v71, v18
	v_and_b32_e32 v18, v72, v17
	v_mbcnt_lo_u32_b32 v17, v18, 0
	v_mbcnt_hi_u32_b32 v71, v19, v17
	v_cmp_eq_u32_e64 s[4:5], 0, v71
	v_cmp_ne_u64_e64 s[44:45], 0, v[18:19]
	s_and_b64 s[44:45], s[44:45], s[4:5]
	; wave barrier
	s_and_saveexec_b64 s[4:5], s[44:45]
	s_cbranch_execz .LBB176_131
; %bb.130:
	v_bcnt_u32_b32 v17, v18, 0
	v_bcnt_u32_b32 v17, v19, v17
	s_waitcnt lgkmcnt(0)
	v_add_u32_e32 v17, v69, v17
	ds_write_b32 v70, v17 offset:16
.LBB176_131:
	s_or_b64 exec, exec, s[4:5]
	v_and_b32_sdwa v18, v25, s50 dst_sel:DWORD dst_unused:UNUSED_PAD src0_sel:BYTE_1 src1_sel:DWORD
	v_lshlrev_b32_e32 v17, 2, v18
	v_add_lshl_u32 v73, v17, v22, 2
	v_and_b32_e32 v17, 1, v18
	v_add_co_u32_e64 v19, s[4:5], -1, v17
	v_addc_co_u32_e64 v74, s[4:5], 0, -1, s[4:5]
	v_cmp_ne_u32_e64 s[4:5], 0, v17
	v_xor_b32_e32 v17, s5, v74
	v_and_b32_e32 v74, exec_hi, v17
	v_lshlrev_b32_e32 v17, 30, v18
	v_xor_b32_e32 v19, s4, v19
	v_cmp_gt_i64_e64 s[4:5], 0, v[16:17]
	v_not_b32_e32 v17, v17
	v_ashrrev_i32_e32 v17, 31, v17
	v_and_b32_e32 v19, exec_lo, v19
	v_xor_b32_e32 v75, s5, v17
	v_xor_b32_e32 v17, s4, v17
	v_and_b32_e32 v19, v19, v17
	v_lshlrev_b32_e32 v17, 29, v18
	v_cmp_gt_i64_e64 s[4:5], 0, v[16:17]
	v_not_b32_e32 v17, v17
	v_ashrrev_i32_e32 v17, 31, v17
	v_and_b32_e32 v74, v74, v75
	v_xor_b32_e32 v75, s5, v17
	v_xor_b32_e32 v17, s4, v17
	v_and_b32_e32 v19, v19, v17
	v_lshlrev_b32_e32 v17, 28, v18
	v_cmp_gt_i64_e64 s[4:5], 0, v[16:17]
	v_not_b32_e32 v17, v17
	v_ashrrev_i32_e32 v17, 31, v17
	v_and_b32_e32 v74, v74, v75
	;; [unrolled: 8-line block ×5, first 2 shown]
	v_xor_b32_e32 v75, s5, v17
	v_xor_b32_e32 v17, s4, v17
	v_and_b32_e32 v19, v19, v17
	v_lshlrev_b32_e32 v17, 24, v18
	v_cmp_gt_i64_e64 s[4:5], 0, v[16:17]
	v_not_b32_e32 v16, v17
	v_ashrrev_i32_e32 v16, 31, v16
	v_xor_b32_e32 v17, s5, v16
	v_xor_b32_e32 v16, s4, v16
	; wave barrier
	ds_read_b32 v72, v73 offset:16
	v_and_b32_e32 v74, v74, v75
	v_and_b32_e32 v16, v19, v16
	;; [unrolled: 1-line block ×3, first 2 shown]
	v_mbcnt_lo_u32_b32 v18, v16, 0
	v_mbcnt_hi_u32_b32 v74, v17, v18
	v_cmp_eq_u32_e64 s[4:5], 0, v74
	v_cmp_ne_u64_e64 s[44:45], 0, v[16:17]
	s_and_b64 s[44:45], s[44:45], s[4:5]
	; wave barrier
	s_and_saveexec_b64 s[4:5], s[44:45]
	s_cbranch_execz .LBB176_133
; %bb.132:
	v_bcnt_u32_b32 v16, v16, 0
	v_bcnt_u32_b32 v16, v17, v16
	s_waitcnt lgkmcnt(0)
	v_add_u32_e32 v16, v72, v16
	ds_write_b32 v73, v16 offset:16
.LBB176_133:
	s_or_b64 exec, exec, s[4:5]
	v_and_b32_sdwa v18, v20, s50 dst_sel:DWORD dst_unused:UNUSED_PAD src0_sel:BYTE_1 src1_sel:DWORD
	v_and_b32_e32 v17, 1, v18
	v_add_co_u32_e64 v19, s[4:5], -1, v17
	v_addc_co_u32_e64 v76, s[4:5], 0, -1, s[4:5]
	v_cmp_ne_u32_e64 s[4:5], 0, v17
	v_lshlrev_b32_e32 v16, 2, v18
	v_xor_b32_e32 v17, s5, v76
	v_add_lshl_u32 v75, v16, v22, 2
	v_mov_b32_e32 v16, 0
	v_and_b32_e32 v76, exec_hi, v17
	v_lshlrev_b32_e32 v17, 30, v18
	v_xor_b32_e32 v19, s4, v19
	v_cmp_gt_i64_e64 s[4:5], 0, v[16:17]
	v_not_b32_e32 v17, v17
	v_ashrrev_i32_e32 v17, 31, v17
	v_and_b32_e32 v19, exec_lo, v19
	v_xor_b32_e32 v77, s5, v17
	v_xor_b32_e32 v17, s4, v17
	v_and_b32_e32 v19, v19, v17
	v_lshlrev_b32_e32 v17, 29, v18
	v_cmp_gt_i64_e64 s[4:5], 0, v[16:17]
	v_not_b32_e32 v17, v17
	v_ashrrev_i32_e32 v17, 31, v17
	v_and_b32_e32 v76, v76, v77
	v_xor_b32_e32 v77, s5, v17
	v_xor_b32_e32 v17, s4, v17
	v_and_b32_e32 v19, v19, v17
	v_lshlrev_b32_e32 v17, 28, v18
	v_cmp_gt_i64_e64 s[4:5], 0, v[16:17]
	v_not_b32_e32 v17, v17
	v_ashrrev_i32_e32 v17, 31, v17
	v_and_b32_e32 v76, v76, v77
	;; [unrolled: 8-line block ×5, first 2 shown]
	v_xor_b32_e32 v77, s5, v17
	v_xor_b32_e32 v17, s4, v17
	v_and_b32_e32 v19, v19, v17
	v_lshlrev_b32_e32 v17, 24, v18
	v_cmp_gt_i64_e64 s[4:5], 0, v[16:17]
	v_not_b32_e32 v16, v17
	v_ashrrev_i32_e32 v16, 31, v16
	v_xor_b32_e32 v17, s5, v16
	v_xor_b32_e32 v16, s4, v16
	; wave barrier
	ds_read_b32 v22, v75 offset:16
	v_and_b32_e32 v76, v76, v77
	v_and_b32_e32 v16, v19, v16
	;; [unrolled: 1-line block ×3, first 2 shown]
	v_mbcnt_lo_u32_b32 v18, v16, 0
	v_mbcnt_hi_u32_b32 v76, v17, v18
	v_cmp_eq_u32_e64 s[4:5], 0, v76
	v_cmp_ne_u64_e64 s[44:45], 0, v[16:17]
	s_and_b64 s[44:45], s[44:45], s[4:5]
	; wave barrier
	s_and_saveexec_b64 s[4:5], s[44:45]
	s_cbranch_execz .LBB176_135
; %bb.134:
	v_bcnt_u32_b32 v16, v16, 0
	v_bcnt_u32_b32 v16, v17, v16
	s_waitcnt lgkmcnt(0)
	v_add_u32_e32 v16, v22, v16
	ds_write_b32 v75, v16 offset:16
.LBB176_135:
	s_or_b64 exec, exec, s[4:5]
	; wave barrier
	s_waitcnt lgkmcnt(0)
	s_barrier
	ds_read2_b32 v[18:19], v62 offset0:4 offset1:5
	ds_read2_b32 v[16:17], v23 offset0:2 offset1:3
	s_waitcnt lgkmcnt(1)
	v_add_u32_e32 v77, v19, v18
	s_waitcnt lgkmcnt(0)
	v_add3_u32 v17, v77, v16, v17
	s_nop 1
	v_mov_b32_dpp v77, v17 row_shr:1 row_mask:0xf bank_mask:0xf
	v_cndmask_b32_e64 v77, v77, 0, s[22:23]
	v_add_u32_e32 v17, v77, v17
	s_nop 1
	v_mov_b32_dpp v77, v17 row_shr:2 row_mask:0xf bank_mask:0xf
	v_cndmask_b32_e64 v77, 0, v77, s[24:25]
	v_add_u32_e32 v17, v17, v77
	s_nop 1
	v_mov_b32_dpp v77, v17 row_shr:4 row_mask:0xf bank_mask:0xf
	v_cndmask_b32_e64 v77, 0, v77, s[28:29]
	v_add_u32_e32 v17, v17, v77
	s_nop 1
	v_mov_b32_dpp v77, v17 row_shr:8 row_mask:0xf bank_mask:0xf
	v_cndmask_b32_e64 v77, 0, v77, s[30:31]
	v_add_u32_e32 v17, v17, v77
	s_nop 1
	v_mov_b32_dpp v77, v17 row_bcast:15 row_mask:0xf bank_mask:0xf
	v_cndmask_b32_e64 v77, v77, 0, vcc
	v_add_u32_e32 v17, v17, v77
	s_nop 1
	v_mov_b32_dpp v77, v17 row_bcast:31 row_mask:0xf bank_mask:0xf
	v_cndmask_b32_e64 v77, 0, v77, s[34:35]
	v_add_u32_e32 v17, v17, v77
	s_and_saveexec_b64 s[4:5], s[16:17]
	s_cbranch_execz .LBB176_137
; %bb.136:
	ds_write_b32 v24, v17
.LBB176_137:
	s_or_b64 exec, exec, s[4:5]
	s_waitcnt lgkmcnt(0)
	s_barrier
	s_and_saveexec_b64 s[4:5], s[26:27]
	s_cbranch_execz .LBB176_139
; %bb.138:
	ds_read_b32 v24, v21
	s_waitcnt lgkmcnt(0)
	s_nop 0
	v_mov_b32_dpp v77, v24 row_shr:1 row_mask:0xf bank_mask:0xf
	v_cndmask_b32_e64 v77, v77, 0, s[20:21]
	v_add_u32_e32 v24, v77, v24
	s_nop 1
	v_mov_b32_dpp v77, v24 row_shr:2 row_mask:0xf bank_mask:0xf
	v_cndmask_b32_e64 v77, 0, v77, s[18:19]
	v_add_u32_e32 v24, v24, v77
	ds_write_b32 v21, v24
.LBB176_139:
	s_or_b64 exec, exec, s[4:5]
	v_mov_b32_e32 v21, 0
	s_waitcnt lgkmcnt(0)
	s_barrier
	s_and_saveexec_b64 s[4:5], s[36:37]
	s_cbranch_execz .LBB176_141
; %bb.140:
	ds_read_b32 v21, v33
.LBB176_141:
	s_or_b64 exec, exec, s[4:5]
	s_waitcnt lgkmcnt(0)
	v_add_u32_e32 v17, v21, v17
	ds_bpermute_b32 v17, v34, v17
	v_lshlrev_b32_e32 v34, 3, v53
	s_waitcnt lgkmcnt(0)
	v_cndmask_b32_e64 v17, v17, v21, s[38:39]
	v_cndmask_b32_e64 v17, v17, 0, s[40:41]
	v_add_u32_e32 v18, v17, v18
	v_add_u32_e32 v19, v18, v19
	;; [unrolled: 1-line block ×3, first 2 shown]
	ds_write2_b32 v62, v17, v18 offset0:4 offset1:5
	ds_write2_b32 v23, v19, v16 offset0:2 offset1:3
	s_waitcnt lgkmcnt(0)
	s_barrier
	ds_read_b32 v16, v75 offset:16
	ds_read_b32 v17, v73 offset:16
	;; [unrolled: 1-line block ×4, first 2 shown]
	s_waitcnt lgkmcnt(3)
	v_add3_u32 v16, v76, v22, v16
	ds_read_b32 v21, v64 offset:16
	ds_read_b32 v22, v40 offset:16
	ds_read_b32 v23, v37 offset:16
	ds_read_b32 v24, v32 offset:16
	s_waitcnt lgkmcnt(0)
	s_barrier
	v_add3_u32 v22, v41, v39, v22
	v_add3_u32 v23, v38, v36, v23
	v_add_u32_e32 v24, v24, v35
	v_lshlrev_b32_e32 v32, 1, v24
	ds_write_b16 v32, v31
	v_lshlrev_b32_e32 v31, 1, v23
	v_add3_u32 v21, v65, v63, v21
	ds_write_b16 v31, v30
	v_lshlrev_b32_e32 v30, 1, v22
	v_add3_u32 v19, v68, v66, v19
	;; [unrolled: 3-line block ×4, first 2 shown]
	ds_write_b16 v28, v27
	v_lshlrev_b32_e32 v27, 1, v18
	ds_write_b16 v27, v26
	v_lshlrev_b32_e32 v26, 1, v17
	;; [unrolled: 2-line block ×4, first 2 shown]
	v_lshlrev_b32_e32 v24, 3, v24
	v_lshlrev_b32_e32 v23, 3, v23
	;; [unrolled: 1-line block ×7, first 2 shown]
	s_waitcnt lgkmcnt(0)
	s_barrier
	v_lshlrev_b32_e32 v21, 3, v21
	ds_read_b128 v[16:19], v20
	s_waitcnt lgkmcnt(0)
	s_barrier
	ds_write_b64 v24, v[12:13]
	ds_write_b64 v23, v[14:15]
	;; [unrolled: 1-line block ×8, first 2 shown]
	s_waitcnt lgkmcnt(0)
	s_barrier
	ds_read2_b64 v[22:25], v34 offset1:1
	ds_read2_b64 v[26:29], v34 offset0:2 offset1:3
	ds_read2_b64 v[30:33], v34 offset0:4 offset1:5
	;; [unrolled: 1-line block ×3, first 2 shown]
	v_xor_b32_e32 v38, 0x7fff7fff, v16
	v_xor_b32_e32 v39, 0x7fff7fff, v17
	;; [unrolled: 1-line block ×4, first 2 shown]
.LBB176_142:
	s_waitcnt lgkmcnt(0)
	s_barrier
	ds_write_b128 v51, v[38:41]
	s_waitcnt lgkmcnt(0)
	s_barrier
	ds_read_u16 v8, v44 offset:512
	ds_read_u16 v7, v45 offset:1024
	;; [unrolled: 1-line block ×7, first 2 shown]
	v_mad_u64_u32 v[0:1], s[4:5], v42, s46, 0
	v_mov_b32_e32 v10, v1
	v_mad_u64_u32 v[10:11], s[4:5], v42, s47, v[10:11]
	v_mov_b32_e32 v1, v10
	v_lshlrev_b64 v[0:1], 1, v[0:1]
	v_mov_b32_e32 v9, s52
	v_add_co_u32_e32 v0, vcc, s33, v0
	v_addc_co_u32_e32 v1, vcc, v9, v1, vcc
	s_and_saveexec_b64 s[4:5], s[0:1]
	s_cbranch_execnz .LBB176_161
; %bb.143:
	s_or_b64 exec, exec, s[4:5]
	s_and_saveexec_b64 s[4:5], s[2:3]
	s_cbranch_execnz .LBB176_162
.LBB176_144:
	s_or_b64 exec, exec, s[4:5]
	s_and_saveexec_b64 s[4:5], s[42:43]
	s_cbranch_execnz .LBB176_163
.LBB176_145:
	s_or_b64 exec, exec, s[4:5]
	s_and_saveexec_b64 s[4:5], s[6:7]
	s_cbranch_execnz .LBB176_164
.LBB176_146:
	s_or_b64 exec, exec, s[4:5]
	s_and_saveexec_b64 s[4:5], s[8:9]
	s_cbranch_execnz .LBB176_165
.LBB176_147:
	s_or_b64 exec, exec, s[4:5]
	s_and_saveexec_b64 s[4:5], s[10:11]
	s_cbranch_execnz .LBB176_166
.LBB176_148:
	s_or_b64 exec, exec, s[4:5]
	s_and_saveexec_b64 s[4:5], s[12:13]
	s_cbranch_execnz .LBB176_167
.LBB176_149:
	s_or_b64 exec, exec, s[4:5]
	s_and_saveexec_b64 s[4:5], s[14:15]
	s_cbranch_execz .LBB176_151
.LBB176_150:
	s_waitcnt lgkmcnt(1)
	v_mov_b32_e32 v3, 0xe00
	v_mad_u64_u32 v[0:1], s[16:17], s46, v3, v[0:1]
	s_mul_i32 s16, s47, 0xe00
	v_add_u32_e32 v1, s16, v1
	s_waitcnt lgkmcnt(0)
	global_store_short v[0:1], v2, off
.LBB176_151:
	s_or_b64 exec, exec, s[4:5]
	s_waitcnt lgkmcnt(0)
	s_barrier
	ds_write2_b64 v61, v[22:23], v[24:25] offset1:1
	ds_write2_b64 v61, v[26:27], v[28:29] offset0:2 offset1:3
	ds_write2_b64 v61, v[30:31], v[32:33] offset0:4 offset1:5
	;; [unrolled: 1-line block ×3, first 2 shown]
	s_waitcnt lgkmcnt(0)
	s_barrier
	ds_read_b64 v[14:15], v54 offset:2048
	ds_read_b64 v[12:13], v55 offset:4096
	;; [unrolled: 1-line block ×7, first 2 shown]
	v_mad_u64_u32 v[4:5], s[4:5], v42, s48, 0
	v_mov_b32_e32 v16, v5
	v_mad_u64_u32 v[16:17], s[4:5], v42, s49, v[16:17]
	v_mov_b32_e32 v5, v16
	v_lshlrev_b64 v[4:5], 3, v[4:5]
	v_mov_b32_e32 v16, s54
	v_add_co_u32_e32 v4, vcc, s53, v4
	v_addc_co_u32_e32 v5, vcc, v16, v5, vcc
	s_and_saveexec_b64 s[4:5], s[0:1]
	s_cbranch_execnz .LBB176_168
; %bb.152:
	s_or_b64 exec, exec, s[4:5]
	s_and_saveexec_b64 s[0:1], s[2:3]
	s_cbranch_execnz .LBB176_169
.LBB176_153:
	s_or_b64 exec, exec, s[0:1]
	s_and_saveexec_b64 s[0:1], s[42:43]
	s_cbranch_execnz .LBB176_170
.LBB176_154:
	s_or_b64 exec, exec, s[0:1]
	s_and_saveexec_b64 s[0:1], s[6:7]
	s_cbranch_execnz .LBB176_171
.LBB176_155:
	s_or_b64 exec, exec, s[0:1]
	s_and_saveexec_b64 s[0:1], s[8:9]
	s_cbranch_execnz .LBB176_172
.LBB176_156:
	s_or_b64 exec, exec, s[0:1]
	s_and_saveexec_b64 s[0:1], s[10:11]
	s_cbranch_execnz .LBB176_173
.LBB176_157:
	s_or_b64 exec, exec, s[0:1]
	s_and_saveexec_b64 s[0:1], s[12:13]
	s_cbranch_execnz .LBB176_174
.LBB176_158:
	s_or_b64 exec, exec, s[0:1]
	s_and_saveexec_b64 s[0:1], s[14:15]
	s_cbranch_execz .LBB176_160
.LBB176_159:
	s_waitcnt lgkmcnt(1)
	v_mov_b32_e32 v2, 0x3800
	v_mad_u64_u32 v[2:3], s[0:1], s48, v2, v[4:5]
	s_mul_i32 s0, s49, 0x3800
	v_add_u32_e32 v3, s0, v3
	s_waitcnt lgkmcnt(0)
	global_store_dwordx2 v[2:3], v[0:1], off
.LBB176_160:
	s_endpgm
.LBB176_161:
	ds_read_u16 v9, v43
	s_waitcnt lgkmcnt(0)
	global_store_short v[0:1], v9, off
	s_or_b64 exec, exec, s[4:5]
	s_and_saveexec_b64 s[4:5], s[2:3]
	s_cbranch_execz .LBB176_144
.LBB176_162:
	s_lshl_b64 s[16:17], s[46:47], 9
	v_mov_b32_e32 v9, s17
	v_add_co_u32_e32 v10, vcc, s16, v0
	v_addc_co_u32_e32 v11, vcc, v1, v9, vcc
	s_waitcnt lgkmcnt(6)
	global_store_short v[10:11], v8, off
	s_or_b64 exec, exec, s[4:5]
	s_and_saveexec_b64 s[4:5], s[42:43]
	s_cbranch_execz .LBB176_145
.LBB176_163:
	s_lshl_b64 s[16:17], s[46:47], 10
	v_mov_b32_e32 v9, s17
	s_waitcnt lgkmcnt(6)
	v_add_co_u32_e32 v8, vcc, s16, v0
	v_addc_co_u32_e32 v9, vcc, v1, v9, vcc
	s_waitcnt lgkmcnt(5)
	global_store_short v[8:9], v7, off
	s_or_b64 exec, exec, s[4:5]
	s_and_saveexec_b64 s[4:5], s[6:7]
	s_cbranch_execz .LBB176_146
.LBB176_164:
	s_waitcnt lgkmcnt(5)
	v_mov_b32_e32 v7, 0x600
	v_mad_u64_u32 v[8:9], s[16:17], s46, v7, v[0:1]
	s_mul_i32 s16, s47, 0x600
	v_add_u32_e32 v9, s16, v9
	s_waitcnt lgkmcnt(4)
	global_store_short v[8:9], v6, off
	s_or_b64 exec, exec, s[4:5]
	s_and_saveexec_b64 s[4:5], s[8:9]
	s_cbranch_execz .LBB176_147
.LBB176_165:
	s_lshl_b64 s[16:17], s[46:47], 11
	s_waitcnt lgkmcnt(5)
	v_mov_b32_e32 v7, s17
	s_waitcnt lgkmcnt(4)
	v_add_co_u32_e32 v6, vcc, s16, v0
	v_addc_co_u32_e32 v7, vcc, v1, v7, vcc
	s_waitcnt lgkmcnt(3)
	global_store_short v[6:7], v5, off
	s_or_b64 exec, exec, s[4:5]
	s_and_saveexec_b64 s[4:5], s[10:11]
	s_cbranch_execz .LBB176_148
.LBB176_166:
	s_waitcnt lgkmcnt(3)
	v_mov_b32_e32 v5, 0xa00
	v_mad_u64_u32 v[6:7], s[16:17], s46, v5, v[0:1]
	s_mul_i32 s16, s47, 0xa00
	v_add_u32_e32 v7, s16, v7
	s_waitcnt lgkmcnt(2)
	global_store_short v[6:7], v4, off
	s_or_b64 exec, exec, s[4:5]
	s_and_saveexec_b64 s[4:5], s[12:13]
	s_cbranch_execz .LBB176_149
.LBB176_167:
	s_waitcnt lgkmcnt(2)
	v_mov_b32_e32 v4, 0xc00
	v_mad_u64_u32 v[4:5], s[16:17], s46, v4, v[0:1]
	s_mul_i32 s16, s47, 0xc00
	v_add_u32_e32 v5, s16, v5
	s_waitcnt lgkmcnt(1)
	global_store_short v[4:5], v3, off
	s_or_b64 exec, exec, s[4:5]
	s_and_saveexec_b64 s[4:5], s[14:15]
	s_cbranch_execnz .LBB176_150
	s_branch .LBB176_151
.LBB176_168:
	ds_read_b64 v[16:17], v52
	s_waitcnt lgkmcnt(0)
	global_store_dwordx2 v[4:5], v[16:17], off
	s_or_b64 exec, exec, s[4:5]
	s_and_saveexec_b64 s[0:1], s[2:3]
	s_cbranch_execz .LBB176_153
.LBB176_169:
	s_lshl_b64 s[2:3], s[48:49], 11
	v_mov_b32_e32 v17, s3
	v_add_co_u32_e32 v16, vcc, s2, v4
	v_addc_co_u32_e32 v17, vcc, v5, v17, vcc
	s_waitcnt lgkmcnt(6)
	global_store_dwordx2 v[16:17], v[14:15], off
	s_or_b64 exec, exec, s[0:1]
	s_and_saveexec_b64 s[0:1], s[42:43]
	s_cbranch_execz .LBB176_154
.LBB176_170:
	s_lshl_b64 s[2:3], s[48:49], 12
	s_waitcnt lgkmcnt(6)
	v_mov_b32_e32 v15, s3
	v_add_co_u32_e32 v14, vcc, s2, v4
	v_addc_co_u32_e32 v15, vcc, v5, v15, vcc
	s_waitcnt lgkmcnt(5)
	global_store_dwordx2 v[14:15], v[12:13], off
	s_or_b64 exec, exec, s[0:1]
	s_and_saveexec_b64 s[0:1], s[6:7]
	s_cbranch_execz .LBB176_155
.LBB176_171:
	s_waitcnt lgkmcnt(5)
	v_mov_b32_e32 v12, 0x1800
	v_mad_u64_u32 v[12:13], s[2:3], s48, v12, v[4:5]
	s_mul_i32 s2, s49, 0x1800
	v_add_u32_e32 v13, s2, v13
	s_waitcnt lgkmcnt(4)
	global_store_dwordx2 v[12:13], v[10:11], off
	s_or_b64 exec, exec, s[0:1]
	s_and_saveexec_b64 s[0:1], s[8:9]
	s_cbranch_execz .LBB176_156
.LBB176_172:
	s_lshl_b64 s[2:3], s[48:49], 13
	s_waitcnt lgkmcnt(4)
	v_mov_b32_e32 v11, s3
	v_add_co_u32_e32 v10, vcc, s2, v4
	v_addc_co_u32_e32 v11, vcc, v5, v11, vcc
	s_waitcnt lgkmcnt(3)
	global_store_dwordx2 v[10:11], v[8:9], off
	s_or_b64 exec, exec, s[0:1]
	s_and_saveexec_b64 s[0:1], s[10:11]
	s_cbranch_execz .LBB176_157
.LBB176_173:
	s_waitcnt lgkmcnt(3)
	v_mov_b32_e32 v8, 0x2800
	v_mad_u64_u32 v[8:9], s[2:3], s48, v8, v[4:5]
	s_mul_i32 s2, s49, 0x2800
	v_add_u32_e32 v9, s2, v9
	s_waitcnt lgkmcnt(2)
	global_store_dwordx2 v[8:9], v[6:7], off
	s_or_b64 exec, exec, s[0:1]
	s_and_saveexec_b64 s[0:1], s[12:13]
	s_cbranch_execz .LBB176_158
.LBB176_174:
	s_waitcnt lgkmcnt(2)
	v_mov_b32_e32 v6, 0x3000
	v_mad_u64_u32 v[6:7], s[2:3], s48, v6, v[4:5]
	s_mul_i32 s2, s49, 0x3000
	v_add_u32_e32 v7, s2, v7
	s_waitcnt lgkmcnt(1)
	global_store_dwordx2 v[6:7], v[2:3], off
	s_or_b64 exec, exec, s[0:1]
	s_and_saveexec_b64 s[0:1], s[14:15]
	s_cbranch_execnz .LBB176_159
	s_branch .LBB176_160
	.section	.rodata,"a",@progbits
	.p2align	6, 0x0
	.amdhsa_kernel _ZN2at6native18radixSortKVInPlaceILin1ELin1ELi256ELi8EslmEEvNS_4cuda6detail10TensorInfoIT3_T5_EES6_S6_S6_NS4_IT4_S6_EES6_b
		.amdhsa_group_segment_fixed_size 16896
		.amdhsa_private_segment_fixed_size 0
		.amdhsa_kernarg_size 1128
		.amdhsa_user_sgpr_count 6
		.amdhsa_user_sgpr_private_segment_buffer 1
		.amdhsa_user_sgpr_dispatch_ptr 0
		.amdhsa_user_sgpr_queue_ptr 0
		.amdhsa_user_sgpr_kernarg_segment_ptr 1
		.amdhsa_user_sgpr_dispatch_id 0
		.amdhsa_user_sgpr_flat_scratch_init 0
		.amdhsa_user_sgpr_kernarg_preload_length 0
		.amdhsa_user_sgpr_kernarg_preload_offset 0
		.amdhsa_user_sgpr_private_segment_size 0
		.amdhsa_uses_dynamic_stack 0
		.amdhsa_system_sgpr_private_segment_wavefront_offset 0
		.amdhsa_system_sgpr_workgroup_id_x 1
		.amdhsa_system_sgpr_workgroup_id_y 1
		.amdhsa_system_sgpr_workgroup_id_z 1
		.amdhsa_system_sgpr_workgroup_info 0
		.amdhsa_system_vgpr_workitem_id 2
		.amdhsa_next_free_vgpr 111
		.amdhsa_next_free_sgpr 56
		.amdhsa_accum_offset 112
		.amdhsa_reserve_vcc 1
		.amdhsa_reserve_flat_scratch 0
		.amdhsa_float_round_mode_32 0
		.amdhsa_float_round_mode_16_64 0
		.amdhsa_float_denorm_mode_32 3
		.amdhsa_float_denorm_mode_16_64 3
		.amdhsa_dx10_clamp 1
		.amdhsa_ieee_mode 1
		.amdhsa_fp16_overflow 0
		.amdhsa_tg_split 0
		.amdhsa_exception_fp_ieee_invalid_op 0
		.amdhsa_exception_fp_denorm_src 0
		.amdhsa_exception_fp_ieee_div_zero 0
		.amdhsa_exception_fp_ieee_overflow 0
		.amdhsa_exception_fp_ieee_underflow 0
		.amdhsa_exception_fp_ieee_inexact 0
		.amdhsa_exception_int_div_zero 0
	.end_amdhsa_kernel
	.section	.text._ZN2at6native18radixSortKVInPlaceILin1ELin1ELi256ELi8EslmEEvNS_4cuda6detail10TensorInfoIT3_T5_EES6_S6_S6_NS4_IT4_S6_EES6_b,"axG",@progbits,_ZN2at6native18radixSortKVInPlaceILin1ELin1ELi256ELi8EslmEEvNS_4cuda6detail10TensorInfoIT3_T5_EES6_S6_S6_NS4_IT4_S6_EES6_b,comdat
.Lfunc_end176:
	.size	_ZN2at6native18radixSortKVInPlaceILin1ELin1ELi256ELi8EslmEEvNS_4cuda6detail10TensorInfoIT3_T5_EES6_S6_S6_NS4_IT4_S6_EES6_b, .Lfunc_end176-_ZN2at6native18radixSortKVInPlaceILin1ELin1ELi256ELi8EslmEEvNS_4cuda6detail10TensorInfoIT3_T5_EES6_S6_S6_NS4_IT4_S6_EES6_b
                                        ; -- End function
	.section	.AMDGPU.csdata,"",@progbits
; Kernel info:
; codeLenInByte = 22112
; NumSgprs: 60
; NumVgprs: 111
; NumAgprs: 0
; TotalNumVgprs: 111
; ScratchSize: 0
; MemoryBound: 0
; FloatMode: 240
; IeeeMode: 1
; LDSByteSize: 16896 bytes/workgroup (compile time only)
; SGPRBlocks: 7
; VGPRBlocks: 13
; NumSGPRsForWavesPerEU: 60
; NumVGPRsForWavesPerEU: 111
; AccumOffset: 112
; Occupancy: 3
; WaveLimiterHint : 1
; COMPUTE_PGM_RSRC2:SCRATCH_EN: 0
; COMPUTE_PGM_RSRC2:USER_SGPR: 6
; COMPUTE_PGM_RSRC2:TRAP_HANDLER: 0
; COMPUTE_PGM_RSRC2:TGID_X_EN: 1
; COMPUTE_PGM_RSRC2:TGID_Y_EN: 1
; COMPUTE_PGM_RSRC2:TGID_Z_EN: 1
; COMPUTE_PGM_RSRC2:TIDIG_COMP_CNT: 2
; COMPUTE_PGM_RSRC3_GFX90A:ACCUM_OFFSET: 27
; COMPUTE_PGM_RSRC3_GFX90A:TG_SPLIT: 0
	.section	.text._ZN2at6native18radixSortKVInPlaceILin1ELin1ELi128ELi8EslmEEvNS_4cuda6detail10TensorInfoIT3_T5_EES6_S6_S6_NS4_IT4_S6_EES6_b,"axG",@progbits,_ZN2at6native18radixSortKVInPlaceILin1ELin1ELi128ELi8EslmEEvNS_4cuda6detail10TensorInfoIT3_T5_EES6_S6_S6_NS4_IT4_S6_EES6_b,comdat
	.protected	_ZN2at6native18radixSortKVInPlaceILin1ELin1ELi128ELi8EslmEEvNS_4cuda6detail10TensorInfoIT3_T5_EES6_S6_S6_NS4_IT4_S6_EES6_b ; -- Begin function _ZN2at6native18radixSortKVInPlaceILin1ELin1ELi128ELi8EslmEEvNS_4cuda6detail10TensorInfoIT3_T5_EES6_S6_S6_NS4_IT4_S6_EES6_b
	.globl	_ZN2at6native18radixSortKVInPlaceILin1ELin1ELi128ELi8EslmEEvNS_4cuda6detail10TensorInfoIT3_T5_EES6_S6_S6_NS4_IT4_S6_EES6_b
	.p2align	8
	.type	_ZN2at6native18radixSortKVInPlaceILin1ELin1ELi128ELi8EslmEEvNS_4cuda6detail10TensorInfoIT3_T5_EES6_S6_S6_NS4_IT4_S6_EES6_b,@function
_ZN2at6native18radixSortKVInPlaceILin1ELin1ELi128ELi8EslmEEvNS_4cuda6detail10TensorInfoIT3_T5_EES6_S6_S6_NS4_IT4_S6_EES6_b: ; @_ZN2at6native18radixSortKVInPlaceILin1ELin1ELi128ELi8EslmEEvNS_4cuda6detail10TensorInfoIT3_T5_EES6_S6_S6_NS4_IT4_S6_EES6_b
; %bb.0:
	s_load_dwordx4 s[12:15], s[4:5], 0x1a0
	s_load_dwordx2 s[0:1], s[4:5], 0x368
	s_add_u32 s48, s4, 0x368
	s_addc_u32 s49, s5, 0
	s_waitcnt lgkmcnt(0)
	v_mov_b32_e32 v2, s12
	s_mul_i32 s1, s1, s8
	s_add_i32 s1, s1, s7
	s_mul_i32 s0, s1, s0
	v_mov_b32_e32 v3, s13
	s_add_i32 s6, s0, s6
	s_mov_b32 s7, 0
	v_cmp_ge_u64_e32 vcc, s[6:7], v[2:3]
	s_cbranch_vccnz .LBB177_160
; %bb.1:
	s_load_dword s0, s[4:5], 0x198
	s_load_dwordx2 s[44:45], s[4:5], 0x1b0
	s_mov_b64 s[2:3], 0
	s_mov_b64 s[8:9], s[6:7]
	s_waitcnt lgkmcnt(0)
	s_cmp_lt_i32 s0, 2
	s_cbranch_scc1 .LBB177_9
; %bb.2:
	s_mov_b32 s10, 0
	s_add_i32 s15, s0, 1
	s_add_i32 s0, s0, -1
	s_mov_b32 s1, s10
	s_lshl_b64 s[0:1], s[0:1], 3
	s_add_u32 s0, s0, s4
	s_addc_u32 s1, s1, s5
	s_add_u32 s12, s0, 8
	s_addc_u32 s13, s1, 0
	s_mov_b64 s[16:17], s[6:7]
.LBB177_3:                              ; =>This Inner Loop Header: Depth=1
	s_load_dwordx2 s[18:19], s[12:13], 0x0
	s_waitcnt lgkmcnt(0)
	s_or_b64 s[0:1], s[16:17], s[18:19]
	s_mov_b32 s11, s1
	s_cmp_lg_u64 s[10:11], 0
	s_cbranch_scc0 .LBB177_8
; %bb.4:                                ;   in Loop: Header=BB177_3 Depth=1
	v_cvt_f32_u32_e32 v1, s18
	v_cvt_f32_u32_e32 v2, s19
	s_sub_u32 s0, 0, s18
	s_subb_u32 s1, 0, s19
	v_mac_f32_e32 v1, 0x4f800000, v2
	v_rcp_f32_e32 v1, v1
	v_mul_f32_e32 v1, 0x5f7ffffc, v1
	v_mul_f32_e32 v2, 0x2f800000, v1
	v_trunc_f32_e32 v2, v2
	v_mac_f32_e32 v1, 0xcf800000, v2
	v_cvt_u32_f32_e32 v2, v2
	v_cvt_u32_f32_e32 v1, v1
	v_readfirstlane_b32 s8, v2
	v_readfirstlane_b32 s9, v1
	s_mul_i32 s11, s0, s8
	s_mul_hi_u32 s21, s0, s9
	s_mul_i32 s20, s1, s9
	s_add_i32 s11, s21, s11
	s_mul_i32 s22, s0, s9
	s_add_i32 s11, s11, s20
	s_mul_hi_u32 s20, s9, s11
	s_mul_i32 s21, s9, s11
	s_mul_hi_u32 s9, s9, s22
	s_add_u32 s9, s9, s21
	s_addc_u32 s20, 0, s20
	s_mul_hi_u32 s23, s8, s22
	s_mul_i32 s22, s8, s22
	s_add_u32 s9, s9, s22
	s_mul_hi_u32 s21, s8, s11
	s_addc_u32 s9, s20, s23
	s_addc_u32 s20, s21, 0
	s_mul_i32 s11, s8, s11
	s_add_u32 s9, s9, s11
	s_addc_u32 s11, 0, s20
	v_add_co_u32_e32 v1, vcc, s9, v1
	s_cmp_lg_u64 vcc, 0
	s_addc_u32 s8, s8, s11
	v_readfirstlane_b32 s11, v1
	s_mul_i32 s9, s0, s8
	s_mul_hi_u32 s20, s0, s11
	s_add_i32 s9, s20, s9
	s_mul_i32 s1, s1, s11
	s_add_i32 s9, s9, s1
	s_mul_i32 s0, s0, s11
	s_mul_hi_u32 s20, s8, s0
	s_mul_i32 s21, s8, s0
	s_mul_i32 s23, s11, s9
	s_mul_hi_u32 s0, s11, s0
	s_mul_hi_u32 s22, s11, s9
	s_add_u32 s0, s0, s23
	s_addc_u32 s11, 0, s22
	s_add_u32 s0, s0, s21
	s_mul_hi_u32 s1, s8, s9
	s_addc_u32 s0, s11, s20
	s_addc_u32 s1, s1, 0
	s_mul_i32 s9, s8, s9
	s_add_u32 s0, s0, s9
	s_addc_u32 s1, 0, s1
	v_add_co_u32_e32 v1, vcc, s0, v1
	s_cmp_lg_u64 vcc, 0
	s_addc_u32 s0, s8, s1
	v_readfirstlane_b32 s9, v1
	s_mul_i32 s8, s16, s0
	s_mul_hi_u32 s11, s16, s9
	s_mul_hi_u32 s1, s16, s0
	s_add_u32 s8, s11, s8
	s_addc_u32 s1, 0, s1
	s_mul_hi_u32 s20, s17, s9
	s_mul_i32 s9, s17, s9
	s_add_u32 s8, s8, s9
	s_mul_hi_u32 s11, s17, s0
	s_addc_u32 s1, s1, s20
	s_addc_u32 s8, s11, 0
	s_mul_i32 s0, s17, s0
	s_add_u32 s11, s1, s0
	s_addc_u32 s8, 0, s8
	s_mul_i32 s0, s18, s8
	s_mul_hi_u32 s1, s18, s11
	s_add_i32 s0, s1, s0
	s_mul_i32 s1, s19, s11
	s_add_i32 s9, s0, s1
	s_mul_i32 s1, s18, s11
	v_mov_b32_e32 v1, s1
	s_sub_i32 s0, s17, s9
	v_sub_co_u32_e32 v1, vcc, s16, v1
	s_cmp_lg_u64 vcc, 0
	s_subb_u32 s20, s0, s19
	v_subrev_co_u32_e64 v2, s[0:1], s18, v1
	s_cmp_lg_u64 s[0:1], 0
	s_subb_u32 s0, s20, 0
	s_cmp_ge_u32 s0, s19
	v_readfirstlane_b32 s20, v2
	s_cselect_b32 s1, -1, 0
	s_cmp_ge_u32 s20, s18
	s_cselect_b32 s20, -1, 0
	s_cmp_eq_u32 s0, s19
	s_cselect_b32 s0, s20, s1
	s_add_u32 s1, s11, 1
	s_addc_u32 s20, s8, 0
	s_add_u32 s21, s11, 2
	s_addc_u32 s22, s8, 0
	s_cmp_lg_u32 s0, 0
	s_cselect_b32 s0, s21, s1
	s_cselect_b32 s1, s22, s20
	s_cmp_lg_u64 vcc, 0
	s_subb_u32 s9, s17, s9
	s_cmp_ge_u32 s9, s19
	v_readfirstlane_b32 s21, v1
	s_cselect_b32 s20, -1, 0
	s_cmp_ge_u32 s21, s18
	s_cselect_b32 s21, -1, 0
	s_cmp_eq_u32 s9, s19
	s_cselect_b32 s9, s21, s20
	s_cmp_lg_u32 s9, 0
	s_cselect_b32 s9, s1, s8
	s_cselect_b32 s8, s0, s11
	s_cbranch_execnz .LBB177_6
.LBB177_5:                              ;   in Loop: Header=BB177_3 Depth=1
	v_cvt_f32_u32_e32 v1, s18
	s_sub_i32 s0, 0, s18
	v_rcp_iflag_f32_e32 v1, v1
	v_mul_f32_e32 v1, 0x4f7ffffe, v1
	v_cvt_u32_f32_e32 v1, v1
	v_readfirstlane_b32 s1, v1
	s_mul_i32 s0, s0, s1
	s_mul_hi_u32 s0, s1, s0
	s_add_i32 s1, s1, s0
	s_mul_hi_u32 s0, s16, s1
	s_mul_i32 s8, s0, s18
	s_sub_i32 s8, s16, s8
	s_add_i32 s1, s0, 1
	s_sub_i32 s9, s8, s18
	s_cmp_ge_u32 s8, s18
	s_cselect_b32 s0, s1, s0
	s_cselect_b32 s8, s9, s8
	s_add_i32 s1, s0, 1
	s_cmp_ge_u32 s8, s18
	s_cselect_b32 s8, s1, s0
	s_mov_b32 s9, s10
.LBB177_6:                              ;   in Loop: Header=BB177_3 Depth=1
	s_mul_i32 s0, s8, s19
	s_mul_hi_u32 s1, s8, s18
	s_add_i32 s11, s1, s0
	s_load_dwordx2 s[0:1], s[12:13], 0xc8
	s_mul_i32 s19, s9, s18
	s_add_i32 s11, s11, s19
	s_mul_i32 s18, s8, s18
	s_sub_u32 s16, s16, s18
	s_subb_u32 s11, s17, s11
	s_waitcnt lgkmcnt(0)
	s_mul_i32 s11, s0, s11
	s_mul_hi_u32 s17, s0, s16
	s_add_i32 s11, s17, s11
	s_mul_i32 s1, s1, s16
	s_add_i32 s11, s11, s1
	s_mul_i32 s0, s0, s16
	s_add_u32 s2, s0, s2
	s_addc_u32 s3, s11, s3
	s_add_i32 s15, s15, -1
	s_add_u32 s12, s12, -8
	s_addc_u32 s13, s13, -1
	s_cmp_gt_u32 s15, 2
	s_cbranch_scc0 .LBB177_9
; %bb.7:                                ;   in Loop: Header=BB177_3 Depth=1
	s_mov_b64 s[16:17], s[8:9]
	s_branch .LBB177_3
.LBB177_8:                              ;   in Loop: Header=BB177_3 Depth=1
                                        ; implicit-def: $sgpr8_sgpr9
	s_branch .LBB177_5
.LBB177_9:
	s_load_dword s0, s[4:5], 0x350
	s_load_dwordx2 s[10:11], s[4:5], 0xd0
	s_mov_b64 s[16:17], 0
	s_waitcnt lgkmcnt(0)
	s_cmp_lt_i32 s0, 2
	s_cbranch_scc1 .LBB177_17
; %bb.10:
	s_mov_b32 s12, 0
	s_add_i32 s15, s0, 1
	s_add_i32 s0, s0, -1
	s_mov_b32 s1, s12
	s_lshl_b64 s[0:1], s[0:1], 3
	s_add_u32 s0, s0, s4
	s_addc_u32 s1, s1, s5
	s_add_u32 s20, s0, 0x1c0
	s_addc_u32 s21, s1, 0
.LBB177_11:                             ; =>This Inner Loop Header: Depth=1
	s_load_dwordx2 s[22:23], s[20:21], 0x0
	s_waitcnt lgkmcnt(0)
	s_or_b64 s[0:1], s[6:7], s[22:23]
	s_mov_b32 s13, s1
	s_cmp_lg_u64 s[12:13], 0
	s_cbranch_scc0 .LBB177_16
; %bb.12:                               ;   in Loop: Header=BB177_11 Depth=1
	v_cvt_f32_u32_e32 v1, s22
	v_cvt_f32_u32_e32 v2, s23
	s_sub_u32 s0, 0, s22
	s_subb_u32 s1, 0, s23
	v_mac_f32_e32 v1, 0x4f800000, v2
	v_rcp_f32_e32 v1, v1
	v_mul_f32_e32 v1, 0x5f7ffffc, v1
	v_mul_f32_e32 v2, 0x2f800000, v1
	v_trunc_f32_e32 v2, v2
	v_mac_f32_e32 v1, 0xcf800000, v2
	v_cvt_u32_f32_e32 v2, v2
	v_cvt_u32_f32_e32 v1, v1
	v_readfirstlane_b32 s13, v2
	v_readfirstlane_b32 s18, v1
	s_mul_i32 s19, s0, s13
	s_mul_hi_u32 s25, s0, s18
	s_mul_i32 s24, s1, s18
	s_add_i32 s19, s25, s19
	s_mul_i32 s26, s0, s18
	s_add_i32 s19, s19, s24
	s_mul_hi_u32 s24, s18, s19
	s_mul_i32 s25, s18, s19
	s_mul_hi_u32 s18, s18, s26
	s_add_u32 s18, s18, s25
	s_addc_u32 s24, 0, s24
	s_mul_hi_u32 s27, s13, s26
	s_mul_i32 s26, s13, s26
	s_add_u32 s18, s18, s26
	s_mul_hi_u32 s25, s13, s19
	s_addc_u32 s18, s24, s27
	s_addc_u32 s24, s25, 0
	s_mul_i32 s19, s13, s19
	s_add_u32 s18, s18, s19
	s_addc_u32 s19, 0, s24
	v_add_co_u32_e32 v1, vcc, s18, v1
	s_cmp_lg_u64 vcc, 0
	s_addc_u32 s13, s13, s19
	v_readfirstlane_b32 s19, v1
	s_mul_i32 s18, s0, s13
	s_mul_hi_u32 s24, s0, s19
	s_add_i32 s18, s24, s18
	s_mul_i32 s1, s1, s19
	s_add_i32 s18, s18, s1
	s_mul_i32 s0, s0, s19
	s_mul_hi_u32 s24, s13, s0
	s_mul_i32 s25, s13, s0
	s_mul_i32 s27, s19, s18
	s_mul_hi_u32 s0, s19, s0
	s_mul_hi_u32 s26, s19, s18
	s_add_u32 s0, s0, s27
	s_addc_u32 s19, 0, s26
	s_add_u32 s0, s0, s25
	s_mul_hi_u32 s1, s13, s18
	s_addc_u32 s0, s19, s24
	s_addc_u32 s1, s1, 0
	s_mul_i32 s18, s13, s18
	s_add_u32 s0, s0, s18
	s_addc_u32 s1, 0, s1
	v_add_co_u32_e32 v1, vcc, s0, v1
	s_cmp_lg_u64 vcc, 0
	s_addc_u32 s0, s13, s1
	v_readfirstlane_b32 s18, v1
	s_mul_i32 s13, s6, s0
	s_mul_hi_u32 s19, s6, s18
	s_mul_hi_u32 s1, s6, s0
	s_add_u32 s13, s19, s13
	s_addc_u32 s1, 0, s1
	s_mul_hi_u32 s24, s7, s18
	s_mul_i32 s18, s7, s18
	s_add_u32 s13, s13, s18
	s_mul_hi_u32 s19, s7, s0
	s_addc_u32 s1, s1, s24
	s_addc_u32 s13, s19, 0
	s_mul_i32 s0, s7, s0
	s_add_u32 s18, s1, s0
	s_addc_u32 s13, 0, s13
	s_mul_i32 s0, s22, s13
	s_mul_hi_u32 s1, s22, s18
	s_add_i32 s0, s1, s0
	s_mul_i32 s1, s23, s18
	s_add_i32 s19, s0, s1
	s_mul_i32 s1, s22, s18
	v_mov_b32_e32 v1, s1
	s_sub_i32 s0, s7, s19
	v_sub_co_u32_e32 v1, vcc, s6, v1
	s_cmp_lg_u64 vcc, 0
	s_subb_u32 s24, s0, s23
	v_subrev_co_u32_e64 v2, s[0:1], s22, v1
	s_cmp_lg_u64 s[0:1], 0
	s_subb_u32 s0, s24, 0
	s_cmp_ge_u32 s0, s23
	v_readfirstlane_b32 s24, v2
	s_cselect_b32 s1, -1, 0
	s_cmp_ge_u32 s24, s22
	s_cselect_b32 s24, -1, 0
	s_cmp_eq_u32 s0, s23
	s_cselect_b32 s0, s24, s1
	s_add_u32 s1, s18, 1
	s_addc_u32 s24, s13, 0
	s_add_u32 s25, s18, 2
	s_addc_u32 s26, s13, 0
	s_cmp_lg_u32 s0, 0
	s_cselect_b32 s0, s25, s1
	s_cselect_b32 s1, s26, s24
	s_cmp_lg_u64 vcc, 0
	s_subb_u32 s19, s7, s19
	s_cmp_ge_u32 s19, s23
	v_readfirstlane_b32 s25, v1
	s_cselect_b32 s24, -1, 0
	s_cmp_ge_u32 s25, s22
	s_cselect_b32 s25, -1, 0
	s_cmp_eq_u32 s19, s23
	s_cselect_b32 s19, s25, s24
	s_cmp_lg_u32 s19, 0
	s_cselect_b32 s19, s1, s13
	s_cselect_b32 s18, s0, s18
	s_cbranch_execnz .LBB177_14
.LBB177_13:                             ;   in Loop: Header=BB177_11 Depth=1
	v_cvt_f32_u32_e32 v1, s22
	s_sub_i32 s0, 0, s22
	s_mov_b32 s19, s12
	v_rcp_iflag_f32_e32 v1, v1
	v_mul_f32_e32 v1, 0x4f7ffffe, v1
	v_cvt_u32_f32_e32 v1, v1
	v_readfirstlane_b32 s1, v1
	s_mul_i32 s0, s0, s1
	s_mul_hi_u32 s0, s1, s0
	s_add_i32 s1, s1, s0
	s_mul_hi_u32 s0, s6, s1
	s_mul_i32 s13, s0, s22
	s_sub_i32 s13, s6, s13
	s_add_i32 s1, s0, 1
	s_sub_i32 s18, s13, s22
	s_cmp_ge_u32 s13, s22
	s_cselect_b32 s0, s1, s0
	s_cselect_b32 s13, s18, s13
	s_add_i32 s1, s0, 1
	s_cmp_ge_u32 s13, s22
	s_cselect_b32 s18, s1, s0
.LBB177_14:                             ;   in Loop: Header=BB177_11 Depth=1
	s_mul_i32 s0, s18, s23
	s_mul_hi_u32 s1, s18, s22
	s_add_i32 s13, s1, s0
	s_load_dwordx2 s[0:1], s[20:21], 0xc8
	s_mul_i32 s23, s19, s22
	s_add_i32 s13, s13, s23
	s_mul_i32 s22, s18, s22
	s_sub_u32 s6, s6, s22
	s_subb_u32 s7, s7, s13
	s_waitcnt lgkmcnt(0)
	s_mul_i32 s7, s0, s7
	s_mul_hi_u32 s13, s0, s6
	s_add_i32 s7, s13, s7
	s_mul_i32 s1, s1, s6
	s_add_i32 s7, s7, s1
	s_mul_i32 s0, s0, s6
	s_add_u32 s16, s0, s16
	s_addc_u32 s17, s7, s17
	s_add_i32 s15, s15, -1
	s_add_u32 s20, s20, -8
	s_addc_u32 s21, s21, -1
	s_cmp_gt_u32 s15, 2
	s_cbranch_scc0 .LBB177_18
; %bb.15:                               ;   in Loop: Header=BB177_11 Depth=1
	s_mov_b64 s[6:7], s[18:19]
	s_branch .LBB177_11
.LBB177_16:                             ;   in Loop: Header=BB177_11 Depth=1
                                        ; implicit-def: $sgpr18_sgpr19
	s_branch .LBB177_13
.LBB177_17:
	s_mov_b64 s[18:19], s[6:7]
.LBB177_18:
	s_mul_i32 s0, s10, s9
	s_load_dword s9, s[4:5], 0x360
	s_load_dwordx2 s[6:7], s[4:5], 0x0
	s_mul_hi_u32 s1, s10, s8
	s_add_i32 s0, s1, s0
	s_mul_i32 s1, s11, s8
	s_add_i32 s1, s0, s1
	s_waitcnt lgkmcnt(0)
	s_bitcmp1_b32 s9, 0
	s_cselect_b64 s[34:35], -1, 0
	s_mul_i32 s0, s10, s8
	s_mov_b32 s10, 0x8000
	s_and_b64 s[8:9], s[34:35], exec
	s_cselect_b32 s12, s10, 0x7fff
	s_lshl_b64 s[0:1], s[0:1], 1
	s_add_u32 s6, s6, s0
	s_pack_ll_b32_b16 s8, s12, s12
	s_addc_u32 s7, s7, s1
	s_lshl_b64 s[0:1], s[2:3], 1
	s_mov_b32 s9, s8
	s_add_u32 s33, s6, s0
	v_and_b32_e32 v42, 0x3ff, v0
	s_mov_b32 s10, s8
	s_mov_b32 s11, s8
	v_pk_mov_b32 v[2:3], s[8:9], s[8:9] op_sel:[0,1]
	s_addc_u32 s50, s7, s1
	v_cmp_gt_u32_e64 s[0:1], s14, v42
	v_pk_mov_b32 v[4:5], s[10:11], s[10:11] op_sel:[0,1]
	v_mov_b32_e32 v6, s12
	s_and_saveexec_b64 s[2:3], s[0:1]
	s_cbranch_execz .LBB177_20
; %bb.19:
	v_mad_u64_u32 v[2:3], s[6:7], v42, s44, 0
	v_mov_b32_e32 v4, v3
	v_mad_u64_u32 v[4:5], s[6:7], v42, s45, v[4:5]
	v_mov_b32_e32 v3, v4
	v_lshlrev_b64 v[2:3], 1, v[2:3]
	v_mov_b32_e32 v1, s50
	v_add_co_u32_e32 v2, vcc, s33, v2
	v_addc_co_u32_e32 v3, vcc, v1, v3, vcc
	global_load_ushort v6, v[2:3], off
	s_mov_b32 s6, 0xffff
	v_mov_b32_e32 v1, s8
	v_mov_b32_e32 v3, s8
	;; [unrolled: 1-line block ×4, first 2 shown]
	s_waitcnt vmcnt(0)
	v_bfi_b32 v2, s6, v6, v1
.LBB177_20:
	s_or_b64 exec, exec, s[2:3]
	v_add_u32_e32 v1, 0x80, v42
	v_cmp_gt_u32_e64 s[2:3], s14, v1
	s_and_saveexec_b64 s[6:7], s[2:3]
	s_cbranch_execz .LBB177_22
; %bb.21:
	v_mad_u64_u32 v[8:9], s[8:9], v1, s44, 0
	v_mov_b32_e32 v10, v9
	v_mad_u64_u32 v[10:11], s[8:9], v1, s45, v[10:11]
	v_mov_b32_e32 v9, v10
	v_lshlrev_b64 v[8:9], 1, v[8:9]
	v_mov_b32_e32 v7, s50
	v_add_co_u32_e32 v8, vcc, s33, v8
	v_addc_co_u32_e32 v9, vcc, v7, v9, vcc
	global_load_ushort v7, v[8:9], off
	s_mov_b32 s8, 0x5040100
	s_waitcnt vmcnt(0)
	v_perm_b32 v2, v7, v2, s8
.LBB177_22:
	s_or_b64 exec, exec, s[6:7]
	v_add_u32_e32 v22, 0x100, v42
	v_cmp_gt_u32_e64 s[40:41], s14, v22
	s_and_saveexec_b64 s[6:7], s[40:41]
	s_cbranch_execz .LBB177_24
; %bb.23:
	v_mad_u64_u32 v[8:9], s[8:9], v22, s44, 0
	v_mov_b32_e32 v10, v9
	v_mad_u64_u32 v[10:11], s[8:9], v22, s45, v[10:11]
	v_mov_b32_e32 v9, v10
	v_lshlrev_b64 v[8:9], 1, v[8:9]
	v_mov_b32_e32 v7, s50
	v_add_co_u32_e32 v8, vcc, s33, v8
	v_addc_co_u32_e32 v9, vcc, v7, v9, vcc
	global_load_ushort v7, v[8:9], off
	s_mov_b32 s8, 0xffff
	s_waitcnt vmcnt(0)
	v_bfi_b32 v3, s8, v7, v3
.LBB177_24:
	s_or_b64 exec, exec, s[6:7]
	v_add_u32_e32 v23, 0x180, v42
	v_cmp_gt_u32_e64 s[6:7], s14, v23
	s_and_saveexec_b64 s[8:9], s[6:7]
	s_cbranch_execz .LBB177_26
; %bb.25:
	v_mad_u64_u32 v[8:9], s[10:11], v23, s44, 0
	v_mov_b32_e32 v10, v9
	v_mad_u64_u32 v[10:11], s[10:11], v23, s45, v[10:11]
	v_mov_b32_e32 v9, v10
	v_lshlrev_b64 v[8:9], 1, v[8:9]
	v_mov_b32_e32 v7, s50
	v_add_co_u32_e32 v8, vcc, s33, v8
	v_addc_co_u32_e32 v9, vcc, v7, v9, vcc
	global_load_ushort v7, v[8:9], off
	s_mov_b32 s10, 0x5040100
	s_waitcnt vmcnt(0)
	v_perm_b32 v3, v7, v3, s10
.LBB177_26:
	s_or_b64 exec, exec, s[8:9]
	v_add_u32_e32 v24, 0x200, v42
	v_cmp_gt_u32_e64 s[8:9], s14, v24
	s_and_saveexec_b64 s[10:11], s[8:9]
	s_cbranch_execz .LBB177_28
; %bb.27:
	v_mad_u64_u32 v[8:9], s[12:13], v24, s44, 0
	v_mov_b32_e32 v10, v9
	v_mad_u64_u32 v[10:11], s[12:13], v24, s45, v[10:11]
	v_mov_b32_e32 v9, v10
	v_lshlrev_b64 v[8:9], 1, v[8:9]
	v_mov_b32_e32 v7, s50
	v_add_co_u32_e32 v8, vcc, s33, v8
	v_addc_co_u32_e32 v9, vcc, v7, v9, vcc
	global_load_ushort v7, v[8:9], off
	s_mov_b32 s12, 0xffff
	s_waitcnt vmcnt(0)
	v_bfi_b32 v4, s12, v7, v4
.LBB177_28:
	s_or_b64 exec, exec, s[10:11]
	v_add_u32_e32 v25, 0x280, v42
	v_cmp_gt_u32_e64 s[10:11], s14, v25
	s_and_saveexec_b64 s[12:13], s[10:11]
	s_cbranch_execz .LBB177_30
; %bb.29:
	v_mad_u64_u32 v[8:9], s[20:21], v25, s44, 0
	v_mov_b32_e32 v10, v9
	v_mad_u64_u32 v[10:11], s[20:21], v25, s45, v[10:11]
	v_mov_b32_e32 v9, v10
	v_lshlrev_b64 v[8:9], 1, v[8:9]
	v_mov_b32_e32 v7, s50
	v_add_co_u32_e32 v8, vcc, s33, v8
	v_addc_co_u32_e32 v9, vcc, v7, v9, vcc
	global_load_ushort v7, v[8:9], off
	s_mov_b32 s15, 0x5040100
	s_waitcnt vmcnt(0)
	v_perm_b32 v4, v7, v4, s15
.LBB177_30:
	s_or_b64 exec, exec, s[12:13]
	s_load_dwordx2 s[22:23], s[4:5], 0x288
	s_load_dwordx2 s[20:21], s[4:5], 0x1b8
	v_add_u32_e32 v26, 0x300, v42
	v_cmp_gt_u32_e64 s[12:13], s14, v26
	s_and_saveexec_b64 s[24:25], s[12:13]
	s_cbranch_execz .LBB177_32
; %bb.31:
	v_mad_u64_u32 v[8:9], s[26:27], v26, s44, 0
	v_mov_b32_e32 v10, v9
	v_mad_u64_u32 v[10:11], s[26:27], v26, s45, v[10:11]
	v_mov_b32_e32 v9, v10
	v_lshlrev_b64 v[8:9], 1, v[8:9]
	v_mov_b32_e32 v7, s50
	v_add_co_u32_e32 v8, vcc, s33, v8
	v_addc_co_u32_e32 v9, vcc, v7, v9, vcc
	global_load_ushort v7, v[8:9], off
	s_mov_b32 s15, 0xffff
	s_waitcnt vmcnt(0)
	v_bfi_b32 v5, s15, v7, v5
.LBB177_32:
	s_or_b64 exec, exec, s[24:25]
	v_add_u32_e32 v27, 0x380, v42
	v_cmp_gt_u32_e64 s[14:15], s14, v27
	s_and_saveexec_b64 s[24:25], s[14:15]
	s_cbranch_execz .LBB177_34
; %bb.33:
	v_mad_u64_u32 v[8:9], s[26:27], v27, s44, 0
	v_mov_b32_e32 v10, v9
	v_mad_u64_u32 v[10:11], s[26:27], v27, s45, v[10:11]
	v_mov_b32_e32 v9, v10
	v_lshlrev_b64 v[8:9], 1, v[8:9]
	v_mov_b32_e32 v7, s50
	v_add_co_u32_e32 v8, vcc, s33, v8
	v_addc_co_u32_e32 v9, vcc, v7, v9, vcc
	global_load_ushort v7, v[8:9], off
	s_mov_b32 s26, 0x5040100
	s_waitcnt vmcnt(0)
	v_perm_b32 v5, v7, v5, s26
.LBB177_34:
	s_or_b64 exec, exec, s[24:25]
	v_lshrrev_b32_e32 v36, 5, v42
	v_and_b32_e32 v7, 30, v36
	v_add_lshl_u32 v43, v7, v42, 1
	v_lshrrev_b32_e32 v35, 5, v1
	ds_write_b16 v43, v6
	v_and_b32_e32 v6, 62, v35
	v_add_lshl_u32 v44, v6, v42, 1
	v_lshrrev_b32_e32 v34, 5, v22
	ds_write_b16_d16_hi v44, v2 offset:256
	v_and_b32_e32 v2, 62, v34
	v_lshrrev_b32_e32 v33, 5, v23
	v_add_lshl_u32 v45, v2, v42, 1
	v_and_b32_e32 v2, 62, v33
	v_lshrrev_b32_e32 v32, 5, v24
	v_add_lshl_u32 v46, v2, v42, 1
	v_and_b32_e32 v2, 62, v32
	v_lshrrev_b32_e32 v31, 5, v25
	s_waitcnt lgkmcnt(0)
	s_mul_i32 s19, s22, s19
	s_mul_hi_u32 s24, s22, s18
	v_add_lshl_u32 v47, v2, v42, 1
	v_and_b32_e32 v2, 62, v31
	v_lshrrev_b32_e32 v29, 5, v26
	s_add_i32 s19, s24, s19
	s_mul_i32 s23, s23, s18
	v_add_lshl_u32 v48, v2, v42, 1
	v_and_b32_e32 v2, 62, v29
	v_lshrrev_b32_e32 v28, 5, v27
	s_add_i32 s19, s19, s23
	s_mul_i32 s18, s22, s18
	v_add_lshl_u32 v49, v2, v42, 1
	v_and_b32_e32 v2, 62, v28
	v_lshrrev_b32_e32 v30, 2, v42
	s_lshl_b64 s[18:19], s[18:19], 3
	v_add_lshl_u32 v50, v2, v42, 1
	v_lshlrev_b32_e32 v53, 3, v42
	v_and_b32_e32 v2, 0xfe, v30
	s_add_u32 s18, s20, s18
	v_add_lshl_u32 v51, v2, v53, 1
	s_addc_u32 s19, s21, s19
	s_lshl_b64 s[16:17], s[16:17], 3
	s_load_dwordx2 s[46:47], s[4:5], 0x358
	ds_write_b16 v45, v3 offset:512
	ds_write_b16_d16_hi v46, v3 offset:768
	ds_write_b16 v47, v4 offset:1024
	ds_write_b16_d16_hi v48, v4 offset:1280
	;; [unrolled: 2-line block ×3, first 2 shown]
	s_waitcnt lgkmcnt(0)
	s_barrier
	ds_read_b128 v[18:21], v51
	s_add_u32 s51, s18, s16
	s_mov_b32 s16, 0
	s_addc_u32 s52, s19, s17
	s_mov_b32 s17, s16
	s_mov_b32 s18, s16
	s_mov_b32 s19, s16
	s_mov_b32 s20, s16
	s_mov_b32 s21, s16
	s_mov_b32 s22, s16
	s_mov_b32 s23, s16
	s_mov_b32 s24, s16
	s_mov_b32 s25, s16
	s_mov_b32 s26, s16
	s_mov_b32 s27, s16
	s_mov_b32 s28, s16
	s_mov_b32 s29, s16
	s_mov_b32 s30, s16
	s_mov_b32 s31, s16
	v_pk_mov_b32 v[2:3], s[16:17], s[16:17] op_sel:[0,1]
	v_pk_mov_b32 v[4:5], s[18:19], s[18:19] op_sel:[0,1]
	;; [unrolled: 1-line block ×8, first 2 shown]
	v_pk_mov_b32 v[2:3], 0, 0
	s_waitcnt lgkmcnt(0)
	s_barrier
	s_and_saveexec_b64 s[4:5], s[0:1]
	s_cbranch_execnz .LBB177_89
; %bb.35:
	s_or_b64 exec, exec, s[4:5]
	s_and_saveexec_b64 s[4:5], s[2:3]
	s_cbranch_execnz .LBB177_90
.LBB177_36:
	s_or_b64 exec, exec, s[4:5]
	s_and_saveexec_b64 s[4:5], s[40:41]
	s_cbranch_execnz .LBB177_91
.LBB177_37:
	s_or_b64 exec, exec, s[4:5]
	s_and_saveexec_b64 s[4:5], s[6:7]
	s_cbranch_execnz .LBB177_92
.LBB177_38:
	s_or_b64 exec, exec, s[4:5]
	s_and_saveexec_b64 s[4:5], s[8:9]
	s_cbranch_execnz .LBB177_93
.LBB177_39:
	s_or_b64 exec, exec, s[4:5]
	s_and_saveexec_b64 s[4:5], s[10:11]
	s_cbranch_execnz .LBB177_94
.LBB177_40:
	s_or_b64 exec, exec, s[4:5]
	s_and_saveexec_b64 s[4:5], s[12:13]
	s_cbranch_execnz .LBB177_95
.LBB177_41:
	s_or_b64 exec, exec, s[4:5]
	s_xor_b64 s[4:5], s[34:35], -1
	s_and_saveexec_b64 s[16:17], s[14:15]
	s_cbranch_execz .LBB177_43
.LBB177_42:
	v_mad_u64_u32 v[16:17], s[18:19], v27, s46, 0
	v_mov_b32_e32 v22, v17
	v_mad_u64_u32 v[22:23], s[18:19], v27, s47, v[22:23]
	v_mov_b32_e32 v17, v22
	v_lshlrev_b64 v[16:17], 3, v[16:17]
	v_mov_b32_e32 v1, s52
	v_add_co_u32_e32 v16, vcc, s51, v16
	v_addc_co_u32_e32 v17, vcc, v1, v17, vcc
	global_load_dwordx2 v[16:17], v[16:17], off
.LBB177_43:
	s_or_b64 exec, exec, s[16:17]
	v_add_lshl_u32 v52, v36, v42, 3
	v_add_lshl_u32 v54, v35, v42, 3
	;; [unrolled: 1-line block ×9, first 2 shown]
	s_waitcnt vmcnt(0)
	ds_write_b64 v52, v[2:3]
	ds_write_b64 v54, v[4:5] offset:1024
	ds_write_b64 v55, v[6:7] offset:2048
	;; [unrolled: 1-line block ×7, first 2 shown]
	s_waitcnt lgkmcnt(0)
	s_barrier
	ds_read2_b64 v[14:17], v61 offset1:1
	ds_read2_b64 v[10:13], v61 offset0:2 offset1:3
	ds_read2_b64 v[6:9], v61 offset0:4 offset1:5
	;; [unrolled: 1-line block ×3, first 2 shown]
	v_mbcnt_lo_u32_b32 v1, -1, 0
	v_mbcnt_hi_u32_b32 v63, -1, v1
	v_and_b32_e32 v65, 0x3c0, v42
	v_add_u32_e32 v1, v63, v65
	v_and_b32_e32 v64, 0x1e00, v53
	v_lshlrev_b32_e32 v22, 3, v1
	v_lshlrev_b32_e32 v71, 4, v1
	v_or_b32_e32 v1, v63, v64
	v_lshlrev_b32_e32 v70, 1, v1
	s_and_b64 vcc, exec, s[4:5]
	v_bfe_u32 v66, v0, 10, 10
	v_bfe_u32 v67, v0, 20, 10
	v_lshlrev_b32_e32 v69, 3, v22
	v_lshlrev_b32_e32 v68, 3, v1
	;; [unrolled: 1-line block ×3, first 2 shown]
	s_waitcnt lgkmcnt(0)
	s_barrier
	s_cbranch_vccz .LBB177_96
; %bb.44:
	s_movk_i32 s4, 0x8000
	v_xor_b32_e32 v0, 0xffff8000, v18
	v_xor_b32_sdwa v1, v18, s4 dst_sel:DWORD dst_unused:UNUSED_PAD src0_sel:WORD_1 src1_sel:DWORD
	v_xor_b32_e32 v22, 0xffff8000, v19
	v_xor_b32_sdwa v23, v19, s4 dst_sel:DWORD dst_unused:UNUSED_PAD src0_sel:WORD_1 src1_sel:DWORD
	;; [unrolled: 2-line block ×4, first 2 shown]
	s_mov_b32 s4, 0x5040100
	v_perm_b32 v25, v27, v25, s4
	v_perm_b32 v24, v26, v24, s4
	;; [unrolled: 1-line block ×4, first 2 shown]
	ds_write_b128 v71, v[22:25]
	; wave barrier
	ds_read_u16 v82, v70
	ds_read_u16 v81, v70 offset:128
	ds_read_u16 v80, v70 offset:256
	;; [unrolled: 1-line block ×7, first 2 shown]
	s_waitcnt lgkmcnt(0)
	s_barrier
	ds_write2_b64 v69, v[14:15], v[16:17] offset1:1
	ds_write2_b64 v69, v[10:11], v[12:13] offset0:2 offset1:3
	ds_write2_b64 v69, v[6:7], v[8:9] offset0:4 offset1:5
	;; [unrolled: 1-line block ×3, first 2 shown]
	; wave barrier
	ds_read2st64_b64 v[34:37], v68 offset1:1
	ds_read2st64_b64 v[30:33], v68 offset0:2 offset1:3
	ds_read2st64_b64 v[26:29], v68 offset0:4 offset1:5
	;; [unrolled: 1-line block ×3, first 2 shown]
	s_waitcnt lgkmcnt(0)
	s_barrier
	s_load_dword s16, s[48:49], 0xc
	s_getpc_b64 s[4:5]
	s_add_u32 s4, s4, _ZN7rocprim17ROCPRIM_400000_NS16block_radix_sortIsLj128ELj8ElLj1ELj1ELj0ELNS0_26block_radix_rank_algorithmE1ELNS0_18block_padding_hintE2ELNS0_4arch9wavefront6targetE1EE19radix_bits_per_passE@rel32@lo+4
	s_addc_u32 s5, s5, _ZN7rocprim17ROCPRIM_400000_NS16block_radix_sortIsLj128ELj8ElLj1ELj1ELj0ELNS0_26block_radix_rank_algorithmE1ELNS0_18block_padding_hintE2ELNS0_4arch9wavefront6targetE1EE19radix_bits_per_passE@rel32@hi+12
	s_load_dword s42, s[4:5], 0x0
	s_waitcnt lgkmcnt(0)
	s_lshr_b32 s4, s16, 16
	s_and_b32 s5, s16, 0xffff
	v_mad_u32_u24 v0, v67, s4, v66
	v_mad_u64_u32 v[0:1], s[4:5], v0, s5, v[42:43]
	s_min_u32 s4, s42, 16
	s_lshl_b32 s4, -1, s4
	s_not_b32 s16, s4
	v_and_b32_sdwa v38, s16, v82 dst_sel:DWORD dst_unused:UNUSED_PAD src0_sel:DWORD src1_sel:WORD_0
	v_lshrrev_b32_e32 v72, 6, v0
	v_lshlrev_b32_e32 v1, 1, v38
	v_add_lshl_u32 v85, v72, v1, 2
	v_and_b32_e32 v1, 1, v38
	v_add_co_u32_e32 v39, vcc, -1, v1
	v_addc_co_u32_e64 v40, s[4:5], 0, -1, vcc
	v_cmp_ne_u32_e32 vcc, 0, v1
	v_xor_b32_e32 v1, vcc_hi, v40
	v_mov_b32_e32 v0, 0
	v_and_b32_e32 v40, exec_hi, v1
	v_lshlrev_b32_e32 v1, 30, v38
	v_xor_b32_e32 v39, vcc_lo, v39
	v_cmp_gt_i64_e32 vcc, 0, v[0:1]
	v_not_b32_e32 v1, v1
	v_ashrrev_i32_e32 v1, 31, v1
	v_and_b32_e32 v39, exec_lo, v39
	v_xor_b32_e32 v41, vcc_hi, v1
	v_xor_b32_e32 v1, vcc_lo, v1
	v_and_b32_e32 v39, v39, v1
	v_lshlrev_b32_e32 v1, 29, v38
	v_cmp_gt_i64_e32 vcc, 0, v[0:1]
	v_not_b32_e32 v1, v1
	v_ashrrev_i32_e32 v1, 31, v1
	v_and_b32_e32 v40, v40, v41
	v_xor_b32_e32 v41, vcc_hi, v1
	v_xor_b32_e32 v1, vcc_lo, v1
	v_and_b32_e32 v39, v39, v1
	v_lshlrev_b32_e32 v1, 28, v38
	v_cmp_gt_i64_e32 vcc, 0, v[0:1]
	v_not_b32_e32 v1, v1
	v_ashrrev_i32_e32 v1, 31, v1
	v_and_b32_e32 v40, v40, v41
	;; [unrolled: 8-line block ×5, first 2 shown]
	v_xor_b32_e32 v41, vcc_hi, v1
	v_xor_b32_e32 v1, vcc_lo, v1
	v_and_b32_e32 v40, v40, v41
	v_and_b32_e32 v41, v39, v1
	v_lshlrev_b32_e32 v1, 24, v38
	v_cmp_gt_i64_e32 vcc, 0, v[0:1]
	v_not_b32_e32 v1, v1
	v_ashrrev_i32_e32 v1, 31, v1
	v_xor_b32_e32 v38, vcc_hi, v1
	v_xor_b32_e32 v1, vcc_lo, v1
	v_and_b32_e32 v39, v40, v38
	v_and_b32_e32 v38, v41, v1
	v_mbcnt_lo_u32_b32 v1, v38, 0
	v_mbcnt_hi_u32_b32 v86, v39, v1
	v_cmp_eq_u32_e32 vcc, 0, v86
	v_cmp_ne_u64_e64 s[4:5], 0, v[38:39]
	s_and_b64 s[18:19], s[4:5], vcc
	ds_write2_b32 v62, v0, v0 offset0:2 offset1:3
	ds_write2_b32 v62, v0, v0 offset0:4 offset1:5
	s_waitcnt lgkmcnt(0)
	s_barrier
	s_waitcnt lgkmcnt(0)
	; wave barrier
	s_and_saveexec_b64 s[4:5], s[18:19]
	s_cbranch_execz .LBB177_46
; %bb.45:
	v_bcnt_u32_b32 v1, v38, 0
	v_bcnt_u32_b32 v1, v39, v1
	ds_write_b32 v85, v1 offset:8
.LBB177_46:
	s_or_b64 exec, exec, s[4:5]
	v_and_b32_sdwa v38, s16, v81 dst_sel:DWORD dst_unused:UNUSED_PAD src0_sel:DWORD src1_sel:WORD_0
	v_lshlrev_b32_e32 v1, 1, v38
	v_add_lshl_u32 v88, v72, v1, 2
	v_and_b32_e32 v1, 1, v38
	v_add_co_u32_e32 v39, vcc, -1, v1
	v_addc_co_u32_e64 v40, s[4:5], 0, -1, vcc
	v_cmp_ne_u32_e32 vcc, 0, v1
	v_xor_b32_e32 v1, vcc_hi, v40
	v_and_b32_e32 v40, exec_hi, v1
	v_lshlrev_b32_e32 v1, 30, v38
	v_xor_b32_e32 v39, vcc_lo, v39
	v_cmp_gt_i64_e32 vcc, 0, v[0:1]
	v_not_b32_e32 v1, v1
	v_ashrrev_i32_e32 v1, 31, v1
	v_and_b32_e32 v39, exec_lo, v39
	v_xor_b32_e32 v41, vcc_hi, v1
	v_xor_b32_e32 v1, vcc_lo, v1
	v_and_b32_e32 v39, v39, v1
	v_lshlrev_b32_e32 v1, 29, v38
	v_cmp_gt_i64_e32 vcc, 0, v[0:1]
	v_not_b32_e32 v1, v1
	v_ashrrev_i32_e32 v1, 31, v1
	v_and_b32_e32 v40, v40, v41
	v_xor_b32_e32 v41, vcc_hi, v1
	v_xor_b32_e32 v1, vcc_lo, v1
	v_and_b32_e32 v39, v39, v1
	v_lshlrev_b32_e32 v1, 28, v38
	v_cmp_gt_i64_e32 vcc, 0, v[0:1]
	v_not_b32_e32 v1, v1
	v_ashrrev_i32_e32 v1, 31, v1
	v_and_b32_e32 v40, v40, v41
	v_xor_b32_e32 v41, vcc_hi, v1
	v_xor_b32_e32 v1, vcc_lo, v1
	v_and_b32_e32 v39, v39, v1
	v_lshlrev_b32_e32 v1, 27, v38
	v_cmp_gt_i64_e32 vcc, 0, v[0:1]
	v_not_b32_e32 v1, v1
	v_ashrrev_i32_e32 v1, 31, v1
	v_and_b32_e32 v40, v40, v41
	v_xor_b32_e32 v41, vcc_hi, v1
	v_xor_b32_e32 v1, vcc_lo, v1
	v_and_b32_e32 v39, v39, v1
	v_lshlrev_b32_e32 v1, 26, v38
	v_cmp_gt_i64_e32 vcc, 0, v[0:1]
	v_not_b32_e32 v1, v1
	v_ashrrev_i32_e32 v1, 31, v1
	v_and_b32_e32 v40, v40, v41
	v_xor_b32_e32 v41, vcc_hi, v1
	v_xor_b32_e32 v1, vcc_lo, v1
	v_and_b32_e32 v39, v39, v1
	v_lshlrev_b32_e32 v1, 25, v38
	v_cmp_gt_i64_e32 vcc, 0, v[0:1]
	v_not_b32_e32 v1, v1
	v_ashrrev_i32_e32 v1, 31, v1
	v_and_b32_e32 v40, v40, v41
	v_xor_b32_e32 v41, vcc_hi, v1
	v_xor_b32_e32 v1, vcc_lo, v1
	v_and_b32_e32 v39, v39, v1
	v_lshlrev_b32_e32 v1, 24, v38
	v_cmp_gt_i64_e32 vcc, 0, v[0:1]
	v_not_b32_e32 v0, v1
	v_ashrrev_i32_e32 v0, 31, v0
	v_xor_b32_e32 v1, vcc_hi, v0
	v_xor_b32_e32 v0, vcc_lo, v0
	; wave barrier
	ds_read_b32 v87, v88 offset:8
	v_and_b32_e32 v40, v40, v41
	v_and_b32_e32 v0, v39, v0
	;; [unrolled: 1-line block ×3, first 2 shown]
	v_mbcnt_lo_u32_b32 v38, v0, 0
	v_mbcnt_hi_u32_b32 v89, v1, v38
	v_cmp_eq_u32_e32 vcc, 0, v89
	v_cmp_ne_u64_e64 s[4:5], 0, v[0:1]
	s_and_b64 s[18:19], s[4:5], vcc
	; wave barrier
	s_and_saveexec_b64 s[4:5], s[18:19]
	s_cbranch_execz .LBB177_48
; %bb.47:
	v_bcnt_u32_b32 v0, v0, 0
	v_bcnt_u32_b32 v0, v1, v0
	s_waitcnt lgkmcnt(0)
	v_add_u32_e32 v0, v87, v0
	ds_write_b32 v88, v0 offset:8
.LBB177_48:
	s_or_b64 exec, exec, s[4:5]
	v_and_b32_sdwa v38, s16, v80 dst_sel:DWORD dst_unused:UNUSED_PAD src0_sel:DWORD src1_sel:WORD_0
	v_and_b32_e32 v1, 1, v38
	v_add_co_u32_e32 v39, vcc, -1, v1
	v_addc_co_u32_e64 v40, s[4:5], 0, -1, vcc
	v_cmp_ne_u32_e32 vcc, 0, v1
	v_lshlrev_b32_e32 v0, 1, v38
	v_xor_b32_e32 v1, vcc_hi, v40
	v_add_lshl_u32 v91, v72, v0, 2
	v_mov_b32_e32 v0, 0
	v_and_b32_e32 v40, exec_hi, v1
	v_lshlrev_b32_e32 v1, 30, v38
	v_xor_b32_e32 v39, vcc_lo, v39
	v_cmp_gt_i64_e32 vcc, 0, v[0:1]
	v_not_b32_e32 v1, v1
	v_ashrrev_i32_e32 v1, 31, v1
	v_and_b32_e32 v39, exec_lo, v39
	v_xor_b32_e32 v41, vcc_hi, v1
	v_xor_b32_e32 v1, vcc_lo, v1
	v_and_b32_e32 v39, v39, v1
	v_lshlrev_b32_e32 v1, 29, v38
	v_cmp_gt_i64_e32 vcc, 0, v[0:1]
	v_not_b32_e32 v1, v1
	v_ashrrev_i32_e32 v1, 31, v1
	v_and_b32_e32 v40, v40, v41
	v_xor_b32_e32 v41, vcc_hi, v1
	v_xor_b32_e32 v1, vcc_lo, v1
	v_and_b32_e32 v39, v39, v1
	v_lshlrev_b32_e32 v1, 28, v38
	v_cmp_gt_i64_e32 vcc, 0, v[0:1]
	v_not_b32_e32 v1, v1
	v_ashrrev_i32_e32 v1, 31, v1
	v_and_b32_e32 v40, v40, v41
	;; [unrolled: 8-line block ×5, first 2 shown]
	v_xor_b32_e32 v41, vcc_hi, v1
	v_xor_b32_e32 v1, vcc_lo, v1
	v_and_b32_e32 v40, v40, v41
	v_and_b32_e32 v41, v39, v1
	v_lshlrev_b32_e32 v1, 24, v38
	v_cmp_gt_i64_e32 vcc, 0, v[0:1]
	v_not_b32_e32 v1, v1
	v_ashrrev_i32_e32 v1, 31, v1
	v_xor_b32_e32 v38, vcc_hi, v1
	v_xor_b32_e32 v1, vcc_lo, v1
	; wave barrier
	ds_read_b32 v90, v91 offset:8
	v_and_b32_e32 v39, v40, v38
	v_and_b32_e32 v38, v41, v1
	v_mbcnt_lo_u32_b32 v1, v38, 0
	v_mbcnt_hi_u32_b32 v92, v39, v1
	v_cmp_eq_u32_e32 vcc, 0, v92
	v_cmp_ne_u64_e64 s[4:5], 0, v[38:39]
	s_and_b64 s[18:19], s[4:5], vcc
	; wave barrier
	s_and_saveexec_b64 s[4:5], s[18:19]
	s_cbranch_execz .LBB177_50
; %bb.49:
	v_bcnt_u32_b32 v1, v38, 0
	v_bcnt_u32_b32 v1, v39, v1
	s_waitcnt lgkmcnt(0)
	v_add_u32_e32 v1, v90, v1
	ds_write_b32 v91, v1 offset:8
.LBB177_50:
	s_or_b64 exec, exec, s[4:5]
	v_and_b32_sdwa v38, s16, v79 dst_sel:DWORD dst_unused:UNUSED_PAD src0_sel:DWORD src1_sel:WORD_0
	v_lshlrev_b32_e32 v1, 1, v38
	v_add_lshl_u32 v94, v72, v1, 2
	v_and_b32_e32 v1, 1, v38
	v_add_co_u32_e32 v39, vcc, -1, v1
	v_addc_co_u32_e64 v40, s[4:5], 0, -1, vcc
	v_cmp_ne_u32_e32 vcc, 0, v1
	v_xor_b32_e32 v1, vcc_hi, v40
	v_and_b32_e32 v40, exec_hi, v1
	v_lshlrev_b32_e32 v1, 30, v38
	v_xor_b32_e32 v39, vcc_lo, v39
	v_cmp_gt_i64_e32 vcc, 0, v[0:1]
	v_not_b32_e32 v1, v1
	v_ashrrev_i32_e32 v1, 31, v1
	v_and_b32_e32 v39, exec_lo, v39
	v_xor_b32_e32 v41, vcc_hi, v1
	v_xor_b32_e32 v1, vcc_lo, v1
	v_and_b32_e32 v39, v39, v1
	v_lshlrev_b32_e32 v1, 29, v38
	v_cmp_gt_i64_e32 vcc, 0, v[0:1]
	v_not_b32_e32 v1, v1
	v_ashrrev_i32_e32 v1, 31, v1
	v_and_b32_e32 v40, v40, v41
	v_xor_b32_e32 v41, vcc_hi, v1
	v_xor_b32_e32 v1, vcc_lo, v1
	v_and_b32_e32 v39, v39, v1
	v_lshlrev_b32_e32 v1, 28, v38
	v_cmp_gt_i64_e32 vcc, 0, v[0:1]
	v_not_b32_e32 v1, v1
	v_ashrrev_i32_e32 v1, 31, v1
	v_and_b32_e32 v40, v40, v41
	;; [unrolled: 8-line block ×5, first 2 shown]
	v_xor_b32_e32 v41, vcc_hi, v1
	v_xor_b32_e32 v1, vcc_lo, v1
	v_and_b32_e32 v39, v39, v1
	v_lshlrev_b32_e32 v1, 24, v38
	v_cmp_gt_i64_e32 vcc, 0, v[0:1]
	v_not_b32_e32 v0, v1
	v_ashrrev_i32_e32 v0, 31, v0
	v_xor_b32_e32 v1, vcc_hi, v0
	v_xor_b32_e32 v0, vcc_lo, v0
	; wave barrier
	ds_read_b32 v93, v94 offset:8
	v_and_b32_e32 v40, v40, v41
	v_and_b32_e32 v0, v39, v0
	;; [unrolled: 1-line block ×3, first 2 shown]
	v_mbcnt_lo_u32_b32 v38, v0, 0
	v_mbcnt_hi_u32_b32 v95, v1, v38
	v_cmp_eq_u32_e32 vcc, 0, v95
	v_cmp_ne_u64_e64 s[4:5], 0, v[0:1]
	s_and_b64 s[18:19], s[4:5], vcc
	; wave barrier
	s_and_saveexec_b64 s[4:5], s[18:19]
	s_cbranch_execz .LBB177_52
; %bb.51:
	v_bcnt_u32_b32 v0, v0, 0
	v_bcnt_u32_b32 v0, v1, v0
	s_waitcnt lgkmcnt(0)
	v_add_u32_e32 v0, v93, v0
	ds_write_b32 v94, v0 offset:8
.LBB177_52:
	s_or_b64 exec, exec, s[4:5]
	v_and_b32_sdwa v38, s16, v78 dst_sel:DWORD dst_unused:UNUSED_PAD src0_sel:DWORD src1_sel:WORD_0
	v_and_b32_e32 v1, 1, v38
	v_add_co_u32_e32 v39, vcc, -1, v1
	v_addc_co_u32_e64 v40, s[4:5], 0, -1, vcc
	v_cmp_ne_u32_e32 vcc, 0, v1
	v_lshlrev_b32_e32 v0, 1, v38
	v_xor_b32_e32 v1, vcc_hi, v40
	v_add_lshl_u32 v97, v72, v0, 2
	v_mov_b32_e32 v0, 0
	v_and_b32_e32 v40, exec_hi, v1
	v_lshlrev_b32_e32 v1, 30, v38
	v_xor_b32_e32 v39, vcc_lo, v39
	v_cmp_gt_i64_e32 vcc, 0, v[0:1]
	v_not_b32_e32 v1, v1
	v_ashrrev_i32_e32 v1, 31, v1
	v_and_b32_e32 v39, exec_lo, v39
	v_xor_b32_e32 v41, vcc_hi, v1
	v_xor_b32_e32 v1, vcc_lo, v1
	v_and_b32_e32 v39, v39, v1
	v_lshlrev_b32_e32 v1, 29, v38
	v_cmp_gt_i64_e32 vcc, 0, v[0:1]
	v_not_b32_e32 v1, v1
	v_ashrrev_i32_e32 v1, 31, v1
	v_and_b32_e32 v40, v40, v41
	v_xor_b32_e32 v41, vcc_hi, v1
	v_xor_b32_e32 v1, vcc_lo, v1
	v_and_b32_e32 v39, v39, v1
	v_lshlrev_b32_e32 v1, 28, v38
	v_cmp_gt_i64_e32 vcc, 0, v[0:1]
	v_not_b32_e32 v1, v1
	v_ashrrev_i32_e32 v1, 31, v1
	v_and_b32_e32 v40, v40, v41
	v_xor_b32_e32 v41, vcc_hi, v1
	v_xor_b32_e32 v1, vcc_lo, v1
	v_and_b32_e32 v39, v39, v1
	v_lshlrev_b32_e32 v1, 27, v38
	v_cmp_gt_i64_e32 vcc, 0, v[0:1]
	v_not_b32_e32 v1, v1
	v_ashrrev_i32_e32 v1, 31, v1
	v_and_b32_e32 v40, v40, v41
	v_xor_b32_e32 v41, vcc_hi, v1
	v_xor_b32_e32 v1, vcc_lo, v1
	v_and_b32_e32 v39, v39, v1
	v_lshlrev_b32_e32 v1, 26, v38
	v_cmp_gt_i64_e32 vcc, 0, v[0:1]
	v_not_b32_e32 v1, v1
	v_ashrrev_i32_e32 v1, 31, v1
	v_and_b32_e32 v40, v40, v41
	v_xor_b32_e32 v41, vcc_hi, v1
	v_xor_b32_e32 v1, vcc_lo, v1
	v_and_b32_e32 v39, v39, v1
	v_lshlrev_b32_e32 v1, 25, v38
	v_cmp_gt_i64_e32 vcc, 0, v[0:1]
	v_not_b32_e32 v1, v1
	v_ashrrev_i32_e32 v1, 31, v1
	v_and_b32_e32 v40, v40, v41
	v_xor_b32_e32 v41, vcc_hi, v1
	v_xor_b32_e32 v1, vcc_lo, v1
	v_and_b32_e32 v40, v40, v41
	v_and_b32_e32 v41, v39, v1
	v_lshlrev_b32_e32 v1, 24, v38
	v_cmp_gt_i64_e32 vcc, 0, v[0:1]
	v_not_b32_e32 v1, v1
	v_ashrrev_i32_e32 v1, 31, v1
	v_xor_b32_e32 v38, vcc_hi, v1
	v_xor_b32_e32 v1, vcc_lo, v1
	; wave barrier
	ds_read_b32 v96, v97 offset:8
	v_and_b32_e32 v39, v40, v38
	v_and_b32_e32 v38, v41, v1
	v_mbcnt_lo_u32_b32 v1, v38, 0
	v_mbcnt_hi_u32_b32 v98, v39, v1
	v_cmp_eq_u32_e32 vcc, 0, v98
	v_cmp_ne_u64_e64 s[4:5], 0, v[38:39]
	s_and_b64 s[18:19], s[4:5], vcc
	; wave barrier
	s_and_saveexec_b64 s[4:5], s[18:19]
	s_cbranch_execz .LBB177_54
; %bb.53:
	v_bcnt_u32_b32 v1, v38, 0
	v_bcnt_u32_b32 v1, v39, v1
	s_waitcnt lgkmcnt(0)
	v_add_u32_e32 v1, v96, v1
	ds_write_b32 v97, v1 offset:8
.LBB177_54:
	s_or_b64 exec, exec, s[4:5]
	v_and_b32_sdwa v38, s16, v77 dst_sel:DWORD dst_unused:UNUSED_PAD src0_sel:DWORD src1_sel:WORD_0
	v_lshlrev_b32_e32 v1, 1, v38
	v_add_lshl_u32 v100, v72, v1, 2
	v_and_b32_e32 v1, 1, v38
	v_add_co_u32_e32 v39, vcc, -1, v1
	v_addc_co_u32_e64 v40, s[4:5], 0, -1, vcc
	v_cmp_ne_u32_e32 vcc, 0, v1
	v_xor_b32_e32 v1, vcc_hi, v40
	v_and_b32_e32 v40, exec_hi, v1
	v_lshlrev_b32_e32 v1, 30, v38
	v_xor_b32_e32 v39, vcc_lo, v39
	v_cmp_gt_i64_e32 vcc, 0, v[0:1]
	v_not_b32_e32 v1, v1
	v_ashrrev_i32_e32 v1, 31, v1
	v_and_b32_e32 v39, exec_lo, v39
	v_xor_b32_e32 v41, vcc_hi, v1
	v_xor_b32_e32 v1, vcc_lo, v1
	v_and_b32_e32 v39, v39, v1
	v_lshlrev_b32_e32 v1, 29, v38
	v_cmp_gt_i64_e32 vcc, 0, v[0:1]
	v_not_b32_e32 v1, v1
	v_ashrrev_i32_e32 v1, 31, v1
	v_and_b32_e32 v40, v40, v41
	v_xor_b32_e32 v41, vcc_hi, v1
	v_xor_b32_e32 v1, vcc_lo, v1
	v_and_b32_e32 v39, v39, v1
	v_lshlrev_b32_e32 v1, 28, v38
	v_cmp_gt_i64_e32 vcc, 0, v[0:1]
	v_not_b32_e32 v1, v1
	v_ashrrev_i32_e32 v1, 31, v1
	v_and_b32_e32 v40, v40, v41
	v_xor_b32_e32 v41, vcc_hi, v1
	v_xor_b32_e32 v1, vcc_lo, v1
	v_and_b32_e32 v39, v39, v1
	v_lshlrev_b32_e32 v1, 27, v38
	v_cmp_gt_i64_e32 vcc, 0, v[0:1]
	v_not_b32_e32 v1, v1
	v_ashrrev_i32_e32 v1, 31, v1
	v_and_b32_e32 v40, v40, v41
	v_xor_b32_e32 v41, vcc_hi, v1
	v_xor_b32_e32 v1, vcc_lo, v1
	v_and_b32_e32 v39, v39, v1
	v_lshlrev_b32_e32 v1, 26, v38
	v_cmp_gt_i64_e32 vcc, 0, v[0:1]
	v_not_b32_e32 v1, v1
	v_ashrrev_i32_e32 v1, 31, v1
	v_and_b32_e32 v40, v40, v41
	v_xor_b32_e32 v41, vcc_hi, v1
	v_xor_b32_e32 v1, vcc_lo, v1
	v_and_b32_e32 v39, v39, v1
	v_lshlrev_b32_e32 v1, 25, v38
	v_cmp_gt_i64_e32 vcc, 0, v[0:1]
	v_not_b32_e32 v1, v1
	v_ashrrev_i32_e32 v1, 31, v1
	v_and_b32_e32 v40, v40, v41
	v_xor_b32_e32 v41, vcc_hi, v1
	v_xor_b32_e32 v1, vcc_lo, v1
	v_and_b32_e32 v39, v39, v1
	v_lshlrev_b32_e32 v1, 24, v38
	v_cmp_gt_i64_e32 vcc, 0, v[0:1]
	v_not_b32_e32 v0, v1
	v_ashrrev_i32_e32 v0, 31, v0
	v_xor_b32_e32 v1, vcc_hi, v0
	v_xor_b32_e32 v0, vcc_lo, v0
	; wave barrier
	ds_read_b32 v99, v100 offset:8
	v_and_b32_e32 v40, v40, v41
	v_and_b32_e32 v0, v39, v0
	;; [unrolled: 1-line block ×3, first 2 shown]
	v_mbcnt_lo_u32_b32 v38, v0, 0
	v_mbcnt_hi_u32_b32 v101, v1, v38
	v_cmp_eq_u32_e32 vcc, 0, v101
	v_cmp_ne_u64_e64 s[4:5], 0, v[0:1]
	s_and_b64 s[18:19], s[4:5], vcc
	; wave barrier
	s_and_saveexec_b64 s[4:5], s[18:19]
	s_cbranch_execz .LBB177_56
; %bb.55:
	v_bcnt_u32_b32 v0, v0, 0
	v_bcnt_u32_b32 v0, v1, v0
	s_waitcnt lgkmcnt(0)
	v_add_u32_e32 v0, v99, v0
	ds_write_b32 v100, v0 offset:8
.LBB177_56:
	s_or_b64 exec, exec, s[4:5]
	v_and_b32_sdwa v38, s16, v76 dst_sel:DWORD dst_unused:UNUSED_PAD src0_sel:DWORD src1_sel:WORD_0
	v_and_b32_e32 v1, 1, v38
	v_add_co_u32_e32 v39, vcc, -1, v1
	v_addc_co_u32_e64 v40, s[4:5], 0, -1, vcc
	v_cmp_ne_u32_e32 vcc, 0, v1
	v_lshlrev_b32_e32 v0, 1, v38
	v_xor_b32_e32 v1, vcc_hi, v40
	v_add_lshl_u32 v103, v72, v0, 2
	v_mov_b32_e32 v0, 0
	v_and_b32_e32 v40, exec_hi, v1
	v_lshlrev_b32_e32 v1, 30, v38
	v_xor_b32_e32 v39, vcc_lo, v39
	v_cmp_gt_i64_e32 vcc, 0, v[0:1]
	v_not_b32_e32 v1, v1
	v_ashrrev_i32_e32 v1, 31, v1
	v_and_b32_e32 v39, exec_lo, v39
	v_xor_b32_e32 v41, vcc_hi, v1
	v_xor_b32_e32 v1, vcc_lo, v1
	v_and_b32_e32 v39, v39, v1
	v_lshlrev_b32_e32 v1, 29, v38
	v_cmp_gt_i64_e32 vcc, 0, v[0:1]
	v_not_b32_e32 v1, v1
	v_ashrrev_i32_e32 v1, 31, v1
	v_and_b32_e32 v40, v40, v41
	v_xor_b32_e32 v41, vcc_hi, v1
	v_xor_b32_e32 v1, vcc_lo, v1
	v_and_b32_e32 v39, v39, v1
	v_lshlrev_b32_e32 v1, 28, v38
	v_cmp_gt_i64_e32 vcc, 0, v[0:1]
	v_not_b32_e32 v1, v1
	v_ashrrev_i32_e32 v1, 31, v1
	v_and_b32_e32 v40, v40, v41
	;; [unrolled: 8-line block ×5, first 2 shown]
	v_xor_b32_e32 v41, vcc_hi, v1
	v_xor_b32_e32 v1, vcc_lo, v1
	v_and_b32_e32 v40, v40, v41
	v_and_b32_e32 v41, v39, v1
	v_lshlrev_b32_e32 v1, 24, v38
	v_cmp_gt_i64_e32 vcc, 0, v[0:1]
	v_not_b32_e32 v1, v1
	v_ashrrev_i32_e32 v1, 31, v1
	v_xor_b32_e32 v38, vcc_hi, v1
	v_xor_b32_e32 v1, vcc_lo, v1
	; wave barrier
	ds_read_b32 v102, v103 offset:8
	v_and_b32_e32 v39, v40, v38
	v_and_b32_e32 v38, v41, v1
	v_mbcnt_lo_u32_b32 v1, v38, 0
	v_mbcnt_hi_u32_b32 v104, v39, v1
	v_cmp_eq_u32_e32 vcc, 0, v104
	v_cmp_ne_u64_e64 s[4:5], 0, v[38:39]
	s_and_b64 s[18:19], s[4:5], vcc
	; wave barrier
	s_and_saveexec_b64 s[4:5], s[18:19]
	s_cbranch_execz .LBB177_58
; %bb.57:
	v_bcnt_u32_b32 v1, v38, 0
	v_bcnt_u32_b32 v1, v39, v1
	s_waitcnt lgkmcnt(0)
	v_add_u32_e32 v1, v102, v1
	ds_write_b32 v103, v1 offset:8
.LBB177_58:
	s_or_b64 exec, exec, s[4:5]
	v_and_b32_sdwa v38, s16, v75 dst_sel:DWORD dst_unused:UNUSED_PAD src0_sel:DWORD src1_sel:WORD_0
	v_lshlrev_b32_e32 v1, 1, v38
	v_add_lshl_u32 v106, v72, v1, 2
	v_and_b32_e32 v1, 1, v38
	v_add_co_u32_e32 v39, vcc, -1, v1
	v_addc_co_u32_e64 v40, s[4:5], 0, -1, vcc
	v_cmp_ne_u32_e32 vcc, 0, v1
	v_xor_b32_e32 v1, vcc_hi, v40
	v_and_b32_e32 v40, exec_hi, v1
	v_lshlrev_b32_e32 v1, 30, v38
	v_xor_b32_e32 v39, vcc_lo, v39
	v_cmp_gt_i64_e32 vcc, 0, v[0:1]
	v_not_b32_e32 v1, v1
	v_ashrrev_i32_e32 v1, 31, v1
	v_and_b32_e32 v39, exec_lo, v39
	v_xor_b32_e32 v41, vcc_hi, v1
	v_xor_b32_e32 v1, vcc_lo, v1
	v_and_b32_e32 v39, v39, v1
	v_lshlrev_b32_e32 v1, 29, v38
	v_cmp_gt_i64_e32 vcc, 0, v[0:1]
	v_not_b32_e32 v1, v1
	v_ashrrev_i32_e32 v1, 31, v1
	v_and_b32_e32 v40, v40, v41
	v_xor_b32_e32 v41, vcc_hi, v1
	v_xor_b32_e32 v1, vcc_lo, v1
	v_and_b32_e32 v39, v39, v1
	v_lshlrev_b32_e32 v1, 28, v38
	v_cmp_gt_i64_e32 vcc, 0, v[0:1]
	v_not_b32_e32 v1, v1
	v_ashrrev_i32_e32 v1, 31, v1
	v_and_b32_e32 v40, v40, v41
	;; [unrolled: 8-line block ×5, first 2 shown]
	v_xor_b32_e32 v41, vcc_hi, v1
	v_xor_b32_e32 v1, vcc_lo, v1
	v_and_b32_e32 v39, v39, v1
	v_lshlrev_b32_e32 v1, 24, v38
	v_cmp_gt_i64_e32 vcc, 0, v[0:1]
	v_not_b32_e32 v0, v1
	v_ashrrev_i32_e32 v0, 31, v0
	v_xor_b32_e32 v1, vcc_hi, v0
	v_xor_b32_e32 v0, vcc_lo, v0
	; wave barrier
	ds_read_b32 v105, v106 offset:8
	v_and_b32_e32 v40, v40, v41
	v_and_b32_e32 v0, v39, v0
	;; [unrolled: 1-line block ×3, first 2 shown]
	v_mbcnt_lo_u32_b32 v38, v0, 0
	v_mbcnt_hi_u32_b32 v107, v1, v38
	v_cmp_eq_u32_e32 vcc, 0, v107
	v_cmp_ne_u64_e64 s[4:5], 0, v[0:1]
	v_or_b32_e32 v73, 8, v62
	v_lshrrev_b32_e32 v74, 6, v42
	v_min_u32_e32 v83, 64, v65
	s_and_b64 s[16:17], s[4:5], vcc
	; wave barrier
	s_and_saveexec_b64 s[4:5], s[16:17]
	s_cbranch_execz .LBB177_60
; %bb.59:
	v_bcnt_u32_b32 v0, v0, 0
	v_bcnt_u32_b32 v0, v1, v0
	s_waitcnt lgkmcnt(0)
	v_add_u32_e32 v0, v105, v0
	ds_write_b32 v106, v0 offset:8
.LBB177_60:
	s_or_b64 exec, exec, s[4:5]
	; wave barrier
	s_waitcnt lgkmcnt(0)
	s_barrier
	ds_read2_b32 v[38:39], v62 offset0:2 offset1:3
	ds_read2_b32 v[40:41], v73 offset0:2 offset1:3
	v_and_b32_e32 v1, 16, v63
	v_cmp_eq_u32_e32 vcc, 0, v1
	v_or_b32_e32 v1, 63, v83
	v_cmp_eq_u32_e64 s[16:17], v1, v42
	s_waitcnt lgkmcnt(1)
	v_add_u32_e32 v1, v39, v38
	v_and_b32_e32 v0, 15, v63
	s_waitcnt lgkmcnt(0)
	v_add3_u32 v1, v1, v40, v41
	v_cmp_eq_u32_e64 s[20:21], 0, v0
	v_cmp_lt_u32_e64 s[22:23], 1, v0
	v_mov_b32_dpp v41, v1 row_shr:1 row_mask:0xf bank_mask:0xf
	v_cndmask_b32_e64 v41, v41, 0, s[20:21]
	v_add_u32_e32 v1, v41, v1
	v_cmp_lt_u32_e64 s[26:27], 3, v0
	v_cmp_lt_u32_e64 s[28:29], 7, v0
	v_mov_b32_dpp v41, v1 row_shr:2 row_mask:0xf bank_mask:0xf
	v_cndmask_b32_e64 v41, 0, v41, s[22:23]
	v_add_u32_e32 v1, v1, v41
	v_bfe_i32 v84, v63, 4, 1
	v_cmp_lt_u32_e64 s[34:35], 31, v63
	v_mov_b32_dpp v41, v1 row_shr:4 row_mask:0xf bank_mask:0xf
	v_cndmask_b32_e64 v41, 0, v41, s[26:27]
	v_add_u32_e32 v1, v1, v41
	v_lshlrev_b32_e32 v74, 2, v74
	s_nop 0
	v_mov_b32_dpp v41, v1 row_shr:8 row_mask:0xf bank_mask:0xf
	v_cndmask_b32_e64 v0, 0, v41, s[28:29]
	v_add_u32_e32 v0, v1, v0
	s_nop 1
	v_mov_b32_dpp v1, v0 row_bcast:15 row_mask:0xf bank_mask:0xf
	v_and_b32_e32 v1, v84, v1
	v_add_u32_e32 v0, v0, v1
	s_nop 1
	v_mov_b32_dpp v1, v0 row_bcast:31 row_mask:0xf bank_mask:0xf
	v_cndmask_b32_e64 v1, 0, v1, s[34:35]
	v_add_u32_e32 v1, v0, v1
	s_and_saveexec_b64 s[4:5], s[16:17]
	s_cbranch_execz .LBB177_62
; %bb.61:
	ds_write_b32 v74, v1
.LBB177_62:
	s_or_b64 exec, exec, s[4:5]
	v_and_b32_e32 v0, 1, v63
	v_cmp_gt_u32_e64 s[24:25], 2, v42
	v_lshlrev_b32_e32 v41, 2, v42
	v_cmp_eq_u32_e64 s[18:19], 0, v0
	s_waitcnt lgkmcnt(0)
	s_barrier
	s_and_saveexec_b64 s[4:5], s[24:25]
	s_cbranch_execz .LBB177_64
; %bb.63:
	ds_read_b32 v0, v41
	s_waitcnt lgkmcnt(0)
	s_nop 0
	v_mov_b32_dpp v83, v0 row_shr:1 row_mask:0xf bank_mask:0xf
	v_cndmask_b32_e64 v83, v83, 0, s[18:19]
	v_add_u32_e32 v0, v83, v0
	ds_write_b32 v41, v0
.LBB177_64:
	s_or_b64 exec, exec, s[4:5]
	v_cmp_lt_u32_e64 s[30:31], 63, v42
	v_add_u32_e32 v83, -4, v74
	v_mov_b32_e32 v0, 0
	v_mov_b32_e32 v108, 0
	s_waitcnt lgkmcnt(0)
	s_barrier
	s_and_saveexec_b64 s[4:5], s[30:31]
	s_cbranch_execz .LBB177_66
; %bb.65:
	ds_read_b32 v108, v83
.LBB177_66:
	s_or_b64 exec, exec, s[4:5]
	v_add_u32_e32 v84, -1, v63
	v_and_b32_e32 v109, 64, v63
	v_cmp_lt_i32_e64 s[4:5], v84, v109
	v_cndmask_b32_e64 v84, v84, v63, s[4:5]
	v_lshlrev_b32_e32 v84, 2, v84
	s_waitcnt lgkmcnt(0)
	v_add_u32_e32 v1, v108, v1
	ds_bpermute_b32 v1, v84, v1
	v_cmp_eq_u32_e64 s[36:37], 0, v63
	v_cmp_eq_u32_e64 s[38:39], 0, v42
	v_and_or_b32 v109, v63, 63, v64
	v_lshlrev_b32_e32 v110, 1, v109
	s_waitcnt lgkmcnt(0)
	v_cndmask_b32_e64 v1, v1, v108, s[36:37]
	v_cndmask_b32_e64 v1, v1, 0, s[38:39]
	v_add_u32_e32 v38, v1, v38
	v_add_u32_e32 v39, v38, v39
	;; [unrolled: 1-line block ×3, first 2 shown]
	ds_write2_b32 v62, v1, v38 offset0:2 offset1:3
	ds_write2_b32 v73, v39, v40 offset0:2 offset1:3
	s_waitcnt lgkmcnt(0)
	s_barrier
	ds_read_b32 v1, v85 offset:8
	ds_read_b32 v38, v88 offset:8
	;; [unrolled: 1-line block ×8, first 2 shown]
	s_waitcnt lgkmcnt(7)
	v_add_u32_e32 v1, v1, v86
	s_waitcnt lgkmcnt(6)
	v_add3_u32 v38, v89, v87, v38
	s_waitcnt lgkmcnt(4)
	v_add3_u32 v86, v95, v93, v40
	v_lshlrev_b32_e32 v40, 1, v1
	v_add3_u32 v39, v92, v90, v39
	s_waitcnt lgkmcnt(0)
	s_barrier
	ds_write_b16 v40, v82
	v_lshlrev_b32_e32 v40, 1, v38
	ds_write_b16 v40, v81
	v_lshlrev_b32_e32 v40, 1, v39
	v_add3_u32 v85, v98, v96, v85
	ds_write_b16 v40, v80
	v_lshlrev_b32_e32 v40, 1, v86
	v_add3_u32 v87, v101, v99, v88
	;; [unrolled: 3-line block ×4, first 2 shown]
	ds_write_b16 v40, v77
	v_lshlrev_b32_e32 v40, 1, v88
	ds_write_b16 v40, v76
	v_lshlrev_b32_e32 v40, 1, v89
	v_lshlrev_b32_e32 v1, 3, v1
	ds_write_b16 v40, v75
	s_waitcnt lgkmcnt(0)
	s_barrier
	ds_read_u16 v81, v110
	ds_read_u16 v80, v110 offset:128
	ds_read_u16 v79, v110 offset:256
	;; [unrolled: 1-line block ×7, first 2 shown]
	s_waitcnt lgkmcnt(0)
	s_barrier
	ds_write_b64 v1, v[34:35]
	v_lshlrev_b32_e32 v1, 3, v38
	ds_write_b64 v1, v[36:37]
	v_lshlrev_b32_e32 v1, 3, v39
	;; [unrolled: 2-line block ×4, first 2 shown]
	s_min_u32 s4, s42, 8
	ds_write_b64 v1, v[26:27]
	v_lshlrev_b32_e32 v1, 3, v87
	s_lshl_b32 s4, -1, s4
	ds_write_b64 v1, v[28:29]
	v_lshlrev_b32_e32 v1, 3, v88
	s_not_b32 s53, s4
	ds_write_b64 v1, v[22:23]
	v_lshlrev_b32_e32 v1, 3, v89
	v_and_b32_sdwa v38, v81, s53 dst_sel:DWORD dst_unused:UNUSED_PAD src0_sel:BYTE_1 src1_sel:DWORD
	ds_write_b64 v1, v[24:25]
	v_lshlrev_b32_e32 v1, 1, v38
	v_add_lshl_u32 v82, v1, v72, 2
	v_and_b32_e32 v1, 1, v38
	v_add_co_u32_e64 v39, s[4:5], -1, v1
	v_addc_co_u32_e64 v85, s[4:5], 0, -1, s[4:5]
	v_cmp_ne_u32_e64 s[4:5], 0, v1
	v_xor_b32_e32 v1, s5, v85
	v_and_b32_e32 v85, exec_hi, v1
	v_lshlrev_b32_e32 v1, 30, v38
	v_xor_b32_e32 v39, s4, v39
	v_cmp_gt_i64_e64 s[4:5], 0, v[0:1]
	v_not_b32_e32 v1, v1
	v_ashrrev_i32_e32 v1, 31, v1
	v_and_b32_e32 v39, exec_lo, v39
	v_xor_b32_e32 v86, s5, v1
	v_xor_b32_e32 v1, s4, v1
	v_and_b32_e32 v39, v39, v1
	v_lshlrev_b32_e32 v1, 29, v38
	v_cmp_gt_i64_e64 s[4:5], 0, v[0:1]
	v_not_b32_e32 v1, v1
	v_ashrrev_i32_e32 v1, 31, v1
	v_and_b32_e32 v85, v85, v86
	v_xor_b32_e32 v86, s5, v1
	v_xor_b32_e32 v1, s4, v1
	v_and_b32_e32 v39, v39, v1
	v_lshlrev_b32_e32 v1, 28, v38
	v_cmp_gt_i64_e64 s[4:5], 0, v[0:1]
	v_not_b32_e32 v1, v1
	v_ashrrev_i32_e32 v1, 31, v1
	v_and_b32_e32 v85, v85, v86
	v_xor_b32_e32 v86, s5, v1
	v_xor_b32_e32 v1, s4, v1
	v_and_b32_e32 v39, v39, v1
	v_lshlrev_b32_e32 v1, 27, v38
	v_cmp_gt_i64_e64 s[4:5], 0, v[0:1]
	v_not_b32_e32 v1, v1
	v_ashrrev_i32_e32 v1, 31, v1
	v_and_b32_e32 v85, v85, v86
	v_xor_b32_e32 v86, s5, v1
	v_xor_b32_e32 v1, s4, v1
	v_and_b32_e32 v39, v39, v1
	v_lshlrev_b32_e32 v1, 26, v38
	v_cmp_gt_i64_e64 s[4:5], 0, v[0:1]
	v_not_b32_e32 v1, v1
	v_ashrrev_i32_e32 v1, 31, v1
	v_and_b32_e32 v85, v85, v86
	v_xor_b32_e32 v86, s5, v1
	v_xor_b32_e32 v1, s4, v1
	v_and_b32_e32 v39, v39, v1
	v_lshlrev_b32_e32 v1, 25, v38
	v_cmp_gt_i64_e64 s[4:5], 0, v[0:1]
	v_not_b32_e32 v1, v1
	v_ashrrev_i32_e32 v1, 31, v1
	v_and_b32_e32 v85, v85, v86
	v_xor_b32_e32 v86, s5, v1
	v_xor_b32_e32 v1, s4, v1
	v_lshlrev_b32_e32 v109, 3, v109
	v_and_b32_e32 v39, v39, v1
	v_lshlrev_b32_e32 v1, 24, v38
	s_waitcnt lgkmcnt(0)
	s_barrier
	ds_read2st64_b64 v[34:37], v109 offset1:1
	ds_read2st64_b64 v[30:33], v109 offset0:2 offset1:3
	ds_read2st64_b64 v[26:29], v109 offset0:4 offset1:5
	ds_read2st64_b64 v[22:25], v109 offset0:6 offset1:7
	s_waitcnt lgkmcnt(0)
	s_barrier
	ds_write2_b32 v62, v0, v0 offset0:2 offset1:3
	ds_write2_b32 v73, v0, v0 offset0:2 offset1:3
	v_cmp_gt_i64_e64 s[4:5], 0, v[0:1]
	v_not_b32_e32 v0, v1
	v_ashrrev_i32_e32 v0, 31, v0
	v_xor_b32_e32 v1, s5, v0
	v_xor_b32_e32 v0, s4, v0
	v_and_b32_e32 v85, v85, v86
	v_and_b32_e32 v0, v39, v0
	;; [unrolled: 1-line block ×3, first 2 shown]
	v_mbcnt_lo_u32_b32 v38, v0, 0
	v_mbcnt_hi_u32_b32 v85, v1, v38
	v_cmp_eq_u32_e64 s[4:5], 0, v85
	v_cmp_ne_u64_e64 s[42:43], 0, v[0:1]
	s_and_b64 s[42:43], s[42:43], s[4:5]
	s_waitcnt lgkmcnt(0)
	s_barrier
	s_waitcnt lgkmcnt(0)
	; wave barrier
	s_and_saveexec_b64 s[4:5], s[42:43]
	s_cbranch_execz .LBB177_68
; %bb.67:
	v_bcnt_u32_b32 v0, v0, 0
	v_bcnt_u32_b32 v0, v1, v0
	ds_write_b32 v82, v0 offset:8
.LBB177_68:
	s_or_b64 exec, exec, s[4:5]
	v_and_b32_sdwa v38, v80, s53 dst_sel:DWORD dst_unused:UNUSED_PAD src0_sel:BYTE_1 src1_sel:DWORD
	v_and_b32_e32 v1, 1, v38
	v_add_co_u32_e64 v39, s[4:5], -1, v1
	v_addc_co_u32_e64 v88, s[4:5], 0, -1, s[4:5]
	v_cmp_ne_u32_e64 s[4:5], 0, v1
	v_lshlrev_b32_e32 v0, 1, v38
	v_xor_b32_e32 v1, s5, v88
	v_add_lshl_u32 v87, v0, v72, 2
	v_mov_b32_e32 v0, 0
	v_and_b32_e32 v88, exec_hi, v1
	v_lshlrev_b32_e32 v1, 30, v38
	v_xor_b32_e32 v39, s4, v39
	v_cmp_gt_i64_e64 s[4:5], 0, v[0:1]
	v_not_b32_e32 v1, v1
	v_ashrrev_i32_e32 v1, 31, v1
	v_and_b32_e32 v39, exec_lo, v39
	v_xor_b32_e32 v89, s5, v1
	v_xor_b32_e32 v1, s4, v1
	v_and_b32_e32 v39, v39, v1
	v_lshlrev_b32_e32 v1, 29, v38
	v_cmp_gt_i64_e64 s[4:5], 0, v[0:1]
	v_not_b32_e32 v1, v1
	v_ashrrev_i32_e32 v1, 31, v1
	v_and_b32_e32 v88, v88, v89
	v_xor_b32_e32 v89, s5, v1
	v_xor_b32_e32 v1, s4, v1
	v_and_b32_e32 v39, v39, v1
	v_lshlrev_b32_e32 v1, 28, v38
	v_cmp_gt_i64_e64 s[4:5], 0, v[0:1]
	v_not_b32_e32 v1, v1
	v_ashrrev_i32_e32 v1, 31, v1
	v_and_b32_e32 v88, v88, v89
	;; [unrolled: 8-line block ×5, first 2 shown]
	v_xor_b32_e32 v89, s5, v1
	v_xor_b32_e32 v1, s4, v1
	v_and_b32_e32 v88, v88, v89
	v_and_b32_e32 v89, v39, v1
	v_lshlrev_b32_e32 v1, 24, v38
	v_cmp_gt_i64_e64 s[4:5], 0, v[0:1]
	v_not_b32_e32 v1, v1
	v_ashrrev_i32_e32 v1, 31, v1
	v_xor_b32_e32 v38, s5, v1
	v_xor_b32_e32 v1, s4, v1
	; wave barrier
	ds_read_b32 v86, v87 offset:8
	v_and_b32_e32 v39, v88, v38
	v_and_b32_e32 v38, v89, v1
	v_mbcnt_lo_u32_b32 v1, v38, 0
	v_mbcnt_hi_u32_b32 v88, v39, v1
	v_cmp_eq_u32_e64 s[4:5], 0, v88
	v_cmp_ne_u64_e64 s[42:43], 0, v[38:39]
	s_and_b64 s[42:43], s[42:43], s[4:5]
	; wave barrier
	s_and_saveexec_b64 s[4:5], s[42:43]
	s_cbranch_execz .LBB177_70
; %bb.69:
	v_bcnt_u32_b32 v1, v38, 0
	v_bcnt_u32_b32 v1, v39, v1
	s_waitcnt lgkmcnt(0)
	v_add_u32_e32 v1, v86, v1
	ds_write_b32 v87, v1 offset:8
.LBB177_70:
	s_or_b64 exec, exec, s[4:5]
	v_and_b32_sdwa v38, v79, s53 dst_sel:DWORD dst_unused:UNUSED_PAD src0_sel:BYTE_1 src1_sel:DWORD
	v_lshlrev_b32_e32 v1, 1, v38
	v_add_lshl_u32 v90, v1, v72, 2
	v_and_b32_e32 v1, 1, v38
	v_add_co_u32_e64 v39, s[4:5], -1, v1
	v_addc_co_u32_e64 v91, s[4:5], 0, -1, s[4:5]
	v_cmp_ne_u32_e64 s[4:5], 0, v1
	v_xor_b32_e32 v1, s5, v91
	v_and_b32_e32 v91, exec_hi, v1
	v_lshlrev_b32_e32 v1, 30, v38
	v_xor_b32_e32 v39, s4, v39
	v_cmp_gt_i64_e64 s[4:5], 0, v[0:1]
	v_not_b32_e32 v1, v1
	v_ashrrev_i32_e32 v1, 31, v1
	v_and_b32_e32 v39, exec_lo, v39
	v_xor_b32_e32 v92, s5, v1
	v_xor_b32_e32 v1, s4, v1
	v_and_b32_e32 v39, v39, v1
	v_lshlrev_b32_e32 v1, 29, v38
	v_cmp_gt_i64_e64 s[4:5], 0, v[0:1]
	v_not_b32_e32 v1, v1
	v_ashrrev_i32_e32 v1, 31, v1
	v_and_b32_e32 v91, v91, v92
	v_xor_b32_e32 v92, s5, v1
	v_xor_b32_e32 v1, s4, v1
	v_and_b32_e32 v39, v39, v1
	v_lshlrev_b32_e32 v1, 28, v38
	v_cmp_gt_i64_e64 s[4:5], 0, v[0:1]
	v_not_b32_e32 v1, v1
	v_ashrrev_i32_e32 v1, 31, v1
	v_and_b32_e32 v91, v91, v92
	;; [unrolled: 8-line block ×5, first 2 shown]
	v_xor_b32_e32 v92, s5, v1
	v_xor_b32_e32 v1, s4, v1
	v_and_b32_e32 v39, v39, v1
	v_lshlrev_b32_e32 v1, 24, v38
	v_cmp_gt_i64_e64 s[4:5], 0, v[0:1]
	v_not_b32_e32 v0, v1
	v_ashrrev_i32_e32 v0, 31, v0
	v_xor_b32_e32 v1, s5, v0
	v_xor_b32_e32 v0, s4, v0
	; wave barrier
	ds_read_b32 v89, v90 offset:8
	v_and_b32_e32 v91, v91, v92
	v_and_b32_e32 v0, v39, v0
	;; [unrolled: 1-line block ×3, first 2 shown]
	v_mbcnt_lo_u32_b32 v38, v0, 0
	v_mbcnt_hi_u32_b32 v91, v1, v38
	v_cmp_eq_u32_e64 s[4:5], 0, v91
	v_cmp_ne_u64_e64 s[42:43], 0, v[0:1]
	s_and_b64 s[42:43], s[42:43], s[4:5]
	; wave barrier
	s_and_saveexec_b64 s[4:5], s[42:43]
	s_cbranch_execz .LBB177_72
; %bb.71:
	v_bcnt_u32_b32 v0, v0, 0
	v_bcnt_u32_b32 v0, v1, v0
	s_waitcnt lgkmcnt(0)
	v_add_u32_e32 v0, v89, v0
	ds_write_b32 v90, v0 offset:8
.LBB177_72:
	s_or_b64 exec, exec, s[4:5]
	v_and_b32_sdwa v38, v78, s53 dst_sel:DWORD dst_unused:UNUSED_PAD src0_sel:BYTE_1 src1_sel:DWORD
	v_and_b32_e32 v1, 1, v38
	v_add_co_u32_e64 v39, s[4:5], -1, v1
	v_addc_co_u32_e64 v94, s[4:5], 0, -1, s[4:5]
	v_cmp_ne_u32_e64 s[4:5], 0, v1
	v_lshlrev_b32_e32 v0, 1, v38
	v_xor_b32_e32 v1, s5, v94
	v_add_lshl_u32 v93, v0, v72, 2
	v_mov_b32_e32 v0, 0
	v_and_b32_e32 v94, exec_hi, v1
	v_lshlrev_b32_e32 v1, 30, v38
	v_xor_b32_e32 v39, s4, v39
	v_cmp_gt_i64_e64 s[4:5], 0, v[0:1]
	v_not_b32_e32 v1, v1
	v_ashrrev_i32_e32 v1, 31, v1
	v_and_b32_e32 v39, exec_lo, v39
	v_xor_b32_e32 v95, s5, v1
	v_xor_b32_e32 v1, s4, v1
	v_and_b32_e32 v39, v39, v1
	v_lshlrev_b32_e32 v1, 29, v38
	v_cmp_gt_i64_e64 s[4:5], 0, v[0:1]
	v_not_b32_e32 v1, v1
	v_ashrrev_i32_e32 v1, 31, v1
	v_and_b32_e32 v94, v94, v95
	v_xor_b32_e32 v95, s5, v1
	v_xor_b32_e32 v1, s4, v1
	v_and_b32_e32 v39, v39, v1
	v_lshlrev_b32_e32 v1, 28, v38
	v_cmp_gt_i64_e64 s[4:5], 0, v[0:1]
	v_not_b32_e32 v1, v1
	v_ashrrev_i32_e32 v1, 31, v1
	v_and_b32_e32 v94, v94, v95
	v_xor_b32_e32 v95, s5, v1
	v_xor_b32_e32 v1, s4, v1
	v_and_b32_e32 v39, v39, v1
	v_lshlrev_b32_e32 v1, 27, v38
	v_cmp_gt_i64_e64 s[4:5], 0, v[0:1]
	v_not_b32_e32 v1, v1
	v_ashrrev_i32_e32 v1, 31, v1
	v_and_b32_e32 v94, v94, v95
	v_xor_b32_e32 v95, s5, v1
	v_xor_b32_e32 v1, s4, v1
	v_and_b32_e32 v39, v39, v1
	v_lshlrev_b32_e32 v1, 26, v38
	v_cmp_gt_i64_e64 s[4:5], 0, v[0:1]
	v_not_b32_e32 v1, v1
	v_ashrrev_i32_e32 v1, 31, v1
	v_and_b32_e32 v94, v94, v95
	v_xor_b32_e32 v95, s5, v1
	v_xor_b32_e32 v1, s4, v1
	v_and_b32_e32 v39, v39, v1
	v_lshlrev_b32_e32 v1, 25, v38
	v_cmp_gt_i64_e64 s[4:5], 0, v[0:1]
	v_not_b32_e32 v1, v1
	v_ashrrev_i32_e32 v1, 31, v1
	v_and_b32_e32 v94, v94, v95
	v_xor_b32_e32 v95, s5, v1
	v_xor_b32_e32 v1, s4, v1
	v_and_b32_e32 v94, v94, v95
	v_and_b32_e32 v95, v39, v1
	v_lshlrev_b32_e32 v1, 24, v38
	v_cmp_gt_i64_e64 s[4:5], 0, v[0:1]
	v_not_b32_e32 v1, v1
	v_ashrrev_i32_e32 v1, 31, v1
	v_xor_b32_e32 v38, s5, v1
	v_xor_b32_e32 v1, s4, v1
	; wave barrier
	ds_read_b32 v92, v93 offset:8
	v_and_b32_e32 v39, v94, v38
	v_and_b32_e32 v38, v95, v1
	v_mbcnt_lo_u32_b32 v1, v38, 0
	v_mbcnt_hi_u32_b32 v94, v39, v1
	v_cmp_eq_u32_e64 s[4:5], 0, v94
	v_cmp_ne_u64_e64 s[42:43], 0, v[38:39]
	s_and_b64 s[42:43], s[42:43], s[4:5]
	; wave barrier
	s_and_saveexec_b64 s[4:5], s[42:43]
	s_cbranch_execz .LBB177_74
; %bb.73:
	v_bcnt_u32_b32 v1, v38, 0
	v_bcnt_u32_b32 v1, v39, v1
	s_waitcnt lgkmcnt(0)
	v_add_u32_e32 v1, v92, v1
	ds_write_b32 v93, v1 offset:8
.LBB177_74:
	s_or_b64 exec, exec, s[4:5]
	v_and_b32_sdwa v38, v77, s53 dst_sel:DWORD dst_unused:UNUSED_PAD src0_sel:BYTE_1 src1_sel:DWORD
	v_lshlrev_b32_e32 v1, 1, v38
	v_add_lshl_u32 v96, v1, v72, 2
	v_and_b32_e32 v1, 1, v38
	v_add_co_u32_e64 v39, s[4:5], -1, v1
	v_addc_co_u32_e64 v97, s[4:5], 0, -1, s[4:5]
	v_cmp_ne_u32_e64 s[4:5], 0, v1
	v_xor_b32_e32 v1, s5, v97
	v_and_b32_e32 v97, exec_hi, v1
	v_lshlrev_b32_e32 v1, 30, v38
	v_xor_b32_e32 v39, s4, v39
	v_cmp_gt_i64_e64 s[4:5], 0, v[0:1]
	v_not_b32_e32 v1, v1
	v_ashrrev_i32_e32 v1, 31, v1
	v_and_b32_e32 v39, exec_lo, v39
	v_xor_b32_e32 v98, s5, v1
	v_xor_b32_e32 v1, s4, v1
	v_and_b32_e32 v39, v39, v1
	v_lshlrev_b32_e32 v1, 29, v38
	v_cmp_gt_i64_e64 s[4:5], 0, v[0:1]
	v_not_b32_e32 v1, v1
	v_ashrrev_i32_e32 v1, 31, v1
	v_and_b32_e32 v97, v97, v98
	v_xor_b32_e32 v98, s5, v1
	v_xor_b32_e32 v1, s4, v1
	v_and_b32_e32 v39, v39, v1
	v_lshlrev_b32_e32 v1, 28, v38
	v_cmp_gt_i64_e64 s[4:5], 0, v[0:1]
	v_not_b32_e32 v1, v1
	v_ashrrev_i32_e32 v1, 31, v1
	v_and_b32_e32 v97, v97, v98
	;; [unrolled: 8-line block ×5, first 2 shown]
	v_xor_b32_e32 v98, s5, v1
	v_xor_b32_e32 v1, s4, v1
	v_and_b32_e32 v39, v39, v1
	v_lshlrev_b32_e32 v1, 24, v38
	v_cmp_gt_i64_e64 s[4:5], 0, v[0:1]
	v_not_b32_e32 v0, v1
	v_ashrrev_i32_e32 v0, 31, v0
	v_xor_b32_e32 v1, s5, v0
	v_xor_b32_e32 v0, s4, v0
	; wave barrier
	ds_read_b32 v95, v96 offset:8
	v_and_b32_e32 v97, v97, v98
	v_and_b32_e32 v0, v39, v0
	;; [unrolled: 1-line block ×3, first 2 shown]
	v_mbcnt_lo_u32_b32 v38, v0, 0
	v_mbcnt_hi_u32_b32 v97, v1, v38
	v_cmp_eq_u32_e64 s[4:5], 0, v97
	v_cmp_ne_u64_e64 s[42:43], 0, v[0:1]
	s_and_b64 s[42:43], s[42:43], s[4:5]
	; wave barrier
	s_and_saveexec_b64 s[4:5], s[42:43]
	s_cbranch_execz .LBB177_76
; %bb.75:
	v_bcnt_u32_b32 v0, v0, 0
	v_bcnt_u32_b32 v0, v1, v0
	s_waitcnt lgkmcnt(0)
	v_add_u32_e32 v0, v95, v0
	ds_write_b32 v96, v0 offset:8
.LBB177_76:
	s_or_b64 exec, exec, s[4:5]
	v_and_b32_sdwa v38, v76, s53 dst_sel:DWORD dst_unused:UNUSED_PAD src0_sel:BYTE_1 src1_sel:DWORD
	v_and_b32_e32 v1, 1, v38
	v_add_co_u32_e64 v39, s[4:5], -1, v1
	v_addc_co_u32_e64 v100, s[4:5], 0, -1, s[4:5]
	v_cmp_ne_u32_e64 s[4:5], 0, v1
	v_lshlrev_b32_e32 v0, 1, v38
	v_xor_b32_e32 v1, s5, v100
	v_add_lshl_u32 v99, v0, v72, 2
	v_mov_b32_e32 v0, 0
	v_and_b32_e32 v100, exec_hi, v1
	v_lshlrev_b32_e32 v1, 30, v38
	v_xor_b32_e32 v39, s4, v39
	v_cmp_gt_i64_e64 s[4:5], 0, v[0:1]
	v_not_b32_e32 v1, v1
	v_ashrrev_i32_e32 v1, 31, v1
	v_and_b32_e32 v39, exec_lo, v39
	v_xor_b32_e32 v101, s5, v1
	v_xor_b32_e32 v1, s4, v1
	v_and_b32_e32 v39, v39, v1
	v_lshlrev_b32_e32 v1, 29, v38
	v_cmp_gt_i64_e64 s[4:5], 0, v[0:1]
	v_not_b32_e32 v1, v1
	v_ashrrev_i32_e32 v1, 31, v1
	v_and_b32_e32 v100, v100, v101
	v_xor_b32_e32 v101, s5, v1
	v_xor_b32_e32 v1, s4, v1
	v_and_b32_e32 v39, v39, v1
	v_lshlrev_b32_e32 v1, 28, v38
	v_cmp_gt_i64_e64 s[4:5], 0, v[0:1]
	v_not_b32_e32 v1, v1
	v_ashrrev_i32_e32 v1, 31, v1
	v_and_b32_e32 v100, v100, v101
	;; [unrolled: 8-line block ×5, first 2 shown]
	v_xor_b32_e32 v101, s5, v1
	v_xor_b32_e32 v1, s4, v1
	v_and_b32_e32 v100, v100, v101
	v_and_b32_e32 v101, v39, v1
	v_lshlrev_b32_e32 v1, 24, v38
	v_cmp_gt_i64_e64 s[4:5], 0, v[0:1]
	v_not_b32_e32 v1, v1
	v_ashrrev_i32_e32 v1, 31, v1
	v_xor_b32_e32 v38, s5, v1
	v_xor_b32_e32 v1, s4, v1
	; wave barrier
	ds_read_b32 v98, v99 offset:8
	v_and_b32_e32 v39, v100, v38
	v_and_b32_e32 v38, v101, v1
	v_mbcnt_lo_u32_b32 v1, v38, 0
	v_mbcnt_hi_u32_b32 v100, v39, v1
	v_cmp_eq_u32_e64 s[4:5], 0, v100
	v_cmp_ne_u64_e64 s[42:43], 0, v[38:39]
	s_and_b64 s[42:43], s[42:43], s[4:5]
	; wave barrier
	s_and_saveexec_b64 s[4:5], s[42:43]
	s_cbranch_execz .LBB177_78
; %bb.77:
	v_bcnt_u32_b32 v1, v38, 0
	v_bcnt_u32_b32 v1, v39, v1
	s_waitcnt lgkmcnt(0)
	v_add_u32_e32 v1, v98, v1
	ds_write_b32 v99, v1 offset:8
.LBB177_78:
	s_or_b64 exec, exec, s[4:5]
	v_and_b32_sdwa v38, v75, s53 dst_sel:DWORD dst_unused:UNUSED_PAD src0_sel:BYTE_1 src1_sel:DWORD
	v_lshlrev_b32_e32 v1, 1, v38
	v_add_lshl_u32 v102, v1, v72, 2
	v_and_b32_e32 v1, 1, v38
	v_add_co_u32_e64 v39, s[4:5], -1, v1
	v_addc_co_u32_e64 v103, s[4:5], 0, -1, s[4:5]
	v_cmp_ne_u32_e64 s[4:5], 0, v1
	v_xor_b32_e32 v1, s5, v103
	v_and_b32_e32 v103, exec_hi, v1
	v_lshlrev_b32_e32 v1, 30, v38
	v_xor_b32_e32 v39, s4, v39
	v_cmp_gt_i64_e64 s[4:5], 0, v[0:1]
	v_not_b32_e32 v1, v1
	v_ashrrev_i32_e32 v1, 31, v1
	v_and_b32_e32 v39, exec_lo, v39
	v_xor_b32_e32 v104, s5, v1
	v_xor_b32_e32 v1, s4, v1
	v_and_b32_e32 v39, v39, v1
	v_lshlrev_b32_e32 v1, 29, v38
	v_cmp_gt_i64_e64 s[4:5], 0, v[0:1]
	v_not_b32_e32 v1, v1
	v_ashrrev_i32_e32 v1, 31, v1
	v_and_b32_e32 v103, v103, v104
	v_xor_b32_e32 v104, s5, v1
	v_xor_b32_e32 v1, s4, v1
	v_and_b32_e32 v39, v39, v1
	v_lshlrev_b32_e32 v1, 28, v38
	v_cmp_gt_i64_e64 s[4:5], 0, v[0:1]
	v_not_b32_e32 v1, v1
	v_ashrrev_i32_e32 v1, 31, v1
	v_and_b32_e32 v103, v103, v104
	;; [unrolled: 8-line block ×5, first 2 shown]
	v_xor_b32_e32 v104, s5, v1
	v_xor_b32_e32 v1, s4, v1
	v_and_b32_e32 v39, v39, v1
	v_lshlrev_b32_e32 v1, 24, v38
	v_cmp_gt_i64_e64 s[4:5], 0, v[0:1]
	v_not_b32_e32 v0, v1
	v_ashrrev_i32_e32 v0, 31, v0
	v_xor_b32_e32 v1, s5, v0
	v_xor_b32_e32 v0, s4, v0
	; wave barrier
	ds_read_b32 v101, v102 offset:8
	v_and_b32_e32 v103, v103, v104
	v_and_b32_e32 v0, v39, v0
	;; [unrolled: 1-line block ×3, first 2 shown]
	v_mbcnt_lo_u32_b32 v38, v0, 0
	v_mbcnt_hi_u32_b32 v103, v1, v38
	v_cmp_eq_u32_e64 s[4:5], 0, v103
	v_cmp_ne_u64_e64 s[42:43], 0, v[0:1]
	s_and_b64 s[42:43], s[42:43], s[4:5]
	; wave barrier
	s_and_saveexec_b64 s[4:5], s[42:43]
	s_cbranch_execz .LBB177_80
; %bb.79:
	v_bcnt_u32_b32 v0, v0, 0
	v_bcnt_u32_b32 v0, v1, v0
	s_waitcnt lgkmcnt(0)
	v_add_u32_e32 v0, v101, v0
	ds_write_b32 v102, v0 offset:8
.LBB177_80:
	s_or_b64 exec, exec, s[4:5]
	v_and_b32_sdwa v38, v40, s53 dst_sel:DWORD dst_unused:UNUSED_PAD src0_sel:BYTE_1 src1_sel:DWORD
	v_and_b32_e32 v1, 1, v38
	v_add_co_u32_e64 v39, s[4:5], -1, v1
	v_addc_co_u32_e64 v105, s[4:5], 0, -1, s[4:5]
	v_cmp_ne_u32_e64 s[4:5], 0, v1
	v_lshlrev_b32_e32 v0, 1, v38
	v_xor_b32_e32 v1, s5, v105
	v_add_lshl_u32 v104, v0, v72, 2
	v_mov_b32_e32 v0, 0
	v_and_b32_e32 v105, exec_hi, v1
	v_lshlrev_b32_e32 v1, 30, v38
	v_xor_b32_e32 v39, s4, v39
	v_cmp_gt_i64_e64 s[4:5], 0, v[0:1]
	v_not_b32_e32 v1, v1
	v_ashrrev_i32_e32 v1, 31, v1
	v_and_b32_e32 v39, exec_lo, v39
	v_xor_b32_e32 v106, s5, v1
	v_xor_b32_e32 v1, s4, v1
	v_and_b32_e32 v39, v39, v1
	v_lshlrev_b32_e32 v1, 29, v38
	v_cmp_gt_i64_e64 s[4:5], 0, v[0:1]
	v_not_b32_e32 v1, v1
	v_ashrrev_i32_e32 v1, 31, v1
	v_and_b32_e32 v105, v105, v106
	v_xor_b32_e32 v106, s5, v1
	v_xor_b32_e32 v1, s4, v1
	v_and_b32_e32 v39, v39, v1
	v_lshlrev_b32_e32 v1, 28, v38
	v_cmp_gt_i64_e64 s[4:5], 0, v[0:1]
	v_not_b32_e32 v1, v1
	v_ashrrev_i32_e32 v1, 31, v1
	v_and_b32_e32 v105, v105, v106
	;; [unrolled: 8-line block ×5, first 2 shown]
	v_xor_b32_e32 v106, s5, v1
	v_xor_b32_e32 v1, s4, v1
	v_and_b32_e32 v39, v39, v1
	v_lshlrev_b32_e32 v1, 24, v38
	v_cmp_gt_i64_e64 s[4:5], 0, v[0:1]
	v_not_b32_e32 v0, v1
	v_ashrrev_i32_e32 v0, 31, v0
	v_xor_b32_e32 v1, s5, v0
	v_xor_b32_e32 v0, s4, v0
	; wave barrier
	ds_read_b32 v72, v104 offset:8
	v_and_b32_e32 v105, v105, v106
	v_and_b32_e32 v0, v39, v0
	;; [unrolled: 1-line block ×3, first 2 shown]
	v_mbcnt_lo_u32_b32 v38, v0, 0
	v_mbcnt_hi_u32_b32 v105, v1, v38
	v_cmp_eq_u32_e64 s[4:5], 0, v105
	v_cmp_ne_u64_e64 s[42:43], 0, v[0:1]
	s_and_b64 s[42:43], s[42:43], s[4:5]
	; wave barrier
	s_and_saveexec_b64 s[4:5], s[42:43]
	s_cbranch_execz .LBB177_82
; %bb.81:
	v_bcnt_u32_b32 v0, v0, 0
	v_bcnt_u32_b32 v0, v1, v0
	s_waitcnt lgkmcnt(0)
	v_add_u32_e32 v0, v72, v0
	ds_write_b32 v104, v0 offset:8
.LBB177_82:
	s_or_b64 exec, exec, s[4:5]
	; wave barrier
	s_waitcnt lgkmcnt(0)
	s_barrier
	ds_read2_b32 v[38:39], v62 offset0:2 offset1:3
	ds_read2_b32 v[0:1], v73 offset0:2 offset1:3
	s_waitcnt lgkmcnt(1)
	v_add_u32_e32 v106, v39, v38
	s_waitcnt lgkmcnt(0)
	v_add3_u32 v1, v106, v0, v1
	s_nop 1
	v_mov_b32_dpp v106, v1 row_shr:1 row_mask:0xf bank_mask:0xf
	v_cndmask_b32_e64 v106, v106, 0, s[20:21]
	v_add_u32_e32 v1, v106, v1
	s_nop 1
	v_mov_b32_dpp v106, v1 row_shr:2 row_mask:0xf bank_mask:0xf
	v_cndmask_b32_e64 v106, 0, v106, s[22:23]
	v_add_u32_e32 v1, v1, v106
	;; [unrolled: 4-line block ×4, first 2 shown]
	s_nop 1
	v_mov_b32_dpp v106, v1 row_bcast:15 row_mask:0xf bank_mask:0xf
	v_cndmask_b32_e64 v106, v106, 0, vcc
	v_add_u32_e32 v1, v1, v106
	s_nop 1
	v_mov_b32_dpp v106, v1 row_bcast:31 row_mask:0xf bank_mask:0xf
	v_cndmask_b32_e64 v106, 0, v106, s[34:35]
	v_add_u32_e32 v1, v1, v106
	s_and_saveexec_b64 s[4:5], s[16:17]
	s_cbranch_execz .LBB177_84
; %bb.83:
	ds_write_b32 v74, v1
.LBB177_84:
	s_or_b64 exec, exec, s[4:5]
	s_waitcnt lgkmcnt(0)
	s_barrier
	s_and_saveexec_b64 s[4:5], s[24:25]
	s_cbranch_execz .LBB177_86
; %bb.85:
	ds_read_b32 v74, v41
	s_waitcnt lgkmcnt(0)
	s_nop 0
	v_mov_b32_dpp v106, v74 row_shr:1 row_mask:0xf bank_mask:0xf
	v_cndmask_b32_e64 v106, v106, 0, s[18:19]
	v_add_u32_e32 v74, v106, v74
	ds_write_b32 v41, v74
.LBB177_86:
	s_or_b64 exec, exec, s[4:5]
	v_mov_b32_e32 v41, 0
	s_waitcnt lgkmcnt(0)
	s_barrier
	s_and_saveexec_b64 s[4:5], s[30:31]
	s_cbranch_execz .LBB177_88
; %bb.87:
	ds_read_b32 v41, v83
.LBB177_88:
	s_or_b64 exec, exec, s[4:5]
	s_waitcnt lgkmcnt(0)
	v_add_u32_e32 v1, v41, v1
	ds_bpermute_b32 v1, v84, v1
	s_waitcnt lgkmcnt(0)
	v_cndmask_b32_e64 v1, v1, v41, s[36:37]
	v_cndmask_b32_e64 v1, v1, 0, s[38:39]
	v_add_u32_e32 v38, v1, v38
	v_add_u32_e32 v39, v38, v39
	;; [unrolled: 1-line block ×3, first 2 shown]
	ds_write2_b32 v62, v1, v38 offset0:2 offset1:3
	ds_write2_b32 v73, v39, v0 offset0:2 offset1:3
	s_waitcnt lgkmcnt(0)
	s_barrier
	ds_read_b32 v0, v104 offset:8
	ds_read_b32 v1, v102 offset:8
	;; [unrolled: 1-line block ×4, first 2 shown]
	s_waitcnt lgkmcnt(3)
	v_add3_u32 v0, v105, v72, v0
	s_waitcnt lgkmcnt(2)
	v_add3_u32 v1, v103, v101, v1
	;; [unrolled: 2-line block ×3, first 2 shown]
	ds_read_b32 v38, v93 offset:8
	ds_read_b32 v41, v90 offset:8
	;; [unrolled: 1-line block ×4, first 2 shown]
	s_waitcnt lgkmcnt(0)
	s_barrier
	v_add3_u32 v41, v91, v89, v41
	v_add3_u32 v73, v88, v86, v73
	v_add_u32_e32 v74, v74, v85
	v_lshlrev_b32_e32 v82, 1, v74
	ds_write_b16 v82, v81
	v_lshlrev_b32_e32 v81, 1, v73
	v_add3_u32 v38, v94, v92, v38
	ds_write_b16 v81, v80
	v_lshlrev_b32_e32 v80, 1, v41
	v_add3_u32 v39, v97, v95, v39
	ds_write_b16 v80, v79
	v_lshlrev_b32_e32 v79, 1, v38
	ds_write_b16 v79, v78
	v_lshlrev_b32_e32 v78, 1, v39
	ds_write_b16 v78, v77
	v_lshlrev_b32_e32 v77, 1, v72
	ds_write_b16 v77, v76
	v_lshlrev_b32_e32 v76, 1, v1
	ds_write_b16 v76, v75
	v_lshlrev_b32_e32 v75, 1, v0
	ds_write_b16 v75, v40
	v_lshlrev_b32_e32 v40, 1, v53
	v_lshlrev_b32_e32 v74, 3, v74
	v_lshlrev_b32_e32 v78, 3, v53
	s_waitcnt lgkmcnt(0)
	s_barrier
	v_lshlrev_b32_e32 v73, 3, v73
	v_lshlrev_b32_e32 v75, 3, v41
	;; [unrolled: 1-line block ×4, first 2 shown]
	ds_read_b128 v[38:41], v40
	v_lshlrev_b32_e32 v72, 3, v72
	v_lshlrev_b32_e32 v1, 3, v1
	;; [unrolled: 1-line block ×3, first 2 shown]
	s_waitcnt lgkmcnt(0)
	s_barrier
	ds_write_b64 v74, v[34:35]
	ds_write_b64 v73, v[36:37]
	ds_write_b64 v75, v[30:31]
	ds_write_b64 v76, v[32:33]
	ds_write_b64 v77, v[26:27]
	ds_write_b64 v72, v[28:29]
	ds_write_b64 v1, v[22:23]
	ds_write_b64 v0, v[24:25]
	s_waitcnt lgkmcnt(0)
	s_barrier
	ds_read2_b64 v[22:25], v78 offset1:1
	ds_read2_b64 v[26:29], v78 offset0:2 offset1:3
	ds_read2_b64 v[30:33], v78 offset0:4 offset1:5
	;; [unrolled: 1-line block ×3, first 2 shown]
	v_xor_b32_e32 v38, 0x80008000, v38
	v_xor_b32_e32 v39, 0x80008000, v39
	;; [unrolled: 1-line block ×4, first 2 shown]
	s_branch .LBB177_142
.LBB177_89:
	v_mad_u64_u32 v[2:3], s[16:17], v42, s46, 0
	v_mov_b32_e32 v4, v3
	v_mad_u64_u32 v[4:5], s[16:17], v42, s47, v[4:5]
	v_mov_b32_e32 v3, v4
	v_lshlrev_b64 v[2:3], 3, v[2:3]
	v_mov_b32_e32 v4, s52
	v_add_co_u32_e32 v2, vcc, s51, v2
	v_addc_co_u32_e32 v3, vcc, v4, v3, vcc
	global_load_dwordx2 v[2:3], v[2:3], off
	v_mov_b32_e32 v4, 0
	v_mov_b32_e32 v5, v4
	;; [unrolled: 1-line block ×14, first 2 shown]
	s_or_b64 exec, exec, s[4:5]
	s_and_saveexec_b64 s[4:5], s[2:3]
	s_cbranch_execz .LBB177_36
.LBB177_90:
	v_mad_u64_u32 v[4:5], s[16:17], v1, s46, 0
	v_mov_b32_e32 v38, v5
	v_mad_u64_u32 v[38:39], s[16:17], v1, s47, v[38:39]
	v_mov_b32_e32 v5, v38
	v_lshlrev_b64 v[4:5], 3, v[4:5]
	v_mov_b32_e32 v1, s52
	v_add_co_u32_e32 v4, vcc, s51, v4
	v_addc_co_u32_e32 v5, vcc, v1, v5, vcc
	global_load_dwordx2 v[4:5], v[4:5], off
	s_or_b64 exec, exec, s[4:5]
	s_and_saveexec_b64 s[4:5], s[40:41]
	s_cbranch_execz .LBB177_37
.LBB177_91:
	v_mad_u64_u32 v[6:7], s[16:17], v22, s46, 0
	v_mov_b32_e32 v38, v7
	v_mad_u64_u32 v[38:39], s[16:17], v22, s47, v[38:39]
	v_mov_b32_e32 v7, v38
	v_lshlrev_b64 v[6:7], 3, v[6:7]
	v_mov_b32_e32 v1, s52
	v_add_co_u32_e32 v6, vcc, s51, v6
	v_addc_co_u32_e32 v7, vcc, v1, v7, vcc
	global_load_dwordx2 v[6:7], v[6:7], off
	s_or_b64 exec, exec, s[4:5]
	s_and_saveexec_b64 s[4:5], s[6:7]
	s_cbranch_execz .LBB177_38
.LBB177_92:
	v_mad_u64_u32 v[8:9], s[16:17], v23, s46, 0
	v_mov_b32_e32 v22, v9
	v_mad_u64_u32 v[22:23], s[16:17], v23, s47, v[22:23]
	v_mov_b32_e32 v9, v22
	v_lshlrev_b64 v[8:9], 3, v[8:9]
	v_mov_b32_e32 v1, s52
	v_add_co_u32_e32 v8, vcc, s51, v8
	v_addc_co_u32_e32 v9, vcc, v1, v9, vcc
	global_load_dwordx2 v[8:9], v[8:9], off
	s_or_b64 exec, exec, s[4:5]
	s_and_saveexec_b64 s[4:5], s[8:9]
	s_cbranch_execz .LBB177_39
.LBB177_93:
	v_mad_u64_u32 v[10:11], s[16:17], v24, s46, 0
	v_mov_b32_e32 v22, v11
	v_mad_u64_u32 v[22:23], s[16:17], v24, s47, v[22:23]
	v_mov_b32_e32 v11, v22
	v_lshlrev_b64 v[10:11], 3, v[10:11]
	v_mov_b32_e32 v1, s52
	v_add_co_u32_e32 v10, vcc, s51, v10
	v_addc_co_u32_e32 v11, vcc, v1, v11, vcc
	global_load_dwordx2 v[10:11], v[10:11], off
	s_or_b64 exec, exec, s[4:5]
	s_and_saveexec_b64 s[4:5], s[10:11]
	s_cbranch_execz .LBB177_40
.LBB177_94:
	v_mad_u64_u32 v[12:13], s[16:17], v25, s46, 0
	v_mov_b32_e32 v22, v13
	v_mad_u64_u32 v[22:23], s[16:17], v25, s47, v[22:23]
	v_mov_b32_e32 v13, v22
	v_lshlrev_b64 v[12:13], 3, v[12:13]
	v_mov_b32_e32 v1, s52
	v_add_co_u32_e32 v12, vcc, s51, v12
	v_addc_co_u32_e32 v13, vcc, v1, v13, vcc
	global_load_dwordx2 v[12:13], v[12:13], off
	s_or_b64 exec, exec, s[4:5]
	s_and_saveexec_b64 s[4:5], s[12:13]
	s_cbranch_execz .LBB177_41
.LBB177_95:
	v_mad_u64_u32 v[14:15], s[16:17], v26, s46, 0
	v_mov_b32_e32 v22, v15
	v_mad_u64_u32 v[22:23], s[16:17], v26, s47, v[22:23]
	v_mov_b32_e32 v15, v22
	v_lshlrev_b64 v[14:15], 3, v[14:15]
	v_mov_b32_e32 v1, s52
	v_add_co_u32_e32 v14, vcc, s51, v14
	v_addc_co_u32_e32 v15, vcc, v1, v15, vcc
	global_load_dwordx2 v[14:15], v[14:15], off
	s_or_b64 exec, exec, s[4:5]
	s_xor_b64 s[4:5], s[34:35], -1
	s_and_saveexec_b64 s[16:17], s[14:15]
	s_cbranch_execnz .LBB177_42
	s_branch .LBB177_43
.LBB177_96:
                                        ; implicit-def: $vgpr41
                                        ; implicit-def: $vgpr36_vgpr37
                                        ; implicit-def: $vgpr32_vgpr33
                                        ; implicit-def: $vgpr28_vgpr29
                                        ; implicit-def: $vgpr24_vgpr25
	s_cbranch_execz .LBB177_142
; %bb.97:
	s_movk_i32 s4, 0x7fff
	v_xor_b32_e32 v0, 0x7fff, v18
	v_xor_b32_sdwa v1, v18, s4 dst_sel:DWORD dst_unused:UNUSED_PAD src0_sel:WORD_1 src1_sel:DWORD
	v_xor_b32_e32 v18, 0x7fff, v19
	v_xor_b32_sdwa v19, v19, s4 dst_sel:DWORD dst_unused:UNUSED_PAD src0_sel:WORD_1 src1_sel:DWORD
	s_waitcnt lgkmcnt(3)
	v_xor_b32_e32 v22, 0x7fff, v20
	v_xor_b32_sdwa v20, v20, s4 dst_sel:DWORD dst_unused:UNUSED_PAD src0_sel:WORD_1 src1_sel:DWORD
	v_xor_b32_e32 v23, 0x7fff, v21
	v_xor_b32_sdwa v21, v21, s4 dst_sel:DWORD dst_unused:UNUSED_PAD src0_sel:WORD_1 src1_sel:DWORD
	s_mov_b32 s4, 0x5040100
	v_perm_b32 v21, v21, v23, s4
	v_perm_b32 v20, v20, v22, s4
	;; [unrolled: 1-line block ×4, first 2 shown]
	ds_write_b128 v71, v[18:21]
	; wave barrier
	s_waitcnt lgkmcnt(2)
	ds_read_u16 v32, v70
	ds_read_u16 v31, v70 offset:128
	ds_read_u16 v30, v70 offset:256
	;; [unrolled: 1-line block ×7, first 2 shown]
	s_waitcnt lgkmcnt(0)
	s_barrier
	ds_write2_b64 v69, v[14:15], v[16:17] offset1:1
	ds_write2_b64 v69, v[10:11], v[12:13] offset0:2 offset1:3
	ds_write2_b64 v69, v[6:7], v[8:9] offset0:4 offset1:5
	;; [unrolled: 1-line block ×3, first 2 shown]
	; wave barrier
	ds_read2st64_b64 v[12:15], v68 offset1:1
	ds_read2st64_b64 v[8:11], v68 offset0:2 offset1:3
	ds_read2st64_b64 v[4:7], v68 offset0:4 offset1:5
	;; [unrolled: 1-line block ×3, first 2 shown]
	s_waitcnt lgkmcnt(0)
	s_barrier
	s_load_dword s16, s[48:49], 0xc
	s_getpc_b64 s[4:5]
	s_add_u32 s4, s4, _ZN7rocprim17ROCPRIM_400000_NS16block_radix_sortIsLj128ELj8ElLj1ELj1ELj0ELNS0_26block_radix_rank_algorithmE1ELNS0_18block_padding_hintE2ELNS0_4arch9wavefront6targetE1EE19radix_bits_per_passE@rel32@lo+4
	s_addc_u32 s5, s5, _ZN7rocprim17ROCPRIM_400000_NS16block_radix_sortIsLj128ELj8ElLj1ELj1ELj0ELNS0_26block_radix_rank_algorithmE1ELNS0_18block_padding_hintE2ELNS0_4arch9wavefront6targetE1EE19radix_bits_per_passE@rel32@hi+12
	s_load_dword s42, s[4:5], 0x0
	s_waitcnt lgkmcnt(0)
	s_lshr_b32 s4, s16, 16
	s_and_b32 s5, s16, 0xffff
	v_mad_u32_u24 v16, v67, s4, v66
	v_mad_u64_u32 v[16:17], s[4:5], v16, s5, v[42:43]
	s_min_u32 s4, s42, 16
	s_lshl_b32 s4, -1, s4
	s_not_b32 s16, s4
	v_and_b32_sdwa v18, s16, v32 dst_sel:DWORD dst_unused:UNUSED_PAD src0_sel:DWORD src1_sel:WORD_0
	v_lshrrev_b32_e32 v22, 6, v16
	v_lshlrev_b32_e32 v17, 1, v18
	v_add_lshl_u32 v35, v22, v17, 2
	v_and_b32_e32 v17, 1, v18
	v_add_co_u32_e32 v19, vcc, -1, v17
	v_addc_co_u32_e64 v20, s[4:5], 0, -1, vcc
	v_cmp_ne_u32_e32 vcc, 0, v17
	v_xor_b32_e32 v17, vcc_hi, v20
	v_mov_b32_e32 v16, 0
	v_and_b32_e32 v20, exec_hi, v17
	v_lshlrev_b32_e32 v17, 30, v18
	v_xor_b32_e32 v19, vcc_lo, v19
	v_cmp_gt_i64_e32 vcc, 0, v[16:17]
	v_not_b32_e32 v17, v17
	v_ashrrev_i32_e32 v17, 31, v17
	v_and_b32_e32 v19, exec_lo, v19
	v_xor_b32_e32 v21, vcc_hi, v17
	v_xor_b32_e32 v17, vcc_lo, v17
	v_and_b32_e32 v19, v19, v17
	v_lshlrev_b32_e32 v17, 29, v18
	v_cmp_gt_i64_e32 vcc, 0, v[16:17]
	v_not_b32_e32 v17, v17
	v_ashrrev_i32_e32 v17, 31, v17
	v_and_b32_e32 v20, v20, v21
	v_xor_b32_e32 v21, vcc_hi, v17
	v_xor_b32_e32 v17, vcc_lo, v17
	v_and_b32_e32 v19, v19, v17
	v_lshlrev_b32_e32 v17, 28, v18
	v_cmp_gt_i64_e32 vcc, 0, v[16:17]
	v_not_b32_e32 v17, v17
	v_ashrrev_i32_e32 v17, 31, v17
	v_and_b32_e32 v20, v20, v21
	;; [unrolled: 8-line block ×5, first 2 shown]
	v_xor_b32_e32 v21, vcc_hi, v17
	v_xor_b32_e32 v17, vcc_lo, v17
	v_and_b32_e32 v20, v20, v21
	v_and_b32_e32 v21, v19, v17
	v_lshlrev_b32_e32 v17, 24, v18
	v_cmp_gt_i64_e32 vcc, 0, v[16:17]
	v_not_b32_e32 v17, v17
	v_ashrrev_i32_e32 v17, 31, v17
	v_xor_b32_e32 v18, vcc_hi, v17
	v_xor_b32_e32 v17, vcc_lo, v17
	v_and_b32_e32 v19, v20, v18
	v_and_b32_e32 v18, v21, v17
	v_mbcnt_lo_u32_b32 v17, v18, 0
	v_mbcnt_hi_u32_b32 v36, v19, v17
	v_cmp_eq_u32_e32 vcc, 0, v36
	v_cmp_ne_u64_e64 s[4:5], 0, v[18:19]
	s_and_b64 s[18:19], s[4:5], vcc
	ds_write2_b32 v62, v16, v16 offset0:2 offset1:3
	ds_write2_b32 v62, v16, v16 offset0:4 offset1:5
	s_waitcnt lgkmcnt(0)
	s_barrier
	s_waitcnt lgkmcnt(0)
	; wave barrier
	s_and_saveexec_b64 s[4:5], s[18:19]
	s_cbranch_execz .LBB177_99
; %bb.98:
	v_bcnt_u32_b32 v17, v18, 0
	v_bcnt_u32_b32 v17, v19, v17
	ds_write_b32 v35, v17 offset:8
.LBB177_99:
	s_or_b64 exec, exec, s[4:5]
	v_and_b32_sdwa v18, s16, v31 dst_sel:DWORD dst_unused:UNUSED_PAD src0_sel:DWORD src1_sel:WORD_0
	v_lshlrev_b32_e32 v17, 1, v18
	v_add_lshl_u32 v38, v22, v17, 2
	v_and_b32_e32 v17, 1, v18
	v_add_co_u32_e32 v19, vcc, -1, v17
	v_addc_co_u32_e64 v20, s[4:5], 0, -1, vcc
	v_cmp_ne_u32_e32 vcc, 0, v17
	v_xor_b32_e32 v17, vcc_hi, v20
	v_and_b32_e32 v20, exec_hi, v17
	v_lshlrev_b32_e32 v17, 30, v18
	v_xor_b32_e32 v19, vcc_lo, v19
	v_cmp_gt_i64_e32 vcc, 0, v[16:17]
	v_not_b32_e32 v17, v17
	v_ashrrev_i32_e32 v17, 31, v17
	v_and_b32_e32 v19, exec_lo, v19
	v_xor_b32_e32 v21, vcc_hi, v17
	v_xor_b32_e32 v17, vcc_lo, v17
	v_and_b32_e32 v19, v19, v17
	v_lshlrev_b32_e32 v17, 29, v18
	v_cmp_gt_i64_e32 vcc, 0, v[16:17]
	v_not_b32_e32 v17, v17
	v_ashrrev_i32_e32 v17, 31, v17
	v_and_b32_e32 v20, v20, v21
	v_xor_b32_e32 v21, vcc_hi, v17
	v_xor_b32_e32 v17, vcc_lo, v17
	v_and_b32_e32 v19, v19, v17
	v_lshlrev_b32_e32 v17, 28, v18
	v_cmp_gt_i64_e32 vcc, 0, v[16:17]
	v_not_b32_e32 v17, v17
	v_ashrrev_i32_e32 v17, 31, v17
	v_and_b32_e32 v20, v20, v21
	v_xor_b32_e32 v21, vcc_hi, v17
	v_xor_b32_e32 v17, vcc_lo, v17
	v_and_b32_e32 v19, v19, v17
	v_lshlrev_b32_e32 v17, 27, v18
	v_cmp_gt_i64_e32 vcc, 0, v[16:17]
	v_not_b32_e32 v17, v17
	v_ashrrev_i32_e32 v17, 31, v17
	v_and_b32_e32 v20, v20, v21
	v_xor_b32_e32 v21, vcc_hi, v17
	v_xor_b32_e32 v17, vcc_lo, v17
	v_and_b32_e32 v19, v19, v17
	v_lshlrev_b32_e32 v17, 26, v18
	v_cmp_gt_i64_e32 vcc, 0, v[16:17]
	v_not_b32_e32 v17, v17
	v_ashrrev_i32_e32 v17, 31, v17
	v_and_b32_e32 v20, v20, v21
	v_xor_b32_e32 v21, vcc_hi, v17
	v_xor_b32_e32 v17, vcc_lo, v17
	v_and_b32_e32 v19, v19, v17
	v_lshlrev_b32_e32 v17, 25, v18
	v_cmp_gt_i64_e32 vcc, 0, v[16:17]
	v_not_b32_e32 v17, v17
	v_ashrrev_i32_e32 v17, 31, v17
	v_and_b32_e32 v20, v20, v21
	v_xor_b32_e32 v21, vcc_hi, v17
	v_xor_b32_e32 v17, vcc_lo, v17
	v_and_b32_e32 v19, v19, v17
	v_lshlrev_b32_e32 v17, 24, v18
	v_cmp_gt_i64_e32 vcc, 0, v[16:17]
	v_not_b32_e32 v16, v17
	v_ashrrev_i32_e32 v16, 31, v16
	v_xor_b32_e32 v17, vcc_hi, v16
	v_xor_b32_e32 v16, vcc_lo, v16
	; wave barrier
	ds_read_b32 v37, v38 offset:8
	v_and_b32_e32 v20, v20, v21
	v_and_b32_e32 v16, v19, v16
	;; [unrolled: 1-line block ×3, first 2 shown]
	v_mbcnt_lo_u32_b32 v18, v16, 0
	v_mbcnt_hi_u32_b32 v39, v17, v18
	v_cmp_eq_u32_e32 vcc, 0, v39
	v_cmp_ne_u64_e64 s[4:5], 0, v[16:17]
	s_and_b64 s[18:19], s[4:5], vcc
	; wave barrier
	s_and_saveexec_b64 s[4:5], s[18:19]
	s_cbranch_execz .LBB177_101
; %bb.100:
	v_bcnt_u32_b32 v16, v16, 0
	v_bcnt_u32_b32 v16, v17, v16
	s_waitcnt lgkmcnt(0)
	v_add_u32_e32 v16, v37, v16
	ds_write_b32 v38, v16 offset:8
.LBB177_101:
	s_or_b64 exec, exec, s[4:5]
	v_and_b32_sdwa v18, s16, v30 dst_sel:DWORD dst_unused:UNUSED_PAD src0_sel:DWORD src1_sel:WORD_0
	v_and_b32_e32 v17, 1, v18
	v_add_co_u32_e32 v19, vcc, -1, v17
	v_addc_co_u32_e64 v20, s[4:5], 0, -1, vcc
	v_cmp_ne_u32_e32 vcc, 0, v17
	v_lshlrev_b32_e32 v16, 1, v18
	v_xor_b32_e32 v17, vcc_hi, v20
	v_add_lshl_u32 v41, v22, v16, 2
	v_mov_b32_e32 v16, 0
	v_and_b32_e32 v20, exec_hi, v17
	v_lshlrev_b32_e32 v17, 30, v18
	v_xor_b32_e32 v19, vcc_lo, v19
	v_cmp_gt_i64_e32 vcc, 0, v[16:17]
	v_not_b32_e32 v17, v17
	v_ashrrev_i32_e32 v17, 31, v17
	v_and_b32_e32 v19, exec_lo, v19
	v_xor_b32_e32 v21, vcc_hi, v17
	v_xor_b32_e32 v17, vcc_lo, v17
	v_and_b32_e32 v19, v19, v17
	v_lshlrev_b32_e32 v17, 29, v18
	v_cmp_gt_i64_e32 vcc, 0, v[16:17]
	v_not_b32_e32 v17, v17
	v_ashrrev_i32_e32 v17, 31, v17
	v_and_b32_e32 v20, v20, v21
	v_xor_b32_e32 v21, vcc_hi, v17
	v_xor_b32_e32 v17, vcc_lo, v17
	v_and_b32_e32 v19, v19, v17
	v_lshlrev_b32_e32 v17, 28, v18
	v_cmp_gt_i64_e32 vcc, 0, v[16:17]
	v_not_b32_e32 v17, v17
	v_ashrrev_i32_e32 v17, 31, v17
	v_and_b32_e32 v20, v20, v21
	;; [unrolled: 8-line block ×5, first 2 shown]
	v_xor_b32_e32 v21, vcc_hi, v17
	v_xor_b32_e32 v17, vcc_lo, v17
	v_and_b32_e32 v20, v20, v21
	v_and_b32_e32 v21, v19, v17
	v_lshlrev_b32_e32 v17, 24, v18
	v_cmp_gt_i64_e32 vcc, 0, v[16:17]
	v_not_b32_e32 v17, v17
	v_ashrrev_i32_e32 v17, 31, v17
	v_xor_b32_e32 v18, vcc_hi, v17
	v_xor_b32_e32 v17, vcc_lo, v17
	; wave barrier
	ds_read_b32 v40, v41 offset:8
	v_and_b32_e32 v19, v20, v18
	v_and_b32_e32 v18, v21, v17
	v_mbcnt_lo_u32_b32 v17, v18, 0
	v_mbcnt_hi_u32_b32 v66, v19, v17
	v_cmp_eq_u32_e32 vcc, 0, v66
	v_cmp_ne_u64_e64 s[4:5], 0, v[18:19]
	s_and_b64 s[18:19], s[4:5], vcc
	; wave barrier
	s_and_saveexec_b64 s[4:5], s[18:19]
	s_cbranch_execz .LBB177_103
; %bb.102:
	v_bcnt_u32_b32 v17, v18, 0
	v_bcnt_u32_b32 v17, v19, v17
	s_waitcnt lgkmcnt(0)
	v_add_u32_e32 v17, v40, v17
	ds_write_b32 v41, v17 offset:8
.LBB177_103:
	s_or_b64 exec, exec, s[4:5]
	v_and_b32_sdwa v18, s16, v29 dst_sel:DWORD dst_unused:UNUSED_PAD src0_sel:DWORD src1_sel:WORD_0
	v_lshlrev_b32_e32 v17, 1, v18
	v_add_lshl_u32 v68, v22, v17, 2
	v_and_b32_e32 v17, 1, v18
	v_add_co_u32_e32 v19, vcc, -1, v17
	v_addc_co_u32_e64 v20, s[4:5], 0, -1, vcc
	v_cmp_ne_u32_e32 vcc, 0, v17
	v_xor_b32_e32 v17, vcc_hi, v20
	v_and_b32_e32 v20, exec_hi, v17
	v_lshlrev_b32_e32 v17, 30, v18
	v_xor_b32_e32 v19, vcc_lo, v19
	v_cmp_gt_i64_e32 vcc, 0, v[16:17]
	v_not_b32_e32 v17, v17
	v_ashrrev_i32_e32 v17, 31, v17
	v_and_b32_e32 v19, exec_lo, v19
	v_xor_b32_e32 v21, vcc_hi, v17
	v_xor_b32_e32 v17, vcc_lo, v17
	v_and_b32_e32 v19, v19, v17
	v_lshlrev_b32_e32 v17, 29, v18
	v_cmp_gt_i64_e32 vcc, 0, v[16:17]
	v_not_b32_e32 v17, v17
	v_ashrrev_i32_e32 v17, 31, v17
	v_and_b32_e32 v20, v20, v21
	v_xor_b32_e32 v21, vcc_hi, v17
	v_xor_b32_e32 v17, vcc_lo, v17
	v_and_b32_e32 v19, v19, v17
	v_lshlrev_b32_e32 v17, 28, v18
	v_cmp_gt_i64_e32 vcc, 0, v[16:17]
	v_not_b32_e32 v17, v17
	v_ashrrev_i32_e32 v17, 31, v17
	v_and_b32_e32 v20, v20, v21
	;; [unrolled: 8-line block ×5, first 2 shown]
	v_xor_b32_e32 v21, vcc_hi, v17
	v_xor_b32_e32 v17, vcc_lo, v17
	v_and_b32_e32 v19, v19, v17
	v_lshlrev_b32_e32 v17, 24, v18
	v_cmp_gt_i64_e32 vcc, 0, v[16:17]
	v_not_b32_e32 v16, v17
	v_ashrrev_i32_e32 v16, 31, v16
	v_xor_b32_e32 v17, vcc_hi, v16
	v_xor_b32_e32 v16, vcc_lo, v16
	; wave barrier
	ds_read_b32 v67, v68 offset:8
	v_and_b32_e32 v20, v20, v21
	v_and_b32_e32 v16, v19, v16
	;; [unrolled: 1-line block ×3, first 2 shown]
	v_mbcnt_lo_u32_b32 v18, v16, 0
	v_mbcnt_hi_u32_b32 v69, v17, v18
	v_cmp_eq_u32_e32 vcc, 0, v69
	v_cmp_ne_u64_e64 s[4:5], 0, v[16:17]
	s_and_b64 s[18:19], s[4:5], vcc
	; wave barrier
	s_and_saveexec_b64 s[4:5], s[18:19]
	s_cbranch_execz .LBB177_105
; %bb.104:
	v_bcnt_u32_b32 v16, v16, 0
	v_bcnt_u32_b32 v16, v17, v16
	s_waitcnt lgkmcnt(0)
	v_add_u32_e32 v16, v67, v16
	ds_write_b32 v68, v16 offset:8
.LBB177_105:
	s_or_b64 exec, exec, s[4:5]
	v_and_b32_sdwa v18, s16, v28 dst_sel:DWORD dst_unused:UNUSED_PAD src0_sel:DWORD src1_sel:WORD_0
	v_and_b32_e32 v17, 1, v18
	v_add_co_u32_e32 v19, vcc, -1, v17
	v_addc_co_u32_e64 v20, s[4:5], 0, -1, vcc
	v_cmp_ne_u32_e32 vcc, 0, v17
	v_lshlrev_b32_e32 v16, 1, v18
	v_xor_b32_e32 v17, vcc_hi, v20
	v_add_lshl_u32 v71, v22, v16, 2
	v_mov_b32_e32 v16, 0
	v_and_b32_e32 v20, exec_hi, v17
	v_lshlrev_b32_e32 v17, 30, v18
	v_xor_b32_e32 v19, vcc_lo, v19
	v_cmp_gt_i64_e32 vcc, 0, v[16:17]
	v_not_b32_e32 v17, v17
	v_ashrrev_i32_e32 v17, 31, v17
	v_and_b32_e32 v19, exec_lo, v19
	v_xor_b32_e32 v21, vcc_hi, v17
	v_xor_b32_e32 v17, vcc_lo, v17
	v_and_b32_e32 v19, v19, v17
	v_lshlrev_b32_e32 v17, 29, v18
	v_cmp_gt_i64_e32 vcc, 0, v[16:17]
	v_not_b32_e32 v17, v17
	v_ashrrev_i32_e32 v17, 31, v17
	v_and_b32_e32 v20, v20, v21
	v_xor_b32_e32 v21, vcc_hi, v17
	v_xor_b32_e32 v17, vcc_lo, v17
	v_and_b32_e32 v19, v19, v17
	v_lshlrev_b32_e32 v17, 28, v18
	v_cmp_gt_i64_e32 vcc, 0, v[16:17]
	v_not_b32_e32 v17, v17
	v_ashrrev_i32_e32 v17, 31, v17
	v_and_b32_e32 v20, v20, v21
	;; [unrolled: 8-line block ×5, first 2 shown]
	v_xor_b32_e32 v21, vcc_hi, v17
	v_xor_b32_e32 v17, vcc_lo, v17
	v_and_b32_e32 v20, v20, v21
	v_and_b32_e32 v21, v19, v17
	v_lshlrev_b32_e32 v17, 24, v18
	v_cmp_gt_i64_e32 vcc, 0, v[16:17]
	v_not_b32_e32 v17, v17
	v_ashrrev_i32_e32 v17, 31, v17
	v_xor_b32_e32 v18, vcc_hi, v17
	v_xor_b32_e32 v17, vcc_lo, v17
	; wave barrier
	ds_read_b32 v70, v71 offset:8
	v_and_b32_e32 v19, v20, v18
	v_and_b32_e32 v18, v21, v17
	v_mbcnt_lo_u32_b32 v17, v18, 0
	v_mbcnt_hi_u32_b32 v72, v19, v17
	v_cmp_eq_u32_e32 vcc, 0, v72
	v_cmp_ne_u64_e64 s[4:5], 0, v[18:19]
	s_and_b64 s[18:19], s[4:5], vcc
	; wave barrier
	s_and_saveexec_b64 s[4:5], s[18:19]
	s_cbranch_execz .LBB177_107
; %bb.106:
	v_bcnt_u32_b32 v17, v18, 0
	v_bcnt_u32_b32 v17, v19, v17
	s_waitcnt lgkmcnt(0)
	v_add_u32_e32 v17, v70, v17
	ds_write_b32 v71, v17 offset:8
.LBB177_107:
	s_or_b64 exec, exec, s[4:5]
	v_and_b32_sdwa v18, s16, v27 dst_sel:DWORD dst_unused:UNUSED_PAD src0_sel:DWORD src1_sel:WORD_0
	v_lshlrev_b32_e32 v17, 1, v18
	v_add_lshl_u32 v74, v22, v17, 2
	v_and_b32_e32 v17, 1, v18
	v_add_co_u32_e32 v19, vcc, -1, v17
	v_addc_co_u32_e64 v20, s[4:5], 0, -1, vcc
	v_cmp_ne_u32_e32 vcc, 0, v17
	v_xor_b32_e32 v17, vcc_hi, v20
	v_and_b32_e32 v20, exec_hi, v17
	v_lshlrev_b32_e32 v17, 30, v18
	v_xor_b32_e32 v19, vcc_lo, v19
	v_cmp_gt_i64_e32 vcc, 0, v[16:17]
	v_not_b32_e32 v17, v17
	v_ashrrev_i32_e32 v17, 31, v17
	v_and_b32_e32 v19, exec_lo, v19
	v_xor_b32_e32 v21, vcc_hi, v17
	v_xor_b32_e32 v17, vcc_lo, v17
	v_and_b32_e32 v19, v19, v17
	v_lshlrev_b32_e32 v17, 29, v18
	v_cmp_gt_i64_e32 vcc, 0, v[16:17]
	v_not_b32_e32 v17, v17
	v_ashrrev_i32_e32 v17, 31, v17
	v_and_b32_e32 v20, v20, v21
	v_xor_b32_e32 v21, vcc_hi, v17
	v_xor_b32_e32 v17, vcc_lo, v17
	v_and_b32_e32 v19, v19, v17
	v_lshlrev_b32_e32 v17, 28, v18
	v_cmp_gt_i64_e32 vcc, 0, v[16:17]
	v_not_b32_e32 v17, v17
	v_ashrrev_i32_e32 v17, 31, v17
	v_and_b32_e32 v20, v20, v21
	;; [unrolled: 8-line block ×5, first 2 shown]
	v_xor_b32_e32 v21, vcc_hi, v17
	v_xor_b32_e32 v17, vcc_lo, v17
	v_and_b32_e32 v19, v19, v17
	v_lshlrev_b32_e32 v17, 24, v18
	v_cmp_gt_i64_e32 vcc, 0, v[16:17]
	v_not_b32_e32 v16, v17
	v_ashrrev_i32_e32 v16, 31, v16
	v_xor_b32_e32 v17, vcc_hi, v16
	v_xor_b32_e32 v16, vcc_lo, v16
	; wave barrier
	ds_read_b32 v73, v74 offset:8
	v_and_b32_e32 v20, v20, v21
	v_and_b32_e32 v16, v19, v16
	;; [unrolled: 1-line block ×3, first 2 shown]
	v_mbcnt_lo_u32_b32 v18, v16, 0
	v_mbcnt_hi_u32_b32 v75, v17, v18
	v_cmp_eq_u32_e32 vcc, 0, v75
	v_cmp_ne_u64_e64 s[4:5], 0, v[16:17]
	s_and_b64 s[18:19], s[4:5], vcc
	; wave barrier
	s_and_saveexec_b64 s[4:5], s[18:19]
	s_cbranch_execz .LBB177_109
; %bb.108:
	v_bcnt_u32_b32 v16, v16, 0
	v_bcnt_u32_b32 v16, v17, v16
	s_waitcnt lgkmcnt(0)
	v_add_u32_e32 v16, v73, v16
	ds_write_b32 v74, v16 offset:8
.LBB177_109:
	s_or_b64 exec, exec, s[4:5]
	v_and_b32_sdwa v18, s16, v26 dst_sel:DWORD dst_unused:UNUSED_PAD src0_sel:DWORD src1_sel:WORD_0
	v_and_b32_e32 v17, 1, v18
	v_add_co_u32_e32 v19, vcc, -1, v17
	v_addc_co_u32_e64 v20, s[4:5], 0, -1, vcc
	v_cmp_ne_u32_e32 vcc, 0, v17
	v_lshlrev_b32_e32 v16, 1, v18
	v_xor_b32_e32 v17, vcc_hi, v20
	v_add_lshl_u32 v77, v22, v16, 2
	v_mov_b32_e32 v16, 0
	v_and_b32_e32 v20, exec_hi, v17
	v_lshlrev_b32_e32 v17, 30, v18
	v_xor_b32_e32 v19, vcc_lo, v19
	v_cmp_gt_i64_e32 vcc, 0, v[16:17]
	v_not_b32_e32 v17, v17
	v_ashrrev_i32_e32 v17, 31, v17
	v_and_b32_e32 v19, exec_lo, v19
	v_xor_b32_e32 v21, vcc_hi, v17
	v_xor_b32_e32 v17, vcc_lo, v17
	v_and_b32_e32 v19, v19, v17
	v_lshlrev_b32_e32 v17, 29, v18
	v_cmp_gt_i64_e32 vcc, 0, v[16:17]
	v_not_b32_e32 v17, v17
	v_ashrrev_i32_e32 v17, 31, v17
	v_and_b32_e32 v20, v20, v21
	v_xor_b32_e32 v21, vcc_hi, v17
	v_xor_b32_e32 v17, vcc_lo, v17
	v_and_b32_e32 v19, v19, v17
	v_lshlrev_b32_e32 v17, 28, v18
	v_cmp_gt_i64_e32 vcc, 0, v[16:17]
	v_not_b32_e32 v17, v17
	v_ashrrev_i32_e32 v17, 31, v17
	v_and_b32_e32 v20, v20, v21
	;; [unrolled: 8-line block ×5, first 2 shown]
	v_xor_b32_e32 v21, vcc_hi, v17
	v_xor_b32_e32 v17, vcc_lo, v17
	v_and_b32_e32 v20, v20, v21
	v_and_b32_e32 v21, v19, v17
	v_lshlrev_b32_e32 v17, 24, v18
	v_cmp_gt_i64_e32 vcc, 0, v[16:17]
	v_not_b32_e32 v17, v17
	v_ashrrev_i32_e32 v17, 31, v17
	v_xor_b32_e32 v18, vcc_hi, v17
	v_xor_b32_e32 v17, vcc_lo, v17
	; wave barrier
	ds_read_b32 v76, v77 offset:8
	v_and_b32_e32 v19, v20, v18
	v_and_b32_e32 v18, v21, v17
	v_mbcnt_lo_u32_b32 v17, v18, 0
	v_mbcnt_hi_u32_b32 v78, v19, v17
	v_cmp_eq_u32_e32 vcc, 0, v78
	v_cmp_ne_u64_e64 s[4:5], 0, v[18:19]
	s_and_b64 s[18:19], s[4:5], vcc
	; wave barrier
	s_and_saveexec_b64 s[4:5], s[18:19]
	s_cbranch_execz .LBB177_111
; %bb.110:
	v_bcnt_u32_b32 v17, v18, 0
	v_bcnt_u32_b32 v17, v19, v17
	s_waitcnt lgkmcnt(0)
	v_add_u32_e32 v17, v76, v17
	ds_write_b32 v77, v17 offset:8
.LBB177_111:
	s_or_b64 exec, exec, s[4:5]
	v_and_b32_sdwa v18, s16, v25 dst_sel:DWORD dst_unused:UNUSED_PAD src0_sel:DWORD src1_sel:WORD_0
	v_lshlrev_b32_e32 v17, 1, v18
	v_add_lshl_u32 v79, v22, v17, 2
	v_and_b32_e32 v17, 1, v18
	v_add_co_u32_e32 v19, vcc, -1, v17
	v_addc_co_u32_e64 v20, s[4:5], 0, -1, vcc
	v_cmp_ne_u32_e32 vcc, 0, v17
	v_xor_b32_e32 v17, vcc_hi, v20
	v_and_b32_e32 v20, exec_hi, v17
	v_lshlrev_b32_e32 v17, 30, v18
	v_xor_b32_e32 v19, vcc_lo, v19
	v_cmp_gt_i64_e32 vcc, 0, v[16:17]
	v_not_b32_e32 v17, v17
	v_ashrrev_i32_e32 v17, 31, v17
	v_and_b32_e32 v19, exec_lo, v19
	v_xor_b32_e32 v21, vcc_hi, v17
	v_xor_b32_e32 v17, vcc_lo, v17
	v_and_b32_e32 v19, v19, v17
	v_lshlrev_b32_e32 v17, 29, v18
	v_cmp_gt_i64_e32 vcc, 0, v[16:17]
	v_not_b32_e32 v17, v17
	v_ashrrev_i32_e32 v17, 31, v17
	v_and_b32_e32 v20, v20, v21
	v_xor_b32_e32 v21, vcc_hi, v17
	v_xor_b32_e32 v17, vcc_lo, v17
	v_and_b32_e32 v19, v19, v17
	v_lshlrev_b32_e32 v17, 28, v18
	v_cmp_gt_i64_e32 vcc, 0, v[16:17]
	v_not_b32_e32 v17, v17
	v_ashrrev_i32_e32 v17, 31, v17
	v_and_b32_e32 v20, v20, v21
	;; [unrolled: 8-line block ×5, first 2 shown]
	v_xor_b32_e32 v21, vcc_hi, v17
	v_xor_b32_e32 v17, vcc_lo, v17
	v_and_b32_e32 v19, v19, v17
	v_lshlrev_b32_e32 v17, 24, v18
	v_cmp_gt_i64_e32 vcc, 0, v[16:17]
	v_not_b32_e32 v16, v17
	v_ashrrev_i32_e32 v16, 31, v16
	v_xor_b32_e32 v17, vcc_hi, v16
	v_xor_b32_e32 v16, vcc_lo, v16
	v_min_u32_e32 v33, 64, v65
	; wave barrier
	ds_read_b32 v65, v79 offset:8
	v_and_b32_e32 v20, v20, v21
	v_and_b32_e32 v16, v19, v16
	;; [unrolled: 1-line block ×3, first 2 shown]
	v_mbcnt_lo_u32_b32 v18, v16, 0
	v_mbcnt_hi_u32_b32 v80, v17, v18
	v_cmp_eq_u32_e32 vcc, 0, v80
	v_cmp_ne_u64_e64 s[4:5], 0, v[16:17]
	v_or_b32_e32 v23, 8, v62
	v_lshrrev_b32_e32 v24, 6, v42
	s_and_b64 s[16:17], s[4:5], vcc
	; wave barrier
	s_and_saveexec_b64 s[4:5], s[16:17]
	s_cbranch_execz .LBB177_113
; %bb.112:
	v_bcnt_u32_b32 v16, v16, 0
	v_bcnt_u32_b32 v16, v17, v16
	s_waitcnt lgkmcnt(0)
	v_add_u32_e32 v16, v65, v16
	ds_write_b32 v79, v16 offset:8
.LBB177_113:
	s_or_b64 exec, exec, s[4:5]
	; wave barrier
	s_waitcnt lgkmcnt(0)
	s_barrier
	ds_read2_b32 v[18:19], v62 offset0:2 offset1:3
	ds_read2_b32 v[20:21], v23 offset0:2 offset1:3
	v_and_b32_e32 v17, 16, v63
	v_cmp_eq_u32_e32 vcc, 0, v17
	v_or_b32_e32 v17, 63, v33
	v_cmp_eq_u32_e64 s[16:17], v17, v42
	s_waitcnt lgkmcnt(1)
	v_add_u32_e32 v17, v19, v18
	v_and_b32_e32 v16, 15, v63
	s_waitcnt lgkmcnt(0)
	v_add3_u32 v17, v17, v20, v21
	v_cmp_eq_u32_e64 s[20:21], 0, v16
	v_cmp_lt_u32_e64 s[22:23], 1, v16
	v_mov_b32_dpp v21, v17 row_shr:1 row_mask:0xf bank_mask:0xf
	v_cndmask_b32_e64 v21, v21, 0, s[20:21]
	v_add_u32_e32 v17, v21, v17
	v_cmp_lt_u32_e64 s[26:27], 3, v16
	v_cmp_lt_u32_e64 s[28:29], 7, v16
	v_mov_b32_dpp v21, v17 row_shr:2 row_mask:0xf bank_mask:0xf
	v_cndmask_b32_e64 v21, 0, v21, s[22:23]
	v_add_u32_e32 v17, v17, v21
	v_bfe_i32 v34, v63, 4, 1
	v_cmp_lt_u32_e64 s[34:35], 31, v63
	v_mov_b32_dpp v21, v17 row_shr:4 row_mask:0xf bank_mask:0xf
	v_cndmask_b32_e64 v21, 0, v21, s[26:27]
	v_add_u32_e32 v17, v17, v21
	v_lshlrev_b32_e32 v24, 2, v24
	s_nop 0
	v_mov_b32_dpp v21, v17 row_shr:8 row_mask:0xf bank_mask:0xf
	v_cndmask_b32_e64 v16, 0, v21, s[28:29]
	v_add_u32_e32 v16, v17, v16
	s_nop 1
	v_mov_b32_dpp v17, v16 row_bcast:15 row_mask:0xf bank_mask:0xf
	v_and_b32_e32 v17, v34, v17
	v_add_u32_e32 v16, v16, v17
	s_nop 1
	v_mov_b32_dpp v17, v16 row_bcast:31 row_mask:0xf bank_mask:0xf
	v_cndmask_b32_e64 v17, 0, v17, s[34:35]
	v_add_u32_e32 v17, v16, v17
	s_and_saveexec_b64 s[4:5], s[16:17]
	s_cbranch_execz .LBB177_115
; %bb.114:
	ds_write_b32 v24, v17
.LBB177_115:
	s_or_b64 exec, exec, s[4:5]
	v_and_b32_e32 v16, 1, v63
	v_cmp_gt_u32_e64 s[24:25], 2, v42
	v_lshlrev_b32_e32 v21, 2, v42
	v_cmp_eq_u32_e64 s[18:19], 0, v16
	s_waitcnt lgkmcnt(0)
	s_barrier
	s_and_saveexec_b64 s[4:5], s[24:25]
	s_cbranch_execz .LBB177_117
; %bb.116:
	ds_read_b32 v16, v21
	s_waitcnt lgkmcnt(0)
	s_nop 0
	v_mov_b32_dpp v33, v16 row_shr:1 row_mask:0xf bank_mask:0xf
	v_cndmask_b32_e64 v33, v33, 0, s[18:19]
	v_add_u32_e32 v16, v33, v16
	ds_write_b32 v21, v16
.LBB177_117:
	s_or_b64 exec, exec, s[4:5]
	v_cmp_lt_u32_e64 s[30:31], 63, v42
	v_add_u32_e32 v33, -4, v24
	v_mov_b32_e32 v16, 0
	v_mov_b32_e32 v81, 0
	s_waitcnt lgkmcnt(0)
	s_barrier
	s_and_saveexec_b64 s[4:5], s[30:31]
	s_cbranch_execz .LBB177_119
; %bb.118:
	ds_read_b32 v81, v33
.LBB177_119:
	s_or_b64 exec, exec, s[4:5]
	v_add_u32_e32 v34, -1, v63
	v_and_b32_e32 v82, 64, v63
	v_cmp_lt_i32_e64 s[4:5], v34, v82
	v_cndmask_b32_e64 v34, v34, v63, s[4:5]
	v_lshlrev_b32_e32 v34, 2, v34
	s_waitcnt lgkmcnt(0)
	v_add_u32_e32 v17, v81, v17
	ds_bpermute_b32 v17, v34, v17
	v_cmp_eq_u32_e64 s[36:37], 0, v63
	v_cmp_eq_u32_e64 s[38:39], 0, v42
	v_and_or_b32 v64, v63, 63, v64
	s_min_u32 s4, s42, 8
	s_waitcnt lgkmcnt(0)
	v_cndmask_b32_e64 v17, v17, v81, s[36:37]
	v_cndmask_b32_e64 v17, v17, 0, s[38:39]
	v_add_u32_e32 v18, v17, v18
	v_add_u32_e32 v19, v18, v19
	;; [unrolled: 1-line block ×3, first 2 shown]
	ds_write2_b32 v62, v17, v18 offset0:2 offset1:3
	ds_write2_b32 v23, v19, v20 offset0:2 offset1:3
	s_waitcnt lgkmcnt(0)
	s_barrier
	ds_read_b32 v17, v35 offset:8
	ds_read_b32 v18, v38 offset:8
	;; [unrolled: 1-line block ×8, first 2 shown]
	s_waitcnt lgkmcnt(7)
	v_add_u32_e32 v17, v17, v36
	s_waitcnt lgkmcnt(6)
	v_add3_u32 v18, v39, v37, v18
	s_waitcnt lgkmcnt(4)
	v_add3_u32 v36, v69, v67, v20
	v_lshlrev_b32_e32 v20, 1, v17
	v_add3_u32 v19, v66, v40, v19
	s_waitcnt lgkmcnt(0)
	s_barrier
	ds_write_b16 v20, v32
	v_lshlrev_b32_e32 v20, 1, v18
	ds_write_b16 v20, v31
	v_lshlrev_b32_e32 v20, 1, v19
	v_add3_u32 v35, v72, v70, v35
	ds_write_b16 v20, v30
	v_lshlrev_b32_e32 v20, 1, v36
	v_add3_u32 v37, v75, v73, v38
	ds_write_b16 v20, v29
	v_lshlrev_b32_e32 v20, 1, v35
	v_add3_u32 v38, v78, v76, v41
	ds_write_b16 v20, v28
	v_lshlrev_b32_e32 v20, 1, v37
	v_add3_u32 v39, v80, v65, v63
	ds_write_b16 v20, v27
	v_lshlrev_b32_e32 v20, 1, v38
	s_lshl_b32 s4, -1, s4
	v_lshlrev_b32_e32 v82, 1, v64
	ds_write_b16 v20, v26
	v_lshlrev_b32_e32 v20, 1, v39
	v_lshlrev_b32_e32 v17, 3, v17
	s_not_b32 s48, s4
	ds_write_b16 v20, v25
	s_waitcnt lgkmcnt(0)
	s_barrier
	ds_read_u16 v31, v82
	ds_read_u16 v30, v82 offset:128
	ds_read_u16 v29, v82 offset:256
	;; [unrolled: 1-line block ×7, first 2 shown]
	s_waitcnt lgkmcnt(0)
	s_barrier
	ds_write_b64 v17, v[12:13]
	v_lshlrev_b32_e32 v12, 3, v18
	v_and_b32_sdwa v18, v31, s48 dst_sel:DWORD dst_unused:UNUSED_PAD src0_sel:BYTE_1 src1_sel:DWORD
	v_lshlrev_b32_e32 v17, 1, v18
	ds_write_b64 v12, v[14:15]
	v_lshlrev_b32_e32 v12, 3, v19
	v_add_lshl_u32 v32, v17, v22, 2
	v_and_b32_e32 v17, 1, v18
	ds_write_b64 v12, v[8:9]
	v_lshlrev_b32_e32 v8, 3, v36
	v_add_co_u32_e64 v19, s[4:5], -1, v17
	ds_write_b64 v8, v[10:11]
	v_lshlrev_b32_e32 v8, 3, v35
	v_addc_co_u32_e64 v35, s[4:5], 0, -1, s[4:5]
	v_cmp_ne_u32_e64 s[4:5], 0, v17
	v_xor_b32_e32 v17, s5, v35
	v_and_b32_e32 v35, exec_hi, v17
	v_lshlrev_b32_e32 v17, 30, v18
	v_xor_b32_e32 v19, s4, v19
	v_cmp_gt_i64_e64 s[4:5], 0, v[16:17]
	v_not_b32_e32 v17, v17
	v_ashrrev_i32_e32 v17, 31, v17
	v_and_b32_e32 v19, exec_lo, v19
	v_xor_b32_e32 v36, s5, v17
	v_xor_b32_e32 v17, s4, v17
	v_and_b32_e32 v19, v19, v17
	v_lshlrev_b32_e32 v17, 29, v18
	v_cmp_gt_i64_e64 s[4:5], 0, v[16:17]
	v_not_b32_e32 v17, v17
	v_ashrrev_i32_e32 v17, 31, v17
	v_and_b32_e32 v35, v35, v36
	v_xor_b32_e32 v36, s5, v17
	v_xor_b32_e32 v17, s4, v17
	v_and_b32_e32 v19, v19, v17
	v_lshlrev_b32_e32 v17, 28, v18
	v_cmp_gt_i64_e64 s[4:5], 0, v[16:17]
	v_not_b32_e32 v17, v17
	v_ashrrev_i32_e32 v17, 31, v17
	v_and_b32_e32 v35, v35, v36
	;; [unrolled: 8-line block ×4, first 2 shown]
	v_xor_b32_e32 v36, s5, v17
	v_xor_b32_e32 v17, s4, v17
	v_and_b32_e32 v19, v19, v17
	v_lshlrev_b32_e32 v17, 25, v18
	v_cmp_gt_i64_e64 s[4:5], 0, v[16:17]
	v_not_b32_e32 v17, v17
	ds_write_b64 v8, v[4:5]
	v_lshlrev_b32_e32 v4, 3, v37
	v_ashrrev_i32_e32 v17, 31, v17
	ds_write_b64 v4, v[6:7]
	v_lshlrev_b32_e32 v4, 3, v38
	v_and_b32_e32 v35, v35, v36
	v_xor_b32_e32 v36, s5, v17
	v_xor_b32_e32 v17, s4, v17
	v_lshlrev_b32_e32 v64, 3, v64
	ds_write_b64 v4, v[0:1]
	v_lshlrev_b32_e32 v0, 3, v39
	v_and_b32_e32 v19, v19, v17
	v_lshlrev_b32_e32 v17, 24, v18
	ds_write_b64 v0, v[2:3]
	s_waitcnt lgkmcnt(0)
	s_barrier
	ds_read2st64_b64 v[12:15], v64 offset1:1
	ds_read2st64_b64 v[8:11], v64 offset0:2 offset1:3
	ds_read2st64_b64 v[4:7], v64 offset0:4 offset1:5
	;; [unrolled: 1-line block ×3, first 2 shown]
	s_waitcnt lgkmcnt(0)
	s_barrier
	ds_write2_b32 v62, v16, v16 offset0:2 offset1:3
	ds_write2_b32 v23, v16, v16 offset0:2 offset1:3
	v_cmp_gt_i64_e64 s[4:5], 0, v[16:17]
	v_not_b32_e32 v16, v17
	v_ashrrev_i32_e32 v16, 31, v16
	v_xor_b32_e32 v17, s5, v16
	v_xor_b32_e32 v16, s4, v16
	v_and_b32_e32 v35, v35, v36
	v_and_b32_e32 v16, v19, v16
	;; [unrolled: 1-line block ×3, first 2 shown]
	v_mbcnt_lo_u32_b32 v18, v16, 0
	v_mbcnt_hi_u32_b32 v35, v17, v18
	v_cmp_eq_u32_e64 s[4:5], 0, v35
	v_cmp_ne_u64_e64 s[42:43], 0, v[16:17]
	s_and_b64 s[42:43], s[42:43], s[4:5]
	s_waitcnt lgkmcnt(0)
	s_barrier
	s_waitcnt lgkmcnt(0)
	; wave barrier
	s_and_saveexec_b64 s[4:5], s[42:43]
	s_cbranch_execz .LBB177_121
; %bb.120:
	v_bcnt_u32_b32 v16, v16, 0
	v_bcnt_u32_b32 v16, v17, v16
	ds_write_b32 v32, v16 offset:8
.LBB177_121:
	s_or_b64 exec, exec, s[4:5]
	v_and_b32_sdwa v18, v30, s48 dst_sel:DWORD dst_unused:UNUSED_PAD src0_sel:BYTE_1 src1_sel:DWORD
	v_and_b32_e32 v17, 1, v18
	v_add_co_u32_e64 v19, s[4:5], -1, v17
	v_addc_co_u32_e64 v38, s[4:5], 0, -1, s[4:5]
	v_cmp_ne_u32_e64 s[4:5], 0, v17
	v_lshlrev_b32_e32 v16, 1, v18
	v_xor_b32_e32 v17, s5, v38
	v_add_lshl_u32 v37, v16, v22, 2
	v_mov_b32_e32 v16, 0
	v_and_b32_e32 v38, exec_hi, v17
	v_lshlrev_b32_e32 v17, 30, v18
	v_xor_b32_e32 v19, s4, v19
	v_cmp_gt_i64_e64 s[4:5], 0, v[16:17]
	v_not_b32_e32 v17, v17
	v_ashrrev_i32_e32 v17, 31, v17
	v_and_b32_e32 v19, exec_lo, v19
	v_xor_b32_e32 v39, s5, v17
	v_xor_b32_e32 v17, s4, v17
	v_and_b32_e32 v19, v19, v17
	v_lshlrev_b32_e32 v17, 29, v18
	v_cmp_gt_i64_e64 s[4:5], 0, v[16:17]
	v_not_b32_e32 v17, v17
	v_ashrrev_i32_e32 v17, 31, v17
	v_and_b32_e32 v38, v38, v39
	v_xor_b32_e32 v39, s5, v17
	v_xor_b32_e32 v17, s4, v17
	v_and_b32_e32 v19, v19, v17
	v_lshlrev_b32_e32 v17, 28, v18
	v_cmp_gt_i64_e64 s[4:5], 0, v[16:17]
	v_not_b32_e32 v17, v17
	v_ashrrev_i32_e32 v17, 31, v17
	v_and_b32_e32 v38, v38, v39
	;; [unrolled: 8-line block ×5, first 2 shown]
	v_xor_b32_e32 v39, s5, v17
	v_xor_b32_e32 v17, s4, v17
	v_and_b32_e32 v38, v38, v39
	v_and_b32_e32 v39, v19, v17
	v_lshlrev_b32_e32 v17, 24, v18
	v_cmp_gt_i64_e64 s[4:5], 0, v[16:17]
	v_not_b32_e32 v17, v17
	v_ashrrev_i32_e32 v17, 31, v17
	v_xor_b32_e32 v18, s5, v17
	v_xor_b32_e32 v17, s4, v17
	; wave barrier
	ds_read_b32 v36, v37 offset:8
	v_and_b32_e32 v19, v38, v18
	v_and_b32_e32 v18, v39, v17
	v_mbcnt_lo_u32_b32 v17, v18, 0
	v_mbcnt_hi_u32_b32 v38, v19, v17
	v_cmp_eq_u32_e64 s[4:5], 0, v38
	v_cmp_ne_u64_e64 s[42:43], 0, v[18:19]
	s_and_b64 s[42:43], s[42:43], s[4:5]
	; wave barrier
	s_and_saveexec_b64 s[4:5], s[42:43]
	s_cbranch_execz .LBB177_123
; %bb.122:
	v_bcnt_u32_b32 v17, v18, 0
	v_bcnt_u32_b32 v17, v19, v17
	s_waitcnt lgkmcnt(0)
	v_add_u32_e32 v17, v36, v17
	ds_write_b32 v37, v17 offset:8
.LBB177_123:
	s_or_b64 exec, exec, s[4:5]
	v_and_b32_sdwa v18, v29, s48 dst_sel:DWORD dst_unused:UNUSED_PAD src0_sel:BYTE_1 src1_sel:DWORD
	v_lshlrev_b32_e32 v17, 1, v18
	v_add_lshl_u32 v40, v17, v22, 2
	v_and_b32_e32 v17, 1, v18
	v_add_co_u32_e64 v19, s[4:5], -1, v17
	v_addc_co_u32_e64 v41, s[4:5], 0, -1, s[4:5]
	v_cmp_ne_u32_e64 s[4:5], 0, v17
	v_xor_b32_e32 v17, s5, v41
	v_and_b32_e32 v41, exec_hi, v17
	v_lshlrev_b32_e32 v17, 30, v18
	v_xor_b32_e32 v19, s4, v19
	v_cmp_gt_i64_e64 s[4:5], 0, v[16:17]
	v_not_b32_e32 v17, v17
	v_ashrrev_i32_e32 v17, 31, v17
	v_and_b32_e32 v19, exec_lo, v19
	v_xor_b32_e32 v63, s5, v17
	v_xor_b32_e32 v17, s4, v17
	v_and_b32_e32 v19, v19, v17
	v_lshlrev_b32_e32 v17, 29, v18
	v_cmp_gt_i64_e64 s[4:5], 0, v[16:17]
	v_not_b32_e32 v17, v17
	v_ashrrev_i32_e32 v17, 31, v17
	v_and_b32_e32 v41, v41, v63
	v_xor_b32_e32 v63, s5, v17
	v_xor_b32_e32 v17, s4, v17
	v_and_b32_e32 v19, v19, v17
	v_lshlrev_b32_e32 v17, 28, v18
	v_cmp_gt_i64_e64 s[4:5], 0, v[16:17]
	v_not_b32_e32 v17, v17
	v_ashrrev_i32_e32 v17, 31, v17
	v_and_b32_e32 v41, v41, v63
	;; [unrolled: 8-line block ×5, first 2 shown]
	v_xor_b32_e32 v63, s5, v17
	v_xor_b32_e32 v17, s4, v17
	v_and_b32_e32 v19, v19, v17
	v_lshlrev_b32_e32 v17, 24, v18
	v_cmp_gt_i64_e64 s[4:5], 0, v[16:17]
	v_not_b32_e32 v16, v17
	v_ashrrev_i32_e32 v16, 31, v16
	v_xor_b32_e32 v17, s5, v16
	v_xor_b32_e32 v16, s4, v16
	; wave barrier
	ds_read_b32 v39, v40 offset:8
	v_and_b32_e32 v41, v41, v63
	v_and_b32_e32 v16, v19, v16
	;; [unrolled: 1-line block ×3, first 2 shown]
	v_mbcnt_lo_u32_b32 v18, v16, 0
	v_mbcnt_hi_u32_b32 v41, v17, v18
	v_cmp_eq_u32_e64 s[4:5], 0, v41
	v_cmp_ne_u64_e64 s[42:43], 0, v[16:17]
	s_and_b64 s[42:43], s[42:43], s[4:5]
	; wave barrier
	s_and_saveexec_b64 s[4:5], s[42:43]
	s_cbranch_execz .LBB177_125
; %bb.124:
	v_bcnt_u32_b32 v16, v16, 0
	v_bcnt_u32_b32 v16, v17, v16
	s_waitcnt lgkmcnt(0)
	v_add_u32_e32 v16, v39, v16
	ds_write_b32 v40, v16 offset:8
.LBB177_125:
	s_or_b64 exec, exec, s[4:5]
	v_and_b32_sdwa v18, v28, s48 dst_sel:DWORD dst_unused:UNUSED_PAD src0_sel:BYTE_1 src1_sel:DWORD
	v_and_b32_e32 v17, 1, v18
	v_add_co_u32_e64 v19, s[4:5], -1, v17
	v_addc_co_u32_e64 v65, s[4:5], 0, -1, s[4:5]
	v_cmp_ne_u32_e64 s[4:5], 0, v17
	v_lshlrev_b32_e32 v16, 1, v18
	v_xor_b32_e32 v17, s5, v65
	v_add_lshl_u32 v64, v16, v22, 2
	v_mov_b32_e32 v16, 0
	v_and_b32_e32 v65, exec_hi, v17
	v_lshlrev_b32_e32 v17, 30, v18
	v_xor_b32_e32 v19, s4, v19
	v_cmp_gt_i64_e64 s[4:5], 0, v[16:17]
	v_not_b32_e32 v17, v17
	v_ashrrev_i32_e32 v17, 31, v17
	v_and_b32_e32 v19, exec_lo, v19
	v_xor_b32_e32 v66, s5, v17
	v_xor_b32_e32 v17, s4, v17
	v_and_b32_e32 v19, v19, v17
	v_lshlrev_b32_e32 v17, 29, v18
	v_cmp_gt_i64_e64 s[4:5], 0, v[16:17]
	v_not_b32_e32 v17, v17
	v_ashrrev_i32_e32 v17, 31, v17
	v_and_b32_e32 v65, v65, v66
	v_xor_b32_e32 v66, s5, v17
	v_xor_b32_e32 v17, s4, v17
	v_and_b32_e32 v19, v19, v17
	v_lshlrev_b32_e32 v17, 28, v18
	v_cmp_gt_i64_e64 s[4:5], 0, v[16:17]
	v_not_b32_e32 v17, v17
	v_ashrrev_i32_e32 v17, 31, v17
	v_and_b32_e32 v65, v65, v66
	;; [unrolled: 8-line block ×5, first 2 shown]
	v_xor_b32_e32 v66, s5, v17
	v_xor_b32_e32 v17, s4, v17
	v_and_b32_e32 v65, v65, v66
	v_and_b32_e32 v66, v19, v17
	v_lshlrev_b32_e32 v17, 24, v18
	v_cmp_gt_i64_e64 s[4:5], 0, v[16:17]
	v_not_b32_e32 v17, v17
	v_ashrrev_i32_e32 v17, 31, v17
	v_xor_b32_e32 v18, s5, v17
	v_xor_b32_e32 v17, s4, v17
	; wave barrier
	ds_read_b32 v63, v64 offset:8
	v_and_b32_e32 v19, v65, v18
	v_and_b32_e32 v18, v66, v17
	v_mbcnt_lo_u32_b32 v17, v18, 0
	v_mbcnt_hi_u32_b32 v65, v19, v17
	v_cmp_eq_u32_e64 s[4:5], 0, v65
	v_cmp_ne_u64_e64 s[42:43], 0, v[18:19]
	s_and_b64 s[42:43], s[42:43], s[4:5]
	; wave barrier
	s_and_saveexec_b64 s[4:5], s[42:43]
	s_cbranch_execz .LBB177_127
; %bb.126:
	v_bcnt_u32_b32 v17, v18, 0
	v_bcnt_u32_b32 v17, v19, v17
	s_waitcnt lgkmcnt(0)
	v_add_u32_e32 v17, v63, v17
	ds_write_b32 v64, v17 offset:8
.LBB177_127:
	s_or_b64 exec, exec, s[4:5]
	v_and_b32_sdwa v18, v27, s48 dst_sel:DWORD dst_unused:UNUSED_PAD src0_sel:BYTE_1 src1_sel:DWORD
	v_lshlrev_b32_e32 v17, 1, v18
	v_add_lshl_u32 v67, v17, v22, 2
	v_and_b32_e32 v17, 1, v18
	v_add_co_u32_e64 v19, s[4:5], -1, v17
	v_addc_co_u32_e64 v68, s[4:5], 0, -1, s[4:5]
	v_cmp_ne_u32_e64 s[4:5], 0, v17
	v_xor_b32_e32 v17, s5, v68
	v_and_b32_e32 v68, exec_hi, v17
	v_lshlrev_b32_e32 v17, 30, v18
	v_xor_b32_e32 v19, s4, v19
	v_cmp_gt_i64_e64 s[4:5], 0, v[16:17]
	v_not_b32_e32 v17, v17
	v_ashrrev_i32_e32 v17, 31, v17
	v_and_b32_e32 v19, exec_lo, v19
	v_xor_b32_e32 v69, s5, v17
	v_xor_b32_e32 v17, s4, v17
	v_and_b32_e32 v19, v19, v17
	v_lshlrev_b32_e32 v17, 29, v18
	v_cmp_gt_i64_e64 s[4:5], 0, v[16:17]
	v_not_b32_e32 v17, v17
	v_ashrrev_i32_e32 v17, 31, v17
	v_and_b32_e32 v68, v68, v69
	v_xor_b32_e32 v69, s5, v17
	v_xor_b32_e32 v17, s4, v17
	v_and_b32_e32 v19, v19, v17
	v_lshlrev_b32_e32 v17, 28, v18
	v_cmp_gt_i64_e64 s[4:5], 0, v[16:17]
	v_not_b32_e32 v17, v17
	v_ashrrev_i32_e32 v17, 31, v17
	v_and_b32_e32 v68, v68, v69
	;; [unrolled: 8-line block ×5, first 2 shown]
	v_xor_b32_e32 v69, s5, v17
	v_xor_b32_e32 v17, s4, v17
	v_and_b32_e32 v19, v19, v17
	v_lshlrev_b32_e32 v17, 24, v18
	v_cmp_gt_i64_e64 s[4:5], 0, v[16:17]
	v_not_b32_e32 v16, v17
	v_ashrrev_i32_e32 v16, 31, v16
	v_xor_b32_e32 v17, s5, v16
	v_xor_b32_e32 v16, s4, v16
	; wave barrier
	ds_read_b32 v66, v67 offset:8
	v_and_b32_e32 v68, v68, v69
	v_and_b32_e32 v16, v19, v16
	;; [unrolled: 1-line block ×3, first 2 shown]
	v_mbcnt_lo_u32_b32 v18, v16, 0
	v_mbcnt_hi_u32_b32 v68, v17, v18
	v_cmp_eq_u32_e64 s[4:5], 0, v68
	v_cmp_ne_u64_e64 s[42:43], 0, v[16:17]
	s_and_b64 s[42:43], s[42:43], s[4:5]
	; wave barrier
	s_and_saveexec_b64 s[4:5], s[42:43]
	s_cbranch_execz .LBB177_129
; %bb.128:
	v_bcnt_u32_b32 v16, v16, 0
	v_bcnt_u32_b32 v16, v17, v16
	s_waitcnt lgkmcnt(0)
	v_add_u32_e32 v16, v66, v16
	ds_write_b32 v67, v16 offset:8
.LBB177_129:
	s_or_b64 exec, exec, s[4:5]
	v_and_b32_sdwa v18, v26, s48 dst_sel:DWORD dst_unused:UNUSED_PAD src0_sel:BYTE_1 src1_sel:DWORD
	v_and_b32_e32 v17, 1, v18
	v_add_co_u32_e64 v19, s[4:5], -1, v17
	v_addc_co_u32_e64 v71, s[4:5], 0, -1, s[4:5]
	v_cmp_ne_u32_e64 s[4:5], 0, v17
	v_lshlrev_b32_e32 v16, 1, v18
	v_xor_b32_e32 v17, s5, v71
	v_add_lshl_u32 v70, v16, v22, 2
	v_mov_b32_e32 v16, 0
	v_and_b32_e32 v71, exec_hi, v17
	v_lshlrev_b32_e32 v17, 30, v18
	v_xor_b32_e32 v19, s4, v19
	v_cmp_gt_i64_e64 s[4:5], 0, v[16:17]
	v_not_b32_e32 v17, v17
	v_ashrrev_i32_e32 v17, 31, v17
	v_and_b32_e32 v19, exec_lo, v19
	v_xor_b32_e32 v72, s5, v17
	v_xor_b32_e32 v17, s4, v17
	v_and_b32_e32 v19, v19, v17
	v_lshlrev_b32_e32 v17, 29, v18
	v_cmp_gt_i64_e64 s[4:5], 0, v[16:17]
	v_not_b32_e32 v17, v17
	v_ashrrev_i32_e32 v17, 31, v17
	v_and_b32_e32 v71, v71, v72
	v_xor_b32_e32 v72, s5, v17
	v_xor_b32_e32 v17, s4, v17
	v_and_b32_e32 v19, v19, v17
	v_lshlrev_b32_e32 v17, 28, v18
	v_cmp_gt_i64_e64 s[4:5], 0, v[16:17]
	v_not_b32_e32 v17, v17
	v_ashrrev_i32_e32 v17, 31, v17
	v_and_b32_e32 v71, v71, v72
	;; [unrolled: 8-line block ×5, first 2 shown]
	v_xor_b32_e32 v72, s5, v17
	v_xor_b32_e32 v17, s4, v17
	v_and_b32_e32 v71, v71, v72
	v_and_b32_e32 v72, v19, v17
	v_lshlrev_b32_e32 v17, 24, v18
	v_cmp_gt_i64_e64 s[4:5], 0, v[16:17]
	v_not_b32_e32 v17, v17
	v_ashrrev_i32_e32 v17, 31, v17
	v_xor_b32_e32 v18, s5, v17
	v_xor_b32_e32 v17, s4, v17
	; wave barrier
	ds_read_b32 v69, v70 offset:8
	v_and_b32_e32 v19, v71, v18
	v_and_b32_e32 v18, v72, v17
	v_mbcnt_lo_u32_b32 v17, v18, 0
	v_mbcnt_hi_u32_b32 v71, v19, v17
	v_cmp_eq_u32_e64 s[4:5], 0, v71
	v_cmp_ne_u64_e64 s[42:43], 0, v[18:19]
	s_and_b64 s[42:43], s[42:43], s[4:5]
	; wave barrier
	s_and_saveexec_b64 s[4:5], s[42:43]
	s_cbranch_execz .LBB177_131
; %bb.130:
	v_bcnt_u32_b32 v17, v18, 0
	v_bcnt_u32_b32 v17, v19, v17
	s_waitcnt lgkmcnt(0)
	v_add_u32_e32 v17, v69, v17
	ds_write_b32 v70, v17 offset:8
.LBB177_131:
	s_or_b64 exec, exec, s[4:5]
	v_and_b32_sdwa v18, v25, s48 dst_sel:DWORD dst_unused:UNUSED_PAD src0_sel:BYTE_1 src1_sel:DWORD
	v_lshlrev_b32_e32 v17, 1, v18
	v_add_lshl_u32 v73, v17, v22, 2
	v_and_b32_e32 v17, 1, v18
	v_add_co_u32_e64 v19, s[4:5], -1, v17
	v_addc_co_u32_e64 v74, s[4:5], 0, -1, s[4:5]
	v_cmp_ne_u32_e64 s[4:5], 0, v17
	v_xor_b32_e32 v17, s5, v74
	v_and_b32_e32 v74, exec_hi, v17
	v_lshlrev_b32_e32 v17, 30, v18
	v_xor_b32_e32 v19, s4, v19
	v_cmp_gt_i64_e64 s[4:5], 0, v[16:17]
	v_not_b32_e32 v17, v17
	v_ashrrev_i32_e32 v17, 31, v17
	v_and_b32_e32 v19, exec_lo, v19
	v_xor_b32_e32 v75, s5, v17
	v_xor_b32_e32 v17, s4, v17
	v_and_b32_e32 v19, v19, v17
	v_lshlrev_b32_e32 v17, 29, v18
	v_cmp_gt_i64_e64 s[4:5], 0, v[16:17]
	v_not_b32_e32 v17, v17
	v_ashrrev_i32_e32 v17, 31, v17
	v_and_b32_e32 v74, v74, v75
	v_xor_b32_e32 v75, s5, v17
	v_xor_b32_e32 v17, s4, v17
	v_and_b32_e32 v19, v19, v17
	v_lshlrev_b32_e32 v17, 28, v18
	v_cmp_gt_i64_e64 s[4:5], 0, v[16:17]
	v_not_b32_e32 v17, v17
	v_ashrrev_i32_e32 v17, 31, v17
	v_and_b32_e32 v74, v74, v75
	;; [unrolled: 8-line block ×5, first 2 shown]
	v_xor_b32_e32 v75, s5, v17
	v_xor_b32_e32 v17, s4, v17
	v_and_b32_e32 v19, v19, v17
	v_lshlrev_b32_e32 v17, 24, v18
	v_cmp_gt_i64_e64 s[4:5], 0, v[16:17]
	v_not_b32_e32 v16, v17
	v_ashrrev_i32_e32 v16, 31, v16
	v_xor_b32_e32 v17, s5, v16
	v_xor_b32_e32 v16, s4, v16
	; wave barrier
	ds_read_b32 v72, v73 offset:8
	v_and_b32_e32 v74, v74, v75
	v_and_b32_e32 v16, v19, v16
	v_and_b32_e32 v17, v74, v17
	v_mbcnt_lo_u32_b32 v18, v16, 0
	v_mbcnt_hi_u32_b32 v74, v17, v18
	v_cmp_eq_u32_e64 s[4:5], 0, v74
	v_cmp_ne_u64_e64 s[42:43], 0, v[16:17]
	s_and_b64 s[42:43], s[42:43], s[4:5]
	; wave barrier
	s_and_saveexec_b64 s[4:5], s[42:43]
	s_cbranch_execz .LBB177_133
; %bb.132:
	v_bcnt_u32_b32 v16, v16, 0
	v_bcnt_u32_b32 v16, v17, v16
	s_waitcnt lgkmcnt(0)
	v_add_u32_e32 v16, v72, v16
	ds_write_b32 v73, v16 offset:8
.LBB177_133:
	s_or_b64 exec, exec, s[4:5]
	v_and_b32_sdwa v18, v20, s48 dst_sel:DWORD dst_unused:UNUSED_PAD src0_sel:BYTE_1 src1_sel:DWORD
	v_and_b32_e32 v17, 1, v18
	v_add_co_u32_e64 v19, s[4:5], -1, v17
	v_addc_co_u32_e64 v76, s[4:5], 0, -1, s[4:5]
	v_cmp_ne_u32_e64 s[4:5], 0, v17
	v_lshlrev_b32_e32 v16, 1, v18
	v_xor_b32_e32 v17, s5, v76
	v_add_lshl_u32 v75, v16, v22, 2
	v_mov_b32_e32 v16, 0
	v_and_b32_e32 v76, exec_hi, v17
	v_lshlrev_b32_e32 v17, 30, v18
	v_xor_b32_e32 v19, s4, v19
	v_cmp_gt_i64_e64 s[4:5], 0, v[16:17]
	v_not_b32_e32 v17, v17
	v_ashrrev_i32_e32 v17, 31, v17
	v_and_b32_e32 v19, exec_lo, v19
	v_xor_b32_e32 v77, s5, v17
	v_xor_b32_e32 v17, s4, v17
	v_and_b32_e32 v19, v19, v17
	v_lshlrev_b32_e32 v17, 29, v18
	v_cmp_gt_i64_e64 s[4:5], 0, v[16:17]
	v_not_b32_e32 v17, v17
	v_ashrrev_i32_e32 v17, 31, v17
	v_and_b32_e32 v76, v76, v77
	v_xor_b32_e32 v77, s5, v17
	v_xor_b32_e32 v17, s4, v17
	v_and_b32_e32 v19, v19, v17
	v_lshlrev_b32_e32 v17, 28, v18
	v_cmp_gt_i64_e64 s[4:5], 0, v[16:17]
	v_not_b32_e32 v17, v17
	v_ashrrev_i32_e32 v17, 31, v17
	v_and_b32_e32 v76, v76, v77
	;; [unrolled: 8-line block ×5, first 2 shown]
	v_xor_b32_e32 v77, s5, v17
	v_xor_b32_e32 v17, s4, v17
	v_and_b32_e32 v19, v19, v17
	v_lshlrev_b32_e32 v17, 24, v18
	v_cmp_gt_i64_e64 s[4:5], 0, v[16:17]
	v_not_b32_e32 v16, v17
	v_ashrrev_i32_e32 v16, 31, v16
	v_xor_b32_e32 v17, s5, v16
	v_xor_b32_e32 v16, s4, v16
	; wave barrier
	ds_read_b32 v22, v75 offset:8
	v_and_b32_e32 v76, v76, v77
	v_and_b32_e32 v16, v19, v16
	;; [unrolled: 1-line block ×3, first 2 shown]
	v_mbcnt_lo_u32_b32 v18, v16, 0
	v_mbcnt_hi_u32_b32 v76, v17, v18
	v_cmp_eq_u32_e64 s[4:5], 0, v76
	v_cmp_ne_u64_e64 s[42:43], 0, v[16:17]
	s_and_b64 s[42:43], s[42:43], s[4:5]
	; wave barrier
	s_and_saveexec_b64 s[4:5], s[42:43]
	s_cbranch_execz .LBB177_135
; %bb.134:
	v_bcnt_u32_b32 v16, v16, 0
	v_bcnt_u32_b32 v16, v17, v16
	s_waitcnt lgkmcnt(0)
	v_add_u32_e32 v16, v22, v16
	ds_write_b32 v75, v16 offset:8
.LBB177_135:
	s_or_b64 exec, exec, s[4:5]
	; wave barrier
	s_waitcnt lgkmcnt(0)
	s_barrier
	ds_read2_b32 v[18:19], v62 offset0:2 offset1:3
	ds_read2_b32 v[16:17], v23 offset0:2 offset1:3
	s_waitcnt lgkmcnt(1)
	v_add_u32_e32 v77, v19, v18
	s_waitcnt lgkmcnt(0)
	v_add3_u32 v17, v77, v16, v17
	s_nop 1
	v_mov_b32_dpp v77, v17 row_shr:1 row_mask:0xf bank_mask:0xf
	v_cndmask_b32_e64 v77, v77, 0, s[20:21]
	v_add_u32_e32 v17, v77, v17
	s_nop 1
	v_mov_b32_dpp v77, v17 row_shr:2 row_mask:0xf bank_mask:0xf
	v_cndmask_b32_e64 v77, 0, v77, s[22:23]
	v_add_u32_e32 v17, v17, v77
	;; [unrolled: 4-line block ×4, first 2 shown]
	s_nop 1
	v_mov_b32_dpp v77, v17 row_bcast:15 row_mask:0xf bank_mask:0xf
	v_cndmask_b32_e64 v77, v77, 0, vcc
	v_add_u32_e32 v17, v17, v77
	s_nop 1
	v_mov_b32_dpp v77, v17 row_bcast:31 row_mask:0xf bank_mask:0xf
	v_cndmask_b32_e64 v77, 0, v77, s[34:35]
	v_add_u32_e32 v17, v17, v77
	s_and_saveexec_b64 s[4:5], s[16:17]
	s_cbranch_execz .LBB177_137
; %bb.136:
	ds_write_b32 v24, v17
.LBB177_137:
	s_or_b64 exec, exec, s[4:5]
	s_waitcnt lgkmcnt(0)
	s_barrier
	s_and_saveexec_b64 s[4:5], s[24:25]
	s_cbranch_execz .LBB177_139
; %bb.138:
	ds_read_b32 v24, v21
	s_waitcnt lgkmcnt(0)
	s_nop 0
	v_mov_b32_dpp v77, v24 row_shr:1 row_mask:0xf bank_mask:0xf
	v_cndmask_b32_e64 v77, v77, 0, s[18:19]
	v_add_u32_e32 v24, v77, v24
	ds_write_b32 v21, v24
.LBB177_139:
	s_or_b64 exec, exec, s[4:5]
	v_mov_b32_e32 v21, 0
	s_waitcnt lgkmcnt(0)
	s_barrier
	s_and_saveexec_b64 s[4:5], s[30:31]
	s_cbranch_execz .LBB177_141
; %bb.140:
	ds_read_b32 v21, v33
.LBB177_141:
	s_or_b64 exec, exec, s[4:5]
	s_waitcnt lgkmcnt(0)
	v_add_u32_e32 v17, v21, v17
	ds_bpermute_b32 v17, v34, v17
	v_lshlrev_b32_e32 v34, 3, v53
	s_waitcnt lgkmcnt(0)
	v_cndmask_b32_e64 v17, v17, v21, s[36:37]
	v_cndmask_b32_e64 v17, v17, 0, s[38:39]
	v_add_u32_e32 v18, v17, v18
	v_add_u32_e32 v19, v18, v19
	;; [unrolled: 1-line block ×3, first 2 shown]
	ds_write2_b32 v62, v17, v18 offset0:2 offset1:3
	ds_write2_b32 v23, v19, v16 offset0:2 offset1:3
	s_waitcnt lgkmcnt(0)
	s_barrier
	ds_read_b32 v16, v75 offset:8
	ds_read_b32 v17, v73 offset:8
	;; [unrolled: 1-line block ×4, first 2 shown]
	s_waitcnt lgkmcnt(3)
	v_add3_u32 v16, v76, v22, v16
	ds_read_b32 v21, v64 offset:8
	ds_read_b32 v22, v40 offset:8
	ds_read_b32 v23, v37 offset:8
	ds_read_b32 v24, v32 offset:8
	s_waitcnt lgkmcnt(0)
	s_barrier
	v_add3_u32 v22, v41, v39, v22
	v_add3_u32 v23, v38, v36, v23
	v_add_u32_e32 v24, v24, v35
	v_lshlrev_b32_e32 v32, 1, v24
	ds_write_b16 v32, v31
	v_lshlrev_b32_e32 v31, 1, v23
	v_add3_u32 v21, v65, v63, v21
	ds_write_b16 v31, v30
	v_lshlrev_b32_e32 v30, 1, v22
	v_add3_u32 v19, v68, v66, v19
	;; [unrolled: 3-line block ×4, first 2 shown]
	ds_write_b16 v28, v27
	v_lshlrev_b32_e32 v27, 1, v18
	ds_write_b16 v27, v26
	v_lshlrev_b32_e32 v26, 1, v17
	;; [unrolled: 2-line block ×4, first 2 shown]
	v_lshlrev_b32_e32 v24, 3, v24
	v_lshlrev_b32_e32 v23, 3, v23
	;; [unrolled: 1-line block ×7, first 2 shown]
	s_waitcnt lgkmcnt(0)
	s_barrier
	v_lshlrev_b32_e32 v21, 3, v21
	ds_read_b128 v[16:19], v20
	s_waitcnt lgkmcnt(0)
	s_barrier
	ds_write_b64 v24, v[12:13]
	ds_write_b64 v23, v[14:15]
	;; [unrolled: 1-line block ×8, first 2 shown]
	s_waitcnt lgkmcnt(0)
	s_barrier
	ds_read2_b64 v[22:25], v34 offset1:1
	ds_read2_b64 v[26:29], v34 offset0:2 offset1:3
	ds_read2_b64 v[30:33], v34 offset0:4 offset1:5
	;; [unrolled: 1-line block ×3, first 2 shown]
	v_xor_b32_e32 v38, 0x7fff7fff, v16
	v_xor_b32_e32 v39, 0x7fff7fff, v17
	;; [unrolled: 1-line block ×4, first 2 shown]
.LBB177_142:
	s_waitcnt lgkmcnt(0)
	s_barrier
	ds_write_b128 v51, v[38:41]
	s_waitcnt lgkmcnt(0)
	s_barrier
	ds_read_u16 v8, v44 offset:256
	ds_read_u16 v7, v45 offset:512
	;; [unrolled: 1-line block ×7, first 2 shown]
	v_mad_u64_u32 v[0:1], s[4:5], v42, s44, 0
	v_mov_b32_e32 v10, v1
	v_mad_u64_u32 v[10:11], s[4:5], v42, s45, v[10:11]
	v_mov_b32_e32 v1, v10
	v_lshlrev_b64 v[0:1], 1, v[0:1]
	v_mov_b32_e32 v9, s50
	v_add_co_u32_e32 v0, vcc, s33, v0
	v_addc_co_u32_e32 v1, vcc, v9, v1, vcc
	s_and_saveexec_b64 s[4:5], s[0:1]
	s_cbranch_execnz .LBB177_161
; %bb.143:
	s_or_b64 exec, exec, s[4:5]
	s_and_saveexec_b64 s[4:5], s[2:3]
	s_cbranch_execnz .LBB177_162
.LBB177_144:
	s_or_b64 exec, exec, s[4:5]
	s_and_saveexec_b64 s[4:5], s[40:41]
	s_cbranch_execnz .LBB177_163
.LBB177_145:
	s_or_b64 exec, exec, s[4:5]
	s_and_saveexec_b64 s[4:5], s[6:7]
	s_cbranch_execnz .LBB177_164
.LBB177_146:
	s_or_b64 exec, exec, s[4:5]
	s_and_saveexec_b64 s[4:5], s[8:9]
	s_cbranch_execnz .LBB177_165
.LBB177_147:
	s_or_b64 exec, exec, s[4:5]
	s_and_saveexec_b64 s[4:5], s[10:11]
	s_cbranch_execnz .LBB177_166
.LBB177_148:
	s_or_b64 exec, exec, s[4:5]
	s_and_saveexec_b64 s[4:5], s[12:13]
	s_cbranch_execnz .LBB177_167
.LBB177_149:
	s_or_b64 exec, exec, s[4:5]
	s_and_saveexec_b64 s[4:5], s[14:15]
	s_cbranch_execz .LBB177_151
.LBB177_150:
	s_waitcnt lgkmcnt(1)
	v_mov_b32_e32 v3, 0x700
	v_mad_u64_u32 v[0:1], s[16:17], s44, v3, v[0:1]
	s_mul_i32 s16, s45, 0x700
	v_add_u32_e32 v1, s16, v1
	s_waitcnt lgkmcnt(0)
	global_store_short v[0:1], v2, off
.LBB177_151:
	s_or_b64 exec, exec, s[4:5]
	s_waitcnt lgkmcnt(0)
	s_barrier
	ds_write2_b64 v61, v[22:23], v[24:25] offset1:1
	ds_write2_b64 v61, v[26:27], v[28:29] offset0:2 offset1:3
	ds_write2_b64 v61, v[30:31], v[32:33] offset0:4 offset1:5
	;; [unrolled: 1-line block ×3, first 2 shown]
	s_waitcnt lgkmcnt(0)
	s_barrier
	ds_read_b64 v[14:15], v54 offset:1024
	ds_read_b64 v[12:13], v55 offset:2048
	;; [unrolled: 1-line block ×7, first 2 shown]
	v_mad_u64_u32 v[4:5], s[4:5], v42, s46, 0
	v_mov_b32_e32 v16, v5
	v_mad_u64_u32 v[16:17], s[4:5], v42, s47, v[16:17]
	v_mov_b32_e32 v5, v16
	v_lshlrev_b64 v[4:5], 3, v[4:5]
	v_mov_b32_e32 v16, s52
	v_add_co_u32_e32 v4, vcc, s51, v4
	v_addc_co_u32_e32 v5, vcc, v16, v5, vcc
	s_and_saveexec_b64 s[4:5], s[0:1]
	s_cbranch_execnz .LBB177_168
; %bb.152:
	s_or_b64 exec, exec, s[4:5]
	s_and_saveexec_b64 s[0:1], s[2:3]
	s_cbranch_execnz .LBB177_169
.LBB177_153:
	s_or_b64 exec, exec, s[0:1]
	s_and_saveexec_b64 s[0:1], s[40:41]
	s_cbranch_execnz .LBB177_170
.LBB177_154:
	s_or_b64 exec, exec, s[0:1]
	s_and_saveexec_b64 s[0:1], s[6:7]
	s_cbranch_execnz .LBB177_171
.LBB177_155:
	s_or_b64 exec, exec, s[0:1]
	s_and_saveexec_b64 s[0:1], s[8:9]
	s_cbranch_execnz .LBB177_172
.LBB177_156:
	s_or_b64 exec, exec, s[0:1]
	s_and_saveexec_b64 s[0:1], s[10:11]
	s_cbranch_execnz .LBB177_173
.LBB177_157:
	s_or_b64 exec, exec, s[0:1]
	s_and_saveexec_b64 s[0:1], s[12:13]
	s_cbranch_execnz .LBB177_174
.LBB177_158:
	s_or_b64 exec, exec, s[0:1]
	s_and_saveexec_b64 s[0:1], s[14:15]
	s_cbranch_execz .LBB177_160
.LBB177_159:
	s_waitcnt lgkmcnt(1)
	v_mov_b32_e32 v2, 0x1c00
	v_mad_u64_u32 v[2:3], s[0:1], s46, v2, v[4:5]
	s_mul_i32 s0, s47, 0x1c00
	v_add_u32_e32 v3, s0, v3
	s_waitcnt lgkmcnt(0)
	global_store_dwordx2 v[2:3], v[0:1], off
.LBB177_160:
	s_endpgm
.LBB177_161:
	ds_read_u16 v9, v43
	s_waitcnt lgkmcnt(0)
	global_store_short v[0:1], v9, off
	s_or_b64 exec, exec, s[4:5]
	s_and_saveexec_b64 s[4:5], s[2:3]
	s_cbranch_execz .LBB177_144
.LBB177_162:
	s_lshl_b64 s[16:17], s[44:45], 8
	v_mov_b32_e32 v9, s17
	v_add_co_u32_e32 v10, vcc, s16, v0
	v_addc_co_u32_e32 v11, vcc, v1, v9, vcc
	s_waitcnt lgkmcnt(6)
	global_store_short v[10:11], v8, off
	s_or_b64 exec, exec, s[4:5]
	s_and_saveexec_b64 s[4:5], s[40:41]
	s_cbranch_execz .LBB177_145
.LBB177_163:
	s_lshl_b64 s[16:17], s[44:45], 9
	v_mov_b32_e32 v9, s17
	s_waitcnt lgkmcnt(6)
	v_add_co_u32_e32 v8, vcc, s16, v0
	v_addc_co_u32_e32 v9, vcc, v1, v9, vcc
	s_waitcnt lgkmcnt(5)
	global_store_short v[8:9], v7, off
	s_or_b64 exec, exec, s[4:5]
	s_and_saveexec_b64 s[4:5], s[6:7]
	s_cbranch_execz .LBB177_146
.LBB177_164:
	s_waitcnt lgkmcnt(5)
	v_mov_b32_e32 v7, 0x300
	v_mad_u64_u32 v[8:9], s[16:17], s44, v7, v[0:1]
	s_mul_i32 s16, s45, 0x300
	v_add_u32_e32 v9, s16, v9
	s_waitcnt lgkmcnt(4)
	global_store_short v[8:9], v6, off
	s_or_b64 exec, exec, s[4:5]
	s_and_saveexec_b64 s[4:5], s[8:9]
	s_cbranch_execz .LBB177_147
.LBB177_165:
	s_lshl_b64 s[16:17], s[44:45], 10
	s_waitcnt lgkmcnt(5)
	v_mov_b32_e32 v7, s17
	s_waitcnt lgkmcnt(4)
	v_add_co_u32_e32 v6, vcc, s16, v0
	v_addc_co_u32_e32 v7, vcc, v1, v7, vcc
	s_waitcnt lgkmcnt(3)
	global_store_short v[6:7], v5, off
	s_or_b64 exec, exec, s[4:5]
	s_and_saveexec_b64 s[4:5], s[10:11]
	s_cbranch_execz .LBB177_148
.LBB177_166:
	s_waitcnt lgkmcnt(3)
	v_mov_b32_e32 v5, 0x500
	v_mad_u64_u32 v[6:7], s[16:17], s44, v5, v[0:1]
	s_mul_i32 s16, s45, 0x500
	v_add_u32_e32 v7, s16, v7
	s_waitcnt lgkmcnt(2)
	global_store_short v[6:7], v4, off
	s_or_b64 exec, exec, s[4:5]
	s_and_saveexec_b64 s[4:5], s[12:13]
	s_cbranch_execz .LBB177_149
.LBB177_167:
	s_waitcnt lgkmcnt(2)
	v_mov_b32_e32 v4, 0x600
	v_mad_u64_u32 v[4:5], s[16:17], s44, v4, v[0:1]
	s_mul_i32 s16, s45, 0x600
	v_add_u32_e32 v5, s16, v5
	s_waitcnt lgkmcnt(1)
	global_store_short v[4:5], v3, off
	s_or_b64 exec, exec, s[4:5]
	s_and_saveexec_b64 s[4:5], s[14:15]
	s_cbranch_execnz .LBB177_150
	s_branch .LBB177_151
.LBB177_168:
	ds_read_b64 v[16:17], v52
	s_waitcnt lgkmcnt(0)
	global_store_dwordx2 v[4:5], v[16:17], off
	s_or_b64 exec, exec, s[4:5]
	s_and_saveexec_b64 s[0:1], s[2:3]
	s_cbranch_execz .LBB177_153
.LBB177_169:
	s_lshl_b64 s[2:3], s[46:47], 10
	v_mov_b32_e32 v17, s3
	v_add_co_u32_e32 v16, vcc, s2, v4
	v_addc_co_u32_e32 v17, vcc, v5, v17, vcc
	s_waitcnt lgkmcnt(6)
	global_store_dwordx2 v[16:17], v[14:15], off
	s_or_b64 exec, exec, s[0:1]
	s_and_saveexec_b64 s[0:1], s[40:41]
	s_cbranch_execz .LBB177_154
.LBB177_170:
	s_lshl_b64 s[2:3], s[46:47], 11
	s_waitcnt lgkmcnt(6)
	v_mov_b32_e32 v15, s3
	v_add_co_u32_e32 v14, vcc, s2, v4
	v_addc_co_u32_e32 v15, vcc, v5, v15, vcc
	s_waitcnt lgkmcnt(5)
	global_store_dwordx2 v[14:15], v[12:13], off
	s_or_b64 exec, exec, s[0:1]
	s_and_saveexec_b64 s[0:1], s[6:7]
	s_cbranch_execz .LBB177_155
.LBB177_171:
	s_waitcnt lgkmcnt(5)
	v_mov_b32_e32 v12, 0xc00
	v_mad_u64_u32 v[12:13], s[2:3], s46, v12, v[4:5]
	s_mul_i32 s2, s47, 0xc00
	v_add_u32_e32 v13, s2, v13
	s_waitcnt lgkmcnt(4)
	global_store_dwordx2 v[12:13], v[10:11], off
	s_or_b64 exec, exec, s[0:1]
	s_and_saveexec_b64 s[0:1], s[8:9]
	s_cbranch_execz .LBB177_156
.LBB177_172:
	s_lshl_b64 s[2:3], s[46:47], 12
	s_waitcnt lgkmcnt(4)
	v_mov_b32_e32 v11, s3
	v_add_co_u32_e32 v10, vcc, s2, v4
	v_addc_co_u32_e32 v11, vcc, v5, v11, vcc
	s_waitcnt lgkmcnt(3)
	global_store_dwordx2 v[10:11], v[8:9], off
	s_or_b64 exec, exec, s[0:1]
	s_and_saveexec_b64 s[0:1], s[10:11]
	s_cbranch_execz .LBB177_157
.LBB177_173:
	s_waitcnt lgkmcnt(3)
	v_mov_b32_e32 v8, 0x1400
	v_mad_u64_u32 v[8:9], s[2:3], s46, v8, v[4:5]
	s_mul_i32 s2, s47, 0x1400
	v_add_u32_e32 v9, s2, v9
	s_waitcnt lgkmcnt(2)
	global_store_dwordx2 v[8:9], v[6:7], off
	s_or_b64 exec, exec, s[0:1]
	s_and_saveexec_b64 s[0:1], s[12:13]
	s_cbranch_execz .LBB177_158
.LBB177_174:
	s_waitcnt lgkmcnt(2)
	v_mov_b32_e32 v6, 0x1800
	v_mad_u64_u32 v[6:7], s[2:3], s46, v6, v[4:5]
	s_mul_i32 s2, s47, 0x1800
	v_add_u32_e32 v7, s2, v7
	s_waitcnt lgkmcnt(1)
	global_store_dwordx2 v[6:7], v[2:3], off
	s_or_b64 exec, exec, s[0:1]
	s_and_saveexec_b64 s[0:1], s[14:15]
	s_cbranch_execnz .LBB177_159
	s_branch .LBB177_160
	.section	.rodata,"a",@progbits
	.p2align	6, 0x0
	.amdhsa_kernel _ZN2at6native18radixSortKVInPlaceILin1ELin1ELi128ELi8EslmEEvNS_4cuda6detail10TensorInfoIT3_T5_EES6_S6_S6_NS4_IT4_S6_EES6_b
		.amdhsa_group_segment_fixed_size 8448
		.amdhsa_private_segment_fixed_size 0
		.amdhsa_kernarg_size 1128
		.amdhsa_user_sgpr_count 6
		.amdhsa_user_sgpr_private_segment_buffer 1
		.amdhsa_user_sgpr_dispatch_ptr 0
		.amdhsa_user_sgpr_queue_ptr 0
		.amdhsa_user_sgpr_kernarg_segment_ptr 1
		.amdhsa_user_sgpr_dispatch_id 0
		.amdhsa_user_sgpr_flat_scratch_init 0
		.amdhsa_user_sgpr_kernarg_preload_length 0
		.amdhsa_user_sgpr_kernarg_preload_offset 0
		.amdhsa_user_sgpr_private_segment_size 0
		.amdhsa_uses_dynamic_stack 0
		.amdhsa_system_sgpr_private_segment_wavefront_offset 0
		.amdhsa_system_sgpr_workgroup_id_x 1
		.amdhsa_system_sgpr_workgroup_id_y 1
		.amdhsa_system_sgpr_workgroup_id_z 1
		.amdhsa_system_sgpr_workgroup_info 0
		.amdhsa_system_vgpr_workitem_id 2
		.amdhsa_next_free_vgpr 111
		.amdhsa_next_free_sgpr 54
		.amdhsa_accum_offset 112
		.amdhsa_reserve_vcc 1
		.amdhsa_reserve_flat_scratch 0
		.amdhsa_float_round_mode_32 0
		.amdhsa_float_round_mode_16_64 0
		.amdhsa_float_denorm_mode_32 3
		.amdhsa_float_denorm_mode_16_64 3
		.amdhsa_dx10_clamp 1
		.amdhsa_ieee_mode 1
		.amdhsa_fp16_overflow 0
		.amdhsa_tg_split 0
		.amdhsa_exception_fp_ieee_invalid_op 0
		.amdhsa_exception_fp_denorm_src 0
		.amdhsa_exception_fp_ieee_div_zero 0
		.amdhsa_exception_fp_ieee_overflow 0
		.amdhsa_exception_fp_ieee_underflow 0
		.amdhsa_exception_fp_ieee_inexact 0
		.amdhsa_exception_int_div_zero 0
	.end_amdhsa_kernel
	.section	.text._ZN2at6native18radixSortKVInPlaceILin1ELin1ELi128ELi8EslmEEvNS_4cuda6detail10TensorInfoIT3_T5_EES6_S6_S6_NS4_IT4_S6_EES6_b,"axG",@progbits,_ZN2at6native18radixSortKVInPlaceILin1ELin1ELi128ELi8EslmEEvNS_4cuda6detail10TensorInfoIT3_T5_EES6_S6_S6_NS4_IT4_S6_EES6_b,comdat
.Lfunc_end177:
	.size	_ZN2at6native18radixSortKVInPlaceILin1ELin1ELi128ELi8EslmEEvNS_4cuda6detail10TensorInfoIT3_T5_EES6_S6_S6_NS4_IT4_S6_EES6_b, .Lfunc_end177-_ZN2at6native18radixSortKVInPlaceILin1ELin1ELi128ELi8EslmEEvNS_4cuda6detail10TensorInfoIT3_T5_EES6_S6_S6_NS4_IT4_S6_EES6_b
                                        ; -- End function
	.section	.AMDGPU.csdata,"",@progbits
; Kernel info:
; codeLenInByte = 21980
; NumSgprs: 58
; NumVgprs: 111
; NumAgprs: 0
; TotalNumVgprs: 111
; ScratchSize: 0
; MemoryBound: 0
; FloatMode: 240
; IeeeMode: 1
; LDSByteSize: 8448 bytes/workgroup (compile time only)
; SGPRBlocks: 7
; VGPRBlocks: 13
; NumSGPRsForWavesPerEU: 58
; NumVGPRsForWavesPerEU: 111
; AccumOffset: 112
; Occupancy: 4
; WaveLimiterHint : 1
; COMPUTE_PGM_RSRC2:SCRATCH_EN: 0
; COMPUTE_PGM_RSRC2:USER_SGPR: 6
; COMPUTE_PGM_RSRC2:TRAP_HANDLER: 0
; COMPUTE_PGM_RSRC2:TGID_X_EN: 1
; COMPUTE_PGM_RSRC2:TGID_Y_EN: 1
; COMPUTE_PGM_RSRC2:TGID_Z_EN: 1
; COMPUTE_PGM_RSRC2:TIDIG_COMP_CNT: 2
; COMPUTE_PGM_RSRC3_GFX90A:ACCUM_OFFSET: 27
; COMPUTE_PGM_RSRC3_GFX90A:TG_SPLIT: 0
	.section	.text._ZN2at6native18radixSortKVInPlaceILin1ELin1ELi32ELi4EslmEEvNS_4cuda6detail10TensorInfoIT3_T5_EES6_S6_S6_NS4_IT4_S6_EES6_b,"axG",@progbits,_ZN2at6native18radixSortKVInPlaceILin1ELin1ELi32ELi4EslmEEvNS_4cuda6detail10TensorInfoIT3_T5_EES6_S6_S6_NS4_IT4_S6_EES6_b,comdat
	.protected	_ZN2at6native18radixSortKVInPlaceILin1ELin1ELi32ELi4EslmEEvNS_4cuda6detail10TensorInfoIT3_T5_EES6_S6_S6_NS4_IT4_S6_EES6_b ; -- Begin function _ZN2at6native18radixSortKVInPlaceILin1ELin1ELi32ELi4EslmEEvNS_4cuda6detail10TensorInfoIT3_T5_EES6_S6_S6_NS4_IT4_S6_EES6_b
	.globl	_ZN2at6native18radixSortKVInPlaceILin1ELin1ELi32ELi4EslmEEvNS_4cuda6detail10TensorInfoIT3_T5_EES6_S6_S6_NS4_IT4_S6_EES6_b
	.p2align	8
	.type	_ZN2at6native18radixSortKVInPlaceILin1ELin1ELi32ELi4EslmEEvNS_4cuda6detail10TensorInfoIT3_T5_EES6_S6_S6_NS4_IT4_S6_EES6_b,@function
_ZN2at6native18radixSortKVInPlaceILin1ELin1ELi32ELi4EslmEEvNS_4cuda6detail10TensorInfoIT3_T5_EES6_S6_S6_NS4_IT4_S6_EES6_b: ; @_ZN2at6native18radixSortKVInPlaceILin1ELin1ELi32ELi4EslmEEvNS_4cuda6detail10TensorInfoIT3_T5_EES6_S6_S6_NS4_IT4_S6_EES6_b
; %bb.0:
	s_load_dwordx4 s[12:15], s[4:5], 0x1a0
	s_load_dwordx2 s[0:1], s[4:5], 0x368
	s_waitcnt lgkmcnt(0)
	v_mov_b32_e32 v2, s12
	s_mul_i32 s1, s1, s8
	s_add_i32 s1, s1, s7
	s_mul_i32 s0, s1, s0
	v_mov_b32_e32 v3, s13
	s_add_i32 s6, s0, s6
	s_mov_b32 s7, 0
	v_cmp_ge_u64_e32 vcc, s[6:7], v[2:3]
	s_cbranch_vccnz .LBB178_74
; %bb.1:
	s_load_dword s0, s[4:5], 0x198
	s_load_dwordx2 s[24:25], s[4:5], 0x1b0
	s_mov_b64 s[2:3], 0
	s_mov_b64 s[8:9], s[6:7]
	s_waitcnt lgkmcnt(0)
	s_cmp_lt_i32 s0, 2
	s_cbranch_scc1 .LBB178_9
; %bb.2:
	s_mov_b32 s10, 0
	s_add_i32 s15, s0, 1
	s_add_i32 s0, s0, -1
	s_mov_b32 s1, s10
	s_lshl_b64 s[0:1], s[0:1], 3
	s_add_u32 s0, s0, s4
	s_addc_u32 s1, s1, s5
	s_add_u32 s12, s0, 8
	s_addc_u32 s13, s1, 0
	s_mov_b64 s[16:17], s[6:7]
.LBB178_3:                              ; =>This Inner Loop Header: Depth=1
	s_load_dwordx2 s[18:19], s[12:13], 0x0
	s_waitcnt lgkmcnt(0)
	s_or_b64 s[0:1], s[16:17], s[18:19]
	s_mov_b32 s11, s1
	s_cmp_lg_u64 s[10:11], 0
	s_cbranch_scc0 .LBB178_8
; %bb.4:                                ;   in Loop: Header=BB178_3 Depth=1
	v_cvt_f32_u32_e32 v1, s18
	v_cvt_f32_u32_e32 v2, s19
	s_sub_u32 s0, 0, s18
	s_subb_u32 s1, 0, s19
	v_mac_f32_e32 v1, 0x4f800000, v2
	v_rcp_f32_e32 v1, v1
	v_mul_f32_e32 v1, 0x5f7ffffc, v1
	v_mul_f32_e32 v2, 0x2f800000, v1
	v_trunc_f32_e32 v2, v2
	v_mac_f32_e32 v1, 0xcf800000, v2
	v_cvt_u32_f32_e32 v2, v2
	v_cvt_u32_f32_e32 v1, v1
	v_readfirstlane_b32 s8, v2
	v_readfirstlane_b32 s9, v1
	s_mul_i32 s11, s0, s8
	s_mul_hi_u32 s21, s0, s9
	s_mul_i32 s20, s1, s9
	s_add_i32 s11, s21, s11
	s_mul_i32 s22, s0, s9
	s_add_i32 s11, s11, s20
	s_mul_hi_u32 s20, s9, s11
	s_mul_i32 s21, s9, s11
	s_mul_hi_u32 s9, s9, s22
	s_add_u32 s9, s9, s21
	s_addc_u32 s20, 0, s20
	s_mul_hi_u32 s23, s8, s22
	s_mul_i32 s22, s8, s22
	s_add_u32 s9, s9, s22
	s_mul_hi_u32 s21, s8, s11
	s_addc_u32 s9, s20, s23
	s_addc_u32 s20, s21, 0
	s_mul_i32 s11, s8, s11
	s_add_u32 s9, s9, s11
	s_addc_u32 s11, 0, s20
	v_add_co_u32_e32 v1, vcc, s9, v1
	s_cmp_lg_u64 vcc, 0
	s_addc_u32 s8, s8, s11
	v_readfirstlane_b32 s11, v1
	s_mul_i32 s9, s0, s8
	s_mul_hi_u32 s20, s0, s11
	s_add_i32 s9, s20, s9
	s_mul_i32 s1, s1, s11
	s_add_i32 s9, s9, s1
	s_mul_i32 s0, s0, s11
	s_mul_hi_u32 s20, s8, s0
	s_mul_i32 s21, s8, s0
	s_mul_i32 s23, s11, s9
	s_mul_hi_u32 s0, s11, s0
	s_mul_hi_u32 s22, s11, s9
	s_add_u32 s0, s0, s23
	s_addc_u32 s11, 0, s22
	s_add_u32 s0, s0, s21
	s_mul_hi_u32 s1, s8, s9
	s_addc_u32 s0, s11, s20
	s_addc_u32 s1, s1, 0
	s_mul_i32 s9, s8, s9
	s_add_u32 s0, s0, s9
	s_addc_u32 s1, 0, s1
	v_add_co_u32_e32 v1, vcc, s0, v1
	s_cmp_lg_u64 vcc, 0
	s_addc_u32 s0, s8, s1
	v_readfirstlane_b32 s9, v1
	s_mul_i32 s8, s16, s0
	s_mul_hi_u32 s11, s16, s9
	s_mul_hi_u32 s1, s16, s0
	s_add_u32 s8, s11, s8
	s_addc_u32 s1, 0, s1
	s_mul_hi_u32 s20, s17, s9
	s_mul_i32 s9, s17, s9
	s_add_u32 s8, s8, s9
	s_mul_hi_u32 s11, s17, s0
	s_addc_u32 s1, s1, s20
	s_addc_u32 s8, s11, 0
	s_mul_i32 s0, s17, s0
	s_add_u32 s11, s1, s0
	s_addc_u32 s8, 0, s8
	s_mul_i32 s0, s18, s8
	s_mul_hi_u32 s1, s18, s11
	s_add_i32 s0, s1, s0
	s_mul_i32 s1, s19, s11
	s_add_i32 s9, s0, s1
	s_mul_i32 s1, s18, s11
	v_mov_b32_e32 v1, s1
	s_sub_i32 s0, s17, s9
	v_sub_co_u32_e32 v1, vcc, s16, v1
	s_cmp_lg_u64 vcc, 0
	s_subb_u32 s20, s0, s19
	v_subrev_co_u32_e64 v2, s[0:1], s18, v1
	s_cmp_lg_u64 s[0:1], 0
	s_subb_u32 s0, s20, 0
	s_cmp_ge_u32 s0, s19
	v_readfirstlane_b32 s20, v2
	s_cselect_b32 s1, -1, 0
	s_cmp_ge_u32 s20, s18
	s_cselect_b32 s20, -1, 0
	s_cmp_eq_u32 s0, s19
	s_cselect_b32 s0, s20, s1
	s_add_u32 s1, s11, 1
	s_addc_u32 s20, s8, 0
	s_add_u32 s21, s11, 2
	s_addc_u32 s22, s8, 0
	s_cmp_lg_u32 s0, 0
	s_cselect_b32 s0, s21, s1
	s_cselect_b32 s1, s22, s20
	s_cmp_lg_u64 vcc, 0
	s_subb_u32 s9, s17, s9
	s_cmp_ge_u32 s9, s19
	v_readfirstlane_b32 s21, v1
	s_cselect_b32 s20, -1, 0
	s_cmp_ge_u32 s21, s18
	s_cselect_b32 s21, -1, 0
	s_cmp_eq_u32 s9, s19
	s_cselect_b32 s9, s21, s20
	s_cmp_lg_u32 s9, 0
	s_cselect_b32 s9, s1, s8
	s_cselect_b32 s8, s0, s11
	s_cbranch_execnz .LBB178_6
.LBB178_5:                              ;   in Loop: Header=BB178_3 Depth=1
	v_cvt_f32_u32_e32 v1, s18
	s_sub_i32 s0, 0, s18
	v_rcp_iflag_f32_e32 v1, v1
	v_mul_f32_e32 v1, 0x4f7ffffe, v1
	v_cvt_u32_f32_e32 v1, v1
	v_readfirstlane_b32 s1, v1
	s_mul_i32 s0, s0, s1
	s_mul_hi_u32 s0, s1, s0
	s_add_i32 s1, s1, s0
	s_mul_hi_u32 s0, s16, s1
	s_mul_i32 s8, s0, s18
	s_sub_i32 s8, s16, s8
	s_add_i32 s1, s0, 1
	s_sub_i32 s9, s8, s18
	s_cmp_ge_u32 s8, s18
	s_cselect_b32 s0, s1, s0
	s_cselect_b32 s8, s9, s8
	s_add_i32 s1, s0, 1
	s_cmp_ge_u32 s8, s18
	s_cselect_b32 s8, s1, s0
	s_mov_b32 s9, s10
.LBB178_6:                              ;   in Loop: Header=BB178_3 Depth=1
	s_mul_i32 s0, s8, s19
	s_mul_hi_u32 s1, s8, s18
	s_add_i32 s11, s1, s0
	s_load_dwordx2 s[0:1], s[12:13], 0xc8
	s_mul_i32 s19, s9, s18
	s_add_i32 s11, s11, s19
	s_mul_i32 s18, s8, s18
	s_sub_u32 s16, s16, s18
	s_subb_u32 s11, s17, s11
	s_waitcnt lgkmcnt(0)
	s_mul_i32 s11, s0, s11
	s_mul_hi_u32 s17, s0, s16
	s_add_i32 s11, s17, s11
	s_mul_i32 s1, s1, s16
	s_add_i32 s11, s11, s1
	s_mul_i32 s0, s0, s16
	s_add_u32 s2, s0, s2
	s_addc_u32 s3, s11, s3
	s_add_i32 s15, s15, -1
	s_add_u32 s12, s12, -8
	s_addc_u32 s13, s13, -1
	s_cmp_gt_u32 s15, 2
	s_cbranch_scc0 .LBB178_9
; %bb.7:                                ;   in Loop: Header=BB178_3 Depth=1
	s_mov_b64 s[16:17], s[8:9]
	s_branch .LBB178_3
.LBB178_8:                              ;   in Loop: Header=BB178_3 Depth=1
                                        ; implicit-def: $sgpr8_sgpr9
	s_branch .LBB178_5
.LBB178_9:
	s_load_dword s0, s[4:5], 0x350
	s_load_dwordx2 s[12:13], s[4:5], 0xd0
	s_mov_b64 s[10:11], 0
	s_waitcnt lgkmcnt(0)
	s_cmp_lt_i32 s0, 2
	s_cbranch_scc1 .LBB178_17
; %bb.10:
	s_mov_b32 s18, 0
	s_add_i32 s15, s0, 1
	s_add_i32 s0, s0, -1
	s_mov_b32 s1, s18
	s_lshl_b64 s[0:1], s[0:1], 3
	s_add_u32 s0, s0, s4
	s_addc_u32 s1, s1, s5
	s_add_u32 s20, s0, 0x1c0
	s_addc_u32 s21, s1, 0
.LBB178_11:                             ; =>This Inner Loop Header: Depth=1
	s_load_dwordx2 s[22:23], s[20:21], 0x0
	s_waitcnt lgkmcnt(0)
	s_or_b64 s[0:1], s[6:7], s[22:23]
	s_mov_b32 s19, s1
	s_cmp_lg_u64 s[18:19], 0
	s_cbranch_scc0 .LBB178_16
; %bb.12:                               ;   in Loop: Header=BB178_11 Depth=1
	v_cvt_f32_u32_e32 v1, s22
	v_cvt_f32_u32_e32 v2, s23
	s_sub_u32 s0, 0, s22
	s_subb_u32 s1, 0, s23
	v_mac_f32_e32 v1, 0x4f800000, v2
	v_rcp_f32_e32 v1, v1
	v_mul_f32_e32 v1, 0x5f7ffffc, v1
	v_mul_f32_e32 v2, 0x2f800000, v1
	v_trunc_f32_e32 v2, v2
	v_mac_f32_e32 v1, 0xcf800000, v2
	v_cvt_u32_f32_e32 v2, v2
	v_cvt_u32_f32_e32 v1, v1
	v_readfirstlane_b32 s16, v2
	v_readfirstlane_b32 s17, v1
	s_mul_i32 s19, s0, s16
	s_mul_hi_u32 s27, s0, s17
	s_mul_i32 s26, s1, s17
	s_add_i32 s19, s27, s19
	s_mul_i32 s28, s0, s17
	s_add_i32 s19, s19, s26
	s_mul_hi_u32 s26, s17, s19
	s_mul_i32 s27, s17, s19
	s_mul_hi_u32 s17, s17, s28
	s_add_u32 s17, s17, s27
	s_addc_u32 s26, 0, s26
	s_mul_hi_u32 s29, s16, s28
	s_mul_i32 s28, s16, s28
	s_add_u32 s17, s17, s28
	s_mul_hi_u32 s27, s16, s19
	s_addc_u32 s17, s26, s29
	s_addc_u32 s26, s27, 0
	s_mul_i32 s19, s16, s19
	s_add_u32 s17, s17, s19
	s_addc_u32 s19, 0, s26
	v_add_co_u32_e32 v1, vcc, s17, v1
	s_cmp_lg_u64 vcc, 0
	s_addc_u32 s16, s16, s19
	v_readfirstlane_b32 s19, v1
	s_mul_i32 s17, s0, s16
	s_mul_hi_u32 s26, s0, s19
	s_add_i32 s17, s26, s17
	s_mul_i32 s1, s1, s19
	s_add_i32 s17, s17, s1
	s_mul_i32 s0, s0, s19
	s_mul_hi_u32 s26, s16, s0
	s_mul_i32 s27, s16, s0
	s_mul_i32 s29, s19, s17
	s_mul_hi_u32 s0, s19, s0
	s_mul_hi_u32 s28, s19, s17
	s_add_u32 s0, s0, s29
	s_addc_u32 s19, 0, s28
	s_add_u32 s0, s0, s27
	s_mul_hi_u32 s1, s16, s17
	s_addc_u32 s0, s19, s26
	s_addc_u32 s1, s1, 0
	s_mul_i32 s17, s16, s17
	s_add_u32 s0, s0, s17
	s_addc_u32 s1, 0, s1
	v_add_co_u32_e32 v1, vcc, s0, v1
	s_cmp_lg_u64 vcc, 0
	s_addc_u32 s0, s16, s1
	v_readfirstlane_b32 s17, v1
	s_mul_i32 s16, s6, s0
	s_mul_hi_u32 s19, s6, s17
	s_mul_hi_u32 s1, s6, s0
	s_add_u32 s16, s19, s16
	s_addc_u32 s1, 0, s1
	s_mul_hi_u32 s26, s7, s17
	s_mul_i32 s17, s7, s17
	s_add_u32 s16, s16, s17
	s_mul_hi_u32 s19, s7, s0
	s_addc_u32 s1, s1, s26
	s_addc_u32 s16, s19, 0
	s_mul_i32 s0, s7, s0
	s_add_u32 s19, s1, s0
	s_addc_u32 s16, 0, s16
	s_mul_i32 s0, s22, s16
	s_mul_hi_u32 s1, s22, s19
	s_add_i32 s0, s1, s0
	s_mul_i32 s1, s23, s19
	s_add_i32 s17, s0, s1
	s_mul_i32 s1, s22, s19
	v_mov_b32_e32 v1, s1
	s_sub_i32 s0, s7, s17
	v_sub_co_u32_e32 v1, vcc, s6, v1
	s_cmp_lg_u64 vcc, 0
	s_subb_u32 s26, s0, s23
	v_subrev_co_u32_e64 v2, s[0:1], s22, v1
	s_cmp_lg_u64 s[0:1], 0
	s_subb_u32 s0, s26, 0
	s_cmp_ge_u32 s0, s23
	v_readfirstlane_b32 s26, v2
	s_cselect_b32 s1, -1, 0
	s_cmp_ge_u32 s26, s22
	s_cselect_b32 s26, -1, 0
	s_cmp_eq_u32 s0, s23
	s_cselect_b32 s0, s26, s1
	s_add_u32 s1, s19, 1
	s_addc_u32 s26, s16, 0
	s_add_u32 s27, s19, 2
	s_addc_u32 s28, s16, 0
	s_cmp_lg_u32 s0, 0
	s_cselect_b32 s0, s27, s1
	s_cselect_b32 s1, s28, s26
	s_cmp_lg_u64 vcc, 0
	s_subb_u32 s17, s7, s17
	s_cmp_ge_u32 s17, s23
	v_readfirstlane_b32 s27, v1
	s_cselect_b32 s26, -1, 0
	s_cmp_ge_u32 s27, s22
	s_cselect_b32 s27, -1, 0
	s_cmp_eq_u32 s17, s23
	s_cselect_b32 s17, s27, s26
	s_cmp_lg_u32 s17, 0
	s_cselect_b32 s17, s1, s16
	s_cselect_b32 s16, s0, s19
	s_cbranch_execnz .LBB178_14
.LBB178_13:                             ;   in Loop: Header=BB178_11 Depth=1
	v_cvt_f32_u32_e32 v1, s22
	s_sub_i32 s0, 0, s22
	v_rcp_iflag_f32_e32 v1, v1
	v_mul_f32_e32 v1, 0x4f7ffffe, v1
	v_cvt_u32_f32_e32 v1, v1
	v_readfirstlane_b32 s1, v1
	s_mul_i32 s0, s0, s1
	s_mul_hi_u32 s0, s1, s0
	s_add_i32 s1, s1, s0
	s_mul_hi_u32 s0, s6, s1
	s_mul_i32 s16, s0, s22
	s_sub_i32 s16, s6, s16
	s_add_i32 s1, s0, 1
	s_sub_i32 s17, s16, s22
	s_cmp_ge_u32 s16, s22
	s_cselect_b32 s0, s1, s0
	s_cselect_b32 s16, s17, s16
	s_add_i32 s1, s0, 1
	s_cmp_ge_u32 s16, s22
	s_cselect_b32 s16, s1, s0
	s_mov_b32 s17, s18
.LBB178_14:                             ;   in Loop: Header=BB178_11 Depth=1
	s_mul_i32 s0, s16, s23
	s_mul_hi_u32 s1, s16, s22
	s_add_i32 s19, s1, s0
	s_load_dwordx2 s[0:1], s[20:21], 0xc8
	s_mul_i32 s23, s17, s22
	s_add_i32 s19, s19, s23
	s_mul_i32 s22, s16, s22
	s_sub_u32 s6, s6, s22
	s_subb_u32 s7, s7, s19
	s_waitcnt lgkmcnt(0)
	s_mul_i32 s7, s0, s7
	s_mul_hi_u32 s19, s0, s6
	s_add_i32 s7, s19, s7
	s_mul_i32 s1, s1, s6
	s_add_i32 s7, s7, s1
	s_mul_i32 s0, s0, s6
	s_add_u32 s10, s0, s10
	s_addc_u32 s11, s7, s11
	s_add_i32 s15, s15, -1
	s_add_u32 s20, s20, -8
	s_addc_u32 s21, s21, -1
	s_cmp_gt_u32 s15, 2
	s_cbranch_scc0 .LBB178_18
; %bb.15:                               ;   in Loop: Header=BB178_11 Depth=1
	s_mov_b64 s[6:7], s[16:17]
	s_branch .LBB178_11
.LBB178_16:                             ;   in Loop: Header=BB178_11 Depth=1
                                        ; implicit-def: $sgpr16_sgpr17
	s_branch .LBB178_13
.LBB178_17:
	s_mov_b64 s[16:17], s[6:7]
.LBB178_18:
	s_mul_i32 s0, s12, s9
	s_load_dword s9, s[4:5], 0x360
	s_load_dwordx2 s[6:7], s[4:5], 0x0
	s_mul_hi_u32 s1, s12, s8
	s_add_i32 s0, s1, s0
	s_mul_i32 s1, s13, s8
	s_add_i32 s1, s0, s1
	s_waitcnt lgkmcnt(0)
	s_bitcmp1_b32 s9, 0
	s_mul_i32 s0, s12, s8
	s_cselect_b64 s[12:13], -1, 0
	s_mov_b32 s15, 0x8000
	s_and_b64 s[8:9], s[12:13], exec
	s_cselect_b32 s8, s15, 0x7fff
	s_lshl_b64 s[0:1], s[0:1], 1
	s_add_u32 s6, s6, s0
	s_addc_u32 s7, s7, s1
	s_lshl_b64 s[0:1], s[2:3], 1
	s_pack_ll_b32_b16 s2, s8, s8
	s_add_u32 s33, s6, s0
	s_mov_b32 s3, s2
	s_addc_u32 s38, s7, s1
	v_cmp_gt_u32_e64 s[0:1], s14, v0
	v_pk_mov_b32 v[2:3], s[2:3], s[2:3] op_sel:[0,1]
	v_mov_b32_e32 v4, s8
	s_and_saveexec_b64 s[6:7], s[0:1]
	s_cbranch_execz .LBB178_20
; %bb.19:
	v_mad_u64_u32 v[2:3], s[8:9], v0, s24, 0
	v_mov_b32_e32 v4, v3
	v_mad_u64_u32 v[4:5], s[8:9], v0, s25, v[4:5]
	v_mov_b32_e32 v3, v4
	v_lshlrev_b64 v[2:3], 1, v[2:3]
	v_mov_b32_e32 v1, s38
	v_add_co_u32_e32 v2, vcc, s33, v2
	v_addc_co_u32_e32 v3, vcc, v1, v3, vcc
	global_load_ushort v4, v[2:3], off
	s_mov_b32 s3, 0xffff
	v_mov_b32_e32 v1, s2
	v_mov_b32_e32 v3, s2
	s_waitcnt vmcnt(0)
	v_bfi_b32 v2, s3, v4, v1
.LBB178_20:
	s_or_b64 exec, exec, s[6:7]
	v_or_b32_e32 v1, 32, v0
	v_cmp_gt_u32_e64 s[2:3], s14, v1
	s_and_saveexec_b64 s[6:7], s[2:3]
	s_cbranch_execz .LBB178_22
; %bb.21:
	v_mad_u64_u32 v[6:7], s[8:9], v1, s24, 0
	v_mov_b32_e32 v8, v7
	v_mad_u64_u32 v[8:9], s[8:9], v1, s25, v[8:9]
	v_mov_b32_e32 v7, v8
	v_lshlrev_b64 v[6:7], 1, v[6:7]
	v_mov_b32_e32 v5, s38
	v_add_co_u32_e32 v6, vcc, s33, v6
	v_addc_co_u32_e32 v7, vcc, v5, v7, vcc
	global_load_ushort v5, v[6:7], off
	s_mov_b32 s8, 0x5040100
	s_waitcnt vmcnt(0)
	v_perm_b32 v2, v5, v2, s8
.LBB178_22:
	s_or_b64 exec, exec, s[6:7]
	s_load_dwordx2 s[20:21], s[4:5], 0x288
	s_load_dwordx2 s[18:19], s[4:5], 0x1b8
	v_or_b32_e32 v12, 64, v0
	v_cmp_gt_u32_e64 s[8:9], s14, v12
	s_and_saveexec_b64 s[6:7], s[8:9]
	s_cbranch_execz .LBB178_24
; %bb.23:
	v_mad_u64_u32 v[6:7], s[22:23], v12, s24, 0
	v_mov_b32_e32 v8, v7
	v_mad_u64_u32 v[8:9], s[22:23], v12, s25, v[8:9]
	v_mov_b32_e32 v7, v8
	v_lshlrev_b64 v[6:7], 1, v[6:7]
	v_mov_b32_e32 v5, s38
	v_add_co_u32_e32 v6, vcc, s33, v6
	v_addc_co_u32_e32 v7, vcc, v5, v7, vcc
	global_load_ushort v5, v[6:7], off
	s_mov_b32 s15, 0xffff
	s_waitcnt vmcnt(0)
	v_bfi_b32 v3, s15, v5, v3
.LBB178_24:
	s_or_b64 exec, exec, s[6:7]
	v_or_b32_e32 v11, 0x60, v0
	v_cmp_gt_u32_e64 s[6:7], s14, v11
	s_and_saveexec_b64 s[14:15], s[6:7]
	s_cbranch_execz .LBB178_26
; %bb.25:
	v_mad_u64_u32 v[6:7], s[22:23], v11, s24, 0
	v_mov_b32_e32 v8, v7
	v_mad_u64_u32 v[8:9], s[22:23], v11, s25, v[8:9]
	v_mov_b32_e32 v7, v8
	v_lshlrev_b64 v[6:7], 1, v[6:7]
	v_mov_b32_e32 v5, s38
	v_add_co_u32_e32 v6, vcc, s33, v6
	v_addc_co_u32_e32 v7, vcc, v5, v7, vcc
	global_load_ushort v5, v[6:7], off
	s_mov_b32 s22, 0x5040100
	s_waitcnt vmcnt(0)
	v_perm_b32 v3, v5, v3, s22
.LBB178_26:
	s_or_b64 exec, exec, s[14:15]
	v_lshlrev_b32_e32 v30, 1, v0
	v_lshrrev_b32_e32 v14, 5, v12
	ds_write_b16 v30, v4
	ds_write_b16_d16_hi v30, v2 offset:64
	v_and_b32_e32 v2, 2, v14
	v_lshrrev_b32_e32 v13, 5, v11
	s_waitcnt lgkmcnt(0)
	s_mul_i32 s14, s20, s17
	s_mul_hi_u32 s15, s20, s16
	v_add_lshl_u32 v31, v2, v0, 1
	v_and_b32_e32 v2, 2, v13
	v_lshlrev_b32_e32 v10, 2, v0
	v_lshrrev_b32_e32 v15, 3, v0
	s_add_i32 s14, s15, s14
	s_mul_i32 s15, s21, s16
	v_add_lshl_u32 v32, v2, v0, 1
	v_and_or_b32 v2, v15, 2, v10
	s_add_i32 s15, s14, s15
	s_mul_i32 s14, s20, s16
	v_lshlrev_b32_e32 v33, 1, v2
	s_lshl_b64 s[14:15], s[14:15], 3
	s_load_dwordx2 s[26:27], s[4:5], 0x358
	ds_write_b16 v31, v3 offset:128
	ds_write_b16_d16_hi v32, v3 offset:192
	s_waitcnt lgkmcnt(0)
	; wave barrier
	s_waitcnt lgkmcnt(0)
	ds_read_b64 v[18:19], v33
	s_add_u32 s14, s18, s14
	s_mov_b32 s16, 0
	s_addc_u32 s15, s19, s15
	s_lshl_b64 s[10:11], s[10:11], 3
	s_mov_b32 s17, s16
	s_add_u32 s39, s14, s10
	s_mov_b32 s18, s16
	s_mov_b32 s19, s16
	;; [unrolled: 1-line block ×6, first 2 shown]
	v_pk_mov_b32 v[2:3], s[16:17], s[16:17] op_sel:[0,1]
	s_addc_u32 s40, s15, s11
	v_pk_mov_b32 v[4:5], s[18:19], s[18:19] op_sel:[0,1]
	v_pk_mov_b32 v[6:7], s[20:21], s[20:21] op_sel:[0,1]
	;; [unrolled: 1-line block ×3, first 2 shown]
	v_pk_mov_b32 v[2:3], 0, 0
	s_waitcnt lgkmcnt(0)
	; wave barrier
	s_waitcnt lgkmcnt(0)
	s_and_saveexec_b64 s[4:5], s[0:1]
	s_cbranch_execnz .LBB178_47
; %bb.27:
	s_or_b64 exec, exec, s[4:5]
	s_and_saveexec_b64 s[4:5], s[2:3]
	s_cbranch_execnz .LBB178_48
.LBB178_28:
	s_or_b64 exec, exec, s[4:5]
	s_and_saveexec_b64 s[4:5], s[8:9]
	s_cbranch_execz .LBB178_30
.LBB178_29:
	v_mad_u64_u32 v[6:7], s[10:11], v12, s26, 0
	v_mov_b32_e32 v16, v7
	v_mad_u64_u32 v[16:17], s[10:11], v12, s27, v[16:17]
	v_mov_b32_e32 v7, v16
	v_lshlrev_b64 v[6:7], 3, v[6:7]
	v_mov_b32_e32 v12, s40
	v_add_co_u32_e32 v6, vcc, s39, v6
	v_addc_co_u32_e32 v7, vcc, v12, v7, vcc
	global_load_dwordx2 v[6:7], v[6:7], off
.LBB178_30:
	s_or_b64 exec, exec, s[4:5]
	s_xor_b64 s[28:29], s[12:13], -1
	v_lshrrev_b32_e32 v12, 5, v1
	s_and_saveexec_b64 s[4:5], s[6:7]
	s_cbranch_execz .LBB178_32
; %bb.31:
	v_mad_u64_u32 v[8:9], s[10:11], v11, s26, 0
	v_mov_b32_e32 v16, v9
	v_mad_u64_u32 v[16:17], s[10:11], v11, s27, v[16:17]
	v_mov_b32_e32 v9, v16
	v_lshlrev_b64 v[8:9], 3, v[8:9]
	v_mov_b32_e32 v11, s40
	v_add_co_u32_e32 v8, vcc, s39, v8
	v_addc_co_u32_e32 v9, vcc, v11, v9, vcc
	global_load_dwordx2 v[8:9], v[8:9], off
.LBB178_32:
	s_or_b64 exec, exec, s[4:5]
	v_mbcnt_lo_u32_b32 v11, -1, 0
	v_mbcnt_hi_u32_b32 v11, -1, v11
	v_lshlrev_b32_e32 v34, 3, v0
	v_add_lshl_u32 v35, v12, v0, 3
	v_add_lshl_u32 v36, v14, v0, 3
	;; [unrolled: 1-line block ×4, first 2 shown]
	s_getpc_b64 s[4:5]
	s_add_u32 s4, s4, _ZN7rocprim17ROCPRIM_400000_NS16block_radix_sortIsLj32ELj4ElLj1ELj1ELj0ELNS0_26block_radix_rank_algorithmE1ELNS0_18block_padding_hintE2ELNS0_4arch9wavefront6targetE1EE19radix_bits_per_passE@rel32@lo+4
	s_addc_u32 s5, s5, _ZN7rocprim17ROCPRIM_400000_NS16block_radix_sortIsLj32ELj4ElLj1ELj1ELj0ELNS0_26block_radix_rank_algorithmE1ELNS0_18block_padding_hintE2ELNS0_4arch9wavefront6targetE1EE19radix_bits_per_passE@rel32@hi+12
	v_and_b32_e32 v12, 15, v11
	s_waitcnt vmcnt(0)
	ds_write_b64 v34, v[2:3]
	ds_write_b64 v35, v[4:5] offset:256
	ds_write_b64 v36, v[6:7] offset:512
	;; [unrolled: 1-line block ×3, first 2 shown]
	s_waitcnt lgkmcnt(0)
	; wave barrier
	s_waitcnt lgkmcnt(0)
	ds_read2_b64 v[2:5], v38 offset1:1
	ds_read2_b64 v[6:9], v38 offset0:2 offset1:3
	s_load_dword s41, s[4:5], 0x0
	v_cmp_eq_u32_e64 s[10:11], 0, v12
	v_cmp_lt_u32_e64 s[12:13], 1, v12
	v_cmp_lt_u32_e64 s[14:15], 3, v12
	;; [unrolled: 1-line block ×3, first 2 shown]
	v_and_b32_e32 v12, 16, v11
	v_cmp_eq_u32_e64 s[18:19], 0, v12
	v_add_u32_e32 v12, -1, v11
	v_and_b32_e32 v13, 0x60, v11
	v_cmp_lt_i32_e32 vcc, v12, v13
	s_movk_i32 s4, 0x100
	v_cndmask_b32_e32 v12, v12, v11, vcc
	v_cmp_gt_u32_e64 s[4:5], s4, v0
	v_lshlrev_b32_e32 v41, 5, v0
	s_mov_b32 s42, 0
	v_cmp_eq_u32_e64 s[20:21], 31, v0
	v_lshlrev_b32_e32 v42, 2, v12
	v_cmp_eq_u32_e64 s[22:23], 0, v11
	v_lshlrev_b32_e32 v40, 1, v10
	v_lshlrev_b32_e32 v39, 3, v10
	s_and_b64 vcc, exec, s[28:29]
	v_add_u32_e64 v43, 7, 2
	s_waitcnt lgkmcnt(0)
	; wave barrier
	s_waitcnt lgkmcnt(0)
	s_cbranch_vccz .LBB178_49
; %bb.33:
	v_xor_b32_e32 v28, 0x80008000, v18
	v_xor_b32_e32 v29, 0x80008000, v19
	v_and_b32_e32 v44, 14, v43
	v_mov_b32_e32 v45, 0
	s_movk_i32 s43, 0xe0
	v_pk_mov_b32 v[10:11], v[2:3], v[2:3] op_sel:[0,1]
	v_pk_mov_b32 v[12:13], v[4:5], v[4:5] op_sel:[0,1]
	;; [unrolled: 1-line block ×4, first 2 shown]
	s_branch .LBB178_35
.LBB178_34:                             ;   in Loop: Header=BB178_35 Depth=1
	v_lshlrev_b32_e32 v10, 1, v49
	s_waitcnt lgkmcnt(0)
	; wave barrier
	ds_write_b16 v10, v28
	v_lshlrev_b32_e32 v10, 1, v50
	ds_write_b16 v10, v46
	v_lshlrev_b32_e32 v10, 1, v51
	;; [unrolled: 2-line block ×4, first 2 shown]
	s_waitcnt lgkmcnt(0)
	; wave barrier
	s_waitcnt lgkmcnt(0)
	ds_read_b64 v[28:29], v40
	s_waitcnt lgkmcnt(0)
	; wave barrier
	s_waitcnt lgkmcnt(0)
	ds_write_b64 v10, v[26:27]
	v_lshlrev_b32_e32 v10, 3, v50
	ds_write_b64 v10, v[24:25]
	v_lshlrev_b32_e32 v10, 3, v51
	;; [unrolled: 2-line block ×3, first 2 shown]
	ds_write_b64 v10, v[20:21]
	s_waitcnt lgkmcnt(0)
	; wave barrier
	s_waitcnt lgkmcnt(0)
	ds_read2_b64 v[10:13], v39 offset1:1
	ds_read2_b64 v[14:17], v39 offset0:2 offset1:3
	s_add_i32 s42, s42, 4
	s_waitcnt lgkmcnt(0)
	; wave barrier
	s_waitcnt lgkmcnt(0)
	s_cbranch_execz .LBB178_46
.LBB178_35:                             ; =>This Loop Header: Depth=1
                                        ;     Child Loop BB178_38 Depth 2
	v_pk_mov_b32 v[20:21], v[16:17], v[16:17] op_sel:[0,1]
	v_pk_mov_b32 v[22:23], v[14:15], v[14:15] op_sel:[0,1]
	;; [unrolled: 1-line block ×4, first 2 shown]
	s_and_saveexec_b64 s[28:29], s[4:5]
	s_cbranch_execz .LBB178_42
; %bb.36:                               ;   in Loop: Header=BB178_35 Depth=1
	s_mov_b32 s44, 0
	s_mov_b64 s[30:31], 0
	v_pk_mov_b32 v[10:11], v[0:1], v[0:1] op_sel:[0,1]
	s_branch .LBB178_38
.LBB178_37:                             ;   in Loop: Header=BB178_38 Depth=2
	s_or_b64 exec, exec, s[36:37]
	s_add_i32 s44, s44, 2
	v_cmp_eq_u32_e32 vcc, s44, v44
	v_add_u32_e32 v11, 64, v11
	s_or_b64 s[30:31], vcc, s[30:31]
	v_add_u32_e32 v10, 64, v10
	s_andn2_b64 exec, exec, s[30:31]
	s_cbranch_execz .LBB178_42
.LBB178_38:                             ;   Parent Loop BB178_35 Depth=1
                                        ; =>  This Inner Loop Header: Depth=2
	s_or_b32 s34, s44, 1
	v_cmp_le_u32_e64 s[34:35], s34, 7
	v_cmp_le_u32_e64 s[46:47], s44, 7
	s_and_saveexec_b64 s[36:37], s[46:47]
	s_cbranch_execz .LBB178_40
; %bb.39:                               ;   in Loop: Header=BB178_38 Depth=2
	v_lshlrev_b32_e32 v12, 2, v10
	ds_write_b32 v12, v45
.LBB178_40:                             ;   in Loop: Header=BB178_38 Depth=2
	s_or_b64 exec, exec, s[36:37]
	s_and_saveexec_b64 s[36:37], s[34:35]
	s_cbranch_execz .LBB178_37
; %bb.41:                               ;   in Loop: Header=BB178_38 Depth=2
	v_lshlrev_b32_e32 v12, 2, v11
	ds_write_b32 v12, v45
	s_branch .LBB178_37
.LBB178_42:                             ;   in Loop: Header=BB178_35 Depth=1
	s_or_b64 exec, exec, s[28:29]
	s_sub_i32 s28, 16, s42
	s_min_u32 s28, s41, s28
	s_lshl_b32 s28, -1, s28
	s_not_b32 s28, s28
	v_lshrrev_b32_sdwa v10, s42, v28 dst_sel:DWORD dst_unused:UNUSED_PAD src0_sel:DWORD src1_sel:WORD_0
	v_and_b32_e32 v10, s28, v10
	v_lshrrev_b32_e32 v11, 3, v10
	v_lshlrev_b32_e32 v10, 5, v10
	v_and_or_b32 v10, v10, s43, v0
	v_lshlrev_b32_e32 v10, 1, v10
	v_add_lshl_u32 v50, v10, v11, 1
	ds_read_u16 v49, v50
	v_lshrrev_b32_e32 v46, 16, v28
	v_lshrrev_b32_e32 v10, s42, v46
	v_and_b32_e32 v10, s28, v10
	v_lshrrev_b32_e32 v47, 16, v29
	s_waitcnt lgkmcnt(0)
	v_add_u16_e32 v11, 1, v49
	ds_write_b16 v50, v11
	v_lshrrev_b32_e32 v11, 3, v10
	v_lshlrev_b32_e32 v10, 5, v10
	v_and_or_b32 v10, v10, s43, v0
	v_lshlrev_b32_e32 v10, 1, v10
	v_add_lshl_u32 v52, v10, v11, 1
	ds_read_u16 v51, v52
	s_waitcnt lgkmcnt(0)
	v_add_u16_e32 v10, 1, v51
	ds_write_b16 v52, v10
	v_lshrrev_b32_sdwa v10, s42, v29 dst_sel:DWORD dst_unused:UNUSED_PAD src0_sel:DWORD src1_sel:WORD_0
	v_and_b32_e32 v10, s28, v10
	v_lshrrev_b32_e32 v11, 3, v10
	v_lshlrev_b32_e32 v10, 5, v10
	v_and_or_b32 v10, v10, s43, v0
	v_lshlrev_b32_e32 v10, 1, v10
	v_add_lshl_u32 v53, v10, v11, 1
	ds_read_u16 v54, v53
	s_waitcnt lgkmcnt(0)
	v_add_u16_e32 v10, 1, v54
	ds_write_b16 v53, v10
	v_lshrrev_b32_e32 v10, s42, v47
	v_and_b32_e32 v10, s28, v10
	v_lshrrev_b32_e32 v11, 3, v10
	v_lshlrev_b32_e32 v10, 5, v10
	v_and_or_b32 v10, v10, s43, v0
	v_lshlrev_b32_e32 v10, 1, v10
	v_add_lshl_u32 v56, v10, v11, 1
	ds_read_u16 v55, v56
	s_waitcnt lgkmcnt(0)
	v_add_u16_e32 v10, 1, v55
	ds_write_b16 v56, v10
	s_waitcnt lgkmcnt(0)
	; wave barrier
	s_waitcnt lgkmcnt(0)
	ds_read2_b32 v[16:17], v41 offset1:1
	ds_read2_b32 v[14:15], v41 offset0:2 offset1:3
	ds_read2_b32 v[10:11], v41 offset0:4 offset1:5
	;; [unrolled: 1-line block ×3, first 2 shown]
	s_waitcnt lgkmcnt(3)
	v_add_u32_e32 v48, v17, v16
	s_waitcnt lgkmcnt(2)
	v_add3_u32 v48, v48, v14, v15
	s_waitcnt lgkmcnt(1)
	v_add3_u32 v48, v48, v10, v11
	;; [unrolled: 2-line block ×3, first 2 shown]
	s_nop 1
	v_mov_b32_dpp v48, v13 row_shr:1 row_mask:0xf bank_mask:0xf
	v_cndmask_b32_e64 v48, v48, 0, s[10:11]
	v_add_u32_e32 v13, v48, v13
	s_nop 1
	v_mov_b32_dpp v48, v13 row_shr:2 row_mask:0xf bank_mask:0xf
	v_cndmask_b32_e64 v48, 0, v48, s[12:13]
	v_add_u32_e32 v13, v13, v48
	;; [unrolled: 4-line block ×4, first 2 shown]
	s_nop 1
	v_mov_b32_dpp v48, v13 row_bcast:15 row_mask:0xf bank_mask:0xf
	v_cndmask_b32_e64 v48, v48, 0, s[18:19]
	v_add_u32_e32 v13, v13, v48
	s_and_saveexec_b64 s[28:29], s[20:21]
	s_cbranch_execz .LBB178_44
; %bb.43:                               ;   in Loop: Header=BB178_35 Depth=1
	ds_write_b32 v45, v13 offset:1024
.LBB178_44:                             ;   in Loop: Header=BB178_35 Depth=1
	s_or_b64 exec, exec, s[28:29]
	ds_bpermute_b32 v13, v42, v13
	s_waitcnt lgkmcnt(0)
	; wave barrier
	s_waitcnt lgkmcnt(0)
	ds_read_b32 v57, v45 offset:1024
	v_mov_b32_e32 v48, v28
	v_cndmask_b32_e64 v13, v13, 0, s[22:23]
	s_cmp_gt_u32 s42, 11
	s_waitcnt lgkmcnt(0)
	v_lshl_add_u32 v13, v57, 16, v13
	v_add_u32_e32 v16, v13, v16
	v_add_u32_e32 v17, v16, v17
	;; [unrolled: 1-line block ×7, first 2 shown]
	ds_write2_b32 v41, v13, v16 offset1:1
	ds_write2_b32 v41, v17, v14 offset0:2 offset1:3
	ds_write2_b32 v41, v15, v10 offset0:4 offset1:5
	;; [unrolled: 1-line block ×3, first 2 shown]
	s_waitcnt lgkmcnt(0)
	; wave barrier
	s_waitcnt lgkmcnt(0)
	ds_read_u16 v10, v50
	ds_read_u16 v11, v52
	;; [unrolled: 1-line block ×4, first 2 shown]
	v_mov_b32_e32 v53, v29
	s_waitcnt lgkmcnt(3)
	v_add_u32_sdwa v49, v10, v49 dst_sel:DWORD dst_unused:UNUSED_PAD src0_sel:DWORD src1_sel:WORD_0
	s_waitcnt lgkmcnt(2)
	v_add_u32_sdwa v50, v11, v51 dst_sel:DWORD dst_unused:UNUSED_PAD src0_sel:DWORD src1_sel:WORD_0
	;; [unrolled: 2-line block ×4, first 2 shown]
	s_cbranch_scc0 .LBB178_34
; %bb.45:
                                        ; implicit-def: $vgpr29
                                        ; implicit-def: $vgpr16_vgpr17
                                        ; implicit-def: $vgpr12_vgpr13
                                        ; implicit-def: $sgpr42
.LBB178_46:
	v_lshlrev_b32_e32 v10, 1, v49
	s_waitcnt lgkmcnt(0)
	; wave barrier
	ds_write_b16 v10, v48
	v_lshlrev_b32_e32 v10, 1, v50
	ds_write_b16 v10, v46
	v_lshlrev_b32_e32 v10, 1, v51
	;; [unrolled: 2-line block ×4, first 2 shown]
	v_lshlrev_b32_e32 v11, 3, v50
	v_lshlrev_b32_e32 v12, 3, v51
	;; [unrolled: 1-line block ×3, first 2 shown]
	s_waitcnt lgkmcnt(0)
	; wave barrier
	s_waitcnt lgkmcnt(0)
	ds_read_b64 v[28:29], v40
	s_waitcnt lgkmcnt(0)
	; wave barrier
	s_waitcnt lgkmcnt(0)
	ds_write_b64 v10, v[26:27]
	ds_write_b64 v11, v[24:25]
	;; [unrolled: 1-line block ×4, first 2 shown]
	s_waitcnt lgkmcnt(0)
	; wave barrier
	s_waitcnt lgkmcnt(0)
	ds_read2_b64 v[10:13], v39 offset1:1
	ds_read2_b64 v[14:17], v39 offset0:2 offset1:3
	v_xor_b32_e32 v20, 0x80008000, v28
	v_xor_b32_e32 v21, 0x80008000, v29
	s_branch .LBB178_64
.LBB178_47:
	v_mad_u64_u32 v[2:3], s[10:11], v0, s26, 0
	v_mov_b32_e32 v4, v3
	v_mad_u64_u32 v[4:5], s[10:11], v0, s27, v[4:5]
	v_mov_b32_e32 v3, v4
	v_lshlrev_b64 v[2:3], 3, v[2:3]
	v_mov_b32_e32 v4, s40
	v_add_co_u32_e32 v2, vcc, s39, v2
	v_addc_co_u32_e32 v3, vcc, v4, v3, vcc
	global_load_dwordx2 v[2:3], v[2:3], off
	v_mov_b32_e32 v4, 0
	v_mov_b32_e32 v5, v4
	;; [unrolled: 1-line block ×6, first 2 shown]
	s_or_b64 exec, exec, s[4:5]
	s_and_saveexec_b64 s[4:5], s[2:3]
	s_cbranch_execz .LBB178_28
.LBB178_48:
	v_mad_u64_u32 v[4:5], s[10:11], v1, s26, 0
	v_mov_b32_e32 v16, v5
	v_mad_u64_u32 v[16:17], s[10:11], v1, s27, v[16:17]
	v_mov_b32_e32 v5, v16
	v_lshlrev_b64 v[4:5], 3, v[4:5]
	v_mov_b32_e32 v16, s40
	v_add_co_u32_e32 v4, vcc, s39, v4
	v_addc_co_u32_e32 v5, vcc, v16, v5, vcc
	global_load_dwordx2 v[4:5], v[4:5], off
	s_or_b64 exec, exec, s[4:5]
	s_and_saveexec_b64 s[4:5], s[8:9]
	s_cbranch_execnz .LBB178_29
	s_branch .LBB178_30
.LBB178_49:
                                        ; implicit-def: $vgpr21
                                        ; implicit-def: $vgpr16_vgpr17
                                        ; implicit-def: $vgpr12_vgpr13
	s_cbranch_execz .LBB178_64
; %bb.50:
	v_xor_b32_e32 v18, 0x7fff7fff, v18
	v_xor_b32_e32 v19, 0x7fff7fff, v19
	v_and_b32_e32 v20, 14, v43
	s_mov_b32 s43, 0
	v_mov_b32_e32 v21, 0
	s_movk_i32 s42, 0xe0
	s_branch .LBB178_52
.LBB178_51:                             ;   in Loop: Header=BB178_52 Depth=1
	v_lshlrev_b32_e32 v2, 1, v25
	s_waitcnt lgkmcnt(0)
	; wave barrier
	ds_write_b16 v2, v18
	v_lshlrev_b32_e32 v2, 1, v26
	ds_write_b16 v2, v22
	v_lshlrev_b32_e32 v2, 1, v27
	;; [unrolled: 2-line block ×4, first 2 shown]
	s_waitcnt lgkmcnt(0)
	; wave barrier
	s_waitcnt lgkmcnt(0)
	ds_read_b64 v[18:19], v40
	s_waitcnt lgkmcnt(0)
	; wave barrier
	s_waitcnt lgkmcnt(0)
	ds_write_b64 v2, v[16:17]
	v_lshlrev_b32_e32 v2, 3, v26
	ds_write_b64 v2, v[14:15]
	v_lshlrev_b32_e32 v2, 3, v27
	;; [unrolled: 2-line block ×3, first 2 shown]
	ds_write_b64 v2, v[10:11]
	s_waitcnt lgkmcnt(0)
	; wave barrier
	s_waitcnt lgkmcnt(0)
	ds_read2_b64 v[2:5], v39 offset1:1
	ds_read2_b64 v[6:9], v39 offset0:2 offset1:3
	s_add_i32 s43, s43, 4
	s_waitcnt lgkmcnt(0)
	; wave barrier
	s_waitcnt lgkmcnt(0)
	s_cbranch_execz .LBB178_63
.LBB178_52:                             ; =>This Loop Header: Depth=1
                                        ;     Child Loop BB178_55 Depth 2
	s_waitcnt lgkmcnt(1)
	v_pk_mov_b32 v[10:11], v[8:9], v[8:9] op_sel:[0,1]
	v_pk_mov_b32 v[12:13], v[6:7], v[6:7] op_sel:[0,1]
	s_waitcnt lgkmcnt(0)
	v_pk_mov_b32 v[14:15], v[4:5], v[4:5] op_sel:[0,1]
	v_pk_mov_b32 v[16:17], v[2:3], v[2:3] op_sel:[0,1]
	s_and_saveexec_b64 s[28:29], s[4:5]
	s_cbranch_execz .LBB178_59
; %bb.53:                               ;   in Loop: Header=BB178_52 Depth=1
	s_mov_b32 s44, 0
	s_mov_b64 s[30:31], 0
	v_pk_mov_b32 v[2:3], v[0:1], v[0:1] op_sel:[0,1]
	s_branch .LBB178_55
.LBB178_54:                             ;   in Loop: Header=BB178_55 Depth=2
	s_or_b64 exec, exec, s[36:37]
	s_add_i32 s44, s44, 2
	v_cmp_eq_u32_e32 vcc, s44, v20
	v_add_u32_e32 v3, 64, v3
	s_or_b64 s[30:31], vcc, s[30:31]
	v_add_u32_e32 v2, 64, v2
	s_andn2_b64 exec, exec, s[30:31]
	s_cbranch_execz .LBB178_59
.LBB178_55:                             ;   Parent Loop BB178_52 Depth=1
                                        ; =>  This Inner Loop Header: Depth=2
	s_or_b32 s34, s44, 1
	v_cmp_le_u32_e64 s[34:35], s34, 7
	v_cmp_le_u32_e64 s[46:47], s44, 7
	s_and_saveexec_b64 s[36:37], s[46:47]
	s_cbranch_execz .LBB178_57
; %bb.56:                               ;   in Loop: Header=BB178_55 Depth=2
	v_lshlrev_b32_e32 v4, 2, v2
	ds_write_b32 v4, v21
.LBB178_57:                             ;   in Loop: Header=BB178_55 Depth=2
	s_or_b64 exec, exec, s[36:37]
	s_and_saveexec_b64 s[36:37], s[34:35]
	s_cbranch_execz .LBB178_54
; %bb.58:                               ;   in Loop: Header=BB178_55 Depth=2
	v_lshlrev_b32_e32 v4, 2, v3
	ds_write_b32 v4, v21
	s_branch .LBB178_54
.LBB178_59:                             ;   in Loop: Header=BB178_52 Depth=1
	s_or_b64 exec, exec, s[28:29]
	s_sub_i32 s28, 16, s43
	s_min_u32 s28, s41, s28
	s_lshl_b32 s28, -1, s28
	s_not_b32 s28, s28
	v_lshrrev_b32_sdwa v2, s43, v18 dst_sel:DWORD dst_unused:UNUSED_PAD src0_sel:DWORD src1_sel:WORD_0
	v_and_b32_e32 v2, s28, v2
	v_lshrrev_b32_e32 v3, 3, v2
	v_lshlrev_b32_e32 v2, 5, v2
	v_and_or_b32 v2, v2, s42, v0
	v_lshlrev_b32_e32 v2, 1, v2
	v_add_lshl_u32 v26, v2, v3, 1
	ds_read_u16 v25, v26
	v_lshrrev_b32_e32 v22, 16, v18
	v_lshrrev_b32_e32 v2, s43, v22
	v_and_b32_e32 v2, s28, v2
	v_lshrrev_b32_e32 v23, 16, v19
	s_waitcnt lgkmcnt(0)
	v_add_u16_e32 v3, 1, v25
	ds_write_b16 v26, v3
	v_lshrrev_b32_e32 v3, 3, v2
	v_lshlrev_b32_e32 v2, 5, v2
	v_and_or_b32 v2, v2, s42, v0
	v_lshlrev_b32_e32 v2, 1, v2
	v_add_lshl_u32 v28, v2, v3, 1
	ds_read_u16 v27, v28
	s_waitcnt lgkmcnt(0)
	v_add_u16_e32 v2, 1, v27
	ds_write_b16 v28, v2
	v_lshrrev_b32_sdwa v2, s43, v19 dst_sel:DWORD dst_unused:UNUSED_PAD src0_sel:DWORD src1_sel:WORD_0
	v_and_b32_e32 v2, s28, v2
	v_lshrrev_b32_e32 v3, 3, v2
	v_lshlrev_b32_e32 v2, 5, v2
	v_and_or_b32 v2, v2, s42, v0
	v_lshlrev_b32_e32 v2, 1, v2
	v_add_lshl_u32 v29, v2, v3, 1
	ds_read_u16 v43, v29
	s_waitcnt lgkmcnt(0)
	v_add_u16_e32 v2, 1, v43
	ds_write_b16 v29, v2
	v_lshrrev_b32_e32 v2, s43, v23
	v_and_b32_e32 v2, s28, v2
	v_lshrrev_b32_e32 v3, 3, v2
	v_lshlrev_b32_e32 v2, 5, v2
	v_and_or_b32 v2, v2, s42, v0
	v_lshlrev_b32_e32 v2, 1, v2
	v_add_lshl_u32 v45, v2, v3, 1
	ds_read_u16 v44, v45
	s_waitcnt lgkmcnt(0)
	v_add_u16_e32 v2, 1, v44
	ds_write_b16 v45, v2
	s_waitcnt lgkmcnt(0)
	; wave barrier
	s_waitcnt lgkmcnt(0)
	ds_read2_b32 v[8:9], v41 offset1:1
	ds_read2_b32 v[6:7], v41 offset0:2 offset1:3
	ds_read2_b32 v[2:3], v41 offset0:4 offset1:5
	;; [unrolled: 1-line block ×3, first 2 shown]
	s_waitcnt lgkmcnt(3)
	v_add_u32_e32 v24, v9, v8
	s_waitcnt lgkmcnt(2)
	v_add3_u32 v24, v24, v6, v7
	s_waitcnt lgkmcnt(1)
	v_add3_u32 v24, v24, v2, v3
	;; [unrolled: 2-line block ×3, first 2 shown]
	s_nop 1
	v_mov_b32_dpp v24, v5 row_shr:1 row_mask:0xf bank_mask:0xf
	v_cndmask_b32_e64 v24, v24, 0, s[10:11]
	v_add_u32_e32 v5, v24, v5
	s_nop 1
	v_mov_b32_dpp v24, v5 row_shr:2 row_mask:0xf bank_mask:0xf
	v_cndmask_b32_e64 v24, 0, v24, s[12:13]
	v_add_u32_e32 v5, v5, v24
	;; [unrolled: 4-line block ×4, first 2 shown]
	s_nop 1
	v_mov_b32_dpp v24, v5 row_bcast:15 row_mask:0xf bank_mask:0xf
	v_cndmask_b32_e64 v24, v24, 0, s[18:19]
	v_add_u32_e32 v5, v5, v24
	s_and_saveexec_b64 s[28:29], s[20:21]
	s_cbranch_execz .LBB178_61
; %bb.60:                               ;   in Loop: Header=BB178_52 Depth=1
	ds_write_b32 v21, v5 offset:1024
.LBB178_61:                             ;   in Loop: Header=BB178_52 Depth=1
	s_or_b64 exec, exec, s[28:29]
	ds_bpermute_b32 v5, v42, v5
	s_waitcnt lgkmcnt(0)
	; wave barrier
	s_waitcnt lgkmcnt(0)
	ds_read_b32 v46, v21 offset:1024
	v_mov_b32_e32 v24, v18
	v_cndmask_b32_e64 v5, v5, 0, s[22:23]
	s_cmp_gt_u32 s43, 11
	s_waitcnt lgkmcnt(0)
	v_lshl_add_u32 v5, v46, 16, v5
	v_add_u32_e32 v8, v5, v8
	v_add_u32_e32 v9, v8, v9
	;; [unrolled: 1-line block ×7, first 2 shown]
	ds_write2_b32 v41, v5, v8 offset1:1
	ds_write2_b32 v41, v9, v6 offset0:2 offset1:3
	ds_write2_b32 v41, v7, v2 offset0:4 offset1:5
	;; [unrolled: 1-line block ×3, first 2 shown]
	s_waitcnt lgkmcnt(0)
	; wave barrier
	s_waitcnt lgkmcnt(0)
	ds_read_u16 v2, v26
	ds_read_u16 v3, v28
	;; [unrolled: 1-line block ×4, first 2 shown]
	v_mov_b32_e32 v29, v19
	s_waitcnt lgkmcnt(3)
	v_add_u32_sdwa v25, v2, v25 dst_sel:DWORD dst_unused:UNUSED_PAD src0_sel:DWORD src1_sel:WORD_0
	s_waitcnt lgkmcnt(2)
	v_add_u32_sdwa v26, v3, v27 dst_sel:DWORD dst_unused:UNUSED_PAD src0_sel:DWORD src1_sel:WORD_0
	;; [unrolled: 2-line block ×4, first 2 shown]
	s_cbranch_scc0 .LBB178_51
; %bb.62:
                                        ; implicit-def: $vgpr19
                                        ; implicit-def: $vgpr8_vgpr9
                                        ; implicit-def: $vgpr4_vgpr5
                                        ; implicit-def: $sgpr43
.LBB178_63:
	v_lshlrev_b32_e32 v1, 1, v25
	s_waitcnt lgkmcnt(0)
	; wave barrier
	ds_write_b16 v1, v24
	v_lshlrev_b32_e32 v1, 1, v26
	ds_write_b16 v1, v22
	v_lshlrev_b32_e32 v1, 1, v27
	ds_write_b16 v1, v29
	v_lshlrev_b32_e32 v1, 1, v28
	ds_write_b16 v1, v23
	v_lshlrev_b32_e32 v1, 3, v25
	s_waitcnt lgkmcnt(0)
	; wave barrier
	s_waitcnt lgkmcnt(0)
	v_lshlrev_b32_e32 v4, 3, v26
	v_lshlrev_b32_e32 v5, 3, v27
	;; [unrolled: 1-line block ×3, first 2 shown]
	ds_read_b64 v[2:3], v40
	s_waitcnt lgkmcnt(0)
	; wave barrier
	s_waitcnt lgkmcnt(0)
	ds_write_b64 v1, v[16:17]
	ds_write_b64 v4, v[14:15]
	;; [unrolled: 1-line block ×4, first 2 shown]
	s_waitcnt lgkmcnt(0)
	; wave barrier
	s_waitcnt lgkmcnt(0)
	ds_read2_b64 v[10:13], v39 offset1:1
	ds_read2_b64 v[14:17], v39 offset0:2 offset1:3
	v_xor_b32_e32 v20, 0x7fff7fff, v2
	v_xor_b32_e32 v21, 0x7fff7fff, v3
.LBB178_64:
	v_mad_u64_u32 v[2:3], s[4:5], v0, s24, 0
	s_waitcnt lgkmcnt(0)
	; wave barrier
	s_waitcnt lgkmcnt(0)
	ds_write_b64 v33, v[20:21]
	s_waitcnt lgkmcnt(0)
	; wave barrier
	s_waitcnt lgkmcnt(0)
	ds_read_u16 v5, v30 offset:64
	ds_read_u16 v4, v31 offset:128
	;; [unrolled: 1-line block ×3, first 2 shown]
	v_mov_b32_e32 v6, v3
	v_mad_u64_u32 v[6:7], s[4:5], v0, s25, v[6:7]
	v_mov_b32_e32 v3, v6
	v_lshlrev_b64 v[2:3], 1, v[2:3]
	v_mov_b32_e32 v6, s38
	v_add_co_u32_e32 v2, vcc, s33, v2
	v_addc_co_u32_e32 v3, vcc, v6, v3, vcc
	s_and_saveexec_b64 s[4:5], s[0:1]
	s_cbranch_execnz .LBB178_75
; %bb.65:
	s_or_b64 exec, exec, s[4:5]
	s_and_saveexec_b64 s[4:5], s[2:3]
	s_cbranch_execnz .LBB178_76
.LBB178_66:
	s_or_b64 exec, exec, s[4:5]
	s_and_saveexec_b64 s[4:5], s[8:9]
	s_cbranch_execnz .LBB178_77
.LBB178_67:
	s_or_b64 exec, exec, s[4:5]
	s_and_saveexec_b64 s[4:5], s[6:7]
	s_cbranch_execz .LBB178_69
.LBB178_68:
	s_waitcnt lgkmcnt(1)
	v_mov_b32_e32 v4, 0xc0
	v_mad_u64_u32 v[2:3], s[10:11], s24, v4, v[2:3]
	s_mul_i32 s10, s25, 0xc0
	v_add_u32_e32 v3, s10, v3
	s_waitcnt lgkmcnt(0)
	global_store_short v[2:3], v1, off
.LBB178_69:
	s_or_b64 exec, exec, s[4:5]
	v_mad_u64_u32 v[8:9], s[4:5], v0, s26, 0
	s_waitcnt lgkmcnt(0)
	; wave barrier
	s_waitcnt lgkmcnt(0)
	ds_write2_b64 v38, v[10:11], v[12:13] offset1:1
	ds_write2_b64 v38, v[14:15], v[16:17] offset0:2 offset1:3
	s_waitcnt lgkmcnt(0)
	; wave barrier
	s_waitcnt lgkmcnt(0)
	ds_read_b64 v[6:7], v35 offset:256
	ds_read_b64 v[4:5], v36 offset:512
	ds_read_b64 v[2:3], v37 offset:768
	v_mov_b32_e32 v10, v9
	v_mad_u64_u32 v[0:1], s[4:5], v0, s27, v[10:11]
	v_mov_b32_e32 v9, v0
	v_lshlrev_b64 v[0:1], 3, v[8:9]
	v_mov_b32_e32 v8, s40
	v_add_co_u32_e32 v0, vcc, s39, v0
	v_addc_co_u32_e32 v1, vcc, v8, v1, vcc
	s_and_saveexec_b64 s[4:5], s[0:1]
	s_cbranch_execnz .LBB178_78
; %bb.70:
	s_or_b64 exec, exec, s[4:5]
	s_and_saveexec_b64 s[0:1], s[2:3]
	s_cbranch_execnz .LBB178_79
.LBB178_71:
	s_or_b64 exec, exec, s[0:1]
	s_and_saveexec_b64 s[0:1], s[8:9]
	s_cbranch_execnz .LBB178_80
.LBB178_72:
	s_or_b64 exec, exec, s[0:1]
	s_and_saveexec_b64 s[0:1], s[6:7]
	s_cbranch_execz .LBB178_74
.LBB178_73:
	s_waitcnt lgkmcnt(1)
	v_mov_b32_e32 v4, 0x300
	v_mad_u64_u32 v[0:1], s[0:1], s26, v4, v[0:1]
	s_mul_i32 s0, s27, 0x300
	v_add_u32_e32 v1, s0, v1
	s_waitcnt lgkmcnt(0)
	global_store_dwordx2 v[0:1], v[2:3], off
.LBB178_74:
	s_endpgm
.LBB178_75:
	ds_read_u16 v6, v30
	s_waitcnt lgkmcnt(0)
	global_store_short v[2:3], v6, off
	s_or_b64 exec, exec, s[4:5]
	s_and_saveexec_b64 s[4:5], s[2:3]
	s_cbranch_execz .LBB178_66
.LBB178_76:
	s_lshl_b64 s[10:11], s[24:25], 6
	v_mov_b32_e32 v7, s11
	v_add_co_u32_e32 v6, vcc, s10, v2
	v_addc_co_u32_e32 v7, vcc, v3, v7, vcc
	s_waitcnt lgkmcnt(2)
	global_store_short v[6:7], v5, off
	s_or_b64 exec, exec, s[4:5]
	s_and_saveexec_b64 s[4:5], s[8:9]
	s_cbranch_execz .LBB178_67
.LBB178_77:
	s_lshl_b64 s[10:11], s[24:25], 7
	s_waitcnt lgkmcnt(2)
	v_mov_b32_e32 v5, s11
	v_add_co_u32_e32 v6, vcc, s10, v2
	v_addc_co_u32_e32 v7, vcc, v3, v5, vcc
	s_waitcnt lgkmcnt(1)
	global_store_short v[6:7], v4, off
	s_or_b64 exec, exec, s[4:5]
	s_and_saveexec_b64 s[4:5], s[6:7]
	s_cbranch_execnz .LBB178_68
	s_branch .LBB178_69
.LBB178_78:
	ds_read_b64 v[8:9], v34
	s_waitcnt lgkmcnt(0)
	global_store_dwordx2 v[0:1], v[8:9], off
	s_or_b64 exec, exec, s[4:5]
	s_and_saveexec_b64 s[0:1], s[2:3]
	s_cbranch_execz .LBB178_71
.LBB178_79:
	s_lshl_b64 s[2:3], s[26:27], 8
	v_mov_b32_e32 v9, s3
	v_add_co_u32_e32 v8, vcc, s2, v0
	v_addc_co_u32_e32 v9, vcc, v1, v9, vcc
	s_waitcnt lgkmcnt(2)
	global_store_dwordx2 v[8:9], v[6:7], off
	s_or_b64 exec, exec, s[0:1]
	s_and_saveexec_b64 s[0:1], s[8:9]
	s_cbranch_execz .LBB178_72
.LBB178_80:
	s_lshl_b64 s[2:3], s[26:27], 9
	s_waitcnt lgkmcnt(2)
	v_mov_b32_e32 v7, s3
	v_add_co_u32_e32 v6, vcc, s2, v0
	v_addc_co_u32_e32 v7, vcc, v1, v7, vcc
	s_waitcnt lgkmcnt(1)
	global_store_dwordx2 v[6:7], v[4:5], off
	s_or_b64 exec, exec, s[0:1]
	s_and_saveexec_b64 s[0:1], s[6:7]
	s_cbranch_execnz .LBB178_73
	s_branch .LBB178_74
	.section	.rodata,"a",@progbits
	.p2align	6, 0x0
	.amdhsa_kernel _ZN2at6native18radixSortKVInPlaceILin1ELin1ELi32ELi4EslmEEvNS_4cuda6detail10TensorInfoIT3_T5_EES6_S6_S6_NS4_IT4_S6_EES6_b
		.amdhsa_group_segment_fixed_size 1056
		.amdhsa_private_segment_fixed_size 0
		.amdhsa_kernarg_size 1128
		.amdhsa_user_sgpr_count 6
		.amdhsa_user_sgpr_private_segment_buffer 1
		.amdhsa_user_sgpr_dispatch_ptr 0
		.amdhsa_user_sgpr_queue_ptr 0
		.amdhsa_user_sgpr_kernarg_segment_ptr 1
		.amdhsa_user_sgpr_dispatch_id 0
		.amdhsa_user_sgpr_flat_scratch_init 0
		.amdhsa_user_sgpr_kernarg_preload_length 0
		.amdhsa_user_sgpr_kernarg_preload_offset 0
		.amdhsa_user_sgpr_private_segment_size 0
		.amdhsa_uses_dynamic_stack 0
		.amdhsa_system_sgpr_private_segment_wavefront_offset 0
		.amdhsa_system_sgpr_workgroup_id_x 1
		.amdhsa_system_sgpr_workgroup_id_y 1
		.amdhsa_system_sgpr_workgroup_id_z 1
		.amdhsa_system_sgpr_workgroup_info 0
		.amdhsa_system_vgpr_workitem_id 0
		.amdhsa_next_free_vgpr 58
		.amdhsa_next_free_sgpr 48
		.amdhsa_accum_offset 60
		.amdhsa_reserve_vcc 1
		.amdhsa_reserve_flat_scratch 0
		.amdhsa_float_round_mode_32 0
		.amdhsa_float_round_mode_16_64 0
		.amdhsa_float_denorm_mode_32 3
		.amdhsa_float_denorm_mode_16_64 3
		.amdhsa_dx10_clamp 1
		.amdhsa_ieee_mode 1
		.amdhsa_fp16_overflow 0
		.amdhsa_tg_split 0
		.amdhsa_exception_fp_ieee_invalid_op 0
		.amdhsa_exception_fp_denorm_src 0
		.amdhsa_exception_fp_ieee_div_zero 0
		.amdhsa_exception_fp_ieee_overflow 0
		.amdhsa_exception_fp_ieee_underflow 0
		.amdhsa_exception_fp_ieee_inexact 0
		.amdhsa_exception_int_div_zero 0
	.end_amdhsa_kernel
	.section	.text._ZN2at6native18radixSortKVInPlaceILin1ELin1ELi32ELi4EslmEEvNS_4cuda6detail10TensorInfoIT3_T5_EES6_S6_S6_NS4_IT4_S6_EES6_b,"axG",@progbits,_ZN2at6native18radixSortKVInPlaceILin1ELin1ELi32ELi4EslmEEvNS_4cuda6detail10TensorInfoIT3_T5_EES6_S6_S6_NS4_IT4_S6_EES6_b,comdat
.Lfunc_end178:
	.size	_ZN2at6native18radixSortKVInPlaceILin1ELin1ELi32ELi4EslmEEvNS_4cuda6detail10TensorInfoIT3_T5_EES6_S6_S6_NS4_IT4_S6_EES6_b, .Lfunc_end178-_ZN2at6native18radixSortKVInPlaceILin1ELin1ELi32ELi4EslmEEvNS_4cuda6detail10TensorInfoIT3_T5_EES6_S6_S6_NS4_IT4_S6_EES6_b
                                        ; -- End function
	.section	.AMDGPU.csdata,"",@progbits
; Kernel info:
; codeLenInByte = 6120
; NumSgprs: 52
; NumVgprs: 58
; NumAgprs: 0
; TotalNumVgprs: 58
; ScratchSize: 0
; MemoryBound: 0
; FloatMode: 240
; IeeeMode: 1
; LDSByteSize: 1056 bytes/workgroup (compile time only)
; SGPRBlocks: 6
; VGPRBlocks: 7
; NumSGPRsForWavesPerEU: 52
; NumVGPRsForWavesPerEU: 58
; AccumOffset: 60
; Occupancy: 8
; WaveLimiterHint : 1
; COMPUTE_PGM_RSRC2:SCRATCH_EN: 0
; COMPUTE_PGM_RSRC2:USER_SGPR: 6
; COMPUTE_PGM_RSRC2:TRAP_HANDLER: 0
; COMPUTE_PGM_RSRC2:TGID_X_EN: 1
; COMPUTE_PGM_RSRC2:TGID_Y_EN: 1
; COMPUTE_PGM_RSRC2:TGID_Z_EN: 1
; COMPUTE_PGM_RSRC2:TIDIG_COMP_CNT: 0
; COMPUTE_PGM_RSRC3_GFX90A:ACCUM_OFFSET: 14
; COMPUTE_PGM_RSRC3_GFX90A:TG_SPLIT: 0
	.section	.text._ZN2at6native18radixSortKVInPlaceILin1ELin1ELi16ELi2EslmEEvNS_4cuda6detail10TensorInfoIT3_T5_EES6_S6_S6_NS4_IT4_S6_EES6_b,"axG",@progbits,_ZN2at6native18radixSortKVInPlaceILin1ELin1ELi16ELi2EslmEEvNS_4cuda6detail10TensorInfoIT3_T5_EES6_S6_S6_NS4_IT4_S6_EES6_b,comdat
	.protected	_ZN2at6native18radixSortKVInPlaceILin1ELin1ELi16ELi2EslmEEvNS_4cuda6detail10TensorInfoIT3_T5_EES6_S6_S6_NS4_IT4_S6_EES6_b ; -- Begin function _ZN2at6native18radixSortKVInPlaceILin1ELin1ELi16ELi2EslmEEvNS_4cuda6detail10TensorInfoIT3_T5_EES6_S6_S6_NS4_IT4_S6_EES6_b
	.globl	_ZN2at6native18radixSortKVInPlaceILin1ELin1ELi16ELi2EslmEEvNS_4cuda6detail10TensorInfoIT3_T5_EES6_S6_S6_NS4_IT4_S6_EES6_b
	.p2align	8
	.type	_ZN2at6native18radixSortKVInPlaceILin1ELin1ELi16ELi2EslmEEvNS_4cuda6detail10TensorInfoIT3_T5_EES6_S6_S6_NS4_IT4_S6_EES6_b,@function
_ZN2at6native18radixSortKVInPlaceILin1ELin1ELi16ELi2EslmEEvNS_4cuda6detail10TensorInfoIT3_T5_EES6_S6_S6_NS4_IT4_S6_EES6_b: ; @_ZN2at6native18radixSortKVInPlaceILin1ELin1ELi16ELi2EslmEEvNS_4cuda6detail10TensorInfoIT3_T5_EES6_S6_S6_NS4_IT4_S6_EES6_b
; %bb.0:
	s_load_dwordx4 s[0:3], s[4:5], 0x1a0
	s_load_dwordx2 s[10:11], s[4:5], 0x368
	s_mov_b32 s9, 0
	s_waitcnt lgkmcnt(0)
	v_mov_b32_e32 v2, s0
	s_mul_i32 s0, s11, s8
	s_add_i32 s0, s0, s7
	s_mul_i32 s0, s0, s10
	v_mov_b32_e32 v3, s1
	s_add_i32 s8, s0, s6
	v_cmp_ge_u64_e32 vcc, s[8:9], v[2:3]
	s_cbranch_vccnz .LBB179_64
; %bb.1:
	s_load_dword s0, s[4:5], 0x198
	s_load_dwordx2 s[18:19], s[4:5], 0x1b0
	s_mov_b64 s[6:7], 0
	s_mov_b64 s[12:13], s[8:9]
	s_waitcnt lgkmcnt(0)
	s_cmp_lt_i32 s0, 2
	s_cbranch_scc1 .LBB179_9
; %bb.2:
	s_mov_b32 s10, 0
	s_add_i32 s3, s0, 1
	s_add_i32 s0, s0, -1
	s_mov_b32 s1, s10
	s_lshl_b64 s[0:1], s[0:1], 3
	s_add_u32 s0, s0, s4
	s_addc_u32 s1, s1, s5
	s_add_u32 s14, s0, 8
	s_addc_u32 s15, s1, 0
	s_mov_b64 s[16:17], s[8:9]
.LBB179_3:                              ; =>This Inner Loop Header: Depth=1
	s_load_dwordx2 s[20:21], s[14:15], 0x0
	s_waitcnt lgkmcnt(0)
	s_or_b64 s[0:1], s[16:17], s[20:21]
	s_mov_b32 s11, s1
	s_cmp_lg_u64 s[10:11], 0
	s_cbranch_scc0 .LBB179_8
; %bb.4:                                ;   in Loop: Header=BB179_3 Depth=1
	v_cvt_f32_u32_e32 v1, s20
	v_cvt_f32_u32_e32 v2, s21
	s_sub_u32 s0, 0, s20
	s_subb_u32 s1, 0, s21
	v_mac_f32_e32 v1, 0x4f800000, v2
	v_rcp_f32_e32 v1, v1
	v_mul_f32_e32 v1, 0x5f7ffffc, v1
	v_mul_f32_e32 v2, 0x2f800000, v1
	v_trunc_f32_e32 v2, v2
	v_mac_f32_e32 v1, 0xcf800000, v2
	v_cvt_u32_f32_e32 v2, v2
	v_cvt_u32_f32_e32 v1, v1
	v_readfirstlane_b32 s11, v2
	v_readfirstlane_b32 s12, v1
	s_mul_i32 s13, s0, s11
	s_mul_hi_u32 s23, s0, s12
	s_mul_i32 s22, s1, s12
	s_add_i32 s13, s23, s13
	s_mul_i32 s24, s0, s12
	s_add_i32 s13, s13, s22
	s_mul_hi_u32 s22, s12, s13
	s_mul_i32 s23, s12, s13
	s_mul_hi_u32 s12, s12, s24
	s_add_u32 s12, s12, s23
	s_addc_u32 s22, 0, s22
	s_mul_hi_u32 s25, s11, s24
	s_mul_i32 s24, s11, s24
	s_add_u32 s12, s12, s24
	s_mul_hi_u32 s23, s11, s13
	s_addc_u32 s12, s22, s25
	s_addc_u32 s22, s23, 0
	s_mul_i32 s13, s11, s13
	s_add_u32 s12, s12, s13
	s_addc_u32 s13, 0, s22
	v_add_co_u32_e32 v1, vcc, s12, v1
	s_cmp_lg_u64 vcc, 0
	s_addc_u32 s11, s11, s13
	v_readfirstlane_b32 s13, v1
	s_mul_i32 s12, s0, s11
	s_mul_hi_u32 s22, s0, s13
	s_add_i32 s12, s22, s12
	s_mul_i32 s1, s1, s13
	s_add_i32 s12, s12, s1
	s_mul_i32 s0, s0, s13
	s_mul_hi_u32 s22, s11, s0
	s_mul_i32 s23, s11, s0
	s_mul_i32 s25, s13, s12
	s_mul_hi_u32 s0, s13, s0
	s_mul_hi_u32 s24, s13, s12
	s_add_u32 s0, s0, s25
	s_addc_u32 s13, 0, s24
	s_add_u32 s0, s0, s23
	s_mul_hi_u32 s1, s11, s12
	s_addc_u32 s0, s13, s22
	s_addc_u32 s1, s1, 0
	s_mul_i32 s12, s11, s12
	s_add_u32 s0, s0, s12
	s_addc_u32 s1, 0, s1
	v_add_co_u32_e32 v1, vcc, s0, v1
	s_cmp_lg_u64 vcc, 0
	s_addc_u32 s0, s11, s1
	v_readfirstlane_b32 s12, v1
	s_mul_i32 s11, s16, s0
	s_mul_hi_u32 s13, s16, s12
	s_mul_hi_u32 s1, s16, s0
	s_add_u32 s11, s13, s11
	s_addc_u32 s1, 0, s1
	s_mul_hi_u32 s22, s17, s12
	s_mul_i32 s12, s17, s12
	s_add_u32 s11, s11, s12
	s_mul_hi_u32 s13, s17, s0
	s_addc_u32 s1, s1, s22
	s_addc_u32 s11, s13, 0
	s_mul_i32 s0, s17, s0
	s_add_u32 s12, s1, s0
	s_addc_u32 s11, 0, s11
	s_mul_i32 s0, s20, s11
	s_mul_hi_u32 s1, s20, s12
	s_add_i32 s0, s1, s0
	s_mul_i32 s1, s21, s12
	s_add_i32 s13, s0, s1
	s_mul_i32 s1, s20, s12
	v_mov_b32_e32 v1, s1
	s_sub_i32 s0, s17, s13
	v_sub_co_u32_e32 v1, vcc, s16, v1
	s_cmp_lg_u64 vcc, 0
	s_subb_u32 s22, s0, s21
	v_subrev_co_u32_e64 v2, s[0:1], s20, v1
	s_cmp_lg_u64 s[0:1], 0
	s_subb_u32 s0, s22, 0
	s_cmp_ge_u32 s0, s21
	v_readfirstlane_b32 s22, v2
	s_cselect_b32 s1, -1, 0
	s_cmp_ge_u32 s22, s20
	s_cselect_b32 s22, -1, 0
	s_cmp_eq_u32 s0, s21
	s_cselect_b32 s0, s22, s1
	s_add_u32 s1, s12, 1
	s_addc_u32 s22, s11, 0
	s_add_u32 s23, s12, 2
	s_addc_u32 s24, s11, 0
	s_cmp_lg_u32 s0, 0
	s_cselect_b32 s0, s23, s1
	s_cselect_b32 s1, s24, s22
	s_cmp_lg_u64 vcc, 0
	s_subb_u32 s13, s17, s13
	s_cmp_ge_u32 s13, s21
	v_readfirstlane_b32 s23, v1
	s_cselect_b32 s22, -1, 0
	s_cmp_ge_u32 s23, s20
	s_cselect_b32 s23, -1, 0
	s_cmp_eq_u32 s13, s21
	s_cselect_b32 s13, s23, s22
	s_cmp_lg_u32 s13, 0
	s_cselect_b32 s13, s1, s11
	s_cselect_b32 s12, s0, s12
	s_cbranch_execnz .LBB179_6
.LBB179_5:                              ;   in Loop: Header=BB179_3 Depth=1
	v_cvt_f32_u32_e32 v1, s20
	s_sub_i32 s0, 0, s20
	s_mov_b32 s13, s10
	v_rcp_iflag_f32_e32 v1, v1
	v_mul_f32_e32 v1, 0x4f7ffffe, v1
	v_cvt_u32_f32_e32 v1, v1
	v_readfirstlane_b32 s1, v1
	s_mul_i32 s0, s0, s1
	s_mul_hi_u32 s0, s1, s0
	s_add_i32 s1, s1, s0
	s_mul_hi_u32 s0, s16, s1
	s_mul_i32 s11, s0, s20
	s_sub_i32 s11, s16, s11
	s_add_i32 s1, s0, 1
	s_sub_i32 s12, s11, s20
	s_cmp_ge_u32 s11, s20
	s_cselect_b32 s0, s1, s0
	s_cselect_b32 s11, s12, s11
	s_add_i32 s1, s0, 1
	s_cmp_ge_u32 s11, s20
	s_cselect_b32 s12, s1, s0
.LBB179_6:                              ;   in Loop: Header=BB179_3 Depth=1
	s_mul_i32 s0, s12, s21
	s_mul_hi_u32 s1, s12, s20
	s_add_i32 s11, s1, s0
	s_load_dwordx2 s[0:1], s[14:15], 0xc8
	s_mul_i32 s21, s13, s20
	s_add_i32 s11, s11, s21
	s_mul_i32 s20, s12, s20
	s_sub_u32 s16, s16, s20
	s_subb_u32 s11, s17, s11
	s_waitcnt lgkmcnt(0)
	s_mul_i32 s11, s0, s11
	s_mul_hi_u32 s17, s0, s16
	s_add_i32 s11, s17, s11
	s_mul_i32 s1, s1, s16
	s_add_i32 s11, s11, s1
	s_mul_i32 s0, s0, s16
	s_add_u32 s6, s0, s6
	s_addc_u32 s7, s11, s7
	s_add_i32 s3, s3, -1
	s_add_u32 s14, s14, -8
	s_addc_u32 s15, s15, -1
	s_cmp_gt_u32 s3, 2
	s_cbranch_scc0 .LBB179_9
; %bb.7:                                ;   in Loop: Header=BB179_3 Depth=1
	s_mov_b64 s[16:17], s[12:13]
	s_branch .LBB179_3
.LBB179_8:                              ;   in Loop: Header=BB179_3 Depth=1
                                        ; implicit-def: $sgpr12_sgpr13
	s_branch .LBB179_5
.LBB179_9:
	s_load_dword s0, s[4:5], 0x350
	s_load_dwordx2 s[14:15], s[4:5], 0xd0
	s_mov_b64 s[10:11], 0
	s_waitcnt lgkmcnt(0)
	s_cmp_lt_i32 s0, 2
	s_cbranch_scc1 .LBB179_17
; %bb.10:
	s_mov_b32 s16, 0
	s_add_i32 s3, s0, 1
	s_add_i32 s0, s0, -1
	s_mov_b32 s1, s16
	s_lshl_b64 s[0:1], s[0:1], 3
	s_add_u32 s0, s0, s4
	s_addc_u32 s1, s1, s5
	s_add_u32 s20, s0, 0x1c0
	s_addc_u32 s21, s1, 0
.LBB179_11:                             ; =>This Inner Loop Header: Depth=1
	s_load_dwordx2 s[22:23], s[20:21], 0x0
	s_waitcnt lgkmcnt(0)
	s_or_b64 s[0:1], s[8:9], s[22:23]
	s_mov_b32 s17, s1
	s_cmp_lg_u64 s[16:17], 0
	s_cbranch_scc0 .LBB179_16
; %bb.12:                               ;   in Loop: Header=BB179_11 Depth=1
	v_cvt_f32_u32_e32 v1, s22
	v_cvt_f32_u32_e32 v2, s23
	s_sub_u32 s0, 0, s22
	s_subb_u32 s1, 0, s23
	v_mac_f32_e32 v1, 0x4f800000, v2
	v_rcp_f32_e32 v1, v1
	v_mul_f32_e32 v1, 0x5f7ffffc, v1
	v_mul_f32_e32 v2, 0x2f800000, v1
	v_trunc_f32_e32 v2, v2
	v_mac_f32_e32 v1, 0xcf800000, v2
	v_cvt_u32_f32_e32 v2, v2
	v_cvt_u32_f32_e32 v1, v1
	v_readfirstlane_b32 s17, v2
	v_readfirstlane_b32 s24, v1
	s_mul_i32 s25, s0, s17
	s_mul_hi_u32 s27, s0, s24
	s_mul_i32 s26, s1, s24
	s_add_i32 s25, s27, s25
	s_mul_i32 s28, s0, s24
	s_add_i32 s25, s25, s26
	s_mul_hi_u32 s26, s24, s25
	s_mul_i32 s27, s24, s25
	s_mul_hi_u32 s24, s24, s28
	s_add_u32 s24, s24, s27
	s_addc_u32 s26, 0, s26
	s_mul_hi_u32 s29, s17, s28
	s_mul_i32 s28, s17, s28
	s_add_u32 s24, s24, s28
	s_mul_hi_u32 s27, s17, s25
	s_addc_u32 s24, s26, s29
	s_addc_u32 s26, s27, 0
	s_mul_i32 s25, s17, s25
	s_add_u32 s24, s24, s25
	s_addc_u32 s25, 0, s26
	v_add_co_u32_e32 v1, vcc, s24, v1
	s_cmp_lg_u64 vcc, 0
	s_addc_u32 s17, s17, s25
	v_readfirstlane_b32 s25, v1
	s_mul_i32 s24, s0, s17
	s_mul_hi_u32 s26, s0, s25
	s_add_i32 s24, s26, s24
	s_mul_i32 s1, s1, s25
	s_add_i32 s24, s24, s1
	s_mul_i32 s0, s0, s25
	s_mul_hi_u32 s26, s17, s0
	s_mul_i32 s27, s17, s0
	s_mul_i32 s29, s25, s24
	s_mul_hi_u32 s0, s25, s0
	s_mul_hi_u32 s28, s25, s24
	s_add_u32 s0, s0, s29
	s_addc_u32 s25, 0, s28
	s_add_u32 s0, s0, s27
	s_mul_hi_u32 s1, s17, s24
	s_addc_u32 s0, s25, s26
	s_addc_u32 s1, s1, 0
	s_mul_i32 s24, s17, s24
	s_add_u32 s0, s0, s24
	s_addc_u32 s1, 0, s1
	v_add_co_u32_e32 v1, vcc, s0, v1
	s_cmp_lg_u64 vcc, 0
	s_addc_u32 s0, s17, s1
	v_readfirstlane_b32 s24, v1
	s_mul_i32 s17, s8, s0
	s_mul_hi_u32 s25, s8, s24
	s_mul_hi_u32 s1, s8, s0
	s_add_u32 s17, s25, s17
	s_addc_u32 s1, 0, s1
	s_mul_hi_u32 s26, s9, s24
	s_mul_i32 s24, s9, s24
	s_add_u32 s17, s17, s24
	s_mul_hi_u32 s25, s9, s0
	s_addc_u32 s1, s1, s26
	s_addc_u32 s17, s25, 0
	s_mul_i32 s0, s9, s0
	s_add_u32 s24, s1, s0
	s_addc_u32 s17, 0, s17
	s_mul_i32 s0, s22, s17
	s_mul_hi_u32 s1, s22, s24
	s_add_i32 s0, s1, s0
	s_mul_i32 s1, s23, s24
	s_add_i32 s25, s0, s1
	s_mul_i32 s1, s22, s24
	v_mov_b32_e32 v1, s1
	s_sub_i32 s0, s9, s25
	v_sub_co_u32_e32 v1, vcc, s8, v1
	s_cmp_lg_u64 vcc, 0
	s_subb_u32 s26, s0, s23
	v_subrev_co_u32_e64 v2, s[0:1], s22, v1
	s_cmp_lg_u64 s[0:1], 0
	s_subb_u32 s0, s26, 0
	s_cmp_ge_u32 s0, s23
	v_readfirstlane_b32 s26, v2
	s_cselect_b32 s1, -1, 0
	s_cmp_ge_u32 s26, s22
	s_cselect_b32 s26, -1, 0
	s_cmp_eq_u32 s0, s23
	s_cselect_b32 s0, s26, s1
	s_add_u32 s1, s24, 1
	s_addc_u32 s26, s17, 0
	s_add_u32 s27, s24, 2
	s_addc_u32 s28, s17, 0
	s_cmp_lg_u32 s0, 0
	s_cselect_b32 s0, s27, s1
	s_cselect_b32 s1, s28, s26
	s_cmp_lg_u64 vcc, 0
	s_subb_u32 s25, s9, s25
	s_cmp_ge_u32 s25, s23
	v_readfirstlane_b32 s27, v1
	s_cselect_b32 s26, -1, 0
	s_cmp_ge_u32 s27, s22
	s_cselect_b32 s27, -1, 0
	s_cmp_eq_u32 s25, s23
	s_cselect_b32 s25, s27, s26
	s_cmp_lg_u32 s25, 0
	s_cselect_b32 s25, s1, s17
	s_cselect_b32 s24, s0, s24
	s_cbranch_execnz .LBB179_14
.LBB179_13:                             ;   in Loop: Header=BB179_11 Depth=1
	v_cvt_f32_u32_e32 v1, s22
	s_sub_i32 s0, 0, s22
	s_mov_b32 s25, s16
	v_rcp_iflag_f32_e32 v1, v1
	v_mul_f32_e32 v1, 0x4f7ffffe, v1
	v_cvt_u32_f32_e32 v1, v1
	v_readfirstlane_b32 s1, v1
	s_mul_i32 s0, s0, s1
	s_mul_hi_u32 s0, s1, s0
	s_add_i32 s1, s1, s0
	s_mul_hi_u32 s0, s8, s1
	s_mul_i32 s17, s0, s22
	s_sub_i32 s17, s8, s17
	s_add_i32 s1, s0, 1
	s_sub_i32 s24, s17, s22
	s_cmp_ge_u32 s17, s22
	s_cselect_b32 s0, s1, s0
	s_cselect_b32 s17, s24, s17
	s_add_i32 s1, s0, 1
	s_cmp_ge_u32 s17, s22
	s_cselect_b32 s24, s1, s0
.LBB179_14:                             ;   in Loop: Header=BB179_11 Depth=1
	s_mul_i32 s0, s24, s23
	s_mul_hi_u32 s1, s24, s22
	s_add_i32 s17, s1, s0
	s_load_dwordx2 s[0:1], s[20:21], 0xc8
	s_mul_i32 s23, s25, s22
	s_add_i32 s17, s17, s23
	s_mul_i32 s22, s24, s22
	s_sub_u32 s8, s8, s22
	s_subb_u32 s9, s9, s17
	s_waitcnt lgkmcnt(0)
	s_mul_i32 s9, s0, s9
	s_mul_hi_u32 s17, s0, s8
	s_add_i32 s9, s17, s9
	s_mul_i32 s1, s1, s8
	s_add_i32 s9, s9, s1
	s_mul_i32 s0, s0, s8
	s_add_u32 s10, s0, s10
	s_addc_u32 s11, s9, s11
	s_add_i32 s3, s3, -1
	s_add_u32 s20, s20, -8
	s_addc_u32 s21, s21, -1
	s_cmp_gt_u32 s3, 2
	s_cbranch_scc0 .LBB179_18
; %bb.15:                               ;   in Loop: Header=BB179_11 Depth=1
	s_mov_b64 s[8:9], s[24:25]
	s_branch .LBB179_11
.LBB179_16:                             ;   in Loop: Header=BB179_11 Depth=1
                                        ; implicit-def: $sgpr24_sgpr25
	s_branch .LBB179_13
.LBB179_17:
	s_mov_b64 s[24:25], s[8:9]
.LBB179_18:
	s_load_dword s3, s[4:5], 0x360
	s_mul_i32 s0, s14, s13
	s_mul_hi_u32 s1, s14, s12
	s_add_i32 s0, s1, s0
	s_mul_i32 s1, s15, s12
	s_add_i32 s1, s0, s1
	s_load_dwordx2 s[16:17], s[4:5], 0x0
	s_mul_i32 s0, s14, s12
	s_load_dwordx2 s[12:13], s[4:5], 0x288
	s_waitcnt lgkmcnt(0)
	s_bitcmp1_b32 s3, 0
	s_cselect_b64 s[8:9], -1, 0
	s_mov_b32 s3, 0x8000
	s_and_b64 s[14:15], s[8:9], exec
	s_load_dwordx2 s[14:15], s[4:5], 0x1b8
	s_cselect_b32 s20, s3, 0x7fff
	s_lshl_b64 s[0:1], s[0:1], 1
	s_add_u32 s3, s16, s0
	s_addc_u32 s16, s17, s1
	s_lshl_b64 s[0:1], s[6:7], 1
	s_add_u32 s30, s3, s0
	s_pack_ll_b32_b16 s3, s20, s20
	s_addc_u32 s31, s16, s1
	v_cmp_gt_u32_e64 s[0:1], s2, v0
	v_mov_b32_e32 v3, s3
	v_mov_b32_e32 v2, s20
	s_and_saveexec_b64 s[6:7], s[0:1]
	s_cbranch_execz .LBB179_20
; %bb.19:
	v_mad_u64_u32 v[2:3], s[16:17], v0, s18, 0
	v_mov_b32_e32 v4, v3
	v_mad_u64_u32 v[4:5], s[16:17], v0, s19, v[4:5]
	v_mov_b32_e32 v3, v4
	v_lshlrev_b64 v[2:3], 1, v[2:3]
	v_mov_b32_e32 v1, s31
	v_add_co_u32_e32 v2, vcc, s30, v2
	v_addc_co_u32_e32 v3, vcc, v1, v3, vcc
	global_load_ushort v2, v[2:3], off
	s_mov_b32 s16, 0xffff
	v_mov_b32_e32 v1, s3
	s_waitcnt vmcnt(0)
	v_bfi_b32 v3, s16, v2, v1
.LBB179_20:
	s_or_b64 exec, exec, s[6:7]
	v_or_b32_e32 v1, 16, v0
	v_cmp_gt_u32_e64 s[2:3], s2, v1
	s_and_saveexec_b64 s[6:7], s[2:3]
	s_cbranch_execz .LBB179_22
; %bb.21:
	v_mad_u64_u32 v[4:5], s[16:17], v1, s18, 0
	v_mov_b32_e32 v6, v5
	v_mad_u64_u32 v[6:7], s[16:17], v1, s19, v[6:7]
	v_mov_b32_e32 v5, v6
	v_lshlrev_b64 v[4:5], 1, v[4:5]
	v_mov_b32_e32 v6, s31
	v_add_co_u32_e32 v4, vcc, s30, v4
	v_addc_co_u32_e32 v5, vcc, v6, v5, vcc
	global_load_ushort v4, v[4:5], off
	s_mov_b32 s16, 0x5040100
	s_waitcnt vmcnt(0)
	v_perm_b32 v3, v4, v3, s16
.LBB179_22:
	s_or_b64 exec, exec, s[6:7]
	s_mul_i32 s6, s12, s25
	s_mul_hi_u32 s7, s12, s24
	s_add_i32 s6, s7, s6
	s_mul_i32 s7, s13, s24
	s_add_i32 s7, s6, s7
	s_mul_i32 s6, s12, s24
	s_lshl_b64 s[6:7], s[6:7], 3
	v_lshlrev_b32_e32 v18, 1, v0
	v_lshlrev_b32_e32 v20, 2, v0
	s_waitcnt lgkmcnt(0)
	s_add_u32 s12, s14, s6
	s_load_dwordx2 s[20:21], s[4:5], 0x358
	ds_write_b16 v18, v2
	ds_write_b16_d16_hi v18, v3 offset:32
	s_waitcnt lgkmcnt(0)
	; wave barrier
	s_waitcnt lgkmcnt(0)
	ds_read_b32 v25, v20
	s_addc_u32 s13, s15, s7
	s_lshl_b64 s[6:7], s[10:11], 3
	s_mov_b32 s4, 0
	s_add_u32 s33, s12, s6
	s_mov_b32 s5, s4
	s_addc_u32 s34, s13, s7
	s_mov_b32 s6, s4
	s_mov_b32 s7, s4
	v_pk_mov_b32 v[2:3], s[4:5], s[4:5] op_sel:[0,1]
	v_pk_mov_b32 v[4:5], s[6:7], s[6:7] op_sel:[0,1]
	v_pk_mov_b32 v[2:3], 0, 0
	s_waitcnt lgkmcnt(0)
	; wave barrier
	s_waitcnt lgkmcnt(0)
	s_and_saveexec_b64 s[4:5], s[0:1]
	s_cbranch_execz .LBB179_24
; %bb.23:
	v_mad_u64_u32 v[2:3], s[6:7], v0, s20, 0
	v_mov_b32_e32 v4, v3
	v_mad_u64_u32 v[4:5], s[6:7], v0, s21, v[4:5]
	v_mov_b32_e32 v3, v4
	v_lshlrev_b64 v[2:3], 3, v[2:3]
	v_mov_b32_e32 v4, s34
	v_add_co_u32_e32 v2, vcc, s33, v2
	v_addc_co_u32_e32 v3, vcc, v4, v3, vcc
	global_load_dwordx2 v[2:3], v[2:3], off
	v_mov_b32_e32 v4, 0
	v_mov_b32_e32 v5, v4
.LBB179_24:
	s_or_b64 exec, exec, s[4:5]
	s_xor_b64 s[22:23], s[8:9], -1
	s_and_saveexec_b64 s[4:5], s[2:3]
	s_cbranch_execz .LBB179_26
; %bb.25:
	v_mad_u64_u32 v[4:5], s[6:7], v1, s20, 0
	v_mov_b32_e32 v6, v5
	v_mad_u64_u32 v[6:7], s[6:7], v1, s21, v[6:7]
	v_mov_b32_e32 v5, v6
	v_lshlrev_b64 v[4:5], 3, v[4:5]
	v_mov_b32_e32 v6, s34
	v_add_co_u32_e32 v4, vcc, s33, v4
	v_addc_co_u32_e32 v5, vcc, v6, v5, vcc
	global_load_dwordx2 v[4:5], v[4:5], off
.LBB179_26:
	s_or_b64 exec, exec, s[4:5]
	v_mbcnt_lo_u32_b32 v6, -1, 0
	v_lshlrev_b32_e32 v19, 3, v0
	v_lshlrev_b32_e32 v21, 3, v18
	s_getpc_b64 s[4:5]
	s_add_u32 s4, s4, _ZN7rocprim17ROCPRIM_400000_NS16block_radix_sortIsLj16ELj2ElLj1ELj1ELj0ELNS0_26block_radix_rank_algorithmE1ELNS0_18block_padding_hintE2ELNS0_4arch9wavefront6targetE1EE19radix_bits_per_passE@rel32@lo+4
	s_addc_u32 s5, s5, _ZN7rocprim17ROCPRIM_400000_NS16block_radix_sortIsLj16ELj2ElLj1ELj1ELj0ELNS0_26block_radix_rank_algorithmE1ELNS0_18block_padding_hintE2ELNS0_4arch9wavefront6targetE1EE19radix_bits_per_passE@rel32@hi+12
	v_mbcnt_hi_u32_b32 v6, -1, v6
	s_waitcnt vmcnt(0)
	ds_write2_b64 v19, v[2:3], v[4:5] offset1:16
	s_waitcnt lgkmcnt(0)
	; wave barrier
	s_waitcnt lgkmcnt(0)
	ds_read2_b64 v[2:5], v21 offset1:1
	s_load_dword s35, s[4:5], 0x0
	v_and_b32_e32 v7, 15, v6
	v_cmp_eq_u32_e64 s[6:7], 0, v7
	v_cmp_lt_u32_e64 s[8:9], 1, v7
	v_cmp_lt_u32_e64 s[10:11], 3, v7
	;; [unrolled: 1-line block ×3, first 2 shown]
	v_add_u32_e32 v7, -1, v6
	v_and_b32_e32 v8, 0x70, v6
	v_cmp_lt_i32_e32 vcc, v7, v8
	s_movk_i32 s4, 0x80
	v_cndmask_b32_e32 v7, v7, v6, vcc
	v_cmp_gt_u32_e64 s[4:5], s4, v0
	v_lshlrev_b32_e32 v22, 5, v0
	s_mov_b32 s36, 0
	v_cmp_eq_u32_e64 s[14:15], 15, v0
	s_movk_i32 s37, 0x70
	v_lshlrev_b32_e32 v24, 2, v7
	v_cmp_eq_u32_e64 s[16:17], 0, v6
	v_lshlrev_b32_e32 v23, 1, v18
	s_and_b64 vcc, exec, s[22:23]
	v_add_u32_e64 v26, 7, 2
	s_waitcnt lgkmcnt(0)
	; wave barrier
	s_waitcnt lgkmcnt(0)
	s_cbranch_vccz .LBB179_41
; %bb.27:
	v_xor_b32_e32 v29, 0x80008000, v25
	v_and_b32_e32 v27, 14, v26
	v_mov_b32_e32 v28, 0
	v_pk_mov_b32 v[6:7], v[2:3], v[2:3] op_sel:[0,1]
	v_pk_mov_b32 v[8:9], v[4:5], v[4:5] op_sel:[0,1]
	s_branch .LBB179_29
.LBB179_28:                             ;   in Loop: Header=BB179_29 Depth=1
	v_lshlrev_b32_e32 v6, 1, v14
	s_waitcnt lgkmcnt(0)
	; wave barrier
	ds_write_b16 v6, v29
	v_lshlrev_b32_e32 v6, 1, v15
	ds_write_b16 v6, v30
	v_lshlrev_b32_e32 v6, 3, v14
	s_waitcnt lgkmcnt(0)
	; wave barrier
	s_waitcnt lgkmcnt(0)
	ds_read_b32 v29, v23
	s_waitcnt lgkmcnt(0)
	; wave barrier
	s_waitcnt lgkmcnt(0)
	ds_write_b64 v6, v[12:13]
	v_lshlrev_b32_e32 v6, 3, v15
	ds_write_b64 v6, v[10:11]
	s_waitcnt lgkmcnt(0)
	; wave barrier
	s_waitcnt lgkmcnt(0)
	ds_read2_b64 v[6:9], v21 offset1:1
	s_add_i32 s36, s36, 4
	s_waitcnt lgkmcnt(0)
	; wave barrier
	s_waitcnt lgkmcnt(0)
	s_cbranch_execz .LBB179_40
.LBB179_29:                             ; =>This Loop Header: Depth=1
                                        ;     Child Loop BB179_32 Depth 2
	v_pk_mov_b32 v[10:11], v[8:9], v[8:9] op_sel:[0,1]
	v_pk_mov_b32 v[12:13], v[6:7], v[6:7] op_sel:[0,1]
	s_and_saveexec_b64 s[22:23], s[4:5]
	s_cbranch_execz .LBB179_36
; %bb.30:                               ;   in Loop: Header=BB179_29 Depth=1
	s_mov_b32 s38, 0
	s_mov_b64 s[24:25], 0
	v_pk_mov_b32 v[6:7], v[0:1], v[0:1] op_sel:[0,1]
	s_branch .LBB179_32
.LBB179_31:                             ;   in Loop: Header=BB179_32 Depth=2
	s_or_b64 exec, exec, s[28:29]
	s_add_i32 s38, s38, 2
	v_cmp_eq_u32_e32 vcc, s38, v27
	v_add_u32_e32 v7, 32, v7
	s_or_b64 s[24:25], vcc, s[24:25]
	v_add_u32_e32 v6, 32, v6
	s_andn2_b64 exec, exec, s[24:25]
	s_cbranch_execz .LBB179_36
.LBB179_32:                             ;   Parent Loop BB179_29 Depth=1
                                        ; =>  This Inner Loop Header: Depth=2
	s_or_b32 s26, s38, 1
	v_cmp_le_u32_e64 s[26:27], s26, 7
	v_cmp_le_u32_e64 s[40:41], s38, 7
	s_and_saveexec_b64 s[28:29], s[40:41]
	s_cbranch_execz .LBB179_34
; %bb.33:                               ;   in Loop: Header=BB179_32 Depth=2
	v_lshlrev_b32_e32 v8, 2, v6
	ds_write_b32 v8, v28
.LBB179_34:                             ;   in Loop: Header=BB179_32 Depth=2
	s_or_b64 exec, exec, s[28:29]
	s_and_saveexec_b64 s[28:29], s[26:27]
	s_cbranch_execz .LBB179_31
; %bb.35:                               ;   in Loop: Header=BB179_32 Depth=2
	v_lshlrev_b32_e32 v8, 2, v7
	ds_write_b32 v8, v28
	s_branch .LBB179_31
.LBB179_36:                             ;   in Loop: Header=BB179_29 Depth=1
	s_or_b64 exec, exec, s[22:23]
	s_sub_i32 s22, 16, s36
	s_min_u32 s22, s35, s22
	s_lshl_b32 s22, -1, s22
	s_not_b32 s22, s22
	v_lshrrev_b32_sdwa v6, s36, v29 dst_sel:DWORD dst_unused:UNUSED_PAD src0_sel:DWORD src1_sel:WORD_0
	v_and_b32_e32 v6, s22, v6
	v_lshrrev_b32_e32 v7, 3, v6
	v_lshlrev_b32_e32 v6, 4, v6
	v_and_or_b32 v6, v6, s37, v0
	v_lshlrev_b32_e32 v6, 1, v6
	v_add_lshl_u32 v32, v6, v7, 1
	ds_read_u16 v31, v32
	v_lshrrev_b32_e32 v30, 16, v29
	v_lshrrev_b32_e32 v6, s36, v30
	v_and_b32_e32 v6, s22, v6
	s_waitcnt lgkmcnt(0)
	v_add_u16_e32 v7, 1, v31
	ds_write_b16 v32, v7
	v_lshrrev_b32_e32 v7, 3, v6
	v_lshlrev_b32_e32 v6, 4, v6
	v_and_or_b32 v6, v6, s37, v0
	v_lshlrev_b32_e32 v6, 1, v6
	v_add_lshl_u32 v34, v6, v7, 1
	ds_read_u16 v33, v34
	s_waitcnt lgkmcnt(0)
	v_add_u16_e32 v6, 1, v33
	ds_write_b16 v34, v6
	s_waitcnt lgkmcnt(0)
	; wave barrier
	s_waitcnt lgkmcnt(0)
	ds_read2_b32 v[16:17], v22 offset1:1
	ds_read2_b32 v[14:15], v22 offset0:2 offset1:3
	ds_read2_b32 v[6:7], v22 offset0:4 offset1:5
	;; [unrolled: 1-line block ×3, first 2 shown]
	s_waitcnt lgkmcnt(3)
	v_add_u32_e32 v35, v17, v16
	s_waitcnt lgkmcnt(2)
	v_add3_u32 v35, v35, v14, v15
	s_waitcnt lgkmcnt(1)
	v_add3_u32 v35, v35, v6, v7
	;; [unrolled: 2-line block ×3, first 2 shown]
	s_nop 1
	v_mov_b32_dpp v35, v9 row_shr:1 row_mask:0xf bank_mask:0xf
	v_cndmask_b32_e64 v35, v35, 0, s[6:7]
	v_add_u32_e32 v9, v35, v9
	s_nop 1
	v_mov_b32_dpp v35, v9 row_shr:2 row_mask:0xf bank_mask:0xf
	v_cndmask_b32_e64 v35, 0, v35, s[8:9]
	v_add_u32_e32 v9, v9, v35
	;; [unrolled: 4-line block ×4, first 2 shown]
	s_and_saveexec_b64 s[22:23], s[14:15]
	s_cbranch_execz .LBB179_38
; %bb.37:                               ;   in Loop: Header=BB179_29 Depth=1
	ds_write_b32 v28, v9 offset:512
.LBB179_38:                             ;   in Loop: Header=BB179_29 Depth=1
	s_or_b64 exec, exec, s[22:23]
	ds_bpermute_b32 v9, v24, v9
	s_waitcnt lgkmcnt(0)
	; wave barrier
	s_waitcnt lgkmcnt(0)
	ds_read_b32 v35, v28 offset:512
	s_cmp_gt_u32 s36, 11
	v_cndmask_b32_e64 v9, v9, 0, s[16:17]
	s_waitcnt lgkmcnt(0)
	v_lshl_add_u32 v9, v35, 16, v9
	v_add_u32_e32 v16, v9, v16
	v_add_u32_e32 v17, v16, v17
	ds_write2_b32 v22, v9, v16 offset1:1
	v_add_u32_e32 v9, v17, v14
	v_add_u32_e32 v14, v9, v15
	;; [unrolled: 1-line block ×5, first 2 shown]
	ds_write2_b32 v22, v17, v9 offset0:2 offset1:3
	ds_write2_b32 v22, v14, v6 offset0:4 offset1:5
	;; [unrolled: 1-line block ×3, first 2 shown]
	s_waitcnt lgkmcnt(0)
	; wave barrier
	s_waitcnt lgkmcnt(0)
	ds_read_u16 v6, v32
	ds_read_u16 v7, v34
	v_mov_b32_e32 v16, v29
	s_waitcnt lgkmcnt(1)
	v_add_u32_sdwa v14, v6, v31 dst_sel:DWORD dst_unused:UNUSED_PAD src0_sel:DWORD src1_sel:WORD_0
	s_waitcnt lgkmcnt(0)
	v_add_u32_sdwa v15, v7, v33 dst_sel:DWORD dst_unused:UNUSED_PAD src0_sel:DWORD src1_sel:WORD_0
	s_cbranch_scc0 .LBB179_28
; %bb.39:
                                        ; implicit-def: $vgpr8_vgpr9
                                        ; implicit-def: $sgpr36
                                        ; implicit-def: $vgpr29
.LBB179_40:
	v_lshlrev_b32_e32 v6, 1, v14
	s_waitcnt lgkmcnt(0)
	; wave barrier
	ds_write_b16 v6, v16
	v_lshlrev_b32_e32 v6, 1, v15
	ds_write_b16 v6, v30
	s_waitcnt lgkmcnt(0)
	; wave barrier
	s_waitcnt lgkmcnt(0)
	v_lshlrev_b32_e32 v6, 3, v14
	v_lshlrev_b32_e32 v7, 3, v15
	ds_read_b32 v14, v23
	s_waitcnt lgkmcnt(0)
	; wave barrier
	s_waitcnt lgkmcnt(0)
	ds_write_b64 v6, v[12:13]
	ds_write_b64 v7, v[10:11]
	s_waitcnt lgkmcnt(0)
	; wave barrier
	s_waitcnt lgkmcnt(0)
	ds_read2_b64 v[6:9], v21 offset1:1
	v_xor_b32_e32 v10, 0x80008000, v14
	s_branch .LBB179_56
.LBB179_41:
                                        ; implicit-def: $vgpr8_vgpr9
                                        ; implicit-def: $vgpr10
	s_cbranch_execz .LBB179_56
; %bb.42:
	v_xor_b32_e32 v16, 0x7fff7fff, v25
	v_and_b32_e32 v14, 14, v26
	s_mov_b32 s37, 0
	v_mov_b32_e32 v15, 0
	s_movk_i32 s36, 0x70
	s_branch .LBB179_44
.LBB179_43:                             ;   in Loop: Header=BB179_44 Depth=1
	v_lshlrev_b32_e32 v2, 1, v10
	s_waitcnt lgkmcnt(0)
	; wave barrier
	ds_write_b16 v2, v16
	v_lshlrev_b32_e32 v2, 1, v11
	ds_write_b16 v2, v17
	v_lshlrev_b32_e32 v2, 3, v10
	s_waitcnt lgkmcnt(0)
	; wave barrier
	s_waitcnt lgkmcnt(0)
	ds_read_b32 v16, v23
	s_waitcnt lgkmcnt(0)
	; wave barrier
	s_waitcnt lgkmcnt(0)
	ds_write_b64 v2, v[8:9]
	v_lshlrev_b32_e32 v2, 3, v11
	ds_write_b64 v2, v[6:7]
	s_waitcnt lgkmcnt(0)
	; wave barrier
	s_waitcnt lgkmcnt(0)
	ds_read2_b64 v[2:5], v21 offset1:1
	s_add_i32 s37, s37, 4
	s_waitcnt lgkmcnt(0)
	; wave barrier
	s_waitcnt lgkmcnt(0)
	s_cbranch_execz .LBB179_55
.LBB179_44:                             ; =>This Loop Header: Depth=1
                                        ;     Child Loop BB179_47 Depth 2
	s_waitcnt lgkmcnt(0)
	v_pk_mov_b32 v[6:7], v[4:5], v[4:5] op_sel:[0,1]
	v_pk_mov_b32 v[8:9], v[2:3], v[2:3] op_sel:[0,1]
	s_and_saveexec_b64 s[22:23], s[4:5]
	s_cbranch_execz .LBB179_51
; %bb.45:                               ;   in Loop: Header=BB179_44 Depth=1
	s_mov_b32 s38, 0
	s_mov_b64 s[24:25], 0
	v_pk_mov_b32 v[2:3], v[0:1], v[0:1] op_sel:[0,1]
	s_branch .LBB179_47
.LBB179_46:                             ;   in Loop: Header=BB179_47 Depth=2
	s_or_b64 exec, exec, s[28:29]
	s_add_i32 s38, s38, 2
	v_cmp_eq_u32_e32 vcc, s38, v14
	v_add_u32_e32 v3, 32, v3
	s_or_b64 s[24:25], vcc, s[24:25]
	v_add_u32_e32 v2, 32, v2
	s_andn2_b64 exec, exec, s[24:25]
	s_cbranch_execz .LBB179_51
.LBB179_47:                             ;   Parent Loop BB179_44 Depth=1
                                        ; =>  This Inner Loop Header: Depth=2
	s_or_b32 s26, s38, 1
	v_cmp_le_u32_e64 s[26:27], s26, 7
	v_cmp_le_u32_e64 s[40:41], s38, 7
	s_and_saveexec_b64 s[28:29], s[40:41]
	s_cbranch_execz .LBB179_49
; %bb.48:                               ;   in Loop: Header=BB179_47 Depth=2
	v_lshlrev_b32_e32 v4, 2, v2
	ds_write_b32 v4, v15
.LBB179_49:                             ;   in Loop: Header=BB179_47 Depth=2
	s_or_b64 exec, exec, s[28:29]
	s_and_saveexec_b64 s[28:29], s[26:27]
	s_cbranch_execz .LBB179_46
; %bb.50:                               ;   in Loop: Header=BB179_47 Depth=2
	v_lshlrev_b32_e32 v4, 2, v3
	ds_write_b32 v4, v15
	s_branch .LBB179_46
.LBB179_51:                             ;   in Loop: Header=BB179_44 Depth=1
	s_or_b64 exec, exec, s[22:23]
	s_sub_i32 s22, 16, s37
	s_min_u32 s22, s35, s22
	s_lshl_b32 s22, -1, s22
	s_not_b32 s22, s22
	v_lshrrev_b32_sdwa v2, s37, v16 dst_sel:DWORD dst_unused:UNUSED_PAD src0_sel:DWORD src1_sel:WORD_0
	v_and_b32_e32 v2, s22, v2
	v_lshrrev_b32_e32 v3, 3, v2
	v_lshlrev_b32_e32 v2, 4, v2
	v_and_or_b32 v2, v2, s36, v0
	v_lshlrev_b32_e32 v2, 1, v2
	v_add_lshl_u32 v26, v2, v3, 1
	ds_read_u16 v25, v26
	v_lshrrev_b32_e32 v17, 16, v16
	v_lshrrev_b32_e32 v2, s37, v17
	v_and_b32_e32 v2, s22, v2
	s_waitcnt lgkmcnt(0)
	v_add_u16_e32 v3, 1, v25
	ds_write_b16 v26, v3
	v_lshrrev_b32_e32 v3, 3, v2
	v_lshlrev_b32_e32 v2, 4, v2
	v_and_or_b32 v2, v2, s36, v0
	v_lshlrev_b32_e32 v2, 1, v2
	v_add_lshl_u32 v28, v2, v3, 1
	ds_read_u16 v27, v28
	s_waitcnt lgkmcnt(0)
	v_add_u16_e32 v2, 1, v27
	ds_write_b16 v28, v2
	s_waitcnt lgkmcnt(0)
	; wave barrier
	s_waitcnt lgkmcnt(0)
	ds_read2_b32 v[12:13], v22 offset1:1
	ds_read2_b32 v[10:11], v22 offset0:2 offset1:3
	ds_read2_b32 v[2:3], v22 offset0:4 offset1:5
	;; [unrolled: 1-line block ×3, first 2 shown]
	s_waitcnt lgkmcnt(3)
	v_add_u32_e32 v29, v13, v12
	s_waitcnt lgkmcnt(2)
	v_add3_u32 v29, v29, v10, v11
	s_waitcnt lgkmcnt(1)
	v_add3_u32 v29, v29, v2, v3
	;; [unrolled: 2-line block ×3, first 2 shown]
	s_nop 1
	v_mov_b32_dpp v29, v5 row_shr:1 row_mask:0xf bank_mask:0xf
	v_cndmask_b32_e64 v29, v29, 0, s[6:7]
	v_add_u32_e32 v5, v29, v5
	s_nop 1
	v_mov_b32_dpp v29, v5 row_shr:2 row_mask:0xf bank_mask:0xf
	v_cndmask_b32_e64 v29, 0, v29, s[8:9]
	v_add_u32_e32 v5, v5, v29
	;; [unrolled: 4-line block ×4, first 2 shown]
	s_and_saveexec_b64 s[22:23], s[14:15]
	s_cbranch_execz .LBB179_53
; %bb.52:                               ;   in Loop: Header=BB179_44 Depth=1
	ds_write_b32 v15, v5 offset:512
.LBB179_53:                             ;   in Loop: Header=BB179_44 Depth=1
	s_or_b64 exec, exec, s[22:23]
	ds_bpermute_b32 v5, v24, v5
	s_waitcnt lgkmcnt(0)
	; wave barrier
	s_waitcnt lgkmcnt(0)
	ds_read_b32 v29, v15 offset:512
	s_cmp_gt_u32 s37, 11
	v_cndmask_b32_e64 v5, v5, 0, s[16:17]
	s_waitcnt lgkmcnt(0)
	v_lshl_add_u32 v5, v29, 16, v5
	v_add_u32_e32 v12, v5, v12
	v_add_u32_e32 v13, v12, v13
	ds_write2_b32 v22, v5, v12 offset1:1
	v_add_u32_e32 v5, v13, v10
	v_add_u32_e32 v10, v5, v11
	;; [unrolled: 1-line block ×5, first 2 shown]
	ds_write2_b32 v22, v13, v5 offset0:2 offset1:3
	ds_write2_b32 v22, v10, v2 offset0:4 offset1:5
	;; [unrolled: 1-line block ×3, first 2 shown]
	s_waitcnt lgkmcnt(0)
	; wave barrier
	s_waitcnt lgkmcnt(0)
	ds_read_u16 v2, v26
	ds_read_u16 v3, v28
	v_mov_b32_e32 v12, v16
	s_waitcnt lgkmcnt(1)
	v_add_u32_sdwa v10, v2, v25 dst_sel:DWORD dst_unused:UNUSED_PAD src0_sel:DWORD src1_sel:WORD_0
	s_waitcnt lgkmcnt(0)
	v_add_u32_sdwa v11, v3, v27 dst_sel:DWORD dst_unused:UNUSED_PAD src0_sel:DWORD src1_sel:WORD_0
	s_cbranch_scc0 .LBB179_43
; %bb.54:
                                        ; implicit-def: $vgpr4_vgpr5
                                        ; implicit-def: $sgpr37
                                        ; implicit-def: $vgpr16
.LBB179_55:
	v_lshlrev_b32_e32 v1, 1, v10
	s_waitcnt lgkmcnt(0)
	; wave barrier
	ds_write_b16 v1, v12
	v_lshlrev_b32_e32 v1, 1, v11
	ds_write_b16 v1, v17
	s_waitcnt lgkmcnt(0)
	; wave barrier
	s_waitcnt lgkmcnt(0)
	v_lshlrev_b32_e32 v1, 3, v10
	ds_read_b32 v3, v23
	v_lshlrev_b32_e32 v2, 3, v11
	s_waitcnt lgkmcnt(0)
	; wave barrier
	s_waitcnt lgkmcnt(0)
	ds_write_b64 v1, v[8:9]
	ds_write_b64 v2, v[6:7]
	s_waitcnt lgkmcnt(0)
	; wave barrier
	s_waitcnt lgkmcnt(0)
	ds_read2_b64 v[6:9], v21 offset1:1
	v_xor_b32_e32 v10, 0x7fff7fff, v3
.LBB179_56:
	v_mad_u64_u32 v[2:3], s[4:5], v0, s18, 0
	v_mov_b32_e32 v4, v3
	s_waitcnt lgkmcnt(0)
	; wave barrier
	s_waitcnt lgkmcnt(0)
	ds_write_b32 v20, v10
	s_waitcnt lgkmcnt(0)
	; wave barrier
	s_waitcnt lgkmcnt(0)
	ds_read_u16 v1, v18 offset:32
	v_mad_u64_u32 v[4:5], s[4:5], v0, s19, v[4:5]
	v_mov_b32_e32 v3, v4
	v_lshlrev_b64 v[2:3], 1, v[2:3]
	v_mov_b32_e32 v4, s31
	v_add_co_u32_e32 v2, vcc, s30, v2
	v_addc_co_u32_e32 v3, vcc, v4, v3, vcc
	s_and_saveexec_b64 s[4:5], s[0:1]
	s_cbranch_execz .LBB179_58
; %bb.57:
	ds_read_u16 v4, v18
	s_waitcnt lgkmcnt(0)
	global_store_short v[2:3], v4, off
.LBB179_58:
	s_or_b64 exec, exec, s[4:5]
	s_and_saveexec_b64 s[4:5], s[2:3]
	s_cbranch_execz .LBB179_60
; %bb.59:
	s_lshl_b64 s[6:7], s[18:19], 5
	v_mov_b32_e32 v4, s7
	v_add_co_u32_e32 v2, vcc, s6, v2
	v_addc_co_u32_e32 v3, vcc, v3, v4, vcc
	s_waitcnt lgkmcnt(0)
	global_store_short v[2:3], v1, off
.LBB179_60:
	s_or_b64 exec, exec, s[4:5]
	v_mad_u64_u32 v[4:5], s[4:5], v0, s20, 0
	s_waitcnt lgkmcnt(0)
	; wave barrier
	s_waitcnt lgkmcnt(0)
	ds_write2_b64 v21, v[6:7], v[8:9] offset1:1
	v_mov_b32_e32 v6, v5
	s_waitcnt lgkmcnt(0)
	; wave barrier
	s_waitcnt lgkmcnt(0)
	ds_read_b64 v[2:3], v19 offset:128
	v_mad_u64_u32 v[0:1], s[4:5], v0, s21, v[6:7]
	v_mov_b32_e32 v5, v0
	v_lshlrev_b64 v[0:1], 3, v[4:5]
	v_mov_b32_e32 v4, s34
	v_add_co_u32_e32 v0, vcc, s33, v0
	v_addc_co_u32_e32 v1, vcc, v4, v1, vcc
	s_and_saveexec_b64 s[4:5], s[0:1]
	s_cbranch_execz .LBB179_62
; %bb.61:
	ds_read_b64 v[4:5], v19
	s_waitcnt lgkmcnt(0)
	global_store_dwordx2 v[0:1], v[4:5], off
.LBB179_62:
	s_or_b64 exec, exec, s[4:5]
	s_and_saveexec_b64 s[0:1], s[2:3]
	s_cbranch_execz .LBB179_64
; %bb.63:
	s_lshl_b64 s[0:1], s[20:21], 7
	v_mov_b32_e32 v4, s1
	v_add_co_u32_e32 v0, vcc, s0, v0
	v_addc_co_u32_e32 v1, vcc, v1, v4, vcc
	s_waitcnt lgkmcnt(0)
	global_store_dwordx2 v[0:1], v[2:3], off
.LBB179_64:
	s_endpgm
	.section	.rodata,"a",@progbits
	.p2align	6, 0x0
	.amdhsa_kernel _ZN2at6native18radixSortKVInPlaceILin1ELin1ELi16ELi2EslmEEvNS_4cuda6detail10TensorInfoIT3_T5_EES6_S6_S6_NS4_IT4_S6_EES6_b
		.amdhsa_group_segment_fixed_size 528
		.amdhsa_private_segment_fixed_size 0
		.amdhsa_kernarg_size 1128
		.amdhsa_user_sgpr_count 6
		.amdhsa_user_sgpr_private_segment_buffer 1
		.amdhsa_user_sgpr_dispatch_ptr 0
		.amdhsa_user_sgpr_queue_ptr 0
		.amdhsa_user_sgpr_kernarg_segment_ptr 1
		.amdhsa_user_sgpr_dispatch_id 0
		.amdhsa_user_sgpr_flat_scratch_init 0
		.amdhsa_user_sgpr_kernarg_preload_length 0
		.amdhsa_user_sgpr_kernarg_preload_offset 0
		.amdhsa_user_sgpr_private_segment_size 0
		.amdhsa_uses_dynamic_stack 0
		.amdhsa_system_sgpr_private_segment_wavefront_offset 0
		.amdhsa_system_sgpr_workgroup_id_x 1
		.amdhsa_system_sgpr_workgroup_id_y 1
		.amdhsa_system_sgpr_workgroup_id_z 1
		.amdhsa_system_sgpr_workgroup_info 0
		.amdhsa_system_vgpr_workitem_id 0
		.amdhsa_next_free_vgpr 36
		.amdhsa_next_free_sgpr 42
		.amdhsa_accum_offset 36
		.amdhsa_reserve_vcc 1
		.amdhsa_reserve_flat_scratch 0
		.amdhsa_float_round_mode_32 0
		.amdhsa_float_round_mode_16_64 0
		.amdhsa_float_denorm_mode_32 3
		.amdhsa_float_denorm_mode_16_64 3
		.amdhsa_dx10_clamp 1
		.amdhsa_ieee_mode 1
		.amdhsa_fp16_overflow 0
		.amdhsa_tg_split 0
		.amdhsa_exception_fp_ieee_invalid_op 0
		.amdhsa_exception_fp_denorm_src 0
		.amdhsa_exception_fp_ieee_div_zero 0
		.amdhsa_exception_fp_ieee_overflow 0
		.amdhsa_exception_fp_ieee_underflow 0
		.amdhsa_exception_fp_ieee_inexact 0
		.amdhsa_exception_int_div_zero 0
	.end_amdhsa_kernel
	.section	.text._ZN2at6native18radixSortKVInPlaceILin1ELin1ELi16ELi2EslmEEvNS_4cuda6detail10TensorInfoIT3_T5_EES6_S6_S6_NS4_IT4_S6_EES6_b,"axG",@progbits,_ZN2at6native18radixSortKVInPlaceILin1ELin1ELi16ELi2EslmEEvNS_4cuda6detail10TensorInfoIT3_T5_EES6_S6_S6_NS4_IT4_S6_EES6_b,comdat
.Lfunc_end179:
	.size	_ZN2at6native18radixSortKVInPlaceILin1ELin1ELi16ELi2EslmEEvNS_4cuda6detail10TensorInfoIT3_T5_EES6_S6_S6_NS4_IT4_S6_EES6_b, .Lfunc_end179-_ZN2at6native18radixSortKVInPlaceILin1ELin1ELi16ELi2EslmEEvNS_4cuda6detail10TensorInfoIT3_T5_EES6_S6_S6_NS4_IT4_S6_EES6_b
                                        ; -- End function
	.section	.AMDGPU.csdata,"",@progbits
; Kernel info:
; codeLenInByte = 4544
; NumSgprs: 46
; NumVgprs: 36
; NumAgprs: 0
; TotalNumVgprs: 36
; ScratchSize: 0
; MemoryBound: 0
; FloatMode: 240
; IeeeMode: 1
; LDSByteSize: 528 bytes/workgroup (compile time only)
; SGPRBlocks: 5
; VGPRBlocks: 4
; NumSGPRsForWavesPerEU: 46
; NumVGPRsForWavesPerEU: 36
; AccumOffset: 36
; Occupancy: 8
; WaveLimiterHint : 1
; COMPUTE_PGM_RSRC2:SCRATCH_EN: 0
; COMPUTE_PGM_RSRC2:USER_SGPR: 6
; COMPUTE_PGM_RSRC2:TRAP_HANDLER: 0
; COMPUTE_PGM_RSRC2:TGID_X_EN: 1
; COMPUTE_PGM_RSRC2:TGID_Y_EN: 1
; COMPUTE_PGM_RSRC2:TGID_Z_EN: 1
; COMPUTE_PGM_RSRC2:TIDIG_COMP_CNT: 0
; COMPUTE_PGM_RSRC3_GFX90A:ACCUM_OFFSET: 8
; COMPUTE_PGM_RSRC3_GFX90A:TG_SPLIT: 0
	.section	.text._ZN2at6native18radixSortKVInPlaceILin2ELin1ELi512ELi8EdljEEvNS_4cuda6detail10TensorInfoIT3_T5_EES6_S6_S6_NS4_IT4_S6_EES6_b,"axG",@progbits,_ZN2at6native18radixSortKVInPlaceILin2ELin1ELi512ELi8EdljEEvNS_4cuda6detail10TensorInfoIT3_T5_EES6_S6_S6_NS4_IT4_S6_EES6_b,comdat
	.protected	_ZN2at6native18radixSortKVInPlaceILin2ELin1ELi512ELi8EdljEEvNS_4cuda6detail10TensorInfoIT3_T5_EES6_S6_S6_NS4_IT4_S6_EES6_b ; -- Begin function _ZN2at6native18radixSortKVInPlaceILin2ELin1ELi512ELi8EdljEEvNS_4cuda6detail10TensorInfoIT3_T5_EES6_S6_S6_NS4_IT4_S6_EES6_b
	.globl	_ZN2at6native18radixSortKVInPlaceILin2ELin1ELi512ELi8EdljEEvNS_4cuda6detail10TensorInfoIT3_T5_EES6_S6_S6_NS4_IT4_S6_EES6_b
	.p2align	8
	.type	_ZN2at6native18radixSortKVInPlaceILin2ELin1ELi512ELi8EdljEEvNS_4cuda6detail10TensorInfoIT3_T5_EES6_S6_S6_NS4_IT4_S6_EES6_b,@function
_ZN2at6native18radixSortKVInPlaceILin2ELin1ELi512ELi8EdljEEvNS_4cuda6detail10TensorInfoIT3_T5_EES6_S6_S6_NS4_IT4_S6_EES6_b: ; @_ZN2at6native18radixSortKVInPlaceILin2ELin1ELi512ELi8EdljEEvNS_4cuda6detail10TensorInfoIT3_T5_EES6_S6_S6_NS4_IT4_S6_EES6_b
; %bb.0:
	s_load_dwordx2 s[0:1], s[4:5], 0x1c8
	s_load_dwordx4 s[48:51], s[4:5], 0xd8
	s_add_u32 s54, s4, 0x1c8
	s_addc_u32 s55, s5, 0
	s_waitcnt lgkmcnt(0)
	s_mul_i32 s1, s1, s8
	s_add_i32 s1, s1, s7
	s_mul_i32 s0, s1, s0
	s_add_i32 s6, s0, s6
	s_cmp_ge_u32 s6, s48
	s_cbranch_scc1 .LBB180_110
; %bb.1:
	s_load_dword s2, s[4:5], 0x1b8
	s_load_dwordx2 s[0:1], s[4:5], 0x0
	s_add_u32 s22, s4, 0xe8
	s_addc_u32 s23, s5, 0
	s_mov_b32 s21, 0
	s_waitcnt lgkmcnt(0)
	s_cmp_lt_i32 s2, 2
	s_mov_b32 s20, s6
	s_cbranch_scc1 .LBB180_4
; %bb.2:
	s_add_i32 s20, s2, -1
	s_add_i32 s7, s2, 1
	s_lshl_b64 s[2:3], s[20:21], 2
	s_add_u32 s2, s2, s22
	s_addc_u32 s3, s3, s23
	s_add_u32 s2, s2, 8
	s_addc_u32 s3, s3, 0
	s_mov_b32 s20, s6
.LBB180_3:                              ; =>This Inner Loop Header: Depth=1
	s_load_dword s8, s[2:3], 0x0
	s_load_dword s10, s[2:3], 0x64
	s_mov_b32 s9, s20
	s_waitcnt lgkmcnt(0)
	v_cvt_f32_u32_e32 v1, s8
	s_sub_i32 s11, 0, s8
	v_rcp_iflag_f32_e32 v1, v1
	v_mul_f32_e32 v1, 0x4f7ffffe, v1
	v_cvt_u32_f32_e32 v1, v1
	v_readfirstlane_b32 s12, v1
	s_mul_i32 s11, s11, s12
	s_mul_hi_u32 s11, s12, s11
	s_add_i32 s12, s12, s11
	s_mul_hi_u32 s11, s20, s12
	s_mul_i32 s12, s11, s8
	s_sub_i32 s12, s20, s12
	s_add_i32 s13, s11, 1
	s_sub_i32 s14, s12, s8
	s_cmp_ge_u32 s12, s8
	s_cselect_b32 s11, s13, s11
	s_cselect_b32 s12, s14, s12
	s_add_i32 s13, s11, 1
	s_cmp_ge_u32 s12, s8
	s_cselect_b32 s20, s13, s11
	s_mul_i32 s8, s20, s8
	s_sub_i32 s8, s9, s8
	s_mul_i32 s8, s10, s8
	s_add_i32 s7, s7, -1
	s_add_i32 s21, s8, s21
	s_add_u32 s2, s2, -4
	s_addc_u32 s3, s3, -1
	s_cmp_gt_u32 s7, 2
	s_cbranch_scc1 .LBB180_3
.LBB180_4:
	s_load_dword s2, s[4:5], 0x6c
	s_load_dwordx2 s[52:53], s[4:5], 0x1c0
	s_mov_b32 s3, 0
	s_mov_b32 s4, -1
	v_and_b32_e32 v70, 0x3ff, v0
	s_waitcnt lgkmcnt(0)
	s_mul_i32 s2, s2, s6
	s_bitcmp1_b32 s53, 0
	s_cselect_b64 s[34:35], -1, 0
	s_and_b64 s[6:7], s[34:35], exec
	s_cselect_b32 s5, -1, 0x7fffffff
	s_lshl_b64 s[2:3], s[2:3], 3
	s_add_u32 s33, s0, s2
	s_mov_b32 s6, s4
	s_mov_b32 s7, s5
	s_mov_b32 s8, s4
	s_mov_b32 s9, s5
	s_mov_b32 s10, s4
	s_mov_b32 s11, s5
	s_mov_b32 s12, s4
	s_mov_b32 s13, s5
	s_mov_b32 s14, s4
	s_mov_b32 s15, s5
	s_mov_b32 s16, s4
	s_mov_b32 s17, s5
	s_mov_b32 s18, s4
	s_mov_b32 s19, s5
	v_pk_mov_b32 v[2:3], s[4:5], s[4:5] op_sel:[0,1]
	s_addc_u32 s51, s1, s3
	v_cmp_gt_u32_e64 s[0:1], s49, v70
	v_pk_mov_b32 v[4:5], s[6:7], s[6:7] op_sel:[0,1]
	v_pk_mov_b32 v[6:7], s[8:9], s[8:9] op_sel:[0,1]
	;; [unrolled: 1-line block ×8, first 2 shown]
	v_mul_lo_u32 v66, v70, s50
	s_and_saveexec_b64 s[2:3], s[0:1]
	s_cbranch_execz .LBB180_6
; %bb.5:
	v_mov_b32_e32 v67, 0
	v_lshlrev_b64 v[2:3], 3, v[66:67]
	v_mov_b32_e32 v1, s51
	v_add_co_u32_e32 v2, vcc, s33, v2
	v_addc_co_u32_e32 v3, vcc, v1, v3, vcc
	global_load_dwordx2 v[18:19], v[2:3], off
	v_pk_mov_b32 v[2:3], s[4:5], s[4:5] op_sel:[0,1]
	v_pk_mov_b32 v[4:5], s[6:7], s[6:7] op_sel:[0,1]
	;; [unrolled: 1-line block ×8, first 2 shown]
.LBB180_6:
	s_or_b64 exec, exec, s[2:3]
	v_add_u32_e32 v1, 0x200, v70
	v_cmp_gt_u32_e64 s[2:3], s49, v1
	s_and_saveexec_b64 s[4:5], s[2:3]
	s_cbranch_execz .LBB180_8
; %bb.7:
	v_mul_lo_u32 v2, v1, s50
	v_mov_b32_e32 v3, 0
	v_lshlrev_b64 v[2:3], 3, v[2:3]
	v_mov_b32_e32 v4, s51
	v_add_co_u32_e32 v2, vcc, s33, v2
	v_addc_co_u32_e32 v3, vcc, v4, v3, vcc
	global_load_dwordx2 v[4:5], v[2:3], off
.LBB180_8:
	s_or_b64 exec, exec, s[4:5]
	v_or_b32_e32 v34, 0x400, v70
	v_cmp_gt_u32_e64 s[4:5], s49, v34
	s_and_saveexec_b64 s[6:7], s[4:5]
	s_cbranch_execz .LBB180_10
; %bb.9:
	v_mul_lo_u32 v2, v34, s50
	v_mov_b32_e32 v3, 0
	v_lshlrev_b64 v[2:3], 3, v[2:3]
	v_mov_b32_e32 v6, s51
	v_add_co_u32_e32 v2, vcc, s33, v2
	v_addc_co_u32_e32 v3, vcc, v6, v3, vcc
	global_load_dwordx2 v[6:7], v[2:3], off
.LBB180_10:
	s_or_b64 exec, exec, s[6:7]
	v_add_u32_e32 v35, 0x600, v70
	v_cmp_gt_u32_e64 s[6:7], s49, v35
	s_and_saveexec_b64 s[8:9], s[6:7]
	s_cbranch_execz .LBB180_12
; %bb.11:
	v_mul_lo_u32 v2, v35, s50
	v_mov_b32_e32 v3, 0
	v_lshlrev_b64 v[2:3], 3, v[2:3]
	v_mov_b32_e32 v8, s51
	v_add_co_u32_e32 v2, vcc, s33, v2
	v_addc_co_u32_e32 v3, vcc, v8, v3, vcc
	global_load_dwordx2 v[8:9], v[2:3], off
.LBB180_12:
	s_or_b64 exec, exec, s[8:9]
	v_or_b32_e32 v36, 0x800, v70
	v_cmp_gt_u32_e64 s[8:9], s49, v36
	s_and_saveexec_b64 s[10:11], s[8:9]
	s_cbranch_execz .LBB180_14
; %bb.13:
	v_mul_lo_u32 v2, v36, s50
	v_mov_b32_e32 v3, 0
	v_lshlrev_b64 v[2:3], 3, v[2:3]
	v_mov_b32_e32 v10, s51
	v_add_co_u32_e32 v2, vcc, s33, v2
	v_addc_co_u32_e32 v3, vcc, v10, v3, vcc
	global_load_dwordx2 v[10:11], v[2:3], off
.LBB180_14:
	s_or_b64 exec, exec, s[10:11]
	v_add_u32_e32 v37, 0xa00, v70
	v_cmp_gt_u32_e64 s[10:11], s49, v37
	s_and_saveexec_b64 s[12:13], s[10:11]
	s_cbranch_execz .LBB180_16
; %bb.15:
	v_mul_lo_u32 v2, v37, s50
	v_mov_b32_e32 v3, 0
	v_lshlrev_b64 v[2:3], 3, v[2:3]
	v_mov_b32_e32 v12, s51
	v_add_co_u32_e32 v2, vcc, s33, v2
	v_addc_co_u32_e32 v3, vcc, v12, v3, vcc
	global_load_dwordx2 v[12:13], v[2:3], off
.LBB180_16:
	s_or_b64 exec, exec, s[12:13]
	s_load_dwordx2 s[18:19], s[22:23], 0x0
	v_or_b32_e32 v38, 0xc00, v70
	v_cmp_gt_u32_e64 s[12:13], s49, v38
	s_and_saveexec_b64 s[14:15], s[12:13]
	s_cbranch_execz .LBB180_18
; %bb.17:
	v_mul_lo_u32 v2, v38, s50
	v_mov_b32_e32 v3, 0
	v_lshlrev_b64 v[2:3], 3, v[2:3]
	v_mov_b32_e32 v14, s51
	v_add_co_u32_e32 v2, vcc, s33, v2
	v_addc_co_u32_e32 v3, vcc, v14, v3, vcc
	global_load_dwordx2 v[14:15], v[2:3], off
.LBB180_18:
	s_or_b64 exec, exec, s[14:15]
	s_load_dword s22, s[22:23], 0x6c
	v_add_u32_e32 v39, 0xe00, v70
	v_cmp_gt_u32_e64 s[14:15], s49, v39
	s_and_saveexec_b64 s[16:17], s[14:15]
	s_cbranch_execz .LBB180_20
; %bb.19:
	v_mul_lo_u32 v2, v39, s50
	v_mov_b32_e32 v3, 0
	v_lshlrev_b64 v[2:3], 3, v[2:3]
	v_mov_b32_e32 v16, s51
	v_add_co_u32_e32 v2, vcc, s33, v2
	v_addc_co_u32_e32 v3, vcc, v16, v3, vcc
	global_load_dwordx2 v[16:17], v[2:3], off
.LBB180_20:
	s_or_b64 exec, exec, s[16:17]
	v_lshrrev_b32_e32 v2, 5, v70
	v_add_lshl_u32 v71, v2, v70, 3
	v_lshrrev_b32_e32 v2, 5, v1
	v_add_lshl_u32 v104, v2, v70, 3
	;; [unrolled: 2-line block ×8, first 2 shown]
	v_lshlrev_b32_e32 v67, 3, v70
	v_lshrrev_b32_e32 v2, 2, v70
	v_add_lshl_u32 v111, v2, v67, 3
	s_waitcnt vmcnt(0)
	ds_write_b64 v71, v[18:19]
	ds_write_b64 v104, v[4:5] offset:4096
	ds_write_b64 v105, v[6:7] offset:8192
	;; [unrolled: 1-line block ×7, first 2 shown]
	s_waitcnt lgkmcnt(0)
	s_barrier
	ds_read2_b64 v[30:33], v111 offset1:1
	ds_read2_b64 v[26:29], v111 offset0:2 offset1:3
	ds_read2_b64 v[22:25], v111 offset0:4 offset1:5
	ds_read2_b64 v[18:21], v111 offset0:6 offset1:7
	s_mul_i32 s16, s22, s20
	s_add_i32 s16, s16, s21
	s_mov_b32 s17, 0
	s_lshl_b64 s[20:21], s[16:17], 3
	s_add_u32 s53, s18, s20
	s_mov_b32 s16, s17
	s_addc_u32 s58, s19, s21
	s_mov_b32 s18, s17
	s_mov_b32 s19, s17
	;; [unrolled: 1-line block ×14, first 2 shown]
	v_pk_mov_b32 v[2:3], s[16:17], s[16:17] op_sel:[0,1]
	v_pk_mov_b32 v[4:5], s[18:19], s[18:19] op_sel:[0,1]
	;; [unrolled: 1-line block ×8, first 2 shown]
	v_pk_mov_b32 v[2:3], 0, 0
	v_mul_lo_u32 v68, v70, s52
	s_waitcnt lgkmcnt(0)
	s_barrier
	s_and_saveexec_b64 s[16:17], s[0:1]
	s_cbranch_execnz .LBB180_57
; %bb.21:
	s_or_b64 exec, exec, s[16:17]
	s_and_saveexec_b64 s[16:17], s[2:3]
	s_cbranch_execnz .LBB180_58
.LBB180_22:
	s_or_b64 exec, exec, s[16:17]
	s_and_saveexec_b64 s[16:17], s[4:5]
	s_cbranch_execnz .LBB180_59
.LBB180_23:
	s_or_b64 exec, exec, s[16:17]
	s_and_saveexec_b64 s[16:17], s[6:7]
	s_cbranch_execnz .LBB180_60
.LBB180_24:
	s_or_b64 exec, exec, s[16:17]
	s_and_saveexec_b64 s[16:17], s[8:9]
	s_cbranch_execnz .LBB180_61
.LBB180_25:
	s_or_b64 exec, exec, s[16:17]
	s_and_saveexec_b64 s[16:17], s[10:11]
	s_cbranch_execnz .LBB180_62
.LBB180_26:
	s_or_b64 exec, exec, s[16:17]
	s_and_saveexec_b64 s[16:17], s[12:13]
	s_cbranch_execnz .LBB180_63
.LBB180_27:
	s_or_b64 exec, exec, s[16:17]
	s_xor_b64 s[16:17], s[34:35], -1
	s_and_saveexec_b64 s[18:19], s[14:15]
	s_cbranch_execz .LBB180_29
.LBB180_28:
	v_mul_lo_u32 v16, v39, s52
	v_mov_b32_e32 v17, 0
	v_lshlrev_b64 v[16:17], 3, v[16:17]
	v_mov_b32_e32 v1, s58
	v_add_co_u32_e32 v16, vcc, s53, v16
	v_addc_co_u32_e32 v17, vcc, v1, v17, vcc
	global_load_dwordx2 v[16:17], v[16:17], off
.LBB180_29:
	s_or_b64 exec, exec, s[18:19]
	s_waitcnt vmcnt(0)
	ds_write_b64 v71, v[2:3]
	ds_write_b64 v104, v[4:5] offset:4096
	ds_write_b64 v105, v[6:7] offset:8192
	;; [unrolled: 1-line block ×7, first 2 shown]
	s_waitcnt lgkmcnt(0)
	s_barrier
	ds_read2_b64 v[46:49], v111 offset1:1
	ds_read2_b64 v[42:45], v111 offset0:2 offset1:3
	ds_read2_b64 v[38:41], v111 offset0:4 offset1:5
	;; [unrolled: 1-line block ×3, first 2 shown]
	s_and_b64 vcc, exec, s[16:17]
	v_bfe_u32 v114, v0, 10, 10
	v_bfe_u32 v115, v0, 20, 10
	v_ashrrev_i32_e32 v124, 31, v31
	v_ashrrev_i32_e32 v123, 31, v33
	;; [unrolled: 1-line block ×8, first 2 shown]
	v_mbcnt_lo_u32_b32 v116, -1, 0
	v_lshlrev_b32_e32 v69, 2, v70
	v_lshlrev_b32_e32 v112, 4, v70
	v_cmp_gt_u32_e64 s[16:17], 8, v70
	v_cmp_lt_u32_e64 s[18:19], 63, v70
	v_cmp_eq_u32_e64 s[20:21], 0, v70
	v_lshrrev_b32_e32 v113, 4, v70
	s_waitcnt lgkmcnt(0)
	s_barrier
	s_cbranch_vccz .LBB180_64
; %bb.30:
	v_bfrev_b32_e32 v125, 1
	v_cmp_lt_i64_e32 vcc, -1, v[30:31]
	v_cndmask_b32_e32 v0, -1, v125, vcc
	v_cmp_lt_i64_e32 vcc, -1, v[32:33]
	v_cndmask_b32_e32 v2, -1, v125, vcc
	;; [unrolled: 2-line block ×7, first 2 shown]
	v_cmp_lt_i64_e32 vcc, -1, v[20:21]
	v_mbcnt_hi_u32_b32 v72, -1, v116
	v_and_b32_e32 v73, 0x3c0, v70
	v_xor_b32_e32 v1, v0, v31
	v_xor_b32_e32 v0, v124, v30
	;; [unrolled: 1-line block ×4, first 2 shown]
	v_cndmask_b32_e32 v14, -1, v125, vcc
	v_add_lshl_u32 v16, v72, v73, 6
	v_and_b32_e32 v74, 0x1e00, v67
	v_xor_b32_e32 v5, v4, v27
	v_xor_b32_e32 v4, v122, v26
	;; [unrolled: 1-line block ×12, first 2 shown]
	ds_write2_b64 v16, v[0:1], v[2:3] offset1:1
	ds_write2_b64 v16, v[4:5], v[6:7] offset0:2 offset1:3
	ds_write2_b64 v16, v[8:9], v[10:11] offset0:4 offset1:5
	;; [unrolled: 1-line block ×3, first 2 shown]
	v_or_b32_e32 v0, v72, v74
	v_lshlrev_b32_e32 v17, 3, v0
	; wave barrier
	ds_read2st64_b64 v[0:3], v17 offset1:1
	ds_read2st64_b64 v[4:7], v17 offset0:2 offset1:3
	ds_read2st64_b64 v[8:11], v17 offset0:4 offset1:5
	;; [unrolled: 1-line block ×3, first 2 shown]
	; wave barrier
	ds_write2_b64 v16, v[46:47], v[48:49] offset1:1
	ds_write2_b64 v16, v[42:43], v[44:45] offset0:2 offset1:3
	ds_write2_b64 v16, v[38:39], v[40:41] offset0:4 offset1:5
	;; [unrolled: 1-line block ×3, first 2 shown]
	; wave barrier
	ds_read2st64_b64 v[50:53], v17 offset1:1
	ds_read2st64_b64 v[54:57], v17 offset0:2 offset1:3
	ds_read2st64_b64 v[58:61], v17 offset0:4 offset1:5
	;; [unrolled: 1-line block ×3, first 2 shown]
	s_waitcnt lgkmcnt(0)
	s_barrier
	s_load_dword s24, s[54:55], 0xc
	s_getpc_b64 s[22:23]
	s_add_u32 s22, s22, _ZN7rocprim17ROCPRIM_400000_NS16block_radix_sortIdLj512ELj8ElLj1ELj1ELj0ELNS0_26block_radix_rank_algorithmE1ELNS0_18block_padding_hintE2ELNS0_4arch9wavefront6targetE1EE19radix_bits_per_passE@rel32@lo+4
	s_addc_u32 s23, s23, _ZN7rocprim17ROCPRIM_400000_NS16block_radix_sortIdLj512ELj8ElLj1ELj1ELj0ELNS0_26block_radix_rank_algorithmE1ELNS0_18block_padding_hintE2ELNS0_4arch9wavefront6targetE1EE19radix_bits_per_passE@rel32@hi+12
	s_load_dword s59, s[22:23], 0x0
	s_mov_b32 s48, -1
	v_and_b32_e32 v129, 60, v113
	s_waitcnt lgkmcnt(0)
	s_lshr_b32 s22, s24, 16
	s_and_b32 s23, s24, 0xffff
	v_mad_u32_u24 v16, v115, s22, v114
	v_mad_u64_u32 v[16:17], s[22:23], v16, s23, v[70:71]
	v_lshrrev_b32_e32 v127, 6, v16
	v_and_b32_e32 v16, 15, v72
	v_cmp_eq_u32_e64 s[22:23], 0, v16
	v_cmp_lt_u32_e64 s[24:25], 1, v16
	v_cmp_lt_u32_e64 s[26:27], 3, v16
	;; [unrolled: 1-line block ×3, first 2 shown]
	v_and_b32_e32 v16, 16, v72
	v_cmp_eq_u32_e64 s[30:31], 0, v16
	v_min_u32_e32 v16, 0x1c0, v73
	v_or_b32_e32 v16, 63, v16
	v_cmp_eq_u32_e64 s[36:37], v16, v70
	v_add_u32_e32 v16, -1, v72
	v_and_b32_e32 v17, 64, v72
	v_cmp_lt_i32_e32 vcc, v16, v17
	v_cndmask_b32_e32 v16, v16, v72, vcc
	v_lshlrev_b32_e32 v128, 2, v16
	v_and_b32_e32 v16, 7, v72
	v_cmp_eq_u32_e64 s[40:41], 0, v16
	v_cmp_lt_u32_e64 s[42:43], 1, v16
	v_cmp_lt_u32_e64 s[44:45], 3, v16
	v_and_or_b32 v16, v72, 63, v74
	s_brev_b32 s49, -2
	v_add_u32_e32 v126, 32, v112
	v_cmp_lt_u32_e64 s[34:35], 31, v72
	s_mov_b32 s60, 64
	v_cmp_eq_u32_e64 s[38:39], 0, v72
	v_add_u32_e32 v130, -4, v129
	v_lshlrev_b32_e32 v131, 3, v16
	s_mov_b64 s[56:57], 0
	v_mov_b32_e32 v86, 0
	s_branch .LBB180_32
.LBB180_31:                             ;   in Loop: Header=BB180_32 Depth=1
	v_lshlrev_b32_e32 v50, 3, v138
	v_lshlrev_b32_e32 v51, 3, v137
	;; [unrolled: 1-line block ×8, first 2 shown]
	s_barrier
	ds_write_b64 v50, v[102:103]
	ds_write_b64 v51, v[100:101]
	;; [unrolled: 1-line block ×8, first 2 shown]
	s_waitcnt lgkmcnt(0)
	s_barrier
	ds_read2st64_b64 v[0:3], v131 offset1:1
	ds_read2st64_b64 v[4:7], v131 offset0:2 offset1:3
	ds_read2st64_b64 v[8:11], v131 offset0:4 offset1:5
	;; [unrolled: 1-line block ×3, first 2 shown]
	s_waitcnt lgkmcnt(0)
	s_barrier
	ds_write_b64 v50, v[84:85]
	ds_write_b64 v51, v[82:83]
	;; [unrolled: 1-line block ×8, first 2 shown]
	s_waitcnt lgkmcnt(0)
	s_barrier
	ds_read2st64_b64 v[50:53], v131 offset1:1
	ds_read2st64_b64 v[54:57], v131 offset0:2 offset1:3
	ds_read2st64_b64 v[58:61], v131 offset0:4 offset1:5
	ds_read2st64_b64 v[62:65], v131 offset0:6 offset1:7
	s_add_u32 s56, s56, 8
	s_addc_u32 s57, s57, 0
	s_add_i32 s60, s60, -8
	s_waitcnt lgkmcnt(0)
	s_barrier
	s_cbranch_execz .LBB180_56
.LBB180_32:                             ; =>This Inner Loop Header: Depth=1
	v_pk_mov_b32 v[102:103], v[0:1], v[0:1] op_sel:[0,1]
	s_min_u32 s46, s59, s60
	v_cmp_ne_u64_e32 vcc, s[48:49], v[102:103]
	s_lshl_b32 s46, -1, s46
	v_cndmask_b32_e32 v1, v125, v103, vcc
	v_cndmask_b32_e32 v0, 0, v102, vcc
	s_not_b32 s61, s46
	v_lshrrev_b64 v[0:1], s56, v[0:1]
	v_and_b32_e32 v0, s61, v0
	v_lshl_add_u32 v1, v0, 3, v127
	v_pk_mov_b32 v[98:99], v[4:5], v[4:5] op_sel:[0,1]
	v_lshl_add_u32 v4, v1, 2, 32
	v_and_b32_e32 v1, 1, v0
	v_pk_mov_b32 v[100:101], v[2:3], v[2:3] op_sel:[0,1]
	v_add_co_u32_e32 v2, vcc, -1, v1
	v_addc_co_u32_e64 v3, s[46:47], 0, -1, vcc
	v_cmp_ne_u32_e32 vcc, 0, v1
	v_lshlrev_b32_e32 v87, 30, v0
	v_xor_b32_e32 v1, vcc_hi, v3
	v_not_b32_e32 v3, v87
	v_xor_b32_e32 v2, vcc_lo, v2
	v_cmp_gt_i64_e32 vcc, 0, v[86:87]
	v_ashrrev_i32_e32 v3, 31, v3
	v_and_b32_e32 v2, exec_lo, v2
	v_xor_b32_e32 v5, vcc_hi, v3
	v_xor_b32_e32 v3, vcc_lo, v3
	v_lshlrev_b32_e32 v87, 29, v0
	v_and_b32_e32 v2, v2, v3
	v_not_b32_e32 v3, v87
	v_and_b32_e32 v1, exec_hi, v1
	v_cmp_gt_i64_e32 vcc, 0, v[86:87]
	v_ashrrev_i32_e32 v3, 31, v3
	v_and_b32_e32 v1, v1, v5
	v_xor_b32_e32 v5, vcc_hi, v3
	v_xor_b32_e32 v3, vcc_lo, v3
	v_lshlrev_b32_e32 v87, 28, v0
	v_and_b32_e32 v2, v2, v3
	v_not_b32_e32 v3, v87
	v_cmp_gt_i64_e32 vcc, 0, v[86:87]
	v_ashrrev_i32_e32 v3, 31, v3
	v_and_b32_e32 v1, v1, v5
	v_xor_b32_e32 v5, vcc_hi, v3
	v_xor_b32_e32 v3, vcc_lo, v3
	v_lshlrev_b32_e32 v87, 27, v0
	v_and_b32_e32 v2, v2, v3
	v_not_b32_e32 v3, v87
	;; [unrolled: 8-line block ×3, first 2 shown]
	v_cmp_gt_i64_e32 vcc, 0, v[86:87]
	v_ashrrev_i32_e32 v3, 31, v3
	v_and_b32_e32 v1, v1, v5
	v_xor_b32_e32 v5, vcc_hi, v3
	v_xor_b32_e32 v3, vcc_lo, v3
	v_lshlrev_b32_e32 v87, 25, v0
	v_and_b32_e32 v2, v2, v3
	v_cmp_gt_i64_e32 vcc, 0, v[86:87]
	v_not_b32_e32 v3, v87
	v_lshlrev_b32_e32 v87, 24, v0
	v_ashrrev_i32_e32 v3, 31, v3
	v_not_b32_e32 v0, v87
	v_and_b32_e32 v1, v1, v5
	v_xor_b32_e32 v5, vcc_hi, v3
	v_xor_b32_e32 v3, vcc_lo, v3
	v_cmp_gt_i64_e32 vcc, 0, v[86:87]
	v_ashrrev_i32_e32 v0, 31, v0
	v_and_b32_e32 v2, v2, v3
	v_xor_b32_e32 v3, vcc_hi, v0
	v_xor_b32_e32 v0, vcc_lo, v0
	v_and_b32_e32 v1, v1, v5
	v_and_b32_e32 v0, v2, v0
	;; [unrolled: 1-line block ×3, first 2 shown]
	v_mbcnt_lo_u32_b32 v2, v0, 0
	v_mbcnt_hi_u32_b32 v5, v1, v2
	v_cmp_eq_u32_e32 vcc, 0, v5
	v_cmp_ne_u64_e64 s[46:47], 0, v[0:1]
	v_pk_mov_b32 v[88:89], v[14:15], v[14:15] op_sel:[0,1]
	v_pk_mov_b32 v[90:91], v[12:13], v[12:13] op_sel:[0,1]
	;; [unrolled: 1-line block ×13, first 2 shown]
	s_and_b64 s[62:63], s[46:47], vcc
	ds_write2_b32 v112, v86, v86 offset0:8 offset1:9
	ds_write2_b32 v126, v86, v86 offset0:2 offset1:3
	s_waitcnt lgkmcnt(0)
	s_barrier
	s_waitcnt lgkmcnt(0)
	; wave barrier
	s_and_saveexec_b64 s[46:47], s[62:63]
	s_cbranch_execz .LBB180_34
; %bb.33:                               ;   in Loop: Header=BB180_32 Depth=1
	v_bcnt_u32_b32 v0, v0, 0
	v_bcnt_u32_b32 v0, v1, v0
	ds_write_b32 v4, v0
.LBB180_34:                             ;   in Loop: Header=BB180_32 Depth=1
	s_or_b64 exec, exec, s[46:47]
	v_cmp_ne_u64_e32 vcc, s[48:49], v[100:101]
	v_cndmask_b32_e32 v1, v125, v101, vcc
	v_cndmask_b32_e32 v0, 0, v100, vcc
	v_lshrrev_b64 v[0:1], s56, v[0:1]
	v_and_b32_e32 v0, s61, v0
	v_lshlrev_b32_e32 v1, 3, v0
	v_add_lshl_u32 v1, v1, v127, 2
	; wave barrier
	v_add_u32_e32 v7, 32, v1
	ds_read_b32 v6, v1 offset:32
	v_and_b32_e32 v1, 1, v0
	v_add_co_u32_e32 v2, vcc, -1, v1
	v_addc_co_u32_e64 v3, s[46:47], 0, -1, vcc
	v_cmp_ne_u32_e32 vcc, 0, v1
	v_lshlrev_b32_e32 v87, 30, v0
	v_xor_b32_e32 v1, vcc_hi, v3
	v_not_b32_e32 v3, v87
	v_xor_b32_e32 v2, vcc_lo, v2
	v_cmp_gt_i64_e32 vcc, 0, v[86:87]
	v_ashrrev_i32_e32 v3, 31, v3
	v_and_b32_e32 v2, exec_lo, v2
	v_xor_b32_e32 v8, vcc_hi, v3
	v_xor_b32_e32 v3, vcc_lo, v3
	v_lshlrev_b32_e32 v87, 29, v0
	v_and_b32_e32 v2, v2, v3
	v_not_b32_e32 v3, v87
	v_and_b32_e32 v1, exec_hi, v1
	v_cmp_gt_i64_e32 vcc, 0, v[86:87]
	v_ashrrev_i32_e32 v3, 31, v3
	v_and_b32_e32 v1, v1, v8
	v_xor_b32_e32 v8, vcc_hi, v3
	v_xor_b32_e32 v3, vcc_lo, v3
	v_lshlrev_b32_e32 v87, 28, v0
	v_and_b32_e32 v2, v2, v3
	v_not_b32_e32 v3, v87
	v_cmp_gt_i64_e32 vcc, 0, v[86:87]
	v_ashrrev_i32_e32 v3, 31, v3
	v_and_b32_e32 v1, v1, v8
	v_xor_b32_e32 v8, vcc_hi, v3
	v_xor_b32_e32 v3, vcc_lo, v3
	v_lshlrev_b32_e32 v87, 27, v0
	v_and_b32_e32 v2, v2, v3
	v_not_b32_e32 v3, v87
	;; [unrolled: 8-line block ×3, first 2 shown]
	v_cmp_gt_i64_e32 vcc, 0, v[86:87]
	v_ashrrev_i32_e32 v3, 31, v3
	v_and_b32_e32 v1, v1, v8
	v_xor_b32_e32 v8, vcc_hi, v3
	v_xor_b32_e32 v3, vcc_lo, v3
	v_lshlrev_b32_e32 v87, 25, v0
	v_and_b32_e32 v2, v2, v3
	v_cmp_gt_i64_e32 vcc, 0, v[86:87]
	v_not_b32_e32 v3, v87
	v_lshlrev_b32_e32 v87, 24, v0
	v_ashrrev_i32_e32 v3, 31, v3
	v_not_b32_e32 v0, v87
	v_and_b32_e32 v1, v1, v8
	v_xor_b32_e32 v8, vcc_hi, v3
	v_xor_b32_e32 v3, vcc_lo, v3
	v_cmp_gt_i64_e32 vcc, 0, v[86:87]
	v_ashrrev_i32_e32 v0, 31, v0
	v_and_b32_e32 v2, v2, v3
	v_xor_b32_e32 v3, vcc_hi, v0
	v_xor_b32_e32 v0, vcc_lo, v0
	v_and_b32_e32 v1, v1, v8
	v_and_b32_e32 v0, v2, v0
	;; [unrolled: 1-line block ×3, first 2 shown]
	v_mbcnt_lo_u32_b32 v2, v0, 0
	v_mbcnt_hi_u32_b32 v8, v1, v2
	v_cmp_eq_u32_e32 vcc, 0, v8
	v_cmp_ne_u64_e64 s[46:47], 0, v[0:1]
	s_and_b64 s[62:63], s[46:47], vcc
	; wave barrier
	s_and_saveexec_b64 s[46:47], s[62:63]
	s_cbranch_execz .LBB180_36
; %bb.35:                               ;   in Loop: Header=BB180_32 Depth=1
	v_bcnt_u32_b32 v0, v0, 0
	v_bcnt_u32_b32 v0, v1, v0
	s_waitcnt lgkmcnt(0)
	v_add_u32_e32 v0, v6, v0
	ds_write_b32 v7, v0
.LBB180_36:                             ;   in Loop: Header=BB180_32 Depth=1
	s_or_b64 exec, exec, s[46:47]
	v_cmp_ne_u64_e32 vcc, s[48:49], v[98:99]
	v_cndmask_b32_e32 v1, v125, v99, vcc
	v_cndmask_b32_e32 v0, 0, v98, vcc
	v_lshrrev_b64 v[0:1], s56, v[0:1]
	v_and_b32_e32 v0, s61, v0
	v_lshlrev_b32_e32 v1, 3, v0
	v_add_lshl_u32 v1, v1, v127, 2
	; wave barrier
	v_add_u32_e32 v10, 32, v1
	ds_read_b32 v9, v1 offset:32
	v_and_b32_e32 v1, 1, v0
	v_add_co_u32_e32 v2, vcc, -1, v1
	v_addc_co_u32_e64 v3, s[46:47], 0, -1, vcc
	v_cmp_ne_u32_e32 vcc, 0, v1
	v_lshlrev_b32_e32 v87, 30, v0
	v_xor_b32_e32 v1, vcc_hi, v3
	v_not_b32_e32 v3, v87
	v_xor_b32_e32 v2, vcc_lo, v2
	v_cmp_gt_i64_e32 vcc, 0, v[86:87]
	v_ashrrev_i32_e32 v3, 31, v3
	v_and_b32_e32 v2, exec_lo, v2
	v_xor_b32_e32 v11, vcc_hi, v3
	v_xor_b32_e32 v3, vcc_lo, v3
	v_lshlrev_b32_e32 v87, 29, v0
	v_and_b32_e32 v2, v2, v3
	v_not_b32_e32 v3, v87
	v_and_b32_e32 v1, exec_hi, v1
	v_cmp_gt_i64_e32 vcc, 0, v[86:87]
	v_ashrrev_i32_e32 v3, 31, v3
	v_and_b32_e32 v1, v1, v11
	v_xor_b32_e32 v11, vcc_hi, v3
	v_xor_b32_e32 v3, vcc_lo, v3
	v_lshlrev_b32_e32 v87, 28, v0
	v_and_b32_e32 v2, v2, v3
	v_not_b32_e32 v3, v87
	v_cmp_gt_i64_e32 vcc, 0, v[86:87]
	v_ashrrev_i32_e32 v3, 31, v3
	v_and_b32_e32 v1, v1, v11
	v_xor_b32_e32 v11, vcc_hi, v3
	v_xor_b32_e32 v3, vcc_lo, v3
	v_lshlrev_b32_e32 v87, 27, v0
	v_and_b32_e32 v2, v2, v3
	v_not_b32_e32 v3, v87
	;; [unrolled: 8-line block ×3, first 2 shown]
	v_cmp_gt_i64_e32 vcc, 0, v[86:87]
	v_ashrrev_i32_e32 v3, 31, v3
	v_and_b32_e32 v1, v1, v11
	v_xor_b32_e32 v11, vcc_hi, v3
	v_xor_b32_e32 v3, vcc_lo, v3
	v_lshlrev_b32_e32 v87, 25, v0
	v_and_b32_e32 v2, v2, v3
	v_cmp_gt_i64_e32 vcc, 0, v[86:87]
	v_not_b32_e32 v3, v87
	v_lshlrev_b32_e32 v87, 24, v0
	v_ashrrev_i32_e32 v3, 31, v3
	v_not_b32_e32 v0, v87
	v_and_b32_e32 v1, v1, v11
	v_xor_b32_e32 v11, vcc_hi, v3
	v_xor_b32_e32 v3, vcc_lo, v3
	v_cmp_gt_i64_e32 vcc, 0, v[86:87]
	v_ashrrev_i32_e32 v0, 31, v0
	v_and_b32_e32 v2, v2, v3
	v_xor_b32_e32 v3, vcc_hi, v0
	v_xor_b32_e32 v0, vcc_lo, v0
	v_and_b32_e32 v1, v1, v11
	v_and_b32_e32 v0, v2, v0
	v_and_b32_e32 v1, v1, v3
	v_mbcnt_lo_u32_b32 v2, v0, 0
	v_mbcnt_hi_u32_b32 v11, v1, v2
	v_cmp_eq_u32_e32 vcc, 0, v11
	v_cmp_ne_u64_e64 s[46:47], 0, v[0:1]
	s_and_b64 s[62:63], s[46:47], vcc
	; wave barrier
	s_and_saveexec_b64 s[46:47], s[62:63]
	s_cbranch_execz .LBB180_38
; %bb.37:                               ;   in Loop: Header=BB180_32 Depth=1
	v_bcnt_u32_b32 v0, v0, 0
	v_bcnt_u32_b32 v0, v1, v0
	s_waitcnt lgkmcnt(0)
	v_add_u32_e32 v0, v9, v0
	ds_write_b32 v10, v0
.LBB180_38:                             ;   in Loop: Header=BB180_32 Depth=1
	s_or_b64 exec, exec, s[46:47]
	v_cmp_ne_u64_e32 vcc, s[48:49], v[96:97]
	v_cndmask_b32_e32 v1, v125, v97, vcc
	v_cndmask_b32_e32 v0, 0, v96, vcc
	v_lshrrev_b64 v[0:1], s56, v[0:1]
	v_and_b32_e32 v0, s61, v0
	v_lshlrev_b32_e32 v1, 3, v0
	v_add_lshl_u32 v1, v1, v127, 2
	; wave barrier
	v_add_u32_e32 v13, 32, v1
	ds_read_b32 v12, v1 offset:32
	v_and_b32_e32 v1, 1, v0
	v_add_co_u32_e32 v2, vcc, -1, v1
	v_addc_co_u32_e64 v3, s[46:47], 0, -1, vcc
	v_cmp_ne_u32_e32 vcc, 0, v1
	v_lshlrev_b32_e32 v87, 30, v0
	v_xor_b32_e32 v1, vcc_hi, v3
	v_not_b32_e32 v3, v87
	v_xor_b32_e32 v2, vcc_lo, v2
	v_cmp_gt_i64_e32 vcc, 0, v[86:87]
	v_ashrrev_i32_e32 v3, 31, v3
	v_and_b32_e32 v2, exec_lo, v2
	v_xor_b32_e32 v14, vcc_hi, v3
	v_xor_b32_e32 v3, vcc_lo, v3
	v_lshlrev_b32_e32 v87, 29, v0
	v_and_b32_e32 v2, v2, v3
	v_not_b32_e32 v3, v87
	v_and_b32_e32 v1, exec_hi, v1
	v_cmp_gt_i64_e32 vcc, 0, v[86:87]
	v_ashrrev_i32_e32 v3, 31, v3
	v_and_b32_e32 v1, v1, v14
	v_xor_b32_e32 v14, vcc_hi, v3
	v_xor_b32_e32 v3, vcc_lo, v3
	v_lshlrev_b32_e32 v87, 28, v0
	v_and_b32_e32 v2, v2, v3
	v_not_b32_e32 v3, v87
	v_cmp_gt_i64_e32 vcc, 0, v[86:87]
	v_ashrrev_i32_e32 v3, 31, v3
	v_and_b32_e32 v1, v1, v14
	v_xor_b32_e32 v14, vcc_hi, v3
	v_xor_b32_e32 v3, vcc_lo, v3
	v_lshlrev_b32_e32 v87, 27, v0
	v_and_b32_e32 v2, v2, v3
	v_not_b32_e32 v3, v87
	v_cmp_gt_i64_e32 vcc, 0, v[86:87]
	v_ashrrev_i32_e32 v3, 31, v3
	v_and_b32_e32 v1, v1, v14
	v_xor_b32_e32 v14, vcc_hi, v3
	v_xor_b32_e32 v3, vcc_lo, v3
	v_lshlrev_b32_e32 v87, 26, v0
	v_and_b32_e32 v2, v2, v3
	v_not_b32_e32 v3, v87
	v_cmp_gt_i64_e32 vcc, 0, v[86:87]
	v_ashrrev_i32_e32 v3, 31, v3
	v_and_b32_e32 v1, v1, v14
	v_xor_b32_e32 v14, vcc_hi, v3
	v_xor_b32_e32 v3, vcc_lo, v3
	v_lshlrev_b32_e32 v87, 25, v0
	v_and_b32_e32 v2, v2, v3
	v_cmp_gt_i64_e32 vcc, 0, v[86:87]
	v_not_b32_e32 v3, v87
	v_lshlrev_b32_e32 v87, 24, v0
	v_ashrrev_i32_e32 v3, 31, v3
	v_not_b32_e32 v0, v87
	v_and_b32_e32 v1, v1, v14
	v_xor_b32_e32 v14, vcc_hi, v3
	v_xor_b32_e32 v3, vcc_lo, v3
	v_cmp_gt_i64_e32 vcc, 0, v[86:87]
	v_ashrrev_i32_e32 v0, 31, v0
	v_and_b32_e32 v2, v2, v3
	v_xor_b32_e32 v3, vcc_hi, v0
	v_xor_b32_e32 v0, vcc_lo, v0
	v_and_b32_e32 v1, v1, v14
	v_and_b32_e32 v0, v2, v0
	;; [unrolled: 1-line block ×3, first 2 shown]
	v_mbcnt_lo_u32_b32 v2, v0, 0
	v_mbcnt_hi_u32_b32 v14, v1, v2
	v_cmp_eq_u32_e32 vcc, 0, v14
	v_cmp_ne_u64_e64 s[46:47], 0, v[0:1]
	s_and_b64 s[62:63], s[46:47], vcc
	; wave barrier
	s_and_saveexec_b64 s[46:47], s[62:63]
	s_cbranch_execz .LBB180_40
; %bb.39:                               ;   in Loop: Header=BB180_32 Depth=1
	v_bcnt_u32_b32 v0, v0, 0
	v_bcnt_u32_b32 v0, v1, v0
	s_waitcnt lgkmcnt(0)
	v_add_u32_e32 v0, v12, v0
	ds_write_b32 v13, v0
.LBB180_40:                             ;   in Loop: Header=BB180_32 Depth=1
	s_or_b64 exec, exec, s[46:47]
	v_cmp_ne_u64_e32 vcc, s[48:49], v[94:95]
	v_cndmask_b32_e32 v1, v125, v95, vcc
	v_cndmask_b32_e32 v0, 0, v94, vcc
	v_lshrrev_b64 v[0:1], s56, v[0:1]
	v_and_b32_e32 v0, s61, v0
	v_lshlrev_b32_e32 v1, 3, v0
	v_add_lshl_u32 v1, v1, v127, 2
	; wave barrier
	v_add_u32_e32 v50, 32, v1
	ds_read_b32 v15, v1 offset:32
	v_and_b32_e32 v1, 1, v0
	v_add_co_u32_e32 v2, vcc, -1, v1
	v_addc_co_u32_e64 v3, s[46:47], 0, -1, vcc
	v_cmp_ne_u32_e32 vcc, 0, v1
	v_lshlrev_b32_e32 v87, 30, v0
	v_xor_b32_e32 v1, vcc_hi, v3
	v_not_b32_e32 v3, v87
	v_xor_b32_e32 v2, vcc_lo, v2
	v_cmp_gt_i64_e32 vcc, 0, v[86:87]
	v_ashrrev_i32_e32 v3, 31, v3
	v_and_b32_e32 v2, exec_lo, v2
	v_xor_b32_e32 v51, vcc_hi, v3
	v_xor_b32_e32 v3, vcc_lo, v3
	v_lshlrev_b32_e32 v87, 29, v0
	v_and_b32_e32 v2, v2, v3
	v_not_b32_e32 v3, v87
	v_and_b32_e32 v1, exec_hi, v1
	v_cmp_gt_i64_e32 vcc, 0, v[86:87]
	v_ashrrev_i32_e32 v3, 31, v3
	v_and_b32_e32 v1, v1, v51
	v_xor_b32_e32 v51, vcc_hi, v3
	v_xor_b32_e32 v3, vcc_lo, v3
	v_lshlrev_b32_e32 v87, 28, v0
	v_and_b32_e32 v2, v2, v3
	v_not_b32_e32 v3, v87
	v_cmp_gt_i64_e32 vcc, 0, v[86:87]
	v_ashrrev_i32_e32 v3, 31, v3
	v_and_b32_e32 v1, v1, v51
	v_xor_b32_e32 v51, vcc_hi, v3
	v_xor_b32_e32 v3, vcc_lo, v3
	v_lshlrev_b32_e32 v87, 27, v0
	v_and_b32_e32 v2, v2, v3
	v_not_b32_e32 v3, v87
	;; [unrolled: 8-line block ×3, first 2 shown]
	v_cmp_gt_i64_e32 vcc, 0, v[86:87]
	v_ashrrev_i32_e32 v3, 31, v3
	v_and_b32_e32 v1, v1, v51
	v_xor_b32_e32 v51, vcc_hi, v3
	v_xor_b32_e32 v3, vcc_lo, v3
	v_lshlrev_b32_e32 v87, 25, v0
	v_and_b32_e32 v2, v2, v3
	v_cmp_gt_i64_e32 vcc, 0, v[86:87]
	v_not_b32_e32 v3, v87
	v_lshlrev_b32_e32 v87, 24, v0
	v_ashrrev_i32_e32 v3, 31, v3
	v_not_b32_e32 v0, v87
	v_and_b32_e32 v1, v1, v51
	v_xor_b32_e32 v51, vcc_hi, v3
	v_xor_b32_e32 v3, vcc_lo, v3
	v_cmp_gt_i64_e32 vcc, 0, v[86:87]
	v_ashrrev_i32_e32 v0, 31, v0
	v_and_b32_e32 v2, v2, v3
	v_xor_b32_e32 v3, vcc_hi, v0
	v_xor_b32_e32 v0, vcc_lo, v0
	v_and_b32_e32 v1, v1, v51
	v_and_b32_e32 v0, v2, v0
	;; [unrolled: 1-line block ×3, first 2 shown]
	v_mbcnt_lo_u32_b32 v2, v0, 0
	v_mbcnt_hi_u32_b32 v51, v1, v2
	v_cmp_eq_u32_e32 vcc, 0, v51
	v_cmp_ne_u64_e64 s[46:47], 0, v[0:1]
	s_and_b64 s[62:63], s[46:47], vcc
	; wave barrier
	s_and_saveexec_b64 s[46:47], s[62:63]
	s_cbranch_execz .LBB180_42
; %bb.41:                               ;   in Loop: Header=BB180_32 Depth=1
	v_bcnt_u32_b32 v0, v0, 0
	v_bcnt_u32_b32 v0, v1, v0
	s_waitcnt lgkmcnt(0)
	v_add_u32_e32 v0, v15, v0
	ds_write_b32 v50, v0
.LBB180_42:                             ;   in Loop: Header=BB180_32 Depth=1
	s_or_b64 exec, exec, s[46:47]
	v_cmp_ne_u64_e32 vcc, s[48:49], v[92:93]
	v_cndmask_b32_e32 v1, v125, v93, vcc
	v_cndmask_b32_e32 v0, 0, v92, vcc
	v_lshrrev_b64 v[0:1], s56, v[0:1]
	v_and_b32_e32 v0, s61, v0
	v_lshlrev_b32_e32 v1, 3, v0
	v_add_lshl_u32 v1, v1, v127, 2
	; wave barrier
	v_add_u32_e32 v53, 32, v1
	ds_read_b32 v52, v1 offset:32
	v_and_b32_e32 v1, 1, v0
	v_add_co_u32_e32 v2, vcc, -1, v1
	v_addc_co_u32_e64 v3, s[46:47], 0, -1, vcc
	v_cmp_ne_u32_e32 vcc, 0, v1
	v_lshlrev_b32_e32 v87, 30, v0
	v_xor_b32_e32 v1, vcc_hi, v3
	v_not_b32_e32 v3, v87
	v_xor_b32_e32 v2, vcc_lo, v2
	v_cmp_gt_i64_e32 vcc, 0, v[86:87]
	v_ashrrev_i32_e32 v3, 31, v3
	v_and_b32_e32 v2, exec_lo, v2
	v_xor_b32_e32 v54, vcc_hi, v3
	v_xor_b32_e32 v3, vcc_lo, v3
	v_lshlrev_b32_e32 v87, 29, v0
	v_and_b32_e32 v2, v2, v3
	v_not_b32_e32 v3, v87
	v_and_b32_e32 v1, exec_hi, v1
	v_cmp_gt_i64_e32 vcc, 0, v[86:87]
	v_ashrrev_i32_e32 v3, 31, v3
	v_and_b32_e32 v1, v1, v54
	v_xor_b32_e32 v54, vcc_hi, v3
	v_xor_b32_e32 v3, vcc_lo, v3
	v_lshlrev_b32_e32 v87, 28, v0
	v_and_b32_e32 v2, v2, v3
	v_not_b32_e32 v3, v87
	v_cmp_gt_i64_e32 vcc, 0, v[86:87]
	v_ashrrev_i32_e32 v3, 31, v3
	v_and_b32_e32 v1, v1, v54
	v_xor_b32_e32 v54, vcc_hi, v3
	v_xor_b32_e32 v3, vcc_lo, v3
	v_lshlrev_b32_e32 v87, 27, v0
	v_and_b32_e32 v2, v2, v3
	v_not_b32_e32 v3, v87
	;; [unrolled: 8-line block ×3, first 2 shown]
	v_cmp_gt_i64_e32 vcc, 0, v[86:87]
	v_ashrrev_i32_e32 v3, 31, v3
	v_and_b32_e32 v1, v1, v54
	v_xor_b32_e32 v54, vcc_hi, v3
	v_xor_b32_e32 v3, vcc_lo, v3
	v_lshlrev_b32_e32 v87, 25, v0
	v_and_b32_e32 v2, v2, v3
	v_cmp_gt_i64_e32 vcc, 0, v[86:87]
	v_not_b32_e32 v3, v87
	v_lshlrev_b32_e32 v87, 24, v0
	v_ashrrev_i32_e32 v3, 31, v3
	v_not_b32_e32 v0, v87
	v_and_b32_e32 v1, v1, v54
	v_xor_b32_e32 v54, vcc_hi, v3
	v_xor_b32_e32 v3, vcc_lo, v3
	v_cmp_gt_i64_e32 vcc, 0, v[86:87]
	v_ashrrev_i32_e32 v0, 31, v0
	v_and_b32_e32 v2, v2, v3
	v_xor_b32_e32 v3, vcc_hi, v0
	v_xor_b32_e32 v0, vcc_lo, v0
	v_and_b32_e32 v1, v1, v54
	v_and_b32_e32 v0, v2, v0
	;; [unrolled: 1-line block ×3, first 2 shown]
	v_mbcnt_lo_u32_b32 v2, v0, 0
	v_mbcnt_hi_u32_b32 v54, v1, v2
	v_cmp_eq_u32_e32 vcc, 0, v54
	v_cmp_ne_u64_e64 s[46:47], 0, v[0:1]
	s_and_b64 s[62:63], s[46:47], vcc
	; wave barrier
	s_and_saveexec_b64 s[46:47], s[62:63]
	s_cbranch_execz .LBB180_44
; %bb.43:                               ;   in Loop: Header=BB180_32 Depth=1
	v_bcnt_u32_b32 v0, v0, 0
	v_bcnt_u32_b32 v0, v1, v0
	s_waitcnt lgkmcnt(0)
	v_add_u32_e32 v0, v52, v0
	ds_write_b32 v53, v0
.LBB180_44:                             ;   in Loop: Header=BB180_32 Depth=1
	s_or_b64 exec, exec, s[46:47]
	v_cmp_ne_u64_e32 vcc, s[48:49], v[90:91]
	v_cndmask_b32_e32 v1, v125, v91, vcc
	v_cndmask_b32_e32 v0, 0, v90, vcc
	v_lshrrev_b64 v[0:1], s56, v[0:1]
	v_and_b32_e32 v0, s61, v0
	v_lshlrev_b32_e32 v1, 3, v0
	v_add_lshl_u32 v1, v1, v127, 2
	; wave barrier
	v_add_u32_e32 v56, 32, v1
	ds_read_b32 v55, v1 offset:32
	v_and_b32_e32 v1, 1, v0
	v_add_co_u32_e32 v2, vcc, -1, v1
	v_addc_co_u32_e64 v3, s[46:47], 0, -1, vcc
	v_cmp_ne_u32_e32 vcc, 0, v1
	v_lshlrev_b32_e32 v87, 30, v0
	v_xor_b32_e32 v1, vcc_hi, v3
	v_not_b32_e32 v3, v87
	v_xor_b32_e32 v2, vcc_lo, v2
	v_cmp_gt_i64_e32 vcc, 0, v[86:87]
	v_ashrrev_i32_e32 v3, 31, v3
	v_and_b32_e32 v2, exec_lo, v2
	v_xor_b32_e32 v57, vcc_hi, v3
	v_xor_b32_e32 v3, vcc_lo, v3
	v_lshlrev_b32_e32 v87, 29, v0
	v_and_b32_e32 v2, v2, v3
	v_not_b32_e32 v3, v87
	v_and_b32_e32 v1, exec_hi, v1
	v_cmp_gt_i64_e32 vcc, 0, v[86:87]
	v_ashrrev_i32_e32 v3, 31, v3
	v_and_b32_e32 v1, v1, v57
	v_xor_b32_e32 v57, vcc_hi, v3
	v_xor_b32_e32 v3, vcc_lo, v3
	v_lshlrev_b32_e32 v87, 28, v0
	v_and_b32_e32 v2, v2, v3
	v_not_b32_e32 v3, v87
	v_cmp_gt_i64_e32 vcc, 0, v[86:87]
	v_ashrrev_i32_e32 v3, 31, v3
	v_and_b32_e32 v1, v1, v57
	v_xor_b32_e32 v57, vcc_hi, v3
	v_xor_b32_e32 v3, vcc_lo, v3
	v_lshlrev_b32_e32 v87, 27, v0
	v_and_b32_e32 v2, v2, v3
	v_not_b32_e32 v3, v87
	;; [unrolled: 8-line block ×3, first 2 shown]
	v_cmp_gt_i64_e32 vcc, 0, v[86:87]
	v_ashrrev_i32_e32 v3, 31, v3
	v_and_b32_e32 v1, v1, v57
	v_xor_b32_e32 v57, vcc_hi, v3
	v_xor_b32_e32 v3, vcc_lo, v3
	v_lshlrev_b32_e32 v87, 25, v0
	v_and_b32_e32 v2, v2, v3
	v_cmp_gt_i64_e32 vcc, 0, v[86:87]
	v_not_b32_e32 v3, v87
	v_lshlrev_b32_e32 v87, 24, v0
	v_ashrrev_i32_e32 v3, 31, v3
	v_not_b32_e32 v0, v87
	v_and_b32_e32 v1, v1, v57
	v_xor_b32_e32 v57, vcc_hi, v3
	v_xor_b32_e32 v3, vcc_lo, v3
	v_cmp_gt_i64_e32 vcc, 0, v[86:87]
	v_ashrrev_i32_e32 v0, 31, v0
	v_and_b32_e32 v2, v2, v3
	v_xor_b32_e32 v3, vcc_hi, v0
	v_xor_b32_e32 v0, vcc_lo, v0
	v_and_b32_e32 v1, v1, v57
	v_and_b32_e32 v0, v2, v0
	;; [unrolled: 1-line block ×3, first 2 shown]
	v_mbcnt_lo_u32_b32 v2, v0, 0
	v_mbcnt_hi_u32_b32 v57, v1, v2
	v_cmp_eq_u32_e32 vcc, 0, v57
	v_cmp_ne_u64_e64 s[46:47], 0, v[0:1]
	s_and_b64 s[62:63], s[46:47], vcc
	; wave barrier
	s_and_saveexec_b64 s[46:47], s[62:63]
	s_cbranch_execz .LBB180_46
; %bb.45:                               ;   in Loop: Header=BB180_32 Depth=1
	v_bcnt_u32_b32 v0, v0, 0
	v_bcnt_u32_b32 v0, v1, v0
	s_waitcnt lgkmcnt(0)
	v_add_u32_e32 v0, v55, v0
	ds_write_b32 v56, v0
.LBB180_46:                             ;   in Loop: Header=BB180_32 Depth=1
	s_or_b64 exec, exec, s[46:47]
	v_cmp_ne_u64_e32 vcc, s[48:49], v[88:89]
	v_cndmask_b32_e32 v1, v125, v89, vcc
	v_cndmask_b32_e32 v0, 0, v88, vcc
	v_lshrrev_b64 v[0:1], s56, v[0:1]
	v_and_b32_e32 v0, s61, v0
	v_lshlrev_b32_e32 v1, 3, v0
	v_add_lshl_u32 v1, v1, v127, 2
	; wave barrier
	v_add_u32_e32 v59, 32, v1
	ds_read_b32 v58, v1 offset:32
	v_and_b32_e32 v1, 1, v0
	v_add_co_u32_e32 v2, vcc, -1, v1
	v_addc_co_u32_e64 v3, s[46:47], 0, -1, vcc
	v_cmp_ne_u32_e32 vcc, 0, v1
	v_lshlrev_b32_e32 v87, 30, v0
	v_xor_b32_e32 v1, vcc_hi, v3
	v_not_b32_e32 v3, v87
	v_xor_b32_e32 v2, vcc_lo, v2
	v_cmp_gt_i64_e32 vcc, 0, v[86:87]
	v_ashrrev_i32_e32 v3, 31, v3
	v_and_b32_e32 v2, exec_lo, v2
	v_xor_b32_e32 v60, vcc_hi, v3
	v_xor_b32_e32 v3, vcc_lo, v3
	v_lshlrev_b32_e32 v87, 29, v0
	v_and_b32_e32 v2, v2, v3
	v_not_b32_e32 v3, v87
	v_and_b32_e32 v1, exec_hi, v1
	v_cmp_gt_i64_e32 vcc, 0, v[86:87]
	v_ashrrev_i32_e32 v3, 31, v3
	v_and_b32_e32 v1, v1, v60
	v_xor_b32_e32 v60, vcc_hi, v3
	v_xor_b32_e32 v3, vcc_lo, v3
	v_lshlrev_b32_e32 v87, 28, v0
	v_and_b32_e32 v2, v2, v3
	v_not_b32_e32 v3, v87
	v_cmp_gt_i64_e32 vcc, 0, v[86:87]
	v_ashrrev_i32_e32 v3, 31, v3
	v_and_b32_e32 v1, v1, v60
	v_xor_b32_e32 v60, vcc_hi, v3
	v_xor_b32_e32 v3, vcc_lo, v3
	v_lshlrev_b32_e32 v87, 27, v0
	v_and_b32_e32 v2, v2, v3
	v_not_b32_e32 v3, v87
	;; [unrolled: 8-line block ×3, first 2 shown]
	v_cmp_gt_i64_e32 vcc, 0, v[86:87]
	v_ashrrev_i32_e32 v3, 31, v3
	v_and_b32_e32 v1, v1, v60
	v_xor_b32_e32 v60, vcc_hi, v3
	v_xor_b32_e32 v3, vcc_lo, v3
	v_lshlrev_b32_e32 v87, 25, v0
	v_and_b32_e32 v2, v2, v3
	v_cmp_gt_i64_e32 vcc, 0, v[86:87]
	v_not_b32_e32 v3, v87
	v_lshlrev_b32_e32 v87, 24, v0
	v_ashrrev_i32_e32 v3, 31, v3
	v_not_b32_e32 v0, v87
	v_and_b32_e32 v1, v1, v60
	v_xor_b32_e32 v60, vcc_hi, v3
	v_xor_b32_e32 v3, vcc_lo, v3
	v_cmp_gt_i64_e32 vcc, 0, v[86:87]
	v_ashrrev_i32_e32 v0, 31, v0
	v_and_b32_e32 v2, v2, v3
	v_xor_b32_e32 v3, vcc_hi, v0
	v_xor_b32_e32 v0, vcc_lo, v0
	v_and_b32_e32 v1, v1, v60
	v_and_b32_e32 v0, v2, v0
	;; [unrolled: 1-line block ×3, first 2 shown]
	v_mbcnt_lo_u32_b32 v2, v0, 0
	v_mbcnt_hi_u32_b32 v60, v1, v2
	v_cmp_eq_u32_e32 vcc, 0, v60
	v_cmp_ne_u64_e64 s[46:47], 0, v[0:1]
	s_and_b64 s[62:63], s[46:47], vcc
	; wave barrier
	s_and_saveexec_b64 s[46:47], s[62:63]
	s_cbranch_execz .LBB180_48
; %bb.47:                               ;   in Loop: Header=BB180_32 Depth=1
	v_bcnt_u32_b32 v0, v0, 0
	v_bcnt_u32_b32 v0, v1, v0
	s_waitcnt lgkmcnt(0)
	v_add_u32_e32 v0, v58, v0
	ds_write_b32 v59, v0
.LBB180_48:                             ;   in Loop: Header=BB180_32 Depth=1
	s_or_b64 exec, exec, s[46:47]
	; wave barrier
	s_waitcnt lgkmcnt(0)
	s_barrier
	ds_read2_b32 v[2:3], v112 offset0:8 offset1:9
	ds_read2_b32 v[0:1], v126 offset0:2 offset1:3
	s_waitcnt lgkmcnt(1)
	v_add_u32_e32 v61, v3, v2
	s_waitcnt lgkmcnt(0)
	v_add3_u32 v1, v61, v0, v1
	s_nop 1
	v_mov_b32_dpp v61, v1 row_shr:1 row_mask:0xf bank_mask:0xf
	v_cndmask_b32_e64 v61, v61, 0, s[22:23]
	v_add_u32_e32 v1, v61, v1
	s_nop 1
	v_mov_b32_dpp v61, v1 row_shr:2 row_mask:0xf bank_mask:0xf
	v_cndmask_b32_e64 v61, 0, v61, s[24:25]
	v_add_u32_e32 v1, v1, v61
	s_nop 1
	v_mov_b32_dpp v61, v1 row_shr:4 row_mask:0xf bank_mask:0xf
	v_cndmask_b32_e64 v61, 0, v61, s[26:27]
	v_add_u32_e32 v1, v1, v61
	s_nop 1
	v_mov_b32_dpp v61, v1 row_shr:8 row_mask:0xf bank_mask:0xf
	v_cndmask_b32_e64 v61, 0, v61, s[28:29]
	v_add_u32_e32 v1, v1, v61
	s_nop 1
	v_mov_b32_dpp v61, v1 row_bcast:15 row_mask:0xf bank_mask:0xf
	v_cndmask_b32_e64 v61, v61, 0, s[30:31]
	v_add_u32_e32 v1, v1, v61
	s_nop 1
	v_mov_b32_dpp v61, v1 row_bcast:31 row_mask:0xf bank_mask:0xf
	v_cndmask_b32_e64 v61, 0, v61, s[34:35]
	v_add_u32_e32 v1, v1, v61
	s_and_saveexec_b64 s[46:47], s[36:37]
	s_cbranch_execz .LBB180_50
; %bb.49:                               ;   in Loop: Header=BB180_32 Depth=1
	ds_write_b32 v129, v1
.LBB180_50:                             ;   in Loop: Header=BB180_32 Depth=1
	s_or_b64 exec, exec, s[46:47]
	s_waitcnt lgkmcnt(0)
	s_barrier
	s_and_saveexec_b64 s[46:47], s[16:17]
	s_cbranch_execz .LBB180_52
; %bb.51:                               ;   in Loop: Header=BB180_32 Depth=1
	ds_read_b32 v61, v69
	s_waitcnt lgkmcnt(0)
	s_nop 0
	v_mov_b32_dpp v62, v61 row_shr:1 row_mask:0xf bank_mask:0xf
	v_cndmask_b32_e64 v62, v62, 0, s[40:41]
	v_add_u32_e32 v61, v62, v61
	s_nop 1
	v_mov_b32_dpp v62, v61 row_shr:2 row_mask:0xf bank_mask:0xf
	v_cndmask_b32_e64 v62, 0, v62, s[42:43]
	v_add_u32_e32 v61, v61, v62
	;; [unrolled: 4-line block ×3, first 2 shown]
	ds_write_b32 v69, v61
.LBB180_52:                             ;   in Loop: Header=BB180_32 Depth=1
	s_or_b64 exec, exec, s[46:47]
	v_mov_b32_e32 v61, 0
	s_waitcnt lgkmcnt(0)
	s_barrier
	s_and_saveexec_b64 s[46:47], s[18:19]
	s_cbranch_execz .LBB180_54
; %bb.53:                               ;   in Loop: Header=BB180_32 Depth=1
	ds_read_b32 v61, v130
.LBB180_54:                             ;   in Loop: Header=BB180_32 Depth=1
	s_or_b64 exec, exec, s[46:47]
	s_waitcnt lgkmcnt(0)
	v_add_u32_e32 v1, v61, v1
	ds_bpermute_b32 v1, v128, v1
	s_cmp_gt_u32 s56, 55
	s_waitcnt lgkmcnt(0)
	v_cndmask_b32_e64 v1, v1, v61, s[38:39]
	v_cndmask_b32_e64 v1, v1, 0, s[20:21]
	v_add_u32_e32 v2, v1, v2
	v_add_u32_e32 v3, v2, v3
	;; [unrolled: 1-line block ×3, first 2 shown]
	ds_write2_b32 v112, v1, v2 offset0:8 offset1:9
	ds_write2_b32 v126, v3, v0 offset0:2 offset1:3
	s_waitcnt lgkmcnt(0)
	s_barrier
	ds_read_b32 v0, v4
	ds_read_b32 v1, v7
	;; [unrolled: 1-line block ×8, first 2 shown]
	s_waitcnt lgkmcnt(7)
	v_add_u32_e32 v138, v0, v5
	s_waitcnt lgkmcnt(6)
	v_add3_u32 v137, v8, v6, v1
	s_waitcnt lgkmcnt(5)
	v_add3_u32 v136, v11, v9, v2
	;; [unrolled: 2-line block ×7, first 2 shown]
	s_cbranch_scc0 .LBB180_31
; %bb.55:
                                        ; implicit-def: $vgpr14_vgpr15
                                        ; implicit-def: $vgpr10_vgpr11
                                        ; implicit-def: $vgpr6_vgpr7
                                        ; implicit-def: $vgpr2_vgpr3
                                        ; implicit-def: $vgpr64_vgpr65
                                        ; implicit-def: $vgpr60_vgpr61
                                        ; implicit-def: $vgpr56_vgpr57
                                        ; implicit-def: $vgpr52_vgpr53
                                        ; implicit-def: $sgpr56_sgpr57
                                        ; implicit-def: $sgpr60
.LBB180_56:
	v_lshlrev_b32_e32 v50, 3, v138
	v_lshlrev_b32_e32 v51, 3, v137
	;; [unrolled: 1-line block ×9, first 2 shown]
	s_barrier
	ds_write_b64 v50, v[102:103]
	ds_write_b64 v51, v[100:101]
	;; [unrolled: 1-line block ×8, first 2 shown]
	s_waitcnt lgkmcnt(0)
	s_barrier
	ds_read2_b64 v[0:3], v62 offset1:1
	ds_read2_b64 v[4:7], v62 offset0:2 offset1:3
	ds_read2_b64 v[8:11], v62 offset0:4 offset1:5
	;; [unrolled: 1-line block ×3, first 2 shown]
	s_waitcnt lgkmcnt(0)
	s_barrier
	ds_write_b64 v50, v[84:85]
	ds_write_b64 v51, v[82:83]
	;; [unrolled: 1-line block ×8, first 2 shown]
	v_ashrrev_i32_e32 v72, 31, v1
	v_not_b32_e32 v72, v72
	v_cmp_lt_i64_e32 vcc, -1, v[0:1]
	v_xor_b32_e32 v0, v72, v0
	v_ashrrev_i32_e32 v72, 31, v3
	v_bfrev_b32_e32 v16, 1
	v_not_b32_e32 v72, v72
	v_cndmask_b32_e64 v17, v16, -1, vcc
	v_cmp_lt_i64_e32 vcc, -1, v[2:3]
	v_xor_b32_e32 v2, v72, v2
	v_ashrrev_i32_e32 v72, 31, v5
	v_not_b32_e32 v72, v72
	v_xor_b32_e32 v1, v17, v1
	v_cndmask_b32_e64 v17, v16, -1, vcc
	v_cmp_lt_i64_e32 vcc, -1, v[4:5]
	v_xor_b32_e32 v4, v72, v4
	v_ashrrev_i32_e32 v72, 31, v7
	s_waitcnt lgkmcnt(0)
	s_barrier
	ds_read2_b64 v[50:53], v62 offset1:1
	ds_read2_b64 v[54:57], v62 offset0:2 offset1:3
	ds_read2_b64 v[58:61], v62 offset0:4 offset1:5
	;; [unrolled: 1-line block ×3, first 2 shown]
	v_xor_b32_e32 v3, v17, v3
	v_cndmask_b32_e64 v17, v16, -1, vcc
	v_cmp_lt_i64_e32 vcc, -1, v[6:7]
	v_not_b32_e32 v72, v72
	v_xor_b32_e32 v5, v17, v5
	v_cndmask_b32_e64 v17, v16, -1, vcc
	v_xor_b32_e32 v6, v72, v6
	v_cmp_lt_i64_e32 vcc, -1, v[8:9]
	v_ashrrev_i32_e32 v72, 31, v9
	v_xor_b32_e32 v7, v17, v7
	v_cndmask_b32_e64 v17, v16, -1, vcc
	v_not_b32_e32 v72, v72
	v_cmp_lt_i64_e32 vcc, -1, v[10:11]
	v_xor_b32_e32 v9, v17, v9
	v_xor_b32_e32 v8, v72, v8
	v_cndmask_b32_e64 v17, v16, -1, vcc
	v_ashrrev_i32_e32 v72, 31, v11
	v_cmp_lt_i64_e32 vcc, -1, v[12:13]
	v_not_b32_e32 v72, v72
	v_xor_b32_e32 v11, v17, v11
	v_cndmask_b32_e64 v17, v16, -1, vcc
	v_xor_b32_e32 v10, v72, v10
	v_ashrrev_i32_e32 v72, 31, v13
	v_xor_b32_e32 v13, v17, v13
	v_cmp_lt_i64_e32 vcc, -1, v[14:15]
	v_ashrrev_i32_e32 v17, 31, v15
	v_not_b32_e32 v72, v72
	v_cndmask_b32_e64 v16, v16, -1, vcc
	v_not_b32_e32 v17, v17
	v_xor_b32_e32 v12, v72, v12
	v_xor_b32_e32 v15, v16, v15
	;; [unrolled: 1-line block ×3, first 2 shown]
	s_branch .LBB180_92
.LBB180_57:
	v_mov_b32_e32 v69, 0
	v_lshlrev_b64 v[2:3], 3, v[68:69]
	v_mov_b32_e32 v4, s58
	v_add_co_u32_e32 v2, vcc, s53, v2
	v_addc_co_u32_e32 v3, vcc, v4, v3, vcc
	global_load_dwordx2 v[2:3], v[2:3], off
	v_mov_b32_e32 v4, v69
	v_mov_b32_e32 v5, v69
	v_mov_b32_e32 v6, v69
	v_mov_b32_e32 v7, v69
	v_mov_b32_e32 v8, v69
	v_mov_b32_e32 v9, v69
	v_mov_b32_e32 v10, v69
	v_mov_b32_e32 v11, v69
	v_mov_b32_e32 v12, v69
	v_mov_b32_e32 v13, v69
	v_mov_b32_e32 v14, v69
	v_mov_b32_e32 v15, v69
	v_mov_b32_e32 v16, v69
	v_mov_b32_e32 v17, v69
	s_or_b64 exec, exec, s[16:17]
	s_and_saveexec_b64 s[16:17], s[2:3]
	s_cbranch_execz .LBB180_22
.LBB180_58:
	v_mul_lo_u32 v4, v1, s52
	v_mov_b32_e32 v5, 0
	v_lshlrev_b64 v[4:5], 3, v[4:5]
	v_mov_b32_e32 v1, s58
	v_add_co_u32_e32 v4, vcc, s53, v4
	v_addc_co_u32_e32 v5, vcc, v1, v5, vcc
	global_load_dwordx2 v[4:5], v[4:5], off
	s_or_b64 exec, exec, s[16:17]
	s_and_saveexec_b64 s[16:17], s[4:5]
	s_cbranch_execz .LBB180_23
.LBB180_59:
	v_mul_lo_u32 v6, v34, s52
	v_mov_b32_e32 v7, 0
	v_lshlrev_b64 v[6:7], 3, v[6:7]
	v_mov_b32_e32 v1, s58
	v_add_co_u32_e32 v6, vcc, s53, v6
	v_addc_co_u32_e32 v7, vcc, v1, v7, vcc
	global_load_dwordx2 v[6:7], v[6:7], off
	s_or_b64 exec, exec, s[16:17]
	s_and_saveexec_b64 s[16:17], s[6:7]
	s_cbranch_execz .LBB180_24
.LBB180_60:
	v_mul_lo_u32 v8, v35, s52
	v_mov_b32_e32 v9, 0
	v_lshlrev_b64 v[8:9], 3, v[8:9]
	v_mov_b32_e32 v1, s58
	v_add_co_u32_e32 v8, vcc, s53, v8
	v_addc_co_u32_e32 v9, vcc, v1, v9, vcc
	global_load_dwordx2 v[8:9], v[8:9], off
	s_or_b64 exec, exec, s[16:17]
	s_and_saveexec_b64 s[16:17], s[8:9]
	s_cbranch_execz .LBB180_25
.LBB180_61:
	v_mul_lo_u32 v10, v36, s52
	v_mov_b32_e32 v11, 0
	v_lshlrev_b64 v[10:11], 3, v[10:11]
	v_mov_b32_e32 v1, s58
	v_add_co_u32_e32 v10, vcc, s53, v10
	v_addc_co_u32_e32 v11, vcc, v1, v11, vcc
	global_load_dwordx2 v[10:11], v[10:11], off
	s_or_b64 exec, exec, s[16:17]
	s_and_saveexec_b64 s[16:17], s[10:11]
	s_cbranch_execz .LBB180_26
.LBB180_62:
	v_mul_lo_u32 v12, v37, s52
	v_mov_b32_e32 v13, 0
	v_lshlrev_b64 v[12:13], 3, v[12:13]
	v_mov_b32_e32 v1, s58
	v_add_co_u32_e32 v12, vcc, s53, v12
	v_addc_co_u32_e32 v13, vcc, v1, v13, vcc
	global_load_dwordx2 v[12:13], v[12:13], off
	s_or_b64 exec, exec, s[16:17]
	s_and_saveexec_b64 s[16:17], s[12:13]
	s_cbranch_execz .LBB180_27
.LBB180_63:
	v_mul_lo_u32 v14, v38, s52
	v_mov_b32_e32 v15, 0
	v_lshlrev_b64 v[14:15], 3, v[14:15]
	v_mov_b32_e32 v1, s58
	v_add_co_u32_e32 v14, vcc, s53, v14
	v_addc_co_u32_e32 v15, vcc, v1, v15, vcc
	global_load_dwordx2 v[14:15], v[14:15], off
	s_or_b64 exec, exec, s[16:17]
	s_xor_b64 s[16:17], s[34:35], -1
	s_and_saveexec_b64 s[18:19], s[14:15]
	s_cbranch_execnz .LBB180_28
	s_branch .LBB180_29
.LBB180_64:
                                        ; implicit-def: $vgpr64_vgpr65
                                        ; implicit-def: $vgpr60_vgpr61
                                        ; implicit-def: $vgpr56_vgpr57
                                        ; implicit-def: $vgpr52_vgpr53
                                        ; implicit-def: $vgpr0_vgpr1_vgpr2_vgpr3_vgpr4_vgpr5_vgpr6_vgpr7_vgpr8_vgpr9_vgpr10_vgpr11_vgpr12_vgpr13_vgpr14_vgpr15
	s_cbranch_execz .LBB180_92
; %bb.65:
	v_bfrev_b32_e32 v72, -2
	v_cmp_gt_i64_e32 vcc, 0, v[30:31]
	v_cndmask_b32_e64 v0, v72, 0, vcc
	v_not_b32_e32 v2, v124
	v_cmp_gt_i64_e32 vcc, 0, v[32:33]
	v_xor_b32_e32 v1, v0, v31
	v_xor_b32_e32 v0, v2, v30
	v_cndmask_b32_e64 v2, v72, 0, vcc
	v_not_b32_e32 v4, v123
	v_cmp_gt_i64_e32 vcc, 0, v[26:27]
	v_xor_b32_e32 v3, v2, v33
	v_xor_b32_e32 v2, v4, v32
	;; [unrolled: 5-line block ×7, first 2 shown]
	v_cndmask_b32_e64 v14, v72, 0, vcc
	v_not_b32_e32 v16, v117
	s_waitcnt lgkmcnt(3)
	v_mbcnt_hi_u32_b32 v50, -1, v116
	v_and_b32_e32 v51, 0x3c0, v70
	v_xor_b32_e32 v15, v14, v21
	v_xor_b32_e32 v14, v16, v20
	v_add_lshl_u32 v16, v50, v51, 6
	v_and_b32_e32 v52, 0x1e00, v67
	ds_write2_b64 v16, v[0:1], v[2:3] offset1:1
	ds_write2_b64 v16, v[4:5], v[6:7] offset0:2 offset1:3
	ds_write2_b64 v16, v[8:9], v[10:11] offset0:4 offset1:5
	;; [unrolled: 1-line block ×3, first 2 shown]
	v_or_b32_e32 v0, v50, v52
	v_lshlrev_b32_e32 v28, 3, v0
	; wave barrier
	ds_read2st64_b64 v[0:3], v28 offset1:1
	ds_read2st64_b64 v[4:7], v28 offset0:2 offset1:3
	ds_read2st64_b64 v[8:11], v28 offset0:4 offset1:5
	;; [unrolled: 1-line block ×3, first 2 shown]
	; wave barrier
	ds_write2_b64 v16, v[46:47], v[48:49] offset1:1
	ds_write2_b64 v16, v[42:43], v[44:45] offset0:2 offset1:3
	ds_write2_b64 v16, v[38:39], v[40:41] offset0:4 offset1:5
	;; [unrolled: 1-line block ×3, first 2 shown]
	; wave barrier
	ds_read2st64_b64 v[16:19], v28 offset1:1
	ds_read2st64_b64 v[20:23], v28 offset0:2 offset1:3
	ds_read2st64_b64 v[24:27], v28 offset0:4 offset1:5
	;; [unrolled: 1-line block ×3, first 2 shown]
	s_waitcnt lgkmcnt(0)
	s_barrier
	s_load_dword s18, s[54:55], 0xc
	s_getpc_b64 s[16:17]
	s_add_u32 s16, s16, _ZN7rocprim17ROCPRIM_400000_NS16block_radix_sortIdLj512ELj8ElLj1ELj1ELj0ELNS0_26block_radix_rank_algorithmE1ELNS0_18block_padding_hintE2ELNS0_4arch9wavefront6targetE1EE19radix_bits_per_passE@rel32@lo+4
	s_addc_u32 s17, s17, _ZN7rocprim17ROCPRIM_400000_NS16block_radix_sortIdLj512ELj8ElLj1ELj1ELj0ELNS0_26block_radix_rank_algorithmE1ELNS0_18block_padding_hintE2ELNS0_4arch9wavefront6targetE1EE19radix_bits_per_passE@rel32@hi+12
	s_load_dword s56, s[16:17], 0x0
	s_mov_b32 s54, 0
	v_cmp_gt_u32_e64 s[30:31], 8, v70
	s_waitcnt lgkmcnt(0)
	s_lshr_b32 s16, s18, 16
	s_and_b32 s17, s18, 0xffff
	v_mad_u32_u24 v32, v115, s16, v114
	v_mad_u64_u32 v[32:33], s[16:17], v32, s17, v[70:71]
	v_lshrrev_b32_e32 v74, 6, v32
	v_and_b32_e32 v32, 15, v50
	v_cmp_eq_u32_e64 s[16:17], 0, v32
	v_cmp_lt_u32_e64 s[18:19], 1, v32
	v_cmp_lt_u32_e64 s[20:21], 3, v32
	v_cmp_lt_u32_e64 s[22:23], 7, v32
	v_and_b32_e32 v32, 16, v50
	v_cmp_eq_u32_e64 s[24:25], 0, v32
	v_min_u32_e32 v32, 0x1c0, v51
	v_or_b32_e32 v32, 63, v32
	v_cmp_eq_u32_e64 s[28:29], v32, v70
	v_add_u32_e32 v32, -1, v50
	v_and_b32_e32 v33, 64, v50
	v_cmp_lt_i32_e32 vcc, v32, v33
	v_cndmask_b32_e32 v32, v32, v50, vcc
	v_lshlrev_b32_e32 v75, 2, v32
	v_and_b32_e32 v32, 7, v50
	v_cmp_lt_u32_e64 s[34:35], 63, v70
	v_cmp_eq_u32_e64 s[38:39], 0, v70
	v_and_b32_e32 v70, 60, v113
	v_cmp_eq_u32_e64 s[40:41], 0, v32
	v_cmp_lt_u32_e64 s[42:43], 1, v32
	v_cmp_lt_u32_e64 s[44:45], 3, v32
	v_and_or_b32 v32, v50, 63, v52
	s_mov_b64 s[48:49], 0
	s_brev_b32 s55, 1
	v_add_u32_e32 v73, 32, v112
	v_cmp_lt_u32_e64 s[26:27], 31, v50
	s_mov_b32 s57, 64
	v_cmp_eq_u32_e64 s[36:37], 0, v50
	v_add_u32_e32 v76, -4, v70
	v_lshlrev_b32_e32 v77, 3, v32
	v_mov_b32_e32 v48, 0
	s_branch .LBB180_67
.LBB180_66:                             ;   in Loop: Header=BB180_67 Depth=1
	v_lshlrev_b32_e32 v16, 3, v84
	v_lshlrev_b32_e32 v17, 3, v83
	;; [unrolled: 1-line block ×8, first 2 shown]
	s_barrier
	ds_write_b64 v16, v[64:65]
	ds_write_b64 v17, v[62:63]
	;; [unrolled: 1-line block ×8, first 2 shown]
	s_waitcnt lgkmcnt(0)
	s_barrier
	ds_read2st64_b64 v[0:3], v77 offset1:1
	ds_read2st64_b64 v[4:7], v77 offset0:2 offset1:3
	ds_read2st64_b64 v[8:11], v77 offset0:4 offset1:5
	;; [unrolled: 1-line block ×3, first 2 shown]
	s_waitcnt lgkmcnt(0)
	s_barrier
	ds_write_b64 v16, v[46:47]
	ds_write_b64 v17, v[44:45]
	;; [unrolled: 1-line block ×8, first 2 shown]
	s_waitcnt lgkmcnt(0)
	s_barrier
	ds_read2st64_b64 v[16:19], v77 offset1:1
	ds_read2st64_b64 v[20:23], v77 offset0:2 offset1:3
	ds_read2st64_b64 v[24:27], v77 offset0:4 offset1:5
	;; [unrolled: 1-line block ×3, first 2 shown]
	s_add_u32 s48, s48, 8
	s_addc_u32 s49, s49, 0
	s_add_i32 s57, s57, -8
	s_waitcnt lgkmcnt(0)
	s_barrier
	s_cbranch_execz .LBB180_91
.LBB180_67:                             ; =>This Inner Loop Header: Depth=1
	v_pk_mov_b32 v[64:65], v[0:1], v[0:1] op_sel:[0,1]
	s_min_u32 s46, s56, s57
	v_cmp_ne_u64_e32 vcc, s[54:55], v[64:65]
	s_lshl_b32 s46, -1, s46
	v_cndmask_b32_e32 v1, v72, v65, vcc
	v_cndmask_b32_e32 v0, -1, v64, vcc
	s_not_b32 s59, s46
	v_lshrrev_b64 v[0:1], s48, v[0:1]
	v_and_b32_e32 v0, s59, v0
	v_lshl_add_u32 v1, v0, 3, v74
	v_pk_mov_b32 v[60:61], v[4:5], v[4:5] op_sel:[0,1]
	v_lshl_add_u32 v4, v1, 2, 32
	v_and_b32_e32 v1, 1, v0
	v_pk_mov_b32 v[62:63], v[2:3], v[2:3] op_sel:[0,1]
	v_add_co_u32_e32 v2, vcc, -1, v1
	v_addc_co_u32_e64 v3, s[46:47], 0, -1, vcc
	v_cmp_ne_u32_e32 vcc, 0, v1
	v_lshlrev_b32_e32 v49, 30, v0
	v_xor_b32_e32 v1, vcc_hi, v3
	v_not_b32_e32 v3, v49
	v_xor_b32_e32 v2, vcc_lo, v2
	v_cmp_gt_i64_e32 vcc, 0, v[48:49]
	v_ashrrev_i32_e32 v3, 31, v3
	v_and_b32_e32 v2, exec_lo, v2
	v_xor_b32_e32 v5, vcc_hi, v3
	v_xor_b32_e32 v3, vcc_lo, v3
	v_lshlrev_b32_e32 v49, 29, v0
	v_and_b32_e32 v2, v2, v3
	v_not_b32_e32 v3, v49
	v_and_b32_e32 v1, exec_hi, v1
	v_cmp_gt_i64_e32 vcc, 0, v[48:49]
	v_ashrrev_i32_e32 v3, 31, v3
	v_and_b32_e32 v1, v1, v5
	v_xor_b32_e32 v5, vcc_hi, v3
	v_xor_b32_e32 v3, vcc_lo, v3
	v_lshlrev_b32_e32 v49, 28, v0
	v_and_b32_e32 v2, v2, v3
	v_not_b32_e32 v3, v49
	v_cmp_gt_i64_e32 vcc, 0, v[48:49]
	v_ashrrev_i32_e32 v3, 31, v3
	v_and_b32_e32 v1, v1, v5
	v_xor_b32_e32 v5, vcc_hi, v3
	v_xor_b32_e32 v3, vcc_lo, v3
	v_lshlrev_b32_e32 v49, 27, v0
	v_and_b32_e32 v2, v2, v3
	v_not_b32_e32 v3, v49
	;; [unrolled: 8-line block ×3, first 2 shown]
	v_cmp_gt_i64_e32 vcc, 0, v[48:49]
	v_ashrrev_i32_e32 v3, 31, v3
	v_and_b32_e32 v1, v1, v5
	v_xor_b32_e32 v5, vcc_hi, v3
	v_xor_b32_e32 v3, vcc_lo, v3
	v_lshlrev_b32_e32 v49, 25, v0
	v_and_b32_e32 v2, v2, v3
	v_cmp_gt_i64_e32 vcc, 0, v[48:49]
	v_not_b32_e32 v3, v49
	v_lshlrev_b32_e32 v49, 24, v0
	v_ashrrev_i32_e32 v3, 31, v3
	v_not_b32_e32 v0, v49
	v_and_b32_e32 v1, v1, v5
	v_xor_b32_e32 v5, vcc_hi, v3
	v_xor_b32_e32 v3, vcc_lo, v3
	v_cmp_gt_i64_e32 vcc, 0, v[48:49]
	v_ashrrev_i32_e32 v0, 31, v0
	v_and_b32_e32 v2, v2, v3
	v_xor_b32_e32 v3, vcc_hi, v0
	v_xor_b32_e32 v0, vcc_lo, v0
	v_and_b32_e32 v1, v1, v5
	v_and_b32_e32 v0, v2, v0
	;; [unrolled: 1-line block ×3, first 2 shown]
	v_mbcnt_lo_u32_b32 v2, v0, 0
	v_mbcnt_hi_u32_b32 v5, v1, v2
	v_cmp_eq_u32_e32 vcc, 0, v5
	v_cmp_ne_u64_e64 s[46:47], 0, v[0:1]
	v_pk_mov_b32 v[50:51], v[14:15], v[14:15] op_sel:[0,1]
	v_pk_mov_b32 v[52:53], v[12:13], v[12:13] op_sel:[0,1]
	;; [unrolled: 1-line block ×13, first 2 shown]
	s_and_b64 s[60:61], s[46:47], vcc
	ds_write2_b32 v112, v48, v48 offset0:8 offset1:9
	ds_write2_b32 v73, v48, v48 offset0:2 offset1:3
	s_waitcnt lgkmcnt(0)
	s_barrier
	s_waitcnt lgkmcnt(0)
	; wave barrier
	s_and_saveexec_b64 s[46:47], s[60:61]
	s_cbranch_execz .LBB180_69
; %bb.68:                               ;   in Loop: Header=BB180_67 Depth=1
	v_bcnt_u32_b32 v0, v0, 0
	v_bcnt_u32_b32 v0, v1, v0
	ds_write_b32 v4, v0
.LBB180_69:                             ;   in Loop: Header=BB180_67 Depth=1
	s_or_b64 exec, exec, s[46:47]
	v_cmp_ne_u64_e32 vcc, s[54:55], v[62:63]
	v_cndmask_b32_e32 v1, v72, v63, vcc
	v_cndmask_b32_e32 v0, -1, v62, vcc
	v_lshrrev_b64 v[0:1], s48, v[0:1]
	v_and_b32_e32 v0, s59, v0
	v_lshlrev_b32_e32 v1, 3, v0
	v_add_lshl_u32 v1, v1, v74, 2
	; wave barrier
	v_add_u32_e32 v7, 32, v1
	ds_read_b32 v6, v1 offset:32
	v_and_b32_e32 v1, 1, v0
	v_add_co_u32_e32 v2, vcc, -1, v1
	v_addc_co_u32_e64 v3, s[46:47], 0, -1, vcc
	v_cmp_ne_u32_e32 vcc, 0, v1
	v_lshlrev_b32_e32 v49, 30, v0
	v_xor_b32_e32 v1, vcc_hi, v3
	v_not_b32_e32 v3, v49
	v_xor_b32_e32 v2, vcc_lo, v2
	v_cmp_gt_i64_e32 vcc, 0, v[48:49]
	v_ashrrev_i32_e32 v3, 31, v3
	v_and_b32_e32 v2, exec_lo, v2
	v_xor_b32_e32 v8, vcc_hi, v3
	v_xor_b32_e32 v3, vcc_lo, v3
	v_lshlrev_b32_e32 v49, 29, v0
	v_and_b32_e32 v2, v2, v3
	v_not_b32_e32 v3, v49
	v_and_b32_e32 v1, exec_hi, v1
	v_cmp_gt_i64_e32 vcc, 0, v[48:49]
	v_ashrrev_i32_e32 v3, 31, v3
	v_and_b32_e32 v1, v1, v8
	v_xor_b32_e32 v8, vcc_hi, v3
	v_xor_b32_e32 v3, vcc_lo, v3
	v_lshlrev_b32_e32 v49, 28, v0
	v_and_b32_e32 v2, v2, v3
	v_not_b32_e32 v3, v49
	v_cmp_gt_i64_e32 vcc, 0, v[48:49]
	v_ashrrev_i32_e32 v3, 31, v3
	v_and_b32_e32 v1, v1, v8
	v_xor_b32_e32 v8, vcc_hi, v3
	v_xor_b32_e32 v3, vcc_lo, v3
	v_lshlrev_b32_e32 v49, 27, v0
	v_and_b32_e32 v2, v2, v3
	v_not_b32_e32 v3, v49
	;; [unrolled: 8-line block ×3, first 2 shown]
	v_cmp_gt_i64_e32 vcc, 0, v[48:49]
	v_ashrrev_i32_e32 v3, 31, v3
	v_and_b32_e32 v1, v1, v8
	v_xor_b32_e32 v8, vcc_hi, v3
	v_xor_b32_e32 v3, vcc_lo, v3
	v_lshlrev_b32_e32 v49, 25, v0
	v_and_b32_e32 v2, v2, v3
	v_cmp_gt_i64_e32 vcc, 0, v[48:49]
	v_not_b32_e32 v3, v49
	v_lshlrev_b32_e32 v49, 24, v0
	v_ashrrev_i32_e32 v3, 31, v3
	v_not_b32_e32 v0, v49
	v_and_b32_e32 v1, v1, v8
	v_xor_b32_e32 v8, vcc_hi, v3
	v_xor_b32_e32 v3, vcc_lo, v3
	v_cmp_gt_i64_e32 vcc, 0, v[48:49]
	v_ashrrev_i32_e32 v0, 31, v0
	v_and_b32_e32 v2, v2, v3
	v_xor_b32_e32 v3, vcc_hi, v0
	v_xor_b32_e32 v0, vcc_lo, v0
	v_and_b32_e32 v1, v1, v8
	v_and_b32_e32 v0, v2, v0
	v_and_b32_e32 v1, v1, v3
	v_mbcnt_lo_u32_b32 v2, v0, 0
	v_mbcnt_hi_u32_b32 v8, v1, v2
	v_cmp_eq_u32_e32 vcc, 0, v8
	v_cmp_ne_u64_e64 s[46:47], 0, v[0:1]
	s_and_b64 s[60:61], s[46:47], vcc
	; wave barrier
	s_and_saveexec_b64 s[46:47], s[60:61]
	s_cbranch_execz .LBB180_71
; %bb.70:                               ;   in Loop: Header=BB180_67 Depth=1
	v_bcnt_u32_b32 v0, v0, 0
	v_bcnt_u32_b32 v0, v1, v0
	s_waitcnt lgkmcnt(0)
	v_add_u32_e32 v0, v6, v0
	ds_write_b32 v7, v0
.LBB180_71:                             ;   in Loop: Header=BB180_67 Depth=1
	s_or_b64 exec, exec, s[46:47]
	v_cmp_ne_u64_e32 vcc, s[54:55], v[60:61]
	v_cndmask_b32_e32 v1, v72, v61, vcc
	v_cndmask_b32_e32 v0, -1, v60, vcc
	v_lshrrev_b64 v[0:1], s48, v[0:1]
	v_and_b32_e32 v0, s59, v0
	v_lshlrev_b32_e32 v1, 3, v0
	v_add_lshl_u32 v1, v1, v74, 2
	; wave barrier
	v_add_u32_e32 v10, 32, v1
	ds_read_b32 v9, v1 offset:32
	v_and_b32_e32 v1, 1, v0
	v_add_co_u32_e32 v2, vcc, -1, v1
	v_addc_co_u32_e64 v3, s[46:47], 0, -1, vcc
	v_cmp_ne_u32_e32 vcc, 0, v1
	v_lshlrev_b32_e32 v49, 30, v0
	v_xor_b32_e32 v1, vcc_hi, v3
	v_not_b32_e32 v3, v49
	v_xor_b32_e32 v2, vcc_lo, v2
	v_cmp_gt_i64_e32 vcc, 0, v[48:49]
	v_ashrrev_i32_e32 v3, 31, v3
	v_and_b32_e32 v2, exec_lo, v2
	v_xor_b32_e32 v11, vcc_hi, v3
	v_xor_b32_e32 v3, vcc_lo, v3
	v_lshlrev_b32_e32 v49, 29, v0
	v_and_b32_e32 v2, v2, v3
	v_not_b32_e32 v3, v49
	v_and_b32_e32 v1, exec_hi, v1
	v_cmp_gt_i64_e32 vcc, 0, v[48:49]
	v_ashrrev_i32_e32 v3, 31, v3
	v_and_b32_e32 v1, v1, v11
	v_xor_b32_e32 v11, vcc_hi, v3
	v_xor_b32_e32 v3, vcc_lo, v3
	v_lshlrev_b32_e32 v49, 28, v0
	v_and_b32_e32 v2, v2, v3
	v_not_b32_e32 v3, v49
	v_cmp_gt_i64_e32 vcc, 0, v[48:49]
	v_ashrrev_i32_e32 v3, 31, v3
	v_and_b32_e32 v1, v1, v11
	v_xor_b32_e32 v11, vcc_hi, v3
	v_xor_b32_e32 v3, vcc_lo, v3
	v_lshlrev_b32_e32 v49, 27, v0
	v_and_b32_e32 v2, v2, v3
	v_not_b32_e32 v3, v49
	;; [unrolled: 8-line block ×3, first 2 shown]
	v_cmp_gt_i64_e32 vcc, 0, v[48:49]
	v_ashrrev_i32_e32 v3, 31, v3
	v_and_b32_e32 v1, v1, v11
	v_xor_b32_e32 v11, vcc_hi, v3
	v_xor_b32_e32 v3, vcc_lo, v3
	v_lshlrev_b32_e32 v49, 25, v0
	v_and_b32_e32 v2, v2, v3
	v_cmp_gt_i64_e32 vcc, 0, v[48:49]
	v_not_b32_e32 v3, v49
	v_lshlrev_b32_e32 v49, 24, v0
	v_ashrrev_i32_e32 v3, 31, v3
	v_not_b32_e32 v0, v49
	v_and_b32_e32 v1, v1, v11
	v_xor_b32_e32 v11, vcc_hi, v3
	v_xor_b32_e32 v3, vcc_lo, v3
	v_cmp_gt_i64_e32 vcc, 0, v[48:49]
	v_ashrrev_i32_e32 v0, 31, v0
	v_and_b32_e32 v2, v2, v3
	v_xor_b32_e32 v3, vcc_hi, v0
	v_xor_b32_e32 v0, vcc_lo, v0
	v_and_b32_e32 v1, v1, v11
	v_and_b32_e32 v0, v2, v0
	;; [unrolled: 1-line block ×3, first 2 shown]
	v_mbcnt_lo_u32_b32 v2, v0, 0
	v_mbcnt_hi_u32_b32 v11, v1, v2
	v_cmp_eq_u32_e32 vcc, 0, v11
	v_cmp_ne_u64_e64 s[46:47], 0, v[0:1]
	s_and_b64 s[60:61], s[46:47], vcc
	; wave barrier
	s_and_saveexec_b64 s[46:47], s[60:61]
	s_cbranch_execz .LBB180_73
; %bb.72:                               ;   in Loop: Header=BB180_67 Depth=1
	v_bcnt_u32_b32 v0, v0, 0
	v_bcnt_u32_b32 v0, v1, v0
	s_waitcnt lgkmcnt(0)
	v_add_u32_e32 v0, v9, v0
	ds_write_b32 v10, v0
.LBB180_73:                             ;   in Loop: Header=BB180_67 Depth=1
	s_or_b64 exec, exec, s[46:47]
	v_cmp_ne_u64_e32 vcc, s[54:55], v[58:59]
	v_cndmask_b32_e32 v1, v72, v59, vcc
	v_cndmask_b32_e32 v0, -1, v58, vcc
	v_lshrrev_b64 v[0:1], s48, v[0:1]
	v_and_b32_e32 v0, s59, v0
	v_lshlrev_b32_e32 v1, 3, v0
	v_add_lshl_u32 v1, v1, v74, 2
	; wave barrier
	v_add_u32_e32 v13, 32, v1
	ds_read_b32 v12, v1 offset:32
	v_and_b32_e32 v1, 1, v0
	v_add_co_u32_e32 v2, vcc, -1, v1
	v_addc_co_u32_e64 v3, s[46:47], 0, -1, vcc
	v_cmp_ne_u32_e32 vcc, 0, v1
	v_lshlrev_b32_e32 v49, 30, v0
	v_xor_b32_e32 v1, vcc_hi, v3
	v_not_b32_e32 v3, v49
	v_xor_b32_e32 v2, vcc_lo, v2
	v_cmp_gt_i64_e32 vcc, 0, v[48:49]
	v_ashrrev_i32_e32 v3, 31, v3
	v_and_b32_e32 v2, exec_lo, v2
	v_xor_b32_e32 v14, vcc_hi, v3
	v_xor_b32_e32 v3, vcc_lo, v3
	v_lshlrev_b32_e32 v49, 29, v0
	v_and_b32_e32 v2, v2, v3
	v_not_b32_e32 v3, v49
	v_and_b32_e32 v1, exec_hi, v1
	v_cmp_gt_i64_e32 vcc, 0, v[48:49]
	v_ashrrev_i32_e32 v3, 31, v3
	v_and_b32_e32 v1, v1, v14
	v_xor_b32_e32 v14, vcc_hi, v3
	v_xor_b32_e32 v3, vcc_lo, v3
	v_lshlrev_b32_e32 v49, 28, v0
	v_and_b32_e32 v2, v2, v3
	v_not_b32_e32 v3, v49
	v_cmp_gt_i64_e32 vcc, 0, v[48:49]
	v_ashrrev_i32_e32 v3, 31, v3
	v_and_b32_e32 v1, v1, v14
	v_xor_b32_e32 v14, vcc_hi, v3
	v_xor_b32_e32 v3, vcc_lo, v3
	v_lshlrev_b32_e32 v49, 27, v0
	v_and_b32_e32 v2, v2, v3
	v_not_b32_e32 v3, v49
	;; [unrolled: 8-line block ×3, first 2 shown]
	v_cmp_gt_i64_e32 vcc, 0, v[48:49]
	v_ashrrev_i32_e32 v3, 31, v3
	v_and_b32_e32 v1, v1, v14
	v_xor_b32_e32 v14, vcc_hi, v3
	v_xor_b32_e32 v3, vcc_lo, v3
	v_lshlrev_b32_e32 v49, 25, v0
	v_and_b32_e32 v2, v2, v3
	v_cmp_gt_i64_e32 vcc, 0, v[48:49]
	v_not_b32_e32 v3, v49
	v_lshlrev_b32_e32 v49, 24, v0
	v_ashrrev_i32_e32 v3, 31, v3
	v_not_b32_e32 v0, v49
	v_and_b32_e32 v1, v1, v14
	v_xor_b32_e32 v14, vcc_hi, v3
	v_xor_b32_e32 v3, vcc_lo, v3
	v_cmp_gt_i64_e32 vcc, 0, v[48:49]
	v_ashrrev_i32_e32 v0, 31, v0
	v_and_b32_e32 v2, v2, v3
	v_xor_b32_e32 v3, vcc_hi, v0
	v_xor_b32_e32 v0, vcc_lo, v0
	v_and_b32_e32 v1, v1, v14
	v_and_b32_e32 v0, v2, v0
	;; [unrolled: 1-line block ×3, first 2 shown]
	v_mbcnt_lo_u32_b32 v2, v0, 0
	v_mbcnt_hi_u32_b32 v14, v1, v2
	v_cmp_eq_u32_e32 vcc, 0, v14
	v_cmp_ne_u64_e64 s[46:47], 0, v[0:1]
	s_and_b64 s[60:61], s[46:47], vcc
	; wave barrier
	s_and_saveexec_b64 s[46:47], s[60:61]
	s_cbranch_execz .LBB180_75
; %bb.74:                               ;   in Loop: Header=BB180_67 Depth=1
	v_bcnt_u32_b32 v0, v0, 0
	v_bcnt_u32_b32 v0, v1, v0
	s_waitcnt lgkmcnt(0)
	v_add_u32_e32 v0, v12, v0
	ds_write_b32 v13, v0
.LBB180_75:                             ;   in Loop: Header=BB180_67 Depth=1
	s_or_b64 exec, exec, s[46:47]
	v_cmp_ne_u64_e32 vcc, s[54:55], v[56:57]
	v_cndmask_b32_e32 v1, v72, v57, vcc
	v_cndmask_b32_e32 v0, -1, v56, vcc
	v_lshrrev_b64 v[0:1], s48, v[0:1]
	v_and_b32_e32 v0, s59, v0
	v_lshlrev_b32_e32 v1, 3, v0
	v_add_lshl_u32 v1, v1, v74, 2
	; wave barrier
	v_add_u32_e32 v16, 32, v1
	ds_read_b32 v15, v1 offset:32
	v_and_b32_e32 v1, 1, v0
	v_add_co_u32_e32 v2, vcc, -1, v1
	v_addc_co_u32_e64 v3, s[46:47], 0, -1, vcc
	v_cmp_ne_u32_e32 vcc, 0, v1
	v_lshlrev_b32_e32 v49, 30, v0
	v_xor_b32_e32 v1, vcc_hi, v3
	v_not_b32_e32 v3, v49
	v_xor_b32_e32 v2, vcc_lo, v2
	v_cmp_gt_i64_e32 vcc, 0, v[48:49]
	v_ashrrev_i32_e32 v3, 31, v3
	v_and_b32_e32 v2, exec_lo, v2
	v_xor_b32_e32 v17, vcc_hi, v3
	v_xor_b32_e32 v3, vcc_lo, v3
	v_lshlrev_b32_e32 v49, 29, v0
	v_and_b32_e32 v2, v2, v3
	v_not_b32_e32 v3, v49
	v_and_b32_e32 v1, exec_hi, v1
	v_cmp_gt_i64_e32 vcc, 0, v[48:49]
	v_ashrrev_i32_e32 v3, 31, v3
	v_and_b32_e32 v1, v1, v17
	v_xor_b32_e32 v17, vcc_hi, v3
	v_xor_b32_e32 v3, vcc_lo, v3
	v_lshlrev_b32_e32 v49, 28, v0
	v_and_b32_e32 v2, v2, v3
	v_not_b32_e32 v3, v49
	v_cmp_gt_i64_e32 vcc, 0, v[48:49]
	v_ashrrev_i32_e32 v3, 31, v3
	v_and_b32_e32 v1, v1, v17
	v_xor_b32_e32 v17, vcc_hi, v3
	v_xor_b32_e32 v3, vcc_lo, v3
	v_lshlrev_b32_e32 v49, 27, v0
	v_and_b32_e32 v2, v2, v3
	v_not_b32_e32 v3, v49
	v_cmp_gt_i64_e32 vcc, 0, v[48:49]
	v_ashrrev_i32_e32 v3, 31, v3
	v_and_b32_e32 v1, v1, v17
	v_xor_b32_e32 v17, vcc_hi, v3
	v_xor_b32_e32 v3, vcc_lo, v3
	v_lshlrev_b32_e32 v49, 26, v0
	v_and_b32_e32 v2, v2, v3
	v_not_b32_e32 v3, v49
	v_cmp_gt_i64_e32 vcc, 0, v[48:49]
	v_ashrrev_i32_e32 v3, 31, v3
	v_and_b32_e32 v1, v1, v17
	v_xor_b32_e32 v17, vcc_hi, v3
	v_xor_b32_e32 v3, vcc_lo, v3
	v_lshlrev_b32_e32 v49, 25, v0
	v_and_b32_e32 v2, v2, v3
	v_cmp_gt_i64_e32 vcc, 0, v[48:49]
	v_not_b32_e32 v3, v49
	v_lshlrev_b32_e32 v49, 24, v0
	v_ashrrev_i32_e32 v3, 31, v3
	v_not_b32_e32 v0, v49
	v_and_b32_e32 v1, v1, v17
	v_xor_b32_e32 v17, vcc_hi, v3
	v_xor_b32_e32 v3, vcc_lo, v3
	v_cmp_gt_i64_e32 vcc, 0, v[48:49]
	v_ashrrev_i32_e32 v0, 31, v0
	v_and_b32_e32 v2, v2, v3
	v_xor_b32_e32 v3, vcc_hi, v0
	v_xor_b32_e32 v0, vcc_lo, v0
	v_and_b32_e32 v1, v1, v17
	v_and_b32_e32 v0, v2, v0
	;; [unrolled: 1-line block ×3, first 2 shown]
	v_mbcnt_lo_u32_b32 v2, v0, 0
	v_mbcnt_hi_u32_b32 v17, v1, v2
	v_cmp_eq_u32_e32 vcc, 0, v17
	v_cmp_ne_u64_e64 s[46:47], 0, v[0:1]
	s_and_b64 s[60:61], s[46:47], vcc
	; wave barrier
	s_and_saveexec_b64 s[46:47], s[60:61]
	s_cbranch_execz .LBB180_77
; %bb.76:                               ;   in Loop: Header=BB180_67 Depth=1
	v_bcnt_u32_b32 v0, v0, 0
	v_bcnt_u32_b32 v0, v1, v0
	s_waitcnt lgkmcnt(0)
	v_add_u32_e32 v0, v15, v0
	ds_write_b32 v16, v0
.LBB180_77:                             ;   in Loop: Header=BB180_67 Depth=1
	s_or_b64 exec, exec, s[46:47]
	v_cmp_ne_u64_e32 vcc, s[54:55], v[54:55]
	v_cndmask_b32_e32 v1, v72, v55, vcc
	v_cndmask_b32_e32 v0, -1, v54, vcc
	v_lshrrev_b64 v[0:1], s48, v[0:1]
	v_and_b32_e32 v0, s59, v0
	v_lshlrev_b32_e32 v1, 3, v0
	v_add_lshl_u32 v1, v1, v74, 2
	; wave barrier
	v_add_u32_e32 v19, 32, v1
	ds_read_b32 v18, v1 offset:32
	v_and_b32_e32 v1, 1, v0
	v_add_co_u32_e32 v2, vcc, -1, v1
	v_addc_co_u32_e64 v3, s[46:47], 0, -1, vcc
	v_cmp_ne_u32_e32 vcc, 0, v1
	v_lshlrev_b32_e32 v49, 30, v0
	v_xor_b32_e32 v1, vcc_hi, v3
	v_not_b32_e32 v3, v49
	v_xor_b32_e32 v2, vcc_lo, v2
	v_cmp_gt_i64_e32 vcc, 0, v[48:49]
	v_ashrrev_i32_e32 v3, 31, v3
	v_and_b32_e32 v2, exec_lo, v2
	v_xor_b32_e32 v20, vcc_hi, v3
	v_xor_b32_e32 v3, vcc_lo, v3
	v_lshlrev_b32_e32 v49, 29, v0
	v_and_b32_e32 v2, v2, v3
	v_not_b32_e32 v3, v49
	v_and_b32_e32 v1, exec_hi, v1
	v_cmp_gt_i64_e32 vcc, 0, v[48:49]
	v_ashrrev_i32_e32 v3, 31, v3
	v_and_b32_e32 v1, v1, v20
	v_xor_b32_e32 v20, vcc_hi, v3
	v_xor_b32_e32 v3, vcc_lo, v3
	v_lshlrev_b32_e32 v49, 28, v0
	v_and_b32_e32 v2, v2, v3
	v_not_b32_e32 v3, v49
	v_cmp_gt_i64_e32 vcc, 0, v[48:49]
	v_ashrrev_i32_e32 v3, 31, v3
	v_and_b32_e32 v1, v1, v20
	v_xor_b32_e32 v20, vcc_hi, v3
	v_xor_b32_e32 v3, vcc_lo, v3
	v_lshlrev_b32_e32 v49, 27, v0
	v_and_b32_e32 v2, v2, v3
	v_not_b32_e32 v3, v49
	v_cmp_gt_i64_e32 vcc, 0, v[48:49]
	v_ashrrev_i32_e32 v3, 31, v3
	v_and_b32_e32 v1, v1, v20
	v_xor_b32_e32 v20, vcc_hi, v3
	v_xor_b32_e32 v3, vcc_lo, v3
	v_lshlrev_b32_e32 v49, 26, v0
	v_and_b32_e32 v2, v2, v3
	v_not_b32_e32 v3, v49
	v_cmp_gt_i64_e32 vcc, 0, v[48:49]
	v_ashrrev_i32_e32 v3, 31, v3
	v_and_b32_e32 v1, v1, v20
	v_xor_b32_e32 v20, vcc_hi, v3
	v_xor_b32_e32 v3, vcc_lo, v3
	v_lshlrev_b32_e32 v49, 25, v0
	v_and_b32_e32 v2, v2, v3
	v_cmp_gt_i64_e32 vcc, 0, v[48:49]
	v_not_b32_e32 v3, v49
	v_lshlrev_b32_e32 v49, 24, v0
	v_ashrrev_i32_e32 v3, 31, v3
	v_not_b32_e32 v0, v49
	v_and_b32_e32 v1, v1, v20
	v_xor_b32_e32 v20, vcc_hi, v3
	v_xor_b32_e32 v3, vcc_lo, v3
	v_cmp_gt_i64_e32 vcc, 0, v[48:49]
	v_ashrrev_i32_e32 v0, 31, v0
	v_and_b32_e32 v2, v2, v3
	v_xor_b32_e32 v3, vcc_hi, v0
	v_xor_b32_e32 v0, vcc_lo, v0
	v_and_b32_e32 v1, v1, v20
	v_and_b32_e32 v0, v2, v0
	;; [unrolled: 1-line block ×3, first 2 shown]
	v_mbcnt_lo_u32_b32 v2, v0, 0
	v_mbcnt_hi_u32_b32 v20, v1, v2
	v_cmp_eq_u32_e32 vcc, 0, v20
	v_cmp_ne_u64_e64 s[46:47], 0, v[0:1]
	s_and_b64 s[60:61], s[46:47], vcc
	; wave barrier
	s_and_saveexec_b64 s[46:47], s[60:61]
	s_cbranch_execz .LBB180_79
; %bb.78:                               ;   in Loop: Header=BB180_67 Depth=1
	v_bcnt_u32_b32 v0, v0, 0
	v_bcnt_u32_b32 v0, v1, v0
	s_waitcnt lgkmcnt(0)
	v_add_u32_e32 v0, v18, v0
	ds_write_b32 v19, v0
.LBB180_79:                             ;   in Loop: Header=BB180_67 Depth=1
	s_or_b64 exec, exec, s[46:47]
	v_cmp_ne_u64_e32 vcc, s[54:55], v[52:53]
	v_cndmask_b32_e32 v1, v72, v53, vcc
	v_cndmask_b32_e32 v0, -1, v52, vcc
	v_lshrrev_b64 v[0:1], s48, v[0:1]
	v_and_b32_e32 v0, s59, v0
	v_lshlrev_b32_e32 v1, 3, v0
	v_add_lshl_u32 v1, v1, v74, 2
	; wave barrier
	v_add_u32_e32 v22, 32, v1
	ds_read_b32 v21, v1 offset:32
	v_and_b32_e32 v1, 1, v0
	v_add_co_u32_e32 v2, vcc, -1, v1
	v_addc_co_u32_e64 v3, s[46:47], 0, -1, vcc
	v_cmp_ne_u32_e32 vcc, 0, v1
	v_lshlrev_b32_e32 v49, 30, v0
	v_xor_b32_e32 v1, vcc_hi, v3
	v_not_b32_e32 v3, v49
	v_xor_b32_e32 v2, vcc_lo, v2
	v_cmp_gt_i64_e32 vcc, 0, v[48:49]
	v_ashrrev_i32_e32 v3, 31, v3
	v_and_b32_e32 v2, exec_lo, v2
	v_xor_b32_e32 v23, vcc_hi, v3
	v_xor_b32_e32 v3, vcc_lo, v3
	v_lshlrev_b32_e32 v49, 29, v0
	v_and_b32_e32 v2, v2, v3
	v_not_b32_e32 v3, v49
	v_and_b32_e32 v1, exec_hi, v1
	v_cmp_gt_i64_e32 vcc, 0, v[48:49]
	v_ashrrev_i32_e32 v3, 31, v3
	v_and_b32_e32 v1, v1, v23
	v_xor_b32_e32 v23, vcc_hi, v3
	v_xor_b32_e32 v3, vcc_lo, v3
	v_lshlrev_b32_e32 v49, 28, v0
	v_and_b32_e32 v2, v2, v3
	v_not_b32_e32 v3, v49
	v_cmp_gt_i64_e32 vcc, 0, v[48:49]
	v_ashrrev_i32_e32 v3, 31, v3
	v_and_b32_e32 v1, v1, v23
	v_xor_b32_e32 v23, vcc_hi, v3
	v_xor_b32_e32 v3, vcc_lo, v3
	v_lshlrev_b32_e32 v49, 27, v0
	v_and_b32_e32 v2, v2, v3
	v_not_b32_e32 v3, v49
	v_cmp_gt_i64_e32 vcc, 0, v[48:49]
	v_ashrrev_i32_e32 v3, 31, v3
	v_and_b32_e32 v1, v1, v23
	v_xor_b32_e32 v23, vcc_hi, v3
	v_xor_b32_e32 v3, vcc_lo, v3
	v_lshlrev_b32_e32 v49, 26, v0
	v_and_b32_e32 v2, v2, v3
	v_not_b32_e32 v3, v49
	v_cmp_gt_i64_e32 vcc, 0, v[48:49]
	v_ashrrev_i32_e32 v3, 31, v3
	v_and_b32_e32 v1, v1, v23
	v_xor_b32_e32 v23, vcc_hi, v3
	v_xor_b32_e32 v3, vcc_lo, v3
	v_lshlrev_b32_e32 v49, 25, v0
	v_and_b32_e32 v2, v2, v3
	v_cmp_gt_i64_e32 vcc, 0, v[48:49]
	v_not_b32_e32 v3, v49
	v_lshlrev_b32_e32 v49, 24, v0
	v_ashrrev_i32_e32 v3, 31, v3
	v_not_b32_e32 v0, v49
	v_and_b32_e32 v1, v1, v23
	v_xor_b32_e32 v23, vcc_hi, v3
	v_xor_b32_e32 v3, vcc_lo, v3
	v_cmp_gt_i64_e32 vcc, 0, v[48:49]
	v_ashrrev_i32_e32 v0, 31, v0
	v_and_b32_e32 v2, v2, v3
	v_xor_b32_e32 v3, vcc_hi, v0
	v_xor_b32_e32 v0, vcc_lo, v0
	v_and_b32_e32 v1, v1, v23
	v_and_b32_e32 v0, v2, v0
	;; [unrolled: 1-line block ×3, first 2 shown]
	v_mbcnt_lo_u32_b32 v2, v0, 0
	v_mbcnt_hi_u32_b32 v23, v1, v2
	v_cmp_eq_u32_e32 vcc, 0, v23
	v_cmp_ne_u64_e64 s[46:47], 0, v[0:1]
	s_and_b64 s[60:61], s[46:47], vcc
	; wave barrier
	s_and_saveexec_b64 s[46:47], s[60:61]
	s_cbranch_execz .LBB180_81
; %bb.80:                               ;   in Loop: Header=BB180_67 Depth=1
	v_bcnt_u32_b32 v0, v0, 0
	v_bcnt_u32_b32 v0, v1, v0
	s_waitcnt lgkmcnt(0)
	v_add_u32_e32 v0, v21, v0
	ds_write_b32 v22, v0
.LBB180_81:                             ;   in Loop: Header=BB180_67 Depth=1
	s_or_b64 exec, exec, s[46:47]
	v_cmp_ne_u64_e32 vcc, s[54:55], v[50:51]
	v_cndmask_b32_e32 v1, v72, v51, vcc
	v_cndmask_b32_e32 v0, -1, v50, vcc
	v_lshrrev_b64 v[0:1], s48, v[0:1]
	v_and_b32_e32 v0, s59, v0
	v_lshlrev_b32_e32 v1, 3, v0
	v_add_lshl_u32 v1, v1, v74, 2
	; wave barrier
	v_add_u32_e32 v25, 32, v1
	ds_read_b32 v24, v1 offset:32
	v_and_b32_e32 v1, 1, v0
	v_add_co_u32_e32 v2, vcc, -1, v1
	v_addc_co_u32_e64 v3, s[46:47], 0, -1, vcc
	v_cmp_ne_u32_e32 vcc, 0, v1
	v_lshlrev_b32_e32 v49, 30, v0
	v_xor_b32_e32 v1, vcc_hi, v3
	v_not_b32_e32 v3, v49
	v_xor_b32_e32 v2, vcc_lo, v2
	v_cmp_gt_i64_e32 vcc, 0, v[48:49]
	v_ashrrev_i32_e32 v3, 31, v3
	v_and_b32_e32 v2, exec_lo, v2
	v_xor_b32_e32 v26, vcc_hi, v3
	v_xor_b32_e32 v3, vcc_lo, v3
	v_lshlrev_b32_e32 v49, 29, v0
	v_and_b32_e32 v2, v2, v3
	v_not_b32_e32 v3, v49
	v_and_b32_e32 v1, exec_hi, v1
	v_cmp_gt_i64_e32 vcc, 0, v[48:49]
	v_ashrrev_i32_e32 v3, 31, v3
	v_and_b32_e32 v1, v1, v26
	v_xor_b32_e32 v26, vcc_hi, v3
	v_xor_b32_e32 v3, vcc_lo, v3
	v_lshlrev_b32_e32 v49, 28, v0
	v_and_b32_e32 v2, v2, v3
	v_not_b32_e32 v3, v49
	v_cmp_gt_i64_e32 vcc, 0, v[48:49]
	v_ashrrev_i32_e32 v3, 31, v3
	v_and_b32_e32 v1, v1, v26
	v_xor_b32_e32 v26, vcc_hi, v3
	v_xor_b32_e32 v3, vcc_lo, v3
	v_lshlrev_b32_e32 v49, 27, v0
	v_and_b32_e32 v2, v2, v3
	v_not_b32_e32 v3, v49
	;; [unrolled: 8-line block ×3, first 2 shown]
	v_cmp_gt_i64_e32 vcc, 0, v[48:49]
	v_ashrrev_i32_e32 v3, 31, v3
	v_and_b32_e32 v1, v1, v26
	v_xor_b32_e32 v26, vcc_hi, v3
	v_xor_b32_e32 v3, vcc_lo, v3
	v_lshlrev_b32_e32 v49, 25, v0
	v_and_b32_e32 v2, v2, v3
	v_cmp_gt_i64_e32 vcc, 0, v[48:49]
	v_not_b32_e32 v3, v49
	v_lshlrev_b32_e32 v49, 24, v0
	v_ashrrev_i32_e32 v3, 31, v3
	v_not_b32_e32 v0, v49
	v_and_b32_e32 v1, v1, v26
	v_xor_b32_e32 v26, vcc_hi, v3
	v_xor_b32_e32 v3, vcc_lo, v3
	v_cmp_gt_i64_e32 vcc, 0, v[48:49]
	v_ashrrev_i32_e32 v0, 31, v0
	v_and_b32_e32 v2, v2, v3
	v_xor_b32_e32 v3, vcc_hi, v0
	v_xor_b32_e32 v0, vcc_lo, v0
	v_and_b32_e32 v1, v1, v26
	v_and_b32_e32 v0, v2, v0
	;; [unrolled: 1-line block ×3, first 2 shown]
	v_mbcnt_lo_u32_b32 v2, v0, 0
	v_mbcnt_hi_u32_b32 v26, v1, v2
	v_cmp_eq_u32_e32 vcc, 0, v26
	v_cmp_ne_u64_e64 s[46:47], 0, v[0:1]
	s_and_b64 s[60:61], s[46:47], vcc
	; wave barrier
	s_and_saveexec_b64 s[46:47], s[60:61]
	s_cbranch_execz .LBB180_83
; %bb.82:                               ;   in Loop: Header=BB180_67 Depth=1
	v_bcnt_u32_b32 v0, v0, 0
	v_bcnt_u32_b32 v0, v1, v0
	s_waitcnt lgkmcnt(0)
	v_add_u32_e32 v0, v24, v0
	ds_write_b32 v25, v0
.LBB180_83:                             ;   in Loop: Header=BB180_67 Depth=1
	s_or_b64 exec, exec, s[46:47]
	; wave barrier
	s_waitcnt lgkmcnt(0)
	s_barrier
	ds_read2_b32 v[2:3], v112 offset0:8 offset1:9
	ds_read2_b32 v[0:1], v73 offset0:2 offset1:3
	s_waitcnt lgkmcnt(1)
	v_add_u32_e32 v27, v3, v2
	s_waitcnt lgkmcnt(0)
	v_add3_u32 v1, v27, v0, v1
	s_nop 1
	v_mov_b32_dpp v27, v1 row_shr:1 row_mask:0xf bank_mask:0xf
	v_cndmask_b32_e64 v27, v27, 0, s[16:17]
	v_add_u32_e32 v1, v27, v1
	s_nop 1
	v_mov_b32_dpp v27, v1 row_shr:2 row_mask:0xf bank_mask:0xf
	v_cndmask_b32_e64 v27, 0, v27, s[18:19]
	v_add_u32_e32 v1, v1, v27
	;; [unrolled: 4-line block ×4, first 2 shown]
	s_nop 1
	v_mov_b32_dpp v27, v1 row_bcast:15 row_mask:0xf bank_mask:0xf
	v_cndmask_b32_e64 v27, v27, 0, s[24:25]
	v_add_u32_e32 v1, v1, v27
	s_nop 1
	v_mov_b32_dpp v27, v1 row_bcast:31 row_mask:0xf bank_mask:0xf
	v_cndmask_b32_e64 v27, 0, v27, s[26:27]
	v_add_u32_e32 v1, v1, v27
	s_and_saveexec_b64 s[46:47], s[28:29]
	s_cbranch_execz .LBB180_85
; %bb.84:                               ;   in Loop: Header=BB180_67 Depth=1
	ds_write_b32 v70, v1
.LBB180_85:                             ;   in Loop: Header=BB180_67 Depth=1
	s_or_b64 exec, exec, s[46:47]
	s_waitcnt lgkmcnt(0)
	s_barrier
	s_and_saveexec_b64 s[46:47], s[30:31]
	s_cbranch_execz .LBB180_87
; %bb.86:                               ;   in Loop: Header=BB180_67 Depth=1
	ds_read_b32 v27, v69
	s_waitcnt lgkmcnt(0)
	s_nop 0
	v_mov_b32_dpp v28, v27 row_shr:1 row_mask:0xf bank_mask:0xf
	v_cndmask_b32_e64 v28, v28, 0, s[40:41]
	v_add_u32_e32 v27, v28, v27
	s_nop 1
	v_mov_b32_dpp v28, v27 row_shr:2 row_mask:0xf bank_mask:0xf
	v_cndmask_b32_e64 v28, 0, v28, s[42:43]
	v_add_u32_e32 v27, v27, v28
	;; [unrolled: 4-line block ×3, first 2 shown]
	ds_write_b32 v69, v27
.LBB180_87:                             ;   in Loop: Header=BB180_67 Depth=1
	s_or_b64 exec, exec, s[46:47]
	v_mov_b32_e32 v27, 0
	s_waitcnt lgkmcnt(0)
	s_barrier
	s_and_saveexec_b64 s[46:47], s[34:35]
	s_cbranch_execz .LBB180_89
; %bb.88:                               ;   in Loop: Header=BB180_67 Depth=1
	ds_read_b32 v27, v76
.LBB180_89:                             ;   in Loop: Header=BB180_67 Depth=1
	s_or_b64 exec, exec, s[46:47]
	s_waitcnt lgkmcnt(0)
	v_add_u32_e32 v1, v27, v1
	ds_bpermute_b32 v1, v75, v1
	s_cmp_gt_u32 s48, 55
	s_waitcnt lgkmcnt(0)
	v_cndmask_b32_e64 v1, v1, v27, s[36:37]
	v_cndmask_b32_e64 v1, v1, 0, s[38:39]
	v_add_u32_e32 v2, v1, v2
	v_add_u32_e32 v3, v2, v3
	v_add_u32_e32 v0, v3, v0
	ds_write2_b32 v112, v1, v2 offset0:8 offset1:9
	ds_write2_b32 v73, v3, v0 offset0:2 offset1:3
	s_waitcnt lgkmcnt(0)
	s_barrier
	ds_read_b32 v0, v4
	ds_read_b32 v1, v7
	;; [unrolled: 1-line block ×8, first 2 shown]
	s_waitcnt lgkmcnt(7)
	v_add_u32_e32 v84, v0, v5
	s_waitcnt lgkmcnt(6)
	v_add3_u32 v83, v8, v6, v1
	s_waitcnt lgkmcnt(5)
	v_add3_u32 v82, v11, v9, v2
	;; [unrolled: 2-line block ×7, first 2 shown]
	s_cbranch_scc0 .LBB180_66
; %bb.90:
                                        ; implicit-def: $vgpr14_vgpr15
                                        ; implicit-def: $vgpr10_vgpr11
                                        ; implicit-def: $vgpr6_vgpr7
                                        ; implicit-def: $vgpr2_vgpr3
                                        ; implicit-def: $vgpr30_vgpr31
                                        ; implicit-def: $vgpr26_vgpr27
                                        ; implicit-def: $vgpr22_vgpr23
                                        ; implicit-def: $vgpr18_vgpr19
                                        ; implicit-def: $sgpr48_sgpr49
                                        ; implicit-def: $sgpr57
.LBB180_91:
	v_lshlrev_b32_e32 v16, 3, v84
	v_lshlrev_b32_e32 v17, 3, v83
	;; [unrolled: 1-line block ×9, first 2 shown]
	s_barrier
	ds_write_b64 v16, v[64:65]
	ds_write_b64 v17, v[62:63]
	;; [unrolled: 1-line block ×8, first 2 shown]
	s_waitcnt lgkmcnt(0)
	s_barrier
	ds_read2_b64 v[0:3], v24 offset1:1
	ds_read2_b64 v[4:7], v24 offset0:2 offset1:3
	ds_read2_b64 v[8:11], v24 offset0:4 offset1:5
	;; [unrolled: 1-line block ×3, first 2 shown]
	s_waitcnt lgkmcnt(0)
	s_barrier
	ds_write_b64 v16, v[46:47]
	ds_write_b64 v17, v[44:45]
	;; [unrolled: 1-line block ×8, first 2 shown]
	v_ashrrev_i32_e32 v18, 31, v1
	v_not_b32_e32 v18, v18
	v_cmp_gt_i64_e32 vcc, 0, v[0:1]
	v_xor_b32_e32 v0, v18, v0
	v_ashrrev_i32_e32 v18, 31, v3
	v_bfrev_b32_e32 v16, -2
	v_not_b32_e32 v18, v18
	v_cndmask_b32_e64 v17, v16, 0, vcc
	v_cmp_gt_i64_e32 vcc, 0, v[2:3]
	v_xor_b32_e32 v2, v18, v2
	v_ashrrev_i32_e32 v18, 31, v5
	v_not_b32_e32 v18, v18
	v_xor_b32_e32 v1, v17, v1
	v_cndmask_b32_e64 v17, v16, 0, vcc
	v_cmp_gt_i64_e32 vcc, 0, v[4:5]
	v_xor_b32_e32 v4, v18, v4
	v_ashrrev_i32_e32 v18, 31, v7
	s_waitcnt lgkmcnt(0)
	s_barrier
	ds_read2_b64 v[50:53], v24 offset1:1
	ds_read2_b64 v[54:57], v24 offset0:2 offset1:3
	ds_read2_b64 v[58:61], v24 offset0:4 offset1:5
	;; [unrolled: 1-line block ×3, first 2 shown]
	v_xor_b32_e32 v3, v17, v3
	v_cndmask_b32_e64 v17, v16, 0, vcc
	v_cmp_gt_i64_e32 vcc, 0, v[6:7]
	v_not_b32_e32 v18, v18
	v_xor_b32_e32 v5, v17, v5
	v_cndmask_b32_e64 v17, v16, 0, vcc
	v_xor_b32_e32 v6, v18, v6
	v_cmp_gt_i64_e32 vcc, 0, v[8:9]
	v_ashrrev_i32_e32 v18, 31, v9
	v_xor_b32_e32 v7, v17, v7
	v_cndmask_b32_e64 v17, v16, 0, vcc
	v_not_b32_e32 v18, v18
	v_cmp_gt_i64_e32 vcc, 0, v[10:11]
	v_xor_b32_e32 v9, v17, v9
	v_xor_b32_e32 v8, v18, v8
	v_cndmask_b32_e64 v17, v16, 0, vcc
	v_ashrrev_i32_e32 v18, 31, v11
	v_cmp_gt_i64_e32 vcc, 0, v[12:13]
	v_not_b32_e32 v18, v18
	v_xor_b32_e32 v11, v17, v11
	v_cndmask_b32_e64 v17, v16, 0, vcc
	v_xor_b32_e32 v10, v18, v10
	v_ashrrev_i32_e32 v18, 31, v13
	v_xor_b32_e32 v13, v17, v13
	v_cmp_gt_i64_e32 vcc, 0, v[14:15]
	v_ashrrev_i32_e32 v17, 31, v15
	v_not_b32_e32 v18, v18
	v_cndmask_b32_e64 v16, v16, 0, vcc
	v_not_b32_e32 v17, v17
	v_xor_b32_e32 v12, v18, v12
	v_xor_b32_e32 v15, v16, v15
	;; [unrolled: 1-line block ×3, first 2 shown]
.LBB180_92:
	s_waitcnt lgkmcnt(0)
	s_barrier
	ds_write2_b64 v111, v[0:1], v[2:3] offset1:1
	ds_write2_b64 v111, v[4:5], v[6:7] offset0:2 offset1:3
	ds_write2_b64 v111, v[8:9], v[10:11] offset0:4 offset1:5
	;; [unrolled: 1-line block ×3, first 2 shown]
	s_waitcnt lgkmcnt(0)
	s_barrier
	ds_read_b64 v[14:15], v104 offset:4096
	ds_read_b64 v[12:13], v105 offset:8192
	;; [unrolled: 1-line block ×7, first 2 shown]
	v_mov_b32_e32 v67, 0
	v_lshlrev_b64 v[2:3], 3, v[66:67]
	v_mov_b32_e32 v16, s51
	v_add_co_u32_e32 v2, vcc, s33, v2
	v_addc_co_u32_e32 v3, vcc, v16, v3, vcc
	s_and_saveexec_b64 s[16:17], s[0:1]
	s_cbranch_execnz .LBB180_111
; %bb.93:
	s_or_b64 exec, exec, s[16:17]
	s_and_saveexec_b64 s[16:17], s[2:3]
	s_cbranch_execnz .LBB180_112
.LBB180_94:
	s_or_b64 exec, exec, s[16:17]
	s_and_saveexec_b64 s[16:17], s[4:5]
	s_cbranch_execnz .LBB180_113
.LBB180_95:
	s_or_b64 exec, exec, s[16:17]
	s_and_saveexec_b64 s[16:17], s[6:7]
	s_cbranch_execnz .LBB180_114
.LBB180_96:
	s_or_b64 exec, exec, s[16:17]
	s_and_saveexec_b64 s[16:17], s[8:9]
	s_cbranch_execnz .LBB180_115
.LBB180_97:
	s_or_b64 exec, exec, s[16:17]
	s_and_saveexec_b64 s[16:17], s[10:11]
	s_cbranch_execnz .LBB180_116
.LBB180_98:
	s_or_b64 exec, exec, s[16:17]
	s_and_saveexec_b64 s[16:17], s[12:13]
	s_cbranch_execnz .LBB180_117
.LBB180_99:
	s_or_b64 exec, exec, s[16:17]
	s_and_saveexec_b64 s[16:17], s[14:15]
	s_cbranch_execz .LBB180_101
.LBB180_100:
	s_mul_i32 s18, s50, 0xe00
	s_mov_b32 s19, 0
	s_lshl_b64 s[18:19], s[18:19], 3
	s_waitcnt lgkmcnt(1)
	v_mov_b32_e32 v4, s19
	v_add_co_u32_e32 v2, vcc, s18, v2
	v_addc_co_u32_e32 v3, vcc, v3, v4, vcc
	s_waitcnt lgkmcnt(0)
	global_store_dwordx2 v[2:3], v[0:1], off
.LBB180_101:
	s_or_b64 exec, exec, s[16:17]
	s_waitcnt lgkmcnt(0)
	s_barrier
	ds_write2_b64 v111, v[50:51], v[52:53] offset1:1
	ds_write2_b64 v111, v[54:55], v[56:57] offset0:2 offset1:3
	ds_write2_b64 v111, v[58:59], v[60:61] offset0:4 offset1:5
	;; [unrolled: 1-line block ×3, first 2 shown]
	s_waitcnt lgkmcnt(0)
	s_barrier
	ds_read_b64 v[14:15], v104 offset:4096
	ds_read_b64 v[12:13], v105 offset:8192
	;; [unrolled: 1-line block ×7, first 2 shown]
	v_mov_b32_e32 v69, 0
	v_lshlrev_b64 v[2:3], 3, v[68:69]
	v_mov_b32_e32 v16, s58
	v_add_co_u32_e32 v2, vcc, s53, v2
	v_addc_co_u32_e32 v3, vcc, v16, v3, vcc
	s_and_saveexec_b64 s[16:17], s[0:1]
	s_cbranch_execnz .LBB180_118
; %bb.102:
	s_or_b64 exec, exec, s[16:17]
	s_and_saveexec_b64 s[0:1], s[2:3]
	s_cbranch_execnz .LBB180_119
.LBB180_103:
	s_or_b64 exec, exec, s[0:1]
	s_and_saveexec_b64 s[0:1], s[4:5]
	s_cbranch_execnz .LBB180_120
.LBB180_104:
	s_or_b64 exec, exec, s[0:1]
	s_and_saveexec_b64 s[0:1], s[6:7]
	s_cbranch_execnz .LBB180_121
.LBB180_105:
	s_or_b64 exec, exec, s[0:1]
	s_and_saveexec_b64 s[0:1], s[8:9]
	s_cbranch_execnz .LBB180_122
.LBB180_106:
	s_or_b64 exec, exec, s[0:1]
	s_and_saveexec_b64 s[0:1], s[10:11]
	s_cbranch_execnz .LBB180_123
.LBB180_107:
	s_or_b64 exec, exec, s[0:1]
	s_and_saveexec_b64 s[0:1], s[12:13]
	s_cbranch_execnz .LBB180_124
.LBB180_108:
	s_or_b64 exec, exec, s[0:1]
	s_and_saveexec_b64 s[0:1], s[14:15]
	s_cbranch_execz .LBB180_110
.LBB180_109:
	s_mul_i32 s0, s52, 0xe00
	s_mov_b32 s1, 0
	s_lshl_b64 s[0:1], s[0:1], 3
	s_waitcnt lgkmcnt(1)
	v_mov_b32_e32 v4, s1
	v_add_co_u32_e32 v2, vcc, s0, v2
	v_addc_co_u32_e32 v3, vcc, v3, v4, vcc
	s_waitcnt lgkmcnt(0)
	global_store_dwordx2 v[2:3], v[0:1], off
.LBB180_110:
	s_endpgm
.LBB180_111:
	ds_read_b64 v[16:17], v71
	s_waitcnt lgkmcnt(0)
	global_store_dwordx2 v[2:3], v[16:17], off
	s_or_b64 exec, exec, s[16:17]
	s_and_saveexec_b64 s[16:17], s[2:3]
	s_cbranch_execz .LBB180_94
.LBB180_112:
	s_lshl_b32 s18, s50, 9
	s_mov_b32 s19, 0
	s_lshl_b64 s[18:19], s[18:19], 3
	v_mov_b32_e32 v17, s19
	v_add_co_u32_e32 v16, vcc, s18, v2
	v_addc_co_u32_e32 v17, vcc, v3, v17, vcc
	s_waitcnt lgkmcnt(6)
	global_store_dwordx2 v[16:17], v[14:15], off
	s_or_b64 exec, exec, s[16:17]
	s_and_saveexec_b64 s[16:17], s[4:5]
	s_cbranch_execz .LBB180_95
.LBB180_113:
	s_lshl_b32 s18, s50, 10
	s_mov_b32 s19, 0
	s_lshl_b64 s[18:19], s[18:19], 3
	s_waitcnt lgkmcnt(6)
	v_mov_b32_e32 v15, s19
	v_add_co_u32_e32 v14, vcc, s18, v2
	v_addc_co_u32_e32 v15, vcc, v3, v15, vcc
	s_waitcnt lgkmcnt(5)
	global_store_dwordx2 v[14:15], v[12:13], off
	s_or_b64 exec, exec, s[16:17]
	s_and_saveexec_b64 s[16:17], s[6:7]
	s_cbranch_execz .LBB180_96
.LBB180_114:
	s_mul_i32 s18, s50, 0x600
	s_mov_b32 s19, 0
	s_lshl_b64 s[18:19], s[18:19], 3
	s_waitcnt lgkmcnt(5)
	v_mov_b32_e32 v13, s19
	v_add_co_u32_e32 v12, vcc, s18, v2
	v_addc_co_u32_e32 v13, vcc, v3, v13, vcc
	s_waitcnt lgkmcnt(4)
	global_store_dwordx2 v[12:13], v[10:11], off
	s_or_b64 exec, exec, s[16:17]
	s_and_saveexec_b64 s[16:17], s[8:9]
	s_cbranch_execz .LBB180_97
.LBB180_115:
	s_lshl_b32 s18, s50, 11
	s_mov_b32 s19, 0
	s_lshl_b64 s[18:19], s[18:19], 3
	s_waitcnt lgkmcnt(4)
	v_mov_b32_e32 v11, s19
	v_add_co_u32_e32 v10, vcc, s18, v2
	v_addc_co_u32_e32 v11, vcc, v3, v11, vcc
	s_waitcnt lgkmcnt(3)
	global_store_dwordx2 v[10:11], v[8:9], off
	s_or_b64 exec, exec, s[16:17]
	s_and_saveexec_b64 s[16:17], s[10:11]
	s_cbranch_execz .LBB180_98
.LBB180_116:
	s_mul_i32 s18, s50, 0xa00
	s_mov_b32 s19, 0
	s_lshl_b64 s[18:19], s[18:19], 3
	s_waitcnt lgkmcnt(3)
	v_mov_b32_e32 v9, s19
	v_add_co_u32_e32 v8, vcc, s18, v2
	v_addc_co_u32_e32 v9, vcc, v3, v9, vcc
	s_waitcnt lgkmcnt(2)
	global_store_dwordx2 v[8:9], v[6:7], off
	s_or_b64 exec, exec, s[16:17]
	s_and_saveexec_b64 s[16:17], s[12:13]
	s_cbranch_execz .LBB180_99
.LBB180_117:
	s_mul_i32 s18, s50, 0xc00
	s_mov_b32 s19, 0
	s_lshl_b64 s[18:19], s[18:19], 3
	s_waitcnt lgkmcnt(2)
	v_mov_b32_e32 v7, s19
	v_add_co_u32_e32 v6, vcc, s18, v2
	v_addc_co_u32_e32 v7, vcc, v3, v7, vcc
	s_waitcnt lgkmcnt(1)
	global_store_dwordx2 v[6:7], v[4:5], off
	s_or_b64 exec, exec, s[16:17]
	s_and_saveexec_b64 s[16:17], s[14:15]
	s_cbranch_execnz .LBB180_100
	s_branch .LBB180_101
.LBB180_118:
	ds_read_b64 v[16:17], v71
	s_waitcnt lgkmcnt(0)
	global_store_dwordx2 v[2:3], v[16:17], off
	s_or_b64 exec, exec, s[16:17]
	s_and_saveexec_b64 s[0:1], s[2:3]
	s_cbranch_execz .LBB180_103
.LBB180_119:
	s_lshl_b32 s2, s52, 9
	s_mov_b32 s3, 0
	s_lshl_b64 s[2:3], s[2:3], 3
	v_mov_b32_e32 v17, s3
	v_add_co_u32_e32 v16, vcc, s2, v2
	v_addc_co_u32_e32 v17, vcc, v3, v17, vcc
	s_waitcnt lgkmcnt(6)
	global_store_dwordx2 v[16:17], v[14:15], off
	s_or_b64 exec, exec, s[0:1]
	s_and_saveexec_b64 s[0:1], s[4:5]
	s_cbranch_execz .LBB180_104
.LBB180_120:
	s_lshl_b32 s2, s52, 10
	s_mov_b32 s3, 0
	s_lshl_b64 s[2:3], s[2:3], 3
	s_waitcnt lgkmcnt(6)
	v_mov_b32_e32 v15, s3
	v_add_co_u32_e32 v14, vcc, s2, v2
	v_addc_co_u32_e32 v15, vcc, v3, v15, vcc
	s_waitcnt lgkmcnt(5)
	global_store_dwordx2 v[14:15], v[12:13], off
	s_or_b64 exec, exec, s[0:1]
	s_and_saveexec_b64 s[0:1], s[6:7]
	s_cbranch_execz .LBB180_105
.LBB180_121:
	s_mul_i32 s2, s52, 0x600
	s_mov_b32 s3, 0
	s_lshl_b64 s[2:3], s[2:3], 3
	s_waitcnt lgkmcnt(5)
	v_mov_b32_e32 v13, s3
	v_add_co_u32_e32 v12, vcc, s2, v2
	v_addc_co_u32_e32 v13, vcc, v3, v13, vcc
	s_waitcnt lgkmcnt(4)
	global_store_dwordx2 v[12:13], v[10:11], off
	s_or_b64 exec, exec, s[0:1]
	s_and_saveexec_b64 s[0:1], s[8:9]
	s_cbranch_execz .LBB180_106
.LBB180_122:
	s_lshl_b32 s2, s52, 11
	s_mov_b32 s3, 0
	s_lshl_b64 s[2:3], s[2:3], 3
	s_waitcnt lgkmcnt(4)
	v_mov_b32_e32 v11, s3
	v_add_co_u32_e32 v10, vcc, s2, v2
	v_addc_co_u32_e32 v11, vcc, v3, v11, vcc
	s_waitcnt lgkmcnt(3)
	global_store_dwordx2 v[10:11], v[8:9], off
	s_or_b64 exec, exec, s[0:1]
	s_and_saveexec_b64 s[0:1], s[10:11]
	s_cbranch_execz .LBB180_107
.LBB180_123:
	s_mul_i32 s2, s52, 0xa00
	s_mov_b32 s3, 0
	s_lshl_b64 s[2:3], s[2:3], 3
	s_waitcnt lgkmcnt(3)
	v_mov_b32_e32 v9, s3
	v_add_co_u32_e32 v8, vcc, s2, v2
	v_addc_co_u32_e32 v9, vcc, v3, v9, vcc
	s_waitcnt lgkmcnt(2)
	global_store_dwordx2 v[8:9], v[6:7], off
	s_or_b64 exec, exec, s[0:1]
	s_and_saveexec_b64 s[0:1], s[12:13]
	s_cbranch_execz .LBB180_108
.LBB180_124:
	s_mul_i32 s2, s52, 0xc00
	s_mov_b32 s3, 0
	s_lshl_b64 s[2:3], s[2:3], 3
	s_waitcnt lgkmcnt(2)
	v_mov_b32_e32 v7, s3
	v_add_co_u32_e32 v6, vcc, s2, v2
	v_addc_co_u32_e32 v7, vcc, v3, v7, vcc
	s_waitcnt lgkmcnt(1)
	global_store_dwordx2 v[6:7], v[4:5], off
	s_or_b64 exec, exec, s[0:1]
	s_and_saveexec_b64 s[0:1], s[14:15]
	s_cbranch_execnz .LBB180_109
	s_branch .LBB180_110
	.section	.rodata,"a",@progbits
	.p2align	6, 0x0
	.amdhsa_kernel _ZN2at6native18radixSortKVInPlaceILin2ELin1ELi512ELi8EdljEEvNS_4cuda6detail10TensorInfoIT3_T5_EES6_S6_S6_NS4_IT4_S6_EES6_b
		.amdhsa_group_segment_fixed_size 33792
		.amdhsa_private_segment_fixed_size 0
		.amdhsa_kernarg_size 712
		.amdhsa_user_sgpr_count 6
		.amdhsa_user_sgpr_private_segment_buffer 1
		.amdhsa_user_sgpr_dispatch_ptr 0
		.amdhsa_user_sgpr_queue_ptr 0
		.amdhsa_user_sgpr_kernarg_segment_ptr 1
		.amdhsa_user_sgpr_dispatch_id 0
		.amdhsa_user_sgpr_flat_scratch_init 0
		.amdhsa_user_sgpr_kernarg_preload_length 0
		.amdhsa_user_sgpr_kernarg_preload_offset 0
		.amdhsa_user_sgpr_private_segment_size 0
		.amdhsa_uses_dynamic_stack 0
		.amdhsa_system_sgpr_private_segment_wavefront_offset 0
		.amdhsa_system_sgpr_workgroup_id_x 1
		.amdhsa_system_sgpr_workgroup_id_y 1
		.amdhsa_system_sgpr_workgroup_id_z 1
		.amdhsa_system_sgpr_workgroup_info 0
		.amdhsa_system_vgpr_workitem_id 2
		.amdhsa_next_free_vgpr 139
		.amdhsa_next_free_sgpr 64
		.amdhsa_accum_offset 140
		.amdhsa_reserve_vcc 1
		.amdhsa_reserve_flat_scratch 0
		.amdhsa_float_round_mode_32 0
		.amdhsa_float_round_mode_16_64 0
		.amdhsa_float_denorm_mode_32 3
		.amdhsa_float_denorm_mode_16_64 3
		.amdhsa_dx10_clamp 1
		.amdhsa_ieee_mode 1
		.amdhsa_fp16_overflow 0
		.amdhsa_tg_split 0
		.amdhsa_exception_fp_ieee_invalid_op 0
		.amdhsa_exception_fp_denorm_src 0
		.amdhsa_exception_fp_ieee_div_zero 0
		.amdhsa_exception_fp_ieee_overflow 0
		.amdhsa_exception_fp_ieee_underflow 0
		.amdhsa_exception_fp_ieee_inexact 0
		.amdhsa_exception_int_div_zero 0
	.end_amdhsa_kernel
	.section	.text._ZN2at6native18radixSortKVInPlaceILin2ELin1ELi512ELi8EdljEEvNS_4cuda6detail10TensorInfoIT3_T5_EES6_S6_S6_NS4_IT4_S6_EES6_b,"axG",@progbits,_ZN2at6native18radixSortKVInPlaceILin2ELin1ELi512ELi8EdljEEvNS_4cuda6detail10TensorInfoIT3_T5_EES6_S6_S6_NS4_IT4_S6_EES6_b,comdat
.Lfunc_end180:
	.size	_ZN2at6native18radixSortKVInPlaceILin2ELin1ELi512ELi8EdljEEvNS_4cuda6detail10TensorInfoIT3_T5_EES6_S6_S6_NS4_IT4_S6_EES6_b, .Lfunc_end180-_ZN2at6native18radixSortKVInPlaceILin2ELin1ELi512ELi8EdljEEvNS_4cuda6detail10TensorInfoIT3_T5_EES6_S6_S6_NS4_IT4_S6_EES6_b
                                        ; -- End function
	.section	.AMDGPU.csdata,"",@progbits
; Kernel info:
; codeLenInByte = 13876
; NumSgprs: 68
; NumVgprs: 139
; NumAgprs: 0
; TotalNumVgprs: 139
; ScratchSize: 0
; MemoryBound: 0
; FloatMode: 240
; IeeeMode: 1
; LDSByteSize: 33792 bytes/workgroup (compile time only)
; SGPRBlocks: 8
; VGPRBlocks: 17
; NumSGPRsForWavesPerEU: 68
; NumVGPRsForWavesPerEU: 139
; AccumOffset: 140
; Occupancy: 2
; WaveLimiterHint : 1
; COMPUTE_PGM_RSRC2:SCRATCH_EN: 0
; COMPUTE_PGM_RSRC2:USER_SGPR: 6
; COMPUTE_PGM_RSRC2:TRAP_HANDLER: 0
; COMPUTE_PGM_RSRC2:TGID_X_EN: 1
; COMPUTE_PGM_RSRC2:TGID_Y_EN: 1
; COMPUTE_PGM_RSRC2:TGID_Z_EN: 1
; COMPUTE_PGM_RSRC2:TIDIG_COMP_CNT: 2
; COMPUTE_PGM_RSRC3_GFX90A:ACCUM_OFFSET: 34
; COMPUTE_PGM_RSRC3_GFX90A:TG_SPLIT: 0
	.section	.text._ZN2at6native18radixSortKVInPlaceILin2ELin1ELi256ELi8EdljEEvNS_4cuda6detail10TensorInfoIT3_T5_EES6_S6_S6_NS4_IT4_S6_EES6_b,"axG",@progbits,_ZN2at6native18radixSortKVInPlaceILin2ELin1ELi256ELi8EdljEEvNS_4cuda6detail10TensorInfoIT3_T5_EES6_S6_S6_NS4_IT4_S6_EES6_b,comdat
	.protected	_ZN2at6native18radixSortKVInPlaceILin2ELin1ELi256ELi8EdljEEvNS_4cuda6detail10TensorInfoIT3_T5_EES6_S6_S6_NS4_IT4_S6_EES6_b ; -- Begin function _ZN2at6native18radixSortKVInPlaceILin2ELin1ELi256ELi8EdljEEvNS_4cuda6detail10TensorInfoIT3_T5_EES6_S6_S6_NS4_IT4_S6_EES6_b
	.globl	_ZN2at6native18radixSortKVInPlaceILin2ELin1ELi256ELi8EdljEEvNS_4cuda6detail10TensorInfoIT3_T5_EES6_S6_S6_NS4_IT4_S6_EES6_b
	.p2align	8
	.type	_ZN2at6native18radixSortKVInPlaceILin2ELin1ELi256ELi8EdljEEvNS_4cuda6detail10TensorInfoIT3_T5_EES6_S6_S6_NS4_IT4_S6_EES6_b,@function
_ZN2at6native18radixSortKVInPlaceILin2ELin1ELi256ELi8EdljEEvNS_4cuda6detail10TensorInfoIT3_T5_EES6_S6_S6_NS4_IT4_S6_EES6_b: ; @_ZN2at6native18radixSortKVInPlaceILin2ELin1ELi256ELi8EdljEEvNS_4cuda6detail10TensorInfoIT3_T5_EES6_S6_S6_NS4_IT4_S6_EES6_b
; %bb.0:
	s_load_dwordx2 s[0:1], s[4:5], 0x1c8
	s_load_dwordx4 s[44:47], s[4:5], 0xd8
	s_add_u32 s50, s4, 0x1c8
	s_addc_u32 s51, s5, 0
	s_waitcnt lgkmcnt(0)
	s_mul_i32 s1, s1, s8
	s_add_i32 s1, s1, s7
	s_mul_i32 s0, s1, s0
	s_add_i32 s6, s0, s6
	s_cmp_ge_u32 s6, s44
	s_cbranch_scc1 .LBB181_110
; %bb.1:
	s_load_dword s2, s[4:5], 0x1b8
	s_load_dwordx2 s[0:1], s[4:5], 0x0
	s_add_u32 s22, s4, 0xe8
	s_addc_u32 s23, s5, 0
	s_mov_b32 s21, 0
	s_waitcnt lgkmcnt(0)
	s_cmp_lt_i32 s2, 2
	s_mov_b32 s20, s6
	s_cbranch_scc1 .LBB181_4
; %bb.2:
	s_add_i32 s20, s2, -1
	s_add_i32 s7, s2, 1
	s_lshl_b64 s[2:3], s[20:21], 2
	s_add_u32 s2, s2, s22
	s_addc_u32 s3, s3, s23
	s_add_u32 s2, s2, 8
	s_addc_u32 s3, s3, 0
	s_mov_b32 s20, s6
.LBB181_3:                              ; =>This Inner Loop Header: Depth=1
	s_load_dword s8, s[2:3], 0x0
	s_load_dword s10, s[2:3], 0x64
	s_mov_b32 s9, s20
	s_waitcnt lgkmcnt(0)
	v_cvt_f32_u32_e32 v1, s8
	s_sub_i32 s11, 0, s8
	v_rcp_iflag_f32_e32 v1, v1
	v_mul_f32_e32 v1, 0x4f7ffffe, v1
	v_cvt_u32_f32_e32 v1, v1
	v_readfirstlane_b32 s12, v1
	s_mul_i32 s11, s11, s12
	s_mul_hi_u32 s11, s12, s11
	s_add_i32 s12, s12, s11
	s_mul_hi_u32 s11, s20, s12
	s_mul_i32 s12, s11, s8
	s_sub_i32 s12, s20, s12
	s_add_i32 s13, s11, 1
	s_sub_i32 s14, s12, s8
	s_cmp_ge_u32 s12, s8
	s_cselect_b32 s11, s13, s11
	s_cselect_b32 s12, s14, s12
	s_add_i32 s13, s11, 1
	s_cmp_ge_u32 s12, s8
	s_cselect_b32 s20, s13, s11
	s_mul_i32 s8, s20, s8
	s_sub_i32 s8, s9, s8
	s_mul_i32 s8, s10, s8
	s_add_i32 s7, s7, -1
	s_add_i32 s21, s8, s21
	s_add_u32 s2, s2, -4
	s_addc_u32 s3, s3, -1
	s_cmp_gt_u32 s7, 2
	s_cbranch_scc1 .LBB181_3
.LBB181_4:
	s_load_dword s2, s[4:5], 0x6c
	s_load_dwordx2 s[48:49], s[4:5], 0x1c0
	s_mov_b32 s3, 0
	s_mov_b32 s4, -1
	v_and_b32_e32 v70, 0x3ff, v0
	s_waitcnt lgkmcnt(0)
	s_mul_i32 s2, s2, s6
	s_bitcmp1_b32 s49, 0
	s_cselect_b64 s[34:35], -1, 0
	s_and_b64 s[6:7], s[34:35], exec
	s_cselect_b32 s5, -1, 0x7fffffff
	s_lshl_b64 s[2:3], s[2:3], 3
	s_add_u32 s33, s0, s2
	s_mov_b32 s6, s4
	s_mov_b32 s7, s5
	;; [unrolled: 1-line block ×14, first 2 shown]
	v_pk_mov_b32 v[2:3], s[4:5], s[4:5] op_sel:[0,1]
	s_addc_u32 s47, s1, s3
	v_cmp_gt_u32_e64 s[0:1], s45, v70
	v_pk_mov_b32 v[4:5], s[6:7], s[6:7] op_sel:[0,1]
	v_pk_mov_b32 v[6:7], s[8:9], s[8:9] op_sel:[0,1]
	;; [unrolled: 1-line block ×8, first 2 shown]
	v_mul_lo_u32 v66, v70, s46
	s_and_saveexec_b64 s[2:3], s[0:1]
	s_cbranch_execz .LBB181_6
; %bb.5:
	v_mov_b32_e32 v67, 0
	v_lshlrev_b64 v[2:3], 3, v[66:67]
	v_mov_b32_e32 v1, s47
	v_add_co_u32_e32 v2, vcc, s33, v2
	v_addc_co_u32_e32 v3, vcc, v1, v3, vcc
	global_load_dwordx2 v[18:19], v[2:3], off
	v_pk_mov_b32 v[2:3], s[4:5], s[4:5] op_sel:[0,1]
	v_pk_mov_b32 v[4:5], s[6:7], s[6:7] op_sel:[0,1]
	;; [unrolled: 1-line block ×8, first 2 shown]
.LBB181_6:
	s_or_b64 exec, exec, s[2:3]
	v_add_u32_e32 v1, 0x100, v70
	v_cmp_gt_u32_e64 s[2:3], s45, v1
	s_and_saveexec_b64 s[4:5], s[2:3]
	s_cbranch_execz .LBB181_8
; %bb.7:
	v_mul_lo_u32 v2, v1, s46
	v_mov_b32_e32 v3, 0
	v_lshlrev_b64 v[2:3], 3, v[2:3]
	v_mov_b32_e32 v4, s47
	v_add_co_u32_e32 v2, vcc, s33, v2
	v_addc_co_u32_e32 v3, vcc, v4, v3, vcc
	global_load_dwordx2 v[4:5], v[2:3], off
.LBB181_8:
	s_or_b64 exec, exec, s[4:5]
	v_add_u32_e32 v34, 0x200, v70
	v_cmp_gt_u32_e64 s[4:5], s45, v34
	s_and_saveexec_b64 s[6:7], s[4:5]
	s_cbranch_execz .LBB181_10
; %bb.9:
	v_mul_lo_u32 v2, v34, s46
	v_mov_b32_e32 v3, 0
	v_lshlrev_b64 v[2:3], 3, v[2:3]
	v_mov_b32_e32 v6, s47
	v_add_co_u32_e32 v2, vcc, s33, v2
	v_addc_co_u32_e32 v3, vcc, v6, v3, vcc
	global_load_dwordx2 v[6:7], v[2:3], off
.LBB181_10:
	s_or_b64 exec, exec, s[6:7]
	v_add_u32_e32 v35, 0x300, v70
	v_cmp_gt_u32_e64 s[6:7], s45, v35
	s_and_saveexec_b64 s[8:9], s[6:7]
	s_cbranch_execz .LBB181_12
; %bb.11:
	v_mul_lo_u32 v2, v35, s46
	v_mov_b32_e32 v3, 0
	v_lshlrev_b64 v[2:3], 3, v[2:3]
	v_mov_b32_e32 v8, s47
	v_add_co_u32_e32 v2, vcc, s33, v2
	v_addc_co_u32_e32 v3, vcc, v8, v3, vcc
	global_load_dwordx2 v[8:9], v[2:3], off
.LBB181_12:
	s_or_b64 exec, exec, s[8:9]
	v_or_b32_e32 v36, 0x400, v70
	v_cmp_gt_u32_e64 s[8:9], s45, v36
	s_and_saveexec_b64 s[10:11], s[8:9]
	s_cbranch_execz .LBB181_14
; %bb.13:
	v_mul_lo_u32 v2, v36, s46
	v_mov_b32_e32 v3, 0
	v_lshlrev_b64 v[2:3], 3, v[2:3]
	v_mov_b32_e32 v10, s47
	v_add_co_u32_e32 v2, vcc, s33, v2
	v_addc_co_u32_e32 v3, vcc, v10, v3, vcc
	global_load_dwordx2 v[10:11], v[2:3], off
.LBB181_14:
	s_or_b64 exec, exec, s[10:11]
	v_add_u32_e32 v37, 0x500, v70
	v_cmp_gt_u32_e64 s[10:11], s45, v37
	s_and_saveexec_b64 s[12:13], s[10:11]
	s_cbranch_execz .LBB181_16
; %bb.15:
	v_mul_lo_u32 v2, v37, s46
	v_mov_b32_e32 v3, 0
	v_lshlrev_b64 v[2:3], 3, v[2:3]
	v_mov_b32_e32 v12, s47
	v_add_co_u32_e32 v2, vcc, s33, v2
	v_addc_co_u32_e32 v3, vcc, v12, v3, vcc
	global_load_dwordx2 v[12:13], v[2:3], off
.LBB181_16:
	s_or_b64 exec, exec, s[12:13]
	s_load_dwordx2 s[18:19], s[22:23], 0x0
	v_add_u32_e32 v38, 0x600, v70
	v_cmp_gt_u32_e64 s[12:13], s45, v38
	s_and_saveexec_b64 s[14:15], s[12:13]
	s_cbranch_execz .LBB181_18
; %bb.17:
	v_mul_lo_u32 v2, v38, s46
	v_mov_b32_e32 v3, 0
	v_lshlrev_b64 v[2:3], 3, v[2:3]
	v_mov_b32_e32 v14, s47
	v_add_co_u32_e32 v2, vcc, s33, v2
	v_addc_co_u32_e32 v3, vcc, v14, v3, vcc
	global_load_dwordx2 v[14:15], v[2:3], off
.LBB181_18:
	s_or_b64 exec, exec, s[14:15]
	s_load_dword s22, s[22:23], 0x6c
	v_add_u32_e32 v39, 0x700, v70
	v_cmp_gt_u32_e64 s[14:15], s45, v39
	s_and_saveexec_b64 s[16:17], s[14:15]
	s_cbranch_execz .LBB181_20
; %bb.19:
	v_mul_lo_u32 v2, v39, s46
	v_mov_b32_e32 v3, 0
	v_lshlrev_b64 v[2:3], 3, v[2:3]
	v_mov_b32_e32 v16, s47
	v_add_co_u32_e32 v2, vcc, s33, v2
	v_addc_co_u32_e32 v3, vcc, v16, v3, vcc
	global_load_dwordx2 v[16:17], v[2:3], off
.LBB181_20:
	s_or_b64 exec, exec, s[16:17]
	v_lshrrev_b32_e32 v2, 5, v70
	v_add_lshl_u32 v71, v2, v70, 3
	v_lshrrev_b32_e32 v2, 5, v1
	v_add_lshl_u32 v104, v2, v70, 3
	;; [unrolled: 2-line block ×8, first 2 shown]
	v_lshlrev_b32_e32 v67, 3, v70
	v_lshrrev_b32_e32 v2, 2, v70
	v_add_lshl_u32 v111, v2, v67, 3
	s_waitcnt vmcnt(0)
	ds_write_b64 v71, v[18:19]
	ds_write_b64 v104, v[4:5] offset:2048
	ds_write_b64 v105, v[6:7] offset:4096
	;; [unrolled: 1-line block ×7, first 2 shown]
	s_waitcnt lgkmcnt(0)
	s_barrier
	ds_read2_b64 v[30:33], v111 offset1:1
	ds_read2_b64 v[26:29], v111 offset0:2 offset1:3
	ds_read2_b64 v[22:25], v111 offset0:4 offset1:5
	;; [unrolled: 1-line block ×3, first 2 shown]
	s_mul_i32 s16, s22, s20
	s_add_i32 s16, s16, s21
	s_mov_b32 s17, 0
	s_lshl_b64 s[20:21], s[16:17], 3
	s_add_u32 s49, s18, s20
	s_mov_b32 s16, s17
	s_addc_u32 s56, s19, s21
	s_mov_b32 s18, s17
	s_mov_b32 s19, s17
	;; [unrolled: 1-line block ×14, first 2 shown]
	v_pk_mov_b32 v[2:3], s[16:17], s[16:17] op_sel:[0,1]
	v_pk_mov_b32 v[4:5], s[18:19], s[18:19] op_sel:[0,1]
	;; [unrolled: 1-line block ×8, first 2 shown]
	v_pk_mov_b32 v[2:3], 0, 0
	v_mul_lo_u32 v68, v70, s48
	s_waitcnt lgkmcnt(0)
	s_barrier
	s_and_saveexec_b64 s[16:17], s[0:1]
	s_cbranch_execnz .LBB181_57
; %bb.21:
	s_or_b64 exec, exec, s[16:17]
	s_and_saveexec_b64 s[16:17], s[2:3]
	s_cbranch_execnz .LBB181_58
.LBB181_22:
	s_or_b64 exec, exec, s[16:17]
	s_and_saveexec_b64 s[16:17], s[4:5]
	s_cbranch_execnz .LBB181_59
.LBB181_23:
	s_or_b64 exec, exec, s[16:17]
	s_and_saveexec_b64 s[16:17], s[6:7]
	s_cbranch_execnz .LBB181_60
.LBB181_24:
	s_or_b64 exec, exec, s[16:17]
	s_and_saveexec_b64 s[16:17], s[8:9]
	s_cbranch_execnz .LBB181_61
.LBB181_25:
	s_or_b64 exec, exec, s[16:17]
	s_and_saveexec_b64 s[16:17], s[10:11]
	s_cbranch_execnz .LBB181_62
.LBB181_26:
	s_or_b64 exec, exec, s[16:17]
	s_and_saveexec_b64 s[16:17], s[12:13]
	s_cbranch_execnz .LBB181_63
.LBB181_27:
	s_or_b64 exec, exec, s[16:17]
	s_xor_b64 s[16:17], s[34:35], -1
	s_and_saveexec_b64 s[18:19], s[14:15]
	s_cbranch_execz .LBB181_29
.LBB181_28:
	v_mul_lo_u32 v16, v39, s48
	v_mov_b32_e32 v17, 0
	v_lshlrev_b64 v[16:17], 3, v[16:17]
	v_mov_b32_e32 v1, s56
	v_add_co_u32_e32 v16, vcc, s49, v16
	v_addc_co_u32_e32 v17, vcc, v1, v17, vcc
	global_load_dwordx2 v[16:17], v[16:17], off
.LBB181_29:
	s_or_b64 exec, exec, s[18:19]
	s_waitcnt vmcnt(0)
	ds_write_b64 v71, v[2:3]
	ds_write_b64 v104, v[4:5] offset:2048
	ds_write_b64 v105, v[6:7] offset:4096
	;; [unrolled: 1-line block ×7, first 2 shown]
	s_waitcnt lgkmcnt(0)
	s_barrier
	ds_read2_b64 v[46:49], v111 offset1:1
	ds_read2_b64 v[42:45], v111 offset0:2 offset1:3
	ds_read2_b64 v[38:41], v111 offset0:4 offset1:5
	;; [unrolled: 1-line block ×3, first 2 shown]
	s_and_b64 vcc, exec, s[16:17]
	v_bfe_u32 v114, v0, 10, 10
	v_bfe_u32 v115, v0, 20, 10
	v_ashrrev_i32_e32 v124, 31, v31
	v_ashrrev_i32_e32 v123, 31, v33
	;; [unrolled: 1-line block ×8, first 2 shown]
	v_mbcnt_lo_u32_b32 v116, -1, 0
	v_lshlrev_b32_e32 v69, 2, v70
	v_lshlrev_b32_e32 v112, 4, v70
	v_cmp_gt_u32_e64 s[16:17], 4, v70
	v_cmp_lt_u32_e64 s[18:19], 63, v70
	v_cmp_eq_u32_e64 s[20:21], 0, v70
	v_lshrrev_b32_e32 v113, 4, v70
	s_waitcnt lgkmcnt(0)
	s_barrier
	s_cbranch_vccz .LBB181_64
; %bb.30:
	v_bfrev_b32_e32 v125, 1
	v_cmp_lt_i64_e32 vcc, -1, v[30:31]
	v_cndmask_b32_e32 v0, -1, v125, vcc
	v_cmp_lt_i64_e32 vcc, -1, v[32:33]
	v_cndmask_b32_e32 v2, -1, v125, vcc
	;; [unrolled: 2-line block ×7, first 2 shown]
	v_cmp_lt_i64_e32 vcc, -1, v[20:21]
	v_mbcnt_hi_u32_b32 v72, -1, v116
	v_and_b32_e32 v73, 0x3c0, v70
	v_xor_b32_e32 v1, v0, v31
	v_xor_b32_e32 v0, v124, v30
	;; [unrolled: 1-line block ×4, first 2 shown]
	v_cndmask_b32_e32 v14, -1, v125, vcc
	v_add_lshl_u32 v16, v72, v73, 6
	v_and_b32_e32 v74, 0x1e00, v67
	v_xor_b32_e32 v5, v4, v27
	v_xor_b32_e32 v4, v122, v26
	;; [unrolled: 1-line block ×12, first 2 shown]
	ds_write2_b64 v16, v[0:1], v[2:3] offset1:1
	ds_write2_b64 v16, v[4:5], v[6:7] offset0:2 offset1:3
	ds_write2_b64 v16, v[8:9], v[10:11] offset0:4 offset1:5
	;; [unrolled: 1-line block ×3, first 2 shown]
	v_or_b32_e32 v0, v72, v74
	v_lshlrev_b32_e32 v17, 3, v0
	; wave barrier
	ds_read2st64_b64 v[0:3], v17 offset1:1
	ds_read2st64_b64 v[4:7], v17 offset0:2 offset1:3
	ds_read2st64_b64 v[8:11], v17 offset0:4 offset1:5
	;; [unrolled: 1-line block ×3, first 2 shown]
	; wave barrier
	ds_write2_b64 v16, v[46:47], v[48:49] offset1:1
	ds_write2_b64 v16, v[42:43], v[44:45] offset0:2 offset1:3
	ds_write2_b64 v16, v[38:39], v[40:41] offset0:4 offset1:5
	;; [unrolled: 1-line block ×3, first 2 shown]
	; wave barrier
	ds_read2st64_b64 v[50:53], v17 offset1:1
	ds_read2st64_b64 v[54:57], v17 offset0:2 offset1:3
	ds_read2st64_b64 v[58:61], v17 offset0:4 offset1:5
	;; [unrolled: 1-line block ×3, first 2 shown]
	s_waitcnt lgkmcnt(0)
	s_barrier
	s_load_dword s24, s[50:51], 0xc
	s_getpc_b64 s[22:23]
	s_add_u32 s22, s22, _ZN7rocprim17ROCPRIM_400000_NS16block_radix_sortIdLj256ELj8ElLj1ELj1ELj0ELNS0_26block_radix_rank_algorithmE1ELNS0_18block_padding_hintE2ELNS0_4arch9wavefront6targetE1EE19radix_bits_per_passE@rel32@lo+4
	s_addc_u32 s23, s23, _ZN7rocprim17ROCPRIM_400000_NS16block_radix_sortIdLj256ELj8ElLj1ELj1ELj0ELNS0_26block_radix_rank_algorithmE1ELNS0_18block_padding_hintE2ELNS0_4arch9wavefront6targetE1EE19radix_bits_per_passE@rel32@hi+12
	s_load_dword s57, s[22:23], 0x0
	s_mov_b32 s52, -1
	v_and_b32_e32 v129, 60, v113
	s_waitcnt lgkmcnt(0)
	s_lshr_b32 s22, s24, 16
	s_and_b32 s23, s24, 0xffff
	v_mad_u32_u24 v16, v115, s22, v114
	v_mad_u64_u32 v[16:17], s[22:23], v16, s23, v[70:71]
	v_lshrrev_b32_e32 v127, 6, v16
	v_and_b32_e32 v16, 15, v72
	v_cmp_eq_u32_e64 s[22:23], 0, v16
	v_cmp_lt_u32_e64 s[24:25], 1, v16
	v_cmp_lt_u32_e64 s[26:27], 3, v16
	;; [unrolled: 1-line block ×3, first 2 shown]
	v_and_b32_e32 v16, 16, v72
	v_cmp_eq_u32_e64 s[30:31], 0, v16
	v_min_u32_e32 v16, 0xc0, v73
	v_or_b32_e32 v16, 63, v16
	v_cmp_eq_u32_e64 s[36:37], v16, v70
	v_add_u32_e32 v16, -1, v72
	v_and_b32_e32 v17, 64, v72
	v_cmp_lt_i32_e32 vcc, v16, v17
	v_cndmask_b32_e32 v16, v16, v72, vcc
	v_lshlrev_b32_e32 v128, 2, v16
	v_and_b32_e32 v16, 3, v72
	v_cmp_eq_u32_e64 s[40:41], 0, v16
	v_cmp_lt_u32_e64 s[42:43], 1, v16
	v_and_or_b32 v16, v72, 63, v74
	s_brev_b32 s53, -2
	v_add_u32_e32 v126, 16, v112
	v_cmp_lt_u32_e64 s[34:35], 31, v72
	s_mov_b32 s58, 64
	v_cmp_eq_u32_e64 s[38:39], 0, v72
	v_add_u32_e32 v130, -4, v129
	v_lshlrev_b32_e32 v131, 3, v16
	s_mov_b64 s[54:55], 0
	v_mov_b32_e32 v86, 0
	s_branch .LBB181_32
.LBB181_31:                             ;   in Loop: Header=BB181_32 Depth=1
	v_lshlrev_b32_e32 v50, 3, v138
	v_lshlrev_b32_e32 v51, 3, v137
	v_lshlrev_b32_e32 v52, 3, v136
	v_lshlrev_b32_e32 v53, 3, v135
	v_lshlrev_b32_e32 v54, 3, v134
	v_lshlrev_b32_e32 v55, 3, v132
	v_lshlrev_b32_e32 v56, 3, v87
	v_lshlrev_b32_e32 v57, 3, v133
	s_barrier
	ds_write_b64 v50, v[102:103]
	ds_write_b64 v51, v[100:101]
	;; [unrolled: 1-line block ×8, first 2 shown]
	s_waitcnt lgkmcnt(0)
	s_barrier
	ds_read2st64_b64 v[0:3], v131 offset1:1
	ds_read2st64_b64 v[4:7], v131 offset0:2 offset1:3
	ds_read2st64_b64 v[8:11], v131 offset0:4 offset1:5
	;; [unrolled: 1-line block ×3, first 2 shown]
	s_waitcnt lgkmcnt(0)
	s_barrier
	ds_write_b64 v50, v[84:85]
	ds_write_b64 v51, v[82:83]
	;; [unrolled: 1-line block ×8, first 2 shown]
	s_waitcnt lgkmcnt(0)
	s_barrier
	ds_read2st64_b64 v[50:53], v131 offset1:1
	ds_read2st64_b64 v[54:57], v131 offset0:2 offset1:3
	ds_read2st64_b64 v[58:61], v131 offset0:4 offset1:5
	;; [unrolled: 1-line block ×3, first 2 shown]
	s_add_u32 s54, s54, 8
	s_addc_u32 s55, s55, 0
	s_add_i32 s58, s58, -8
	s_waitcnt lgkmcnt(0)
	s_barrier
	s_cbranch_execz .LBB181_56
.LBB181_32:                             ; =>This Inner Loop Header: Depth=1
	v_pk_mov_b32 v[102:103], v[0:1], v[0:1] op_sel:[0,1]
	s_min_u32 s44, s57, s58
	v_cmp_ne_u64_e32 vcc, s[52:53], v[102:103]
	s_lshl_b32 s44, -1, s44
	v_cndmask_b32_e32 v1, v125, v103, vcc
	v_cndmask_b32_e32 v0, 0, v102, vcc
	s_not_b32 s59, s44
	v_lshrrev_b64 v[0:1], s54, v[0:1]
	v_and_b32_e32 v0, s59, v0
	v_lshl_add_u32 v1, v0, 2, v127
	v_pk_mov_b32 v[98:99], v[4:5], v[4:5] op_sel:[0,1]
	v_lshl_add_u32 v4, v1, 2, 16
	v_and_b32_e32 v1, 1, v0
	v_pk_mov_b32 v[100:101], v[2:3], v[2:3] op_sel:[0,1]
	v_add_co_u32_e32 v2, vcc, -1, v1
	v_addc_co_u32_e64 v3, s[44:45], 0, -1, vcc
	v_cmp_ne_u32_e32 vcc, 0, v1
	v_lshlrev_b32_e32 v87, 30, v0
	v_xor_b32_e32 v1, vcc_hi, v3
	v_not_b32_e32 v3, v87
	v_xor_b32_e32 v2, vcc_lo, v2
	v_cmp_gt_i64_e32 vcc, 0, v[86:87]
	v_ashrrev_i32_e32 v3, 31, v3
	v_and_b32_e32 v2, exec_lo, v2
	v_xor_b32_e32 v5, vcc_hi, v3
	v_xor_b32_e32 v3, vcc_lo, v3
	v_lshlrev_b32_e32 v87, 29, v0
	v_and_b32_e32 v2, v2, v3
	v_not_b32_e32 v3, v87
	v_and_b32_e32 v1, exec_hi, v1
	v_cmp_gt_i64_e32 vcc, 0, v[86:87]
	v_ashrrev_i32_e32 v3, 31, v3
	v_and_b32_e32 v1, v1, v5
	v_xor_b32_e32 v5, vcc_hi, v3
	v_xor_b32_e32 v3, vcc_lo, v3
	v_lshlrev_b32_e32 v87, 28, v0
	v_and_b32_e32 v2, v2, v3
	v_not_b32_e32 v3, v87
	v_cmp_gt_i64_e32 vcc, 0, v[86:87]
	v_ashrrev_i32_e32 v3, 31, v3
	v_and_b32_e32 v1, v1, v5
	v_xor_b32_e32 v5, vcc_hi, v3
	v_xor_b32_e32 v3, vcc_lo, v3
	v_lshlrev_b32_e32 v87, 27, v0
	v_and_b32_e32 v2, v2, v3
	v_not_b32_e32 v3, v87
	v_cmp_gt_i64_e32 vcc, 0, v[86:87]
	v_ashrrev_i32_e32 v3, 31, v3
	v_and_b32_e32 v1, v1, v5
	v_xor_b32_e32 v5, vcc_hi, v3
	v_xor_b32_e32 v3, vcc_lo, v3
	v_lshlrev_b32_e32 v87, 26, v0
	v_and_b32_e32 v2, v2, v3
	v_not_b32_e32 v3, v87
	v_cmp_gt_i64_e32 vcc, 0, v[86:87]
	v_ashrrev_i32_e32 v3, 31, v3
	v_and_b32_e32 v1, v1, v5
	v_xor_b32_e32 v5, vcc_hi, v3
	v_xor_b32_e32 v3, vcc_lo, v3
	v_lshlrev_b32_e32 v87, 25, v0
	v_and_b32_e32 v2, v2, v3
	v_cmp_gt_i64_e32 vcc, 0, v[86:87]
	v_not_b32_e32 v3, v87
	v_lshlrev_b32_e32 v87, 24, v0
	v_ashrrev_i32_e32 v3, 31, v3
	v_not_b32_e32 v0, v87
	v_and_b32_e32 v1, v1, v5
	v_xor_b32_e32 v5, vcc_hi, v3
	v_xor_b32_e32 v3, vcc_lo, v3
	v_cmp_gt_i64_e32 vcc, 0, v[86:87]
	v_ashrrev_i32_e32 v0, 31, v0
	v_and_b32_e32 v2, v2, v3
	v_xor_b32_e32 v3, vcc_hi, v0
	v_xor_b32_e32 v0, vcc_lo, v0
	v_and_b32_e32 v1, v1, v5
	v_and_b32_e32 v0, v2, v0
	;; [unrolled: 1-line block ×3, first 2 shown]
	v_mbcnt_lo_u32_b32 v2, v0, 0
	v_mbcnt_hi_u32_b32 v5, v1, v2
	v_cmp_eq_u32_e32 vcc, 0, v5
	v_cmp_ne_u64_e64 s[44:45], 0, v[0:1]
	v_pk_mov_b32 v[88:89], v[14:15], v[14:15] op_sel:[0,1]
	v_pk_mov_b32 v[90:91], v[12:13], v[12:13] op_sel:[0,1]
	;; [unrolled: 1-line block ×13, first 2 shown]
	s_and_b64 s[60:61], s[44:45], vcc
	ds_write2_b32 v112, v86, v86 offset0:4 offset1:5
	ds_write2_b32 v126, v86, v86 offset0:2 offset1:3
	s_waitcnt lgkmcnt(0)
	s_barrier
	s_waitcnt lgkmcnt(0)
	; wave barrier
	s_and_saveexec_b64 s[44:45], s[60:61]
	s_cbranch_execz .LBB181_34
; %bb.33:                               ;   in Loop: Header=BB181_32 Depth=1
	v_bcnt_u32_b32 v0, v0, 0
	v_bcnt_u32_b32 v0, v1, v0
	ds_write_b32 v4, v0
.LBB181_34:                             ;   in Loop: Header=BB181_32 Depth=1
	s_or_b64 exec, exec, s[44:45]
	v_cmp_ne_u64_e32 vcc, s[52:53], v[100:101]
	v_cndmask_b32_e32 v1, v125, v101, vcc
	v_cndmask_b32_e32 v0, 0, v100, vcc
	v_lshrrev_b64 v[0:1], s54, v[0:1]
	v_and_b32_e32 v0, s59, v0
	v_lshlrev_b32_e32 v1, 2, v0
	v_add_lshl_u32 v1, v1, v127, 2
	; wave barrier
	v_add_u32_e32 v7, 16, v1
	ds_read_b32 v6, v1 offset:16
	v_and_b32_e32 v1, 1, v0
	v_add_co_u32_e32 v2, vcc, -1, v1
	v_addc_co_u32_e64 v3, s[44:45], 0, -1, vcc
	v_cmp_ne_u32_e32 vcc, 0, v1
	v_lshlrev_b32_e32 v87, 30, v0
	v_xor_b32_e32 v1, vcc_hi, v3
	v_not_b32_e32 v3, v87
	v_xor_b32_e32 v2, vcc_lo, v2
	v_cmp_gt_i64_e32 vcc, 0, v[86:87]
	v_ashrrev_i32_e32 v3, 31, v3
	v_and_b32_e32 v2, exec_lo, v2
	v_xor_b32_e32 v8, vcc_hi, v3
	v_xor_b32_e32 v3, vcc_lo, v3
	v_lshlrev_b32_e32 v87, 29, v0
	v_and_b32_e32 v2, v2, v3
	v_not_b32_e32 v3, v87
	v_and_b32_e32 v1, exec_hi, v1
	v_cmp_gt_i64_e32 vcc, 0, v[86:87]
	v_ashrrev_i32_e32 v3, 31, v3
	v_and_b32_e32 v1, v1, v8
	v_xor_b32_e32 v8, vcc_hi, v3
	v_xor_b32_e32 v3, vcc_lo, v3
	v_lshlrev_b32_e32 v87, 28, v0
	v_and_b32_e32 v2, v2, v3
	v_not_b32_e32 v3, v87
	v_cmp_gt_i64_e32 vcc, 0, v[86:87]
	v_ashrrev_i32_e32 v3, 31, v3
	v_and_b32_e32 v1, v1, v8
	v_xor_b32_e32 v8, vcc_hi, v3
	v_xor_b32_e32 v3, vcc_lo, v3
	v_lshlrev_b32_e32 v87, 27, v0
	v_and_b32_e32 v2, v2, v3
	v_not_b32_e32 v3, v87
	;; [unrolled: 8-line block ×3, first 2 shown]
	v_cmp_gt_i64_e32 vcc, 0, v[86:87]
	v_ashrrev_i32_e32 v3, 31, v3
	v_and_b32_e32 v1, v1, v8
	v_xor_b32_e32 v8, vcc_hi, v3
	v_xor_b32_e32 v3, vcc_lo, v3
	v_lshlrev_b32_e32 v87, 25, v0
	v_and_b32_e32 v2, v2, v3
	v_cmp_gt_i64_e32 vcc, 0, v[86:87]
	v_not_b32_e32 v3, v87
	v_lshlrev_b32_e32 v87, 24, v0
	v_ashrrev_i32_e32 v3, 31, v3
	v_not_b32_e32 v0, v87
	v_and_b32_e32 v1, v1, v8
	v_xor_b32_e32 v8, vcc_hi, v3
	v_xor_b32_e32 v3, vcc_lo, v3
	v_cmp_gt_i64_e32 vcc, 0, v[86:87]
	v_ashrrev_i32_e32 v0, 31, v0
	v_and_b32_e32 v2, v2, v3
	v_xor_b32_e32 v3, vcc_hi, v0
	v_xor_b32_e32 v0, vcc_lo, v0
	v_and_b32_e32 v1, v1, v8
	v_and_b32_e32 v0, v2, v0
	;; [unrolled: 1-line block ×3, first 2 shown]
	v_mbcnt_lo_u32_b32 v2, v0, 0
	v_mbcnt_hi_u32_b32 v8, v1, v2
	v_cmp_eq_u32_e32 vcc, 0, v8
	v_cmp_ne_u64_e64 s[44:45], 0, v[0:1]
	s_and_b64 s[60:61], s[44:45], vcc
	; wave barrier
	s_and_saveexec_b64 s[44:45], s[60:61]
	s_cbranch_execz .LBB181_36
; %bb.35:                               ;   in Loop: Header=BB181_32 Depth=1
	v_bcnt_u32_b32 v0, v0, 0
	v_bcnt_u32_b32 v0, v1, v0
	s_waitcnt lgkmcnt(0)
	v_add_u32_e32 v0, v6, v0
	ds_write_b32 v7, v0
.LBB181_36:                             ;   in Loop: Header=BB181_32 Depth=1
	s_or_b64 exec, exec, s[44:45]
	v_cmp_ne_u64_e32 vcc, s[52:53], v[98:99]
	v_cndmask_b32_e32 v1, v125, v99, vcc
	v_cndmask_b32_e32 v0, 0, v98, vcc
	v_lshrrev_b64 v[0:1], s54, v[0:1]
	v_and_b32_e32 v0, s59, v0
	v_lshlrev_b32_e32 v1, 2, v0
	v_add_lshl_u32 v1, v1, v127, 2
	; wave barrier
	v_add_u32_e32 v10, 16, v1
	ds_read_b32 v9, v1 offset:16
	v_and_b32_e32 v1, 1, v0
	v_add_co_u32_e32 v2, vcc, -1, v1
	v_addc_co_u32_e64 v3, s[44:45], 0, -1, vcc
	v_cmp_ne_u32_e32 vcc, 0, v1
	v_lshlrev_b32_e32 v87, 30, v0
	v_xor_b32_e32 v1, vcc_hi, v3
	v_not_b32_e32 v3, v87
	v_xor_b32_e32 v2, vcc_lo, v2
	v_cmp_gt_i64_e32 vcc, 0, v[86:87]
	v_ashrrev_i32_e32 v3, 31, v3
	v_and_b32_e32 v2, exec_lo, v2
	v_xor_b32_e32 v11, vcc_hi, v3
	v_xor_b32_e32 v3, vcc_lo, v3
	v_lshlrev_b32_e32 v87, 29, v0
	v_and_b32_e32 v2, v2, v3
	v_not_b32_e32 v3, v87
	v_and_b32_e32 v1, exec_hi, v1
	v_cmp_gt_i64_e32 vcc, 0, v[86:87]
	v_ashrrev_i32_e32 v3, 31, v3
	v_and_b32_e32 v1, v1, v11
	v_xor_b32_e32 v11, vcc_hi, v3
	v_xor_b32_e32 v3, vcc_lo, v3
	v_lshlrev_b32_e32 v87, 28, v0
	v_and_b32_e32 v2, v2, v3
	v_not_b32_e32 v3, v87
	v_cmp_gt_i64_e32 vcc, 0, v[86:87]
	v_ashrrev_i32_e32 v3, 31, v3
	v_and_b32_e32 v1, v1, v11
	v_xor_b32_e32 v11, vcc_hi, v3
	v_xor_b32_e32 v3, vcc_lo, v3
	v_lshlrev_b32_e32 v87, 27, v0
	v_and_b32_e32 v2, v2, v3
	v_not_b32_e32 v3, v87
	;; [unrolled: 8-line block ×3, first 2 shown]
	v_cmp_gt_i64_e32 vcc, 0, v[86:87]
	v_ashrrev_i32_e32 v3, 31, v3
	v_and_b32_e32 v1, v1, v11
	v_xor_b32_e32 v11, vcc_hi, v3
	v_xor_b32_e32 v3, vcc_lo, v3
	v_lshlrev_b32_e32 v87, 25, v0
	v_and_b32_e32 v2, v2, v3
	v_cmp_gt_i64_e32 vcc, 0, v[86:87]
	v_not_b32_e32 v3, v87
	v_lshlrev_b32_e32 v87, 24, v0
	v_ashrrev_i32_e32 v3, 31, v3
	v_not_b32_e32 v0, v87
	v_and_b32_e32 v1, v1, v11
	v_xor_b32_e32 v11, vcc_hi, v3
	v_xor_b32_e32 v3, vcc_lo, v3
	v_cmp_gt_i64_e32 vcc, 0, v[86:87]
	v_ashrrev_i32_e32 v0, 31, v0
	v_and_b32_e32 v2, v2, v3
	v_xor_b32_e32 v3, vcc_hi, v0
	v_xor_b32_e32 v0, vcc_lo, v0
	v_and_b32_e32 v1, v1, v11
	v_and_b32_e32 v0, v2, v0
	;; [unrolled: 1-line block ×3, first 2 shown]
	v_mbcnt_lo_u32_b32 v2, v0, 0
	v_mbcnt_hi_u32_b32 v11, v1, v2
	v_cmp_eq_u32_e32 vcc, 0, v11
	v_cmp_ne_u64_e64 s[44:45], 0, v[0:1]
	s_and_b64 s[60:61], s[44:45], vcc
	; wave barrier
	s_and_saveexec_b64 s[44:45], s[60:61]
	s_cbranch_execz .LBB181_38
; %bb.37:                               ;   in Loop: Header=BB181_32 Depth=1
	v_bcnt_u32_b32 v0, v0, 0
	v_bcnt_u32_b32 v0, v1, v0
	s_waitcnt lgkmcnt(0)
	v_add_u32_e32 v0, v9, v0
	ds_write_b32 v10, v0
.LBB181_38:                             ;   in Loop: Header=BB181_32 Depth=1
	s_or_b64 exec, exec, s[44:45]
	v_cmp_ne_u64_e32 vcc, s[52:53], v[96:97]
	v_cndmask_b32_e32 v1, v125, v97, vcc
	v_cndmask_b32_e32 v0, 0, v96, vcc
	v_lshrrev_b64 v[0:1], s54, v[0:1]
	v_and_b32_e32 v0, s59, v0
	v_lshlrev_b32_e32 v1, 2, v0
	v_add_lshl_u32 v1, v1, v127, 2
	; wave barrier
	v_add_u32_e32 v13, 16, v1
	ds_read_b32 v12, v1 offset:16
	v_and_b32_e32 v1, 1, v0
	v_add_co_u32_e32 v2, vcc, -1, v1
	v_addc_co_u32_e64 v3, s[44:45], 0, -1, vcc
	v_cmp_ne_u32_e32 vcc, 0, v1
	v_lshlrev_b32_e32 v87, 30, v0
	v_xor_b32_e32 v1, vcc_hi, v3
	v_not_b32_e32 v3, v87
	v_xor_b32_e32 v2, vcc_lo, v2
	v_cmp_gt_i64_e32 vcc, 0, v[86:87]
	v_ashrrev_i32_e32 v3, 31, v3
	v_and_b32_e32 v2, exec_lo, v2
	v_xor_b32_e32 v14, vcc_hi, v3
	v_xor_b32_e32 v3, vcc_lo, v3
	v_lshlrev_b32_e32 v87, 29, v0
	v_and_b32_e32 v2, v2, v3
	v_not_b32_e32 v3, v87
	v_and_b32_e32 v1, exec_hi, v1
	v_cmp_gt_i64_e32 vcc, 0, v[86:87]
	v_ashrrev_i32_e32 v3, 31, v3
	v_and_b32_e32 v1, v1, v14
	v_xor_b32_e32 v14, vcc_hi, v3
	v_xor_b32_e32 v3, vcc_lo, v3
	v_lshlrev_b32_e32 v87, 28, v0
	v_and_b32_e32 v2, v2, v3
	v_not_b32_e32 v3, v87
	v_cmp_gt_i64_e32 vcc, 0, v[86:87]
	v_ashrrev_i32_e32 v3, 31, v3
	v_and_b32_e32 v1, v1, v14
	v_xor_b32_e32 v14, vcc_hi, v3
	v_xor_b32_e32 v3, vcc_lo, v3
	v_lshlrev_b32_e32 v87, 27, v0
	v_and_b32_e32 v2, v2, v3
	v_not_b32_e32 v3, v87
	;; [unrolled: 8-line block ×3, first 2 shown]
	v_cmp_gt_i64_e32 vcc, 0, v[86:87]
	v_ashrrev_i32_e32 v3, 31, v3
	v_and_b32_e32 v1, v1, v14
	v_xor_b32_e32 v14, vcc_hi, v3
	v_xor_b32_e32 v3, vcc_lo, v3
	v_lshlrev_b32_e32 v87, 25, v0
	v_and_b32_e32 v2, v2, v3
	v_cmp_gt_i64_e32 vcc, 0, v[86:87]
	v_not_b32_e32 v3, v87
	v_lshlrev_b32_e32 v87, 24, v0
	v_ashrrev_i32_e32 v3, 31, v3
	v_not_b32_e32 v0, v87
	v_and_b32_e32 v1, v1, v14
	v_xor_b32_e32 v14, vcc_hi, v3
	v_xor_b32_e32 v3, vcc_lo, v3
	v_cmp_gt_i64_e32 vcc, 0, v[86:87]
	v_ashrrev_i32_e32 v0, 31, v0
	v_and_b32_e32 v2, v2, v3
	v_xor_b32_e32 v3, vcc_hi, v0
	v_xor_b32_e32 v0, vcc_lo, v0
	v_and_b32_e32 v1, v1, v14
	v_and_b32_e32 v0, v2, v0
	;; [unrolled: 1-line block ×3, first 2 shown]
	v_mbcnt_lo_u32_b32 v2, v0, 0
	v_mbcnt_hi_u32_b32 v14, v1, v2
	v_cmp_eq_u32_e32 vcc, 0, v14
	v_cmp_ne_u64_e64 s[44:45], 0, v[0:1]
	s_and_b64 s[60:61], s[44:45], vcc
	; wave barrier
	s_and_saveexec_b64 s[44:45], s[60:61]
	s_cbranch_execz .LBB181_40
; %bb.39:                               ;   in Loop: Header=BB181_32 Depth=1
	v_bcnt_u32_b32 v0, v0, 0
	v_bcnt_u32_b32 v0, v1, v0
	s_waitcnt lgkmcnt(0)
	v_add_u32_e32 v0, v12, v0
	ds_write_b32 v13, v0
.LBB181_40:                             ;   in Loop: Header=BB181_32 Depth=1
	s_or_b64 exec, exec, s[44:45]
	v_cmp_ne_u64_e32 vcc, s[52:53], v[94:95]
	v_cndmask_b32_e32 v1, v125, v95, vcc
	v_cndmask_b32_e32 v0, 0, v94, vcc
	v_lshrrev_b64 v[0:1], s54, v[0:1]
	v_and_b32_e32 v0, s59, v0
	v_lshlrev_b32_e32 v1, 2, v0
	v_add_lshl_u32 v1, v1, v127, 2
	; wave barrier
	v_add_u32_e32 v50, 16, v1
	ds_read_b32 v15, v1 offset:16
	v_and_b32_e32 v1, 1, v0
	v_add_co_u32_e32 v2, vcc, -1, v1
	v_addc_co_u32_e64 v3, s[44:45], 0, -1, vcc
	v_cmp_ne_u32_e32 vcc, 0, v1
	v_lshlrev_b32_e32 v87, 30, v0
	v_xor_b32_e32 v1, vcc_hi, v3
	v_not_b32_e32 v3, v87
	v_xor_b32_e32 v2, vcc_lo, v2
	v_cmp_gt_i64_e32 vcc, 0, v[86:87]
	v_ashrrev_i32_e32 v3, 31, v3
	v_and_b32_e32 v2, exec_lo, v2
	v_xor_b32_e32 v51, vcc_hi, v3
	v_xor_b32_e32 v3, vcc_lo, v3
	v_lshlrev_b32_e32 v87, 29, v0
	v_and_b32_e32 v2, v2, v3
	v_not_b32_e32 v3, v87
	v_and_b32_e32 v1, exec_hi, v1
	v_cmp_gt_i64_e32 vcc, 0, v[86:87]
	v_ashrrev_i32_e32 v3, 31, v3
	v_and_b32_e32 v1, v1, v51
	v_xor_b32_e32 v51, vcc_hi, v3
	v_xor_b32_e32 v3, vcc_lo, v3
	v_lshlrev_b32_e32 v87, 28, v0
	v_and_b32_e32 v2, v2, v3
	v_not_b32_e32 v3, v87
	v_cmp_gt_i64_e32 vcc, 0, v[86:87]
	v_ashrrev_i32_e32 v3, 31, v3
	v_and_b32_e32 v1, v1, v51
	v_xor_b32_e32 v51, vcc_hi, v3
	v_xor_b32_e32 v3, vcc_lo, v3
	v_lshlrev_b32_e32 v87, 27, v0
	v_and_b32_e32 v2, v2, v3
	v_not_b32_e32 v3, v87
	;; [unrolled: 8-line block ×3, first 2 shown]
	v_cmp_gt_i64_e32 vcc, 0, v[86:87]
	v_ashrrev_i32_e32 v3, 31, v3
	v_and_b32_e32 v1, v1, v51
	v_xor_b32_e32 v51, vcc_hi, v3
	v_xor_b32_e32 v3, vcc_lo, v3
	v_lshlrev_b32_e32 v87, 25, v0
	v_and_b32_e32 v2, v2, v3
	v_cmp_gt_i64_e32 vcc, 0, v[86:87]
	v_not_b32_e32 v3, v87
	v_lshlrev_b32_e32 v87, 24, v0
	v_ashrrev_i32_e32 v3, 31, v3
	v_not_b32_e32 v0, v87
	v_and_b32_e32 v1, v1, v51
	v_xor_b32_e32 v51, vcc_hi, v3
	v_xor_b32_e32 v3, vcc_lo, v3
	v_cmp_gt_i64_e32 vcc, 0, v[86:87]
	v_ashrrev_i32_e32 v0, 31, v0
	v_and_b32_e32 v2, v2, v3
	v_xor_b32_e32 v3, vcc_hi, v0
	v_xor_b32_e32 v0, vcc_lo, v0
	v_and_b32_e32 v1, v1, v51
	v_and_b32_e32 v0, v2, v0
	;; [unrolled: 1-line block ×3, first 2 shown]
	v_mbcnt_lo_u32_b32 v2, v0, 0
	v_mbcnt_hi_u32_b32 v51, v1, v2
	v_cmp_eq_u32_e32 vcc, 0, v51
	v_cmp_ne_u64_e64 s[44:45], 0, v[0:1]
	s_and_b64 s[60:61], s[44:45], vcc
	; wave barrier
	s_and_saveexec_b64 s[44:45], s[60:61]
	s_cbranch_execz .LBB181_42
; %bb.41:                               ;   in Loop: Header=BB181_32 Depth=1
	v_bcnt_u32_b32 v0, v0, 0
	v_bcnt_u32_b32 v0, v1, v0
	s_waitcnt lgkmcnt(0)
	v_add_u32_e32 v0, v15, v0
	ds_write_b32 v50, v0
.LBB181_42:                             ;   in Loop: Header=BB181_32 Depth=1
	s_or_b64 exec, exec, s[44:45]
	v_cmp_ne_u64_e32 vcc, s[52:53], v[92:93]
	v_cndmask_b32_e32 v1, v125, v93, vcc
	v_cndmask_b32_e32 v0, 0, v92, vcc
	v_lshrrev_b64 v[0:1], s54, v[0:1]
	v_and_b32_e32 v0, s59, v0
	v_lshlrev_b32_e32 v1, 2, v0
	v_add_lshl_u32 v1, v1, v127, 2
	; wave barrier
	v_add_u32_e32 v53, 16, v1
	ds_read_b32 v52, v1 offset:16
	v_and_b32_e32 v1, 1, v0
	v_add_co_u32_e32 v2, vcc, -1, v1
	v_addc_co_u32_e64 v3, s[44:45], 0, -1, vcc
	v_cmp_ne_u32_e32 vcc, 0, v1
	v_lshlrev_b32_e32 v87, 30, v0
	v_xor_b32_e32 v1, vcc_hi, v3
	v_not_b32_e32 v3, v87
	v_xor_b32_e32 v2, vcc_lo, v2
	v_cmp_gt_i64_e32 vcc, 0, v[86:87]
	v_ashrrev_i32_e32 v3, 31, v3
	v_and_b32_e32 v2, exec_lo, v2
	v_xor_b32_e32 v54, vcc_hi, v3
	v_xor_b32_e32 v3, vcc_lo, v3
	v_lshlrev_b32_e32 v87, 29, v0
	v_and_b32_e32 v2, v2, v3
	v_not_b32_e32 v3, v87
	v_and_b32_e32 v1, exec_hi, v1
	v_cmp_gt_i64_e32 vcc, 0, v[86:87]
	v_ashrrev_i32_e32 v3, 31, v3
	v_and_b32_e32 v1, v1, v54
	v_xor_b32_e32 v54, vcc_hi, v3
	v_xor_b32_e32 v3, vcc_lo, v3
	v_lshlrev_b32_e32 v87, 28, v0
	v_and_b32_e32 v2, v2, v3
	v_not_b32_e32 v3, v87
	v_cmp_gt_i64_e32 vcc, 0, v[86:87]
	v_ashrrev_i32_e32 v3, 31, v3
	v_and_b32_e32 v1, v1, v54
	v_xor_b32_e32 v54, vcc_hi, v3
	v_xor_b32_e32 v3, vcc_lo, v3
	v_lshlrev_b32_e32 v87, 27, v0
	v_and_b32_e32 v2, v2, v3
	v_not_b32_e32 v3, v87
	v_cmp_gt_i64_e32 vcc, 0, v[86:87]
	v_ashrrev_i32_e32 v3, 31, v3
	v_and_b32_e32 v1, v1, v54
	v_xor_b32_e32 v54, vcc_hi, v3
	v_xor_b32_e32 v3, vcc_lo, v3
	v_lshlrev_b32_e32 v87, 26, v0
	v_and_b32_e32 v2, v2, v3
	v_not_b32_e32 v3, v87
	v_cmp_gt_i64_e32 vcc, 0, v[86:87]
	v_ashrrev_i32_e32 v3, 31, v3
	v_and_b32_e32 v1, v1, v54
	v_xor_b32_e32 v54, vcc_hi, v3
	v_xor_b32_e32 v3, vcc_lo, v3
	v_lshlrev_b32_e32 v87, 25, v0
	v_and_b32_e32 v2, v2, v3
	v_cmp_gt_i64_e32 vcc, 0, v[86:87]
	v_not_b32_e32 v3, v87
	v_lshlrev_b32_e32 v87, 24, v0
	v_ashrrev_i32_e32 v3, 31, v3
	v_not_b32_e32 v0, v87
	v_and_b32_e32 v1, v1, v54
	v_xor_b32_e32 v54, vcc_hi, v3
	v_xor_b32_e32 v3, vcc_lo, v3
	v_cmp_gt_i64_e32 vcc, 0, v[86:87]
	v_ashrrev_i32_e32 v0, 31, v0
	v_and_b32_e32 v2, v2, v3
	v_xor_b32_e32 v3, vcc_hi, v0
	v_xor_b32_e32 v0, vcc_lo, v0
	v_and_b32_e32 v1, v1, v54
	v_and_b32_e32 v0, v2, v0
	;; [unrolled: 1-line block ×3, first 2 shown]
	v_mbcnt_lo_u32_b32 v2, v0, 0
	v_mbcnt_hi_u32_b32 v54, v1, v2
	v_cmp_eq_u32_e32 vcc, 0, v54
	v_cmp_ne_u64_e64 s[44:45], 0, v[0:1]
	s_and_b64 s[60:61], s[44:45], vcc
	; wave barrier
	s_and_saveexec_b64 s[44:45], s[60:61]
	s_cbranch_execz .LBB181_44
; %bb.43:                               ;   in Loop: Header=BB181_32 Depth=1
	v_bcnt_u32_b32 v0, v0, 0
	v_bcnt_u32_b32 v0, v1, v0
	s_waitcnt lgkmcnt(0)
	v_add_u32_e32 v0, v52, v0
	ds_write_b32 v53, v0
.LBB181_44:                             ;   in Loop: Header=BB181_32 Depth=1
	s_or_b64 exec, exec, s[44:45]
	v_cmp_ne_u64_e32 vcc, s[52:53], v[90:91]
	v_cndmask_b32_e32 v1, v125, v91, vcc
	v_cndmask_b32_e32 v0, 0, v90, vcc
	v_lshrrev_b64 v[0:1], s54, v[0:1]
	v_and_b32_e32 v0, s59, v0
	v_lshlrev_b32_e32 v1, 2, v0
	v_add_lshl_u32 v1, v1, v127, 2
	; wave barrier
	v_add_u32_e32 v56, 16, v1
	ds_read_b32 v55, v1 offset:16
	v_and_b32_e32 v1, 1, v0
	v_add_co_u32_e32 v2, vcc, -1, v1
	v_addc_co_u32_e64 v3, s[44:45], 0, -1, vcc
	v_cmp_ne_u32_e32 vcc, 0, v1
	v_lshlrev_b32_e32 v87, 30, v0
	v_xor_b32_e32 v1, vcc_hi, v3
	v_not_b32_e32 v3, v87
	v_xor_b32_e32 v2, vcc_lo, v2
	v_cmp_gt_i64_e32 vcc, 0, v[86:87]
	v_ashrrev_i32_e32 v3, 31, v3
	v_and_b32_e32 v2, exec_lo, v2
	v_xor_b32_e32 v57, vcc_hi, v3
	v_xor_b32_e32 v3, vcc_lo, v3
	v_lshlrev_b32_e32 v87, 29, v0
	v_and_b32_e32 v2, v2, v3
	v_not_b32_e32 v3, v87
	v_and_b32_e32 v1, exec_hi, v1
	v_cmp_gt_i64_e32 vcc, 0, v[86:87]
	v_ashrrev_i32_e32 v3, 31, v3
	v_and_b32_e32 v1, v1, v57
	v_xor_b32_e32 v57, vcc_hi, v3
	v_xor_b32_e32 v3, vcc_lo, v3
	v_lshlrev_b32_e32 v87, 28, v0
	v_and_b32_e32 v2, v2, v3
	v_not_b32_e32 v3, v87
	v_cmp_gt_i64_e32 vcc, 0, v[86:87]
	v_ashrrev_i32_e32 v3, 31, v3
	v_and_b32_e32 v1, v1, v57
	v_xor_b32_e32 v57, vcc_hi, v3
	v_xor_b32_e32 v3, vcc_lo, v3
	v_lshlrev_b32_e32 v87, 27, v0
	v_and_b32_e32 v2, v2, v3
	v_not_b32_e32 v3, v87
	v_cmp_gt_i64_e32 vcc, 0, v[86:87]
	v_ashrrev_i32_e32 v3, 31, v3
	v_and_b32_e32 v1, v1, v57
	v_xor_b32_e32 v57, vcc_hi, v3
	v_xor_b32_e32 v3, vcc_lo, v3
	v_lshlrev_b32_e32 v87, 26, v0
	v_and_b32_e32 v2, v2, v3
	v_not_b32_e32 v3, v87
	v_cmp_gt_i64_e32 vcc, 0, v[86:87]
	v_ashrrev_i32_e32 v3, 31, v3
	v_and_b32_e32 v1, v1, v57
	v_xor_b32_e32 v57, vcc_hi, v3
	v_xor_b32_e32 v3, vcc_lo, v3
	v_lshlrev_b32_e32 v87, 25, v0
	v_and_b32_e32 v2, v2, v3
	v_cmp_gt_i64_e32 vcc, 0, v[86:87]
	v_not_b32_e32 v3, v87
	v_lshlrev_b32_e32 v87, 24, v0
	v_ashrrev_i32_e32 v3, 31, v3
	v_not_b32_e32 v0, v87
	v_and_b32_e32 v1, v1, v57
	v_xor_b32_e32 v57, vcc_hi, v3
	v_xor_b32_e32 v3, vcc_lo, v3
	v_cmp_gt_i64_e32 vcc, 0, v[86:87]
	v_ashrrev_i32_e32 v0, 31, v0
	v_and_b32_e32 v2, v2, v3
	v_xor_b32_e32 v3, vcc_hi, v0
	v_xor_b32_e32 v0, vcc_lo, v0
	v_and_b32_e32 v1, v1, v57
	v_and_b32_e32 v0, v2, v0
	;; [unrolled: 1-line block ×3, first 2 shown]
	v_mbcnt_lo_u32_b32 v2, v0, 0
	v_mbcnt_hi_u32_b32 v57, v1, v2
	v_cmp_eq_u32_e32 vcc, 0, v57
	v_cmp_ne_u64_e64 s[44:45], 0, v[0:1]
	s_and_b64 s[60:61], s[44:45], vcc
	; wave barrier
	s_and_saveexec_b64 s[44:45], s[60:61]
	s_cbranch_execz .LBB181_46
; %bb.45:                               ;   in Loop: Header=BB181_32 Depth=1
	v_bcnt_u32_b32 v0, v0, 0
	v_bcnt_u32_b32 v0, v1, v0
	s_waitcnt lgkmcnt(0)
	v_add_u32_e32 v0, v55, v0
	ds_write_b32 v56, v0
.LBB181_46:                             ;   in Loop: Header=BB181_32 Depth=1
	s_or_b64 exec, exec, s[44:45]
	v_cmp_ne_u64_e32 vcc, s[52:53], v[88:89]
	v_cndmask_b32_e32 v1, v125, v89, vcc
	v_cndmask_b32_e32 v0, 0, v88, vcc
	v_lshrrev_b64 v[0:1], s54, v[0:1]
	v_and_b32_e32 v0, s59, v0
	v_lshlrev_b32_e32 v1, 2, v0
	v_add_lshl_u32 v1, v1, v127, 2
	; wave barrier
	v_add_u32_e32 v59, 16, v1
	ds_read_b32 v58, v1 offset:16
	v_and_b32_e32 v1, 1, v0
	v_add_co_u32_e32 v2, vcc, -1, v1
	v_addc_co_u32_e64 v3, s[44:45], 0, -1, vcc
	v_cmp_ne_u32_e32 vcc, 0, v1
	v_lshlrev_b32_e32 v87, 30, v0
	v_xor_b32_e32 v1, vcc_hi, v3
	v_not_b32_e32 v3, v87
	v_xor_b32_e32 v2, vcc_lo, v2
	v_cmp_gt_i64_e32 vcc, 0, v[86:87]
	v_ashrrev_i32_e32 v3, 31, v3
	v_and_b32_e32 v2, exec_lo, v2
	v_xor_b32_e32 v60, vcc_hi, v3
	v_xor_b32_e32 v3, vcc_lo, v3
	v_lshlrev_b32_e32 v87, 29, v0
	v_and_b32_e32 v2, v2, v3
	v_not_b32_e32 v3, v87
	v_and_b32_e32 v1, exec_hi, v1
	v_cmp_gt_i64_e32 vcc, 0, v[86:87]
	v_ashrrev_i32_e32 v3, 31, v3
	v_and_b32_e32 v1, v1, v60
	v_xor_b32_e32 v60, vcc_hi, v3
	v_xor_b32_e32 v3, vcc_lo, v3
	v_lshlrev_b32_e32 v87, 28, v0
	v_and_b32_e32 v2, v2, v3
	v_not_b32_e32 v3, v87
	v_cmp_gt_i64_e32 vcc, 0, v[86:87]
	v_ashrrev_i32_e32 v3, 31, v3
	v_and_b32_e32 v1, v1, v60
	v_xor_b32_e32 v60, vcc_hi, v3
	v_xor_b32_e32 v3, vcc_lo, v3
	v_lshlrev_b32_e32 v87, 27, v0
	v_and_b32_e32 v2, v2, v3
	v_not_b32_e32 v3, v87
	;; [unrolled: 8-line block ×3, first 2 shown]
	v_cmp_gt_i64_e32 vcc, 0, v[86:87]
	v_ashrrev_i32_e32 v3, 31, v3
	v_and_b32_e32 v1, v1, v60
	v_xor_b32_e32 v60, vcc_hi, v3
	v_xor_b32_e32 v3, vcc_lo, v3
	v_lshlrev_b32_e32 v87, 25, v0
	v_and_b32_e32 v2, v2, v3
	v_cmp_gt_i64_e32 vcc, 0, v[86:87]
	v_not_b32_e32 v3, v87
	v_lshlrev_b32_e32 v87, 24, v0
	v_ashrrev_i32_e32 v3, 31, v3
	v_not_b32_e32 v0, v87
	v_and_b32_e32 v1, v1, v60
	v_xor_b32_e32 v60, vcc_hi, v3
	v_xor_b32_e32 v3, vcc_lo, v3
	v_cmp_gt_i64_e32 vcc, 0, v[86:87]
	v_ashrrev_i32_e32 v0, 31, v0
	v_and_b32_e32 v2, v2, v3
	v_xor_b32_e32 v3, vcc_hi, v0
	v_xor_b32_e32 v0, vcc_lo, v0
	v_and_b32_e32 v1, v1, v60
	v_and_b32_e32 v0, v2, v0
	;; [unrolled: 1-line block ×3, first 2 shown]
	v_mbcnt_lo_u32_b32 v2, v0, 0
	v_mbcnt_hi_u32_b32 v60, v1, v2
	v_cmp_eq_u32_e32 vcc, 0, v60
	v_cmp_ne_u64_e64 s[44:45], 0, v[0:1]
	s_and_b64 s[60:61], s[44:45], vcc
	; wave barrier
	s_and_saveexec_b64 s[44:45], s[60:61]
	s_cbranch_execz .LBB181_48
; %bb.47:                               ;   in Loop: Header=BB181_32 Depth=1
	v_bcnt_u32_b32 v0, v0, 0
	v_bcnt_u32_b32 v0, v1, v0
	s_waitcnt lgkmcnt(0)
	v_add_u32_e32 v0, v58, v0
	ds_write_b32 v59, v0
.LBB181_48:                             ;   in Loop: Header=BB181_32 Depth=1
	s_or_b64 exec, exec, s[44:45]
	; wave barrier
	s_waitcnt lgkmcnt(0)
	s_barrier
	ds_read2_b32 v[2:3], v112 offset0:4 offset1:5
	ds_read2_b32 v[0:1], v126 offset0:2 offset1:3
	s_waitcnt lgkmcnt(1)
	v_add_u32_e32 v61, v3, v2
	s_waitcnt lgkmcnt(0)
	v_add3_u32 v1, v61, v0, v1
	s_nop 1
	v_mov_b32_dpp v61, v1 row_shr:1 row_mask:0xf bank_mask:0xf
	v_cndmask_b32_e64 v61, v61, 0, s[22:23]
	v_add_u32_e32 v1, v61, v1
	s_nop 1
	v_mov_b32_dpp v61, v1 row_shr:2 row_mask:0xf bank_mask:0xf
	v_cndmask_b32_e64 v61, 0, v61, s[24:25]
	v_add_u32_e32 v1, v1, v61
	;; [unrolled: 4-line block ×4, first 2 shown]
	s_nop 1
	v_mov_b32_dpp v61, v1 row_bcast:15 row_mask:0xf bank_mask:0xf
	v_cndmask_b32_e64 v61, v61, 0, s[30:31]
	v_add_u32_e32 v1, v1, v61
	s_nop 1
	v_mov_b32_dpp v61, v1 row_bcast:31 row_mask:0xf bank_mask:0xf
	v_cndmask_b32_e64 v61, 0, v61, s[34:35]
	v_add_u32_e32 v1, v1, v61
	s_and_saveexec_b64 s[44:45], s[36:37]
	s_cbranch_execz .LBB181_50
; %bb.49:                               ;   in Loop: Header=BB181_32 Depth=1
	ds_write_b32 v129, v1
.LBB181_50:                             ;   in Loop: Header=BB181_32 Depth=1
	s_or_b64 exec, exec, s[44:45]
	s_waitcnt lgkmcnt(0)
	s_barrier
	s_and_saveexec_b64 s[44:45], s[16:17]
	s_cbranch_execz .LBB181_52
; %bb.51:                               ;   in Loop: Header=BB181_32 Depth=1
	ds_read_b32 v61, v69
	s_waitcnt lgkmcnt(0)
	s_nop 0
	v_mov_b32_dpp v62, v61 row_shr:1 row_mask:0xf bank_mask:0xf
	v_cndmask_b32_e64 v62, v62, 0, s[40:41]
	v_add_u32_e32 v61, v62, v61
	s_nop 1
	v_mov_b32_dpp v62, v61 row_shr:2 row_mask:0xf bank_mask:0xf
	v_cndmask_b32_e64 v62, 0, v62, s[42:43]
	v_add_u32_e32 v61, v61, v62
	ds_write_b32 v69, v61
.LBB181_52:                             ;   in Loop: Header=BB181_32 Depth=1
	s_or_b64 exec, exec, s[44:45]
	v_mov_b32_e32 v61, 0
	s_waitcnt lgkmcnt(0)
	s_barrier
	s_and_saveexec_b64 s[44:45], s[18:19]
	s_cbranch_execz .LBB181_54
; %bb.53:                               ;   in Loop: Header=BB181_32 Depth=1
	ds_read_b32 v61, v130
.LBB181_54:                             ;   in Loop: Header=BB181_32 Depth=1
	s_or_b64 exec, exec, s[44:45]
	s_waitcnt lgkmcnt(0)
	v_add_u32_e32 v1, v61, v1
	ds_bpermute_b32 v1, v128, v1
	s_cmp_gt_u32 s54, 55
	s_waitcnt lgkmcnt(0)
	v_cndmask_b32_e64 v1, v1, v61, s[38:39]
	v_cndmask_b32_e64 v1, v1, 0, s[20:21]
	v_add_u32_e32 v2, v1, v2
	v_add_u32_e32 v3, v2, v3
	;; [unrolled: 1-line block ×3, first 2 shown]
	ds_write2_b32 v112, v1, v2 offset0:4 offset1:5
	ds_write2_b32 v126, v3, v0 offset0:2 offset1:3
	s_waitcnt lgkmcnt(0)
	s_barrier
	ds_read_b32 v0, v4
	ds_read_b32 v1, v7
	;; [unrolled: 1-line block ×8, first 2 shown]
	s_waitcnt lgkmcnt(7)
	v_add_u32_e32 v138, v0, v5
	s_waitcnt lgkmcnt(6)
	v_add3_u32 v137, v8, v6, v1
	s_waitcnt lgkmcnt(5)
	v_add3_u32 v136, v11, v9, v2
	;; [unrolled: 2-line block ×7, first 2 shown]
	s_cbranch_scc0 .LBB181_31
; %bb.55:
                                        ; implicit-def: $vgpr14_vgpr15
                                        ; implicit-def: $vgpr10_vgpr11
                                        ; implicit-def: $vgpr6_vgpr7
                                        ; implicit-def: $vgpr2_vgpr3
                                        ; implicit-def: $vgpr64_vgpr65
                                        ; implicit-def: $vgpr60_vgpr61
                                        ; implicit-def: $vgpr56_vgpr57
                                        ; implicit-def: $vgpr52_vgpr53
                                        ; implicit-def: $sgpr54_sgpr55
                                        ; implicit-def: $sgpr58
.LBB181_56:
	v_lshlrev_b32_e32 v50, 3, v138
	v_lshlrev_b32_e32 v51, 3, v137
	;; [unrolled: 1-line block ×9, first 2 shown]
	s_barrier
	ds_write_b64 v50, v[102:103]
	ds_write_b64 v51, v[100:101]
	;; [unrolled: 1-line block ×8, first 2 shown]
	s_waitcnt lgkmcnt(0)
	s_barrier
	ds_read2_b64 v[0:3], v62 offset1:1
	ds_read2_b64 v[4:7], v62 offset0:2 offset1:3
	ds_read2_b64 v[8:11], v62 offset0:4 offset1:5
	;; [unrolled: 1-line block ×3, first 2 shown]
	s_waitcnt lgkmcnt(0)
	s_barrier
	ds_write_b64 v50, v[84:85]
	ds_write_b64 v51, v[82:83]
	;; [unrolled: 1-line block ×8, first 2 shown]
	v_ashrrev_i32_e32 v72, 31, v1
	v_not_b32_e32 v72, v72
	v_cmp_lt_i64_e32 vcc, -1, v[0:1]
	v_xor_b32_e32 v0, v72, v0
	v_ashrrev_i32_e32 v72, 31, v3
	v_bfrev_b32_e32 v16, 1
	v_not_b32_e32 v72, v72
	v_cndmask_b32_e64 v17, v16, -1, vcc
	v_cmp_lt_i64_e32 vcc, -1, v[2:3]
	v_xor_b32_e32 v2, v72, v2
	v_ashrrev_i32_e32 v72, 31, v5
	v_not_b32_e32 v72, v72
	v_xor_b32_e32 v1, v17, v1
	v_cndmask_b32_e64 v17, v16, -1, vcc
	v_cmp_lt_i64_e32 vcc, -1, v[4:5]
	v_xor_b32_e32 v4, v72, v4
	v_ashrrev_i32_e32 v72, 31, v7
	s_waitcnt lgkmcnt(0)
	s_barrier
	ds_read2_b64 v[50:53], v62 offset1:1
	ds_read2_b64 v[54:57], v62 offset0:2 offset1:3
	ds_read2_b64 v[58:61], v62 offset0:4 offset1:5
	;; [unrolled: 1-line block ×3, first 2 shown]
	v_xor_b32_e32 v3, v17, v3
	v_cndmask_b32_e64 v17, v16, -1, vcc
	v_cmp_lt_i64_e32 vcc, -1, v[6:7]
	v_not_b32_e32 v72, v72
	v_xor_b32_e32 v5, v17, v5
	v_cndmask_b32_e64 v17, v16, -1, vcc
	v_xor_b32_e32 v6, v72, v6
	v_cmp_lt_i64_e32 vcc, -1, v[8:9]
	v_ashrrev_i32_e32 v72, 31, v9
	v_xor_b32_e32 v7, v17, v7
	v_cndmask_b32_e64 v17, v16, -1, vcc
	v_not_b32_e32 v72, v72
	v_cmp_lt_i64_e32 vcc, -1, v[10:11]
	v_xor_b32_e32 v9, v17, v9
	v_xor_b32_e32 v8, v72, v8
	v_cndmask_b32_e64 v17, v16, -1, vcc
	v_ashrrev_i32_e32 v72, 31, v11
	v_cmp_lt_i64_e32 vcc, -1, v[12:13]
	v_not_b32_e32 v72, v72
	v_xor_b32_e32 v11, v17, v11
	v_cndmask_b32_e64 v17, v16, -1, vcc
	v_xor_b32_e32 v10, v72, v10
	v_ashrrev_i32_e32 v72, 31, v13
	v_xor_b32_e32 v13, v17, v13
	v_cmp_lt_i64_e32 vcc, -1, v[14:15]
	v_ashrrev_i32_e32 v17, 31, v15
	v_not_b32_e32 v72, v72
	v_cndmask_b32_e64 v16, v16, -1, vcc
	v_not_b32_e32 v17, v17
	v_xor_b32_e32 v12, v72, v12
	v_xor_b32_e32 v15, v16, v15
	v_xor_b32_e32 v14, v17, v14
	s_branch .LBB181_92
.LBB181_57:
	v_mov_b32_e32 v69, 0
	v_lshlrev_b64 v[2:3], 3, v[68:69]
	v_mov_b32_e32 v4, s56
	v_add_co_u32_e32 v2, vcc, s49, v2
	v_addc_co_u32_e32 v3, vcc, v4, v3, vcc
	global_load_dwordx2 v[2:3], v[2:3], off
	v_mov_b32_e32 v4, v69
	v_mov_b32_e32 v5, v69
	v_mov_b32_e32 v6, v69
	v_mov_b32_e32 v7, v69
	v_mov_b32_e32 v8, v69
	v_mov_b32_e32 v9, v69
	v_mov_b32_e32 v10, v69
	v_mov_b32_e32 v11, v69
	v_mov_b32_e32 v12, v69
	v_mov_b32_e32 v13, v69
	v_mov_b32_e32 v14, v69
	v_mov_b32_e32 v15, v69
	v_mov_b32_e32 v16, v69
	v_mov_b32_e32 v17, v69
	s_or_b64 exec, exec, s[16:17]
	s_and_saveexec_b64 s[16:17], s[2:3]
	s_cbranch_execz .LBB181_22
.LBB181_58:
	v_mul_lo_u32 v4, v1, s48
	v_mov_b32_e32 v5, 0
	v_lshlrev_b64 v[4:5], 3, v[4:5]
	v_mov_b32_e32 v1, s56
	v_add_co_u32_e32 v4, vcc, s49, v4
	v_addc_co_u32_e32 v5, vcc, v1, v5, vcc
	global_load_dwordx2 v[4:5], v[4:5], off
	s_or_b64 exec, exec, s[16:17]
	s_and_saveexec_b64 s[16:17], s[4:5]
	s_cbranch_execz .LBB181_23
.LBB181_59:
	v_mul_lo_u32 v6, v34, s48
	v_mov_b32_e32 v7, 0
	v_lshlrev_b64 v[6:7], 3, v[6:7]
	v_mov_b32_e32 v1, s56
	v_add_co_u32_e32 v6, vcc, s49, v6
	v_addc_co_u32_e32 v7, vcc, v1, v7, vcc
	global_load_dwordx2 v[6:7], v[6:7], off
	s_or_b64 exec, exec, s[16:17]
	s_and_saveexec_b64 s[16:17], s[6:7]
	s_cbranch_execz .LBB181_24
.LBB181_60:
	v_mul_lo_u32 v8, v35, s48
	v_mov_b32_e32 v9, 0
	v_lshlrev_b64 v[8:9], 3, v[8:9]
	v_mov_b32_e32 v1, s56
	v_add_co_u32_e32 v8, vcc, s49, v8
	v_addc_co_u32_e32 v9, vcc, v1, v9, vcc
	global_load_dwordx2 v[8:9], v[8:9], off
	s_or_b64 exec, exec, s[16:17]
	s_and_saveexec_b64 s[16:17], s[8:9]
	s_cbranch_execz .LBB181_25
.LBB181_61:
	v_mul_lo_u32 v10, v36, s48
	v_mov_b32_e32 v11, 0
	v_lshlrev_b64 v[10:11], 3, v[10:11]
	v_mov_b32_e32 v1, s56
	v_add_co_u32_e32 v10, vcc, s49, v10
	v_addc_co_u32_e32 v11, vcc, v1, v11, vcc
	global_load_dwordx2 v[10:11], v[10:11], off
	s_or_b64 exec, exec, s[16:17]
	s_and_saveexec_b64 s[16:17], s[10:11]
	s_cbranch_execz .LBB181_26
.LBB181_62:
	v_mul_lo_u32 v12, v37, s48
	v_mov_b32_e32 v13, 0
	v_lshlrev_b64 v[12:13], 3, v[12:13]
	v_mov_b32_e32 v1, s56
	v_add_co_u32_e32 v12, vcc, s49, v12
	v_addc_co_u32_e32 v13, vcc, v1, v13, vcc
	global_load_dwordx2 v[12:13], v[12:13], off
	s_or_b64 exec, exec, s[16:17]
	s_and_saveexec_b64 s[16:17], s[12:13]
	s_cbranch_execz .LBB181_27
.LBB181_63:
	v_mul_lo_u32 v14, v38, s48
	v_mov_b32_e32 v15, 0
	v_lshlrev_b64 v[14:15], 3, v[14:15]
	v_mov_b32_e32 v1, s56
	v_add_co_u32_e32 v14, vcc, s49, v14
	v_addc_co_u32_e32 v15, vcc, v1, v15, vcc
	global_load_dwordx2 v[14:15], v[14:15], off
	s_or_b64 exec, exec, s[16:17]
	s_xor_b64 s[16:17], s[34:35], -1
	s_and_saveexec_b64 s[18:19], s[14:15]
	s_cbranch_execnz .LBB181_28
	s_branch .LBB181_29
.LBB181_64:
                                        ; implicit-def: $vgpr64_vgpr65
                                        ; implicit-def: $vgpr60_vgpr61
                                        ; implicit-def: $vgpr56_vgpr57
                                        ; implicit-def: $vgpr52_vgpr53
                                        ; implicit-def: $vgpr0_vgpr1_vgpr2_vgpr3_vgpr4_vgpr5_vgpr6_vgpr7_vgpr8_vgpr9_vgpr10_vgpr11_vgpr12_vgpr13_vgpr14_vgpr15
	s_cbranch_execz .LBB181_92
; %bb.65:
	v_bfrev_b32_e32 v72, -2
	v_cmp_gt_i64_e32 vcc, 0, v[30:31]
	v_cndmask_b32_e64 v0, v72, 0, vcc
	v_not_b32_e32 v2, v124
	v_cmp_gt_i64_e32 vcc, 0, v[32:33]
	v_xor_b32_e32 v1, v0, v31
	v_xor_b32_e32 v0, v2, v30
	v_cndmask_b32_e64 v2, v72, 0, vcc
	v_not_b32_e32 v4, v123
	v_cmp_gt_i64_e32 vcc, 0, v[26:27]
	v_xor_b32_e32 v3, v2, v33
	v_xor_b32_e32 v2, v4, v32
	;; [unrolled: 5-line block ×7, first 2 shown]
	v_cndmask_b32_e64 v14, v72, 0, vcc
	v_not_b32_e32 v16, v117
	s_waitcnt lgkmcnt(3)
	v_mbcnt_hi_u32_b32 v50, -1, v116
	v_and_b32_e32 v51, 0x3c0, v70
	v_xor_b32_e32 v15, v14, v21
	v_xor_b32_e32 v14, v16, v20
	v_add_lshl_u32 v16, v50, v51, 6
	v_and_b32_e32 v52, 0x1e00, v67
	ds_write2_b64 v16, v[0:1], v[2:3] offset1:1
	ds_write2_b64 v16, v[4:5], v[6:7] offset0:2 offset1:3
	ds_write2_b64 v16, v[8:9], v[10:11] offset0:4 offset1:5
	;; [unrolled: 1-line block ×3, first 2 shown]
	v_or_b32_e32 v0, v50, v52
	v_lshlrev_b32_e32 v28, 3, v0
	; wave barrier
	ds_read2st64_b64 v[0:3], v28 offset1:1
	ds_read2st64_b64 v[4:7], v28 offset0:2 offset1:3
	ds_read2st64_b64 v[8:11], v28 offset0:4 offset1:5
	;; [unrolled: 1-line block ×3, first 2 shown]
	; wave barrier
	ds_write2_b64 v16, v[46:47], v[48:49] offset1:1
	ds_write2_b64 v16, v[42:43], v[44:45] offset0:2 offset1:3
	ds_write2_b64 v16, v[38:39], v[40:41] offset0:4 offset1:5
	;; [unrolled: 1-line block ×3, first 2 shown]
	; wave barrier
	ds_read2st64_b64 v[16:19], v28 offset1:1
	ds_read2st64_b64 v[20:23], v28 offset0:2 offset1:3
	ds_read2st64_b64 v[24:27], v28 offset0:4 offset1:5
	ds_read2st64_b64 v[28:31], v28 offset0:6 offset1:7
	s_waitcnt lgkmcnt(0)
	s_barrier
	s_load_dword s18, s[50:51], 0xc
	s_getpc_b64 s[16:17]
	s_add_u32 s16, s16, _ZN7rocprim17ROCPRIM_400000_NS16block_radix_sortIdLj256ELj8ElLj1ELj1ELj0ELNS0_26block_radix_rank_algorithmE1ELNS0_18block_padding_hintE2ELNS0_4arch9wavefront6targetE1EE19radix_bits_per_passE@rel32@lo+4
	s_addc_u32 s17, s17, _ZN7rocprim17ROCPRIM_400000_NS16block_radix_sortIdLj256ELj8ElLj1ELj1ELj0ELNS0_26block_radix_rank_algorithmE1ELNS0_18block_padding_hintE2ELNS0_4arch9wavefront6targetE1EE19radix_bits_per_passE@rel32@hi+12
	s_load_dword s54, s[16:17], 0x0
	s_mov_b32 s50, 0
	v_cmp_gt_u32_e64 s[30:31], 4, v70
	s_waitcnt lgkmcnt(0)
	s_lshr_b32 s16, s18, 16
	s_and_b32 s17, s18, 0xffff
	v_mad_u32_u24 v32, v115, s16, v114
	v_mad_u64_u32 v[32:33], s[16:17], v32, s17, v[70:71]
	v_lshrrev_b32_e32 v74, 6, v32
	v_and_b32_e32 v32, 15, v50
	v_cmp_eq_u32_e64 s[16:17], 0, v32
	v_cmp_lt_u32_e64 s[18:19], 1, v32
	v_cmp_lt_u32_e64 s[20:21], 3, v32
	;; [unrolled: 1-line block ×3, first 2 shown]
	v_and_b32_e32 v32, 16, v50
	v_cmp_eq_u32_e64 s[24:25], 0, v32
	v_min_u32_e32 v32, 0xc0, v51
	v_or_b32_e32 v32, 63, v32
	v_cmp_eq_u32_e64 s[28:29], v32, v70
	v_add_u32_e32 v32, -1, v50
	v_and_b32_e32 v33, 64, v50
	v_cmp_lt_i32_e32 vcc, v32, v33
	v_cndmask_b32_e32 v32, v32, v50, vcc
	v_lshlrev_b32_e32 v75, 2, v32
	v_and_b32_e32 v32, 3, v50
	v_cmp_lt_u32_e64 s[34:35], 63, v70
	v_cmp_eq_u32_e64 s[38:39], 0, v70
	v_and_b32_e32 v70, 60, v113
	v_cmp_eq_u32_e64 s[40:41], 0, v32
	v_cmp_lt_u32_e64 s[42:43], 1, v32
	v_and_or_b32 v32, v50, 63, v52
	s_mov_b64 s[52:53], 0
	s_brev_b32 s51, 1
	v_add_u32_e32 v73, 16, v112
	v_cmp_lt_u32_e64 s[26:27], 31, v50
	s_mov_b32 s55, 64
	v_cmp_eq_u32_e64 s[36:37], 0, v50
	v_add_u32_e32 v76, -4, v70
	v_lshlrev_b32_e32 v77, 3, v32
	v_mov_b32_e32 v48, 0
	s_branch .LBB181_67
.LBB181_66:                             ;   in Loop: Header=BB181_67 Depth=1
	v_lshlrev_b32_e32 v16, 3, v84
	v_lshlrev_b32_e32 v17, 3, v83
	v_lshlrev_b32_e32 v18, 3, v82
	v_lshlrev_b32_e32 v19, 3, v81
	v_lshlrev_b32_e32 v20, 3, v80
	v_lshlrev_b32_e32 v21, 3, v78
	v_lshlrev_b32_e32 v22, 3, v49
	v_lshlrev_b32_e32 v23, 3, v79
	s_barrier
	ds_write_b64 v16, v[64:65]
	ds_write_b64 v17, v[62:63]
	;; [unrolled: 1-line block ×8, first 2 shown]
	s_waitcnt lgkmcnt(0)
	s_barrier
	ds_read2st64_b64 v[0:3], v77 offset1:1
	ds_read2st64_b64 v[4:7], v77 offset0:2 offset1:3
	ds_read2st64_b64 v[8:11], v77 offset0:4 offset1:5
	;; [unrolled: 1-line block ×3, first 2 shown]
	s_waitcnt lgkmcnt(0)
	s_barrier
	ds_write_b64 v16, v[46:47]
	ds_write_b64 v17, v[44:45]
	;; [unrolled: 1-line block ×8, first 2 shown]
	s_waitcnt lgkmcnt(0)
	s_barrier
	ds_read2st64_b64 v[16:19], v77 offset1:1
	ds_read2st64_b64 v[20:23], v77 offset0:2 offset1:3
	ds_read2st64_b64 v[24:27], v77 offset0:4 offset1:5
	;; [unrolled: 1-line block ×3, first 2 shown]
	s_add_u32 s52, s52, 8
	s_addc_u32 s53, s53, 0
	s_add_i32 s55, s55, -8
	s_waitcnt lgkmcnt(0)
	s_barrier
	s_cbranch_execz .LBB181_91
.LBB181_67:                             ; =>This Inner Loop Header: Depth=1
	v_pk_mov_b32 v[64:65], v[0:1], v[0:1] op_sel:[0,1]
	s_min_u32 s44, s54, s55
	v_cmp_ne_u64_e32 vcc, s[50:51], v[64:65]
	s_lshl_b32 s44, -1, s44
	v_cndmask_b32_e32 v1, v72, v65, vcc
	v_cndmask_b32_e32 v0, -1, v64, vcc
	s_not_b32 s57, s44
	v_lshrrev_b64 v[0:1], s52, v[0:1]
	v_and_b32_e32 v0, s57, v0
	v_lshl_add_u32 v1, v0, 2, v74
	v_pk_mov_b32 v[60:61], v[4:5], v[4:5] op_sel:[0,1]
	v_lshl_add_u32 v4, v1, 2, 16
	v_and_b32_e32 v1, 1, v0
	v_pk_mov_b32 v[62:63], v[2:3], v[2:3] op_sel:[0,1]
	v_add_co_u32_e32 v2, vcc, -1, v1
	v_addc_co_u32_e64 v3, s[44:45], 0, -1, vcc
	v_cmp_ne_u32_e32 vcc, 0, v1
	v_lshlrev_b32_e32 v49, 30, v0
	v_xor_b32_e32 v1, vcc_hi, v3
	v_not_b32_e32 v3, v49
	v_xor_b32_e32 v2, vcc_lo, v2
	v_cmp_gt_i64_e32 vcc, 0, v[48:49]
	v_ashrrev_i32_e32 v3, 31, v3
	v_and_b32_e32 v2, exec_lo, v2
	v_xor_b32_e32 v5, vcc_hi, v3
	v_xor_b32_e32 v3, vcc_lo, v3
	v_lshlrev_b32_e32 v49, 29, v0
	v_and_b32_e32 v2, v2, v3
	v_not_b32_e32 v3, v49
	v_and_b32_e32 v1, exec_hi, v1
	v_cmp_gt_i64_e32 vcc, 0, v[48:49]
	v_ashrrev_i32_e32 v3, 31, v3
	v_and_b32_e32 v1, v1, v5
	v_xor_b32_e32 v5, vcc_hi, v3
	v_xor_b32_e32 v3, vcc_lo, v3
	v_lshlrev_b32_e32 v49, 28, v0
	v_and_b32_e32 v2, v2, v3
	v_not_b32_e32 v3, v49
	v_cmp_gt_i64_e32 vcc, 0, v[48:49]
	v_ashrrev_i32_e32 v3, 31, v3
	v_and_b32_e32 v1, v1, v5
	v_xor_b32_e32 v5, vcc_hi, v3
	v_xor_b32_e32 v3, vcc_lo, v3
	v_lshlrev_b32_e32 v49, 27, v0
	v_and_b32_e32 v2, v2, v3
	v_not_b32_e32 v3, v49
	;; [unrolled: 8-line block ×3, first 2 shown]
	v_cmp_gt_i64_e32 vcc, 0, v[48:49]
	v_ashrrev_i32_e32 v3, 31, v3
	v_and_b32_e32 v1, v1, v5
	v_xor_b32_e32 v5, vcc_hi, v3
	v_xor_b32_e32 v3, vcc_lo, v3
	v_lshlrev_b32_e32 v49, 25, v0
	v_and_b32_e32 v2, v2, v3
	v_cmp_gt_i64_e32 vcc, 0, v[48:49]
	v_not_b32_e32 v3, v49
	v_lshlrev_b32_e32 v49, 24, v0
	v_ashrrev_i32_e32 v3, 31, v3
	v_not_b32_e32 v0, v49
	v_and_b32_e32 v1, v1, v5
	v_xor_b32_e32 v5, vcc_hi, v3
	v_xor_b32_e32 v3, vcc_lo, v3
	v_cmp_gt_i64_e32 vcc, 0, v[48:49]
	v_ashrrev_i32_e32 v0, 31, v0
	v_and_b32_e32 v2, v2, v3
	v_xor_b32_e32 v3, vcc_hi, v0
	v_xor_b32_e32 v0, vcc_lo, v0
	v_and_b32_e32 v1, v1, v5
	v_and_b32_e32 v0, v2, v0
	;; [unrolled: 1-line block ×3, first 2 shown]
	v_mbcnt_lo_u32_b32 v2, v0, 0
	v_mbcnt_hi_u32_b32 v5, v1, v2
	v_cmp_eq_u32_e32 vcc, 0, v5
	v_cmp_ne_u64_e64 s[44:45], 0, v[0:1]
	v_pk_mov_b32 v[50:51], v[14:15], v[14:15] op_sel:[0,1]
	v_pk_mov_b32 v[52:53], v[12:13], v[12:13] op_sel:[0,1]
	;; [unrolled: 1-line block ×13, first 2 shown]
	s_and_b64 s[58:59], s[44:45], vcc
	ds_write2_b32 v112, v48, v48 offset0:4 offset1:5
	ds_write2_b32 v73, v48, v48 offset0:2 offset1:3
	s_waitcnt lgkmcnt(0)
	s_barrier
	s_waitcnt lgkmcnt(0)
	; wave barrier
	s_and_saveexec_b64 s[44:45], s[58:59]
	s_cbranch_execz .LBB181_69
; %bb.68:                               ;   in Loop: Header=BB181_67 Depth=1
	v_bcnt_u32_b32 v0, v0, 0
	v_bcnt_u32_b32 v0, v1, v0
	ds_write_b32 v4, v0
.LBB181_69:                             ;   in Loop: Header=BB181_67 Depth=1
	s_or_b64 exec, exec, s[44:45]
	v_cmp_ne_u64_e32 vcc, s[50:51], v[62:63]
	v_cndmask_b32_e32 v1, v72, v63, vcc
	v_cndmask_b32_e32 v0, -1, v62, vcc
	v_lshrrev_b64 v[0:1], s52, v[0:1]
	v_and_b32_e32 v0, s57, v0
	v_lshlrev_b32_e32 v1, 2, v0
	v_add_lshl_u32 v1, v1, v74, 2
	; wave barrier
	v_add_u32_e32 v7, 16, v1
	ds_read_b32 v6, v1 offset:16
	v_and_b32_e32 v1, 1, v0
	v_add_co_u32_e32 v2, vcc, -1, v1
	v_addc_co_u32_e64 v3, s[44:45], 0, -1, vcc
	v_cmp_ne_u32_e32 vcc, 0, v1
	v_lshlrev_b32_e32 v49, 30, v0
	v_xor_b32_e32 v1, vcc_hi, v3
	v_not_b32_e32 v3, v49
	v_xor_b32_e32 v2, vcc_lo, v2
	v_cmp_gt_i64_e32 vcc, 0, v[48:49]
	v_ashrrev_i32_e32 v3, 31, v3
	v_and_b32_e32 v2, exec_lo, v2
	v_xor_b32_e32 v8, vcc_hi, v3
	v_xor_b32_e32 v3, vcc_lo, v3
	v_lshlrev_b32_e32 v49, 29, v0
	v_and_b32_e32 v2, v2, v3
	v_not_b32_e32 v3, v49
	v_and_b32_e32 v1, exec_hi, v1
	v_cmp_gt_i64_e32 vcc, 0, v[48:49]
	v_ashrrev_i32_e32 v3, 31, v3
	v_and_b32_e32 v1, v1, v8
	v_xor_b32_e32 v8, vcc_hi, v3
	v_xor_b32_e32 v3, vcc_lo, v3
	v_lshlrev_b32_e32 v49, 28, v0
	v_and_b32_e32 v2, v2, v3
	v_not_b32_e32 v3, v49
	v_cmp_gt_i64_e32 vcc, 0, v[48:49]
	v_ashrrev_i32_e32 v3, 31, v3
	v_and_b32_e32 v1, v1, v8
	v_xor_b32_e32 v8, vcc_hi, v3
	v_xor_b32_e32 v3, vcc_lo, v3
	v_lshlrev_b32_e32 v49, 27, v0
	v_and_b32_e32 v2, v2, v3
	v_not_b32_e32 v3, v49
	;; [unrolled: 8-line block ×3, first 2 shown]
	v_cmp_gt_i64_e32 vcc, 0, v[48:49]
	v_ashrrev_i32_e32 v3, 31, v3
	v_and_b32_e32 v1, v1, v8
	v_xor_b32_e32 v8, vcc_hi, v3
	v_xor_b32_e32 v3, vcc_lo, v3
	v_lshlrev_b32_e32 v49, 25, v0
	v_and_b32_e32 v2, v2, v3
	v_cmp_gt_i64_e32 vcc, 0, v[48:49]
	v_not_b32_e32 v3, v49
	v_lshlrev_b32_e32 v49, 24, v0
	v_ashrrev_i32_e32 v3, 31, v3
	v_not_b32_e32 v0, v49
	v_and_b32_e32 v1, v1, v8
	v_xor_b32_e32 v8, vcc_hi, v3
	v_xor_b32_e32 v3, vcc_lo, v3
	v_cmp_gt_i64_e32 vcc, 0, v[48:49]
	v_ashrrev_i32_e32 v0, 31, v0
	v_and_b32_e32 v2, v2, v3
	v_xor_b32_e32 v3, vcc_hi, v0
	v_xor_b32_e32 v0, vcc_lo, v0
	v_and_b32_e32 v1, v1, v8
	v_and_b32_e32 v0, v2, v0
	;; [unrolled: 1-line block ×3, first 2 shown]
	v_mbcnt_lo_u32_b32 v2, v0, 0
	v_mbcnt_hi_u32_b32 v8, v1, v2
	v_cmp_eq_u32_e32 vcc, 0, v8
	v_cmp_ne_u64_e64 s[44:45], 0, v[0:1]
	s_and_b64 s[58:59], s[44:45], vcc
	; wave barrier
	s_and_saveexec_b64 s[44:45], s[58:59]
	s_cbranch_execz .LBB181_71
; %bb.70:                               ;   in Loop: Header=BB181_67 Depth=1
	v_bcnt_u32_b32 v0, v0, 0
	v_bcnt_u32_b32 v0, v1, v0
	s_waitcnt lgkmcnt(0)
	v_add_u32_e32 v0, v6, v0
	ds_write_b32 v7, v0
.LBB181_71:                             ;   in Loop: Header=BB181_67 Depth=1
	s_or_b64 exec, exec, s[44:45]
	v_cmp_ne_u64_e32 vcc, s[50:51], v[60:61]
	v_cndmask_b32_e32 v1, v72, v61, vcc
	v_cndmask_b32_e32 v0, -1, v60, vcc
	v_lshrrev_b64 v[0:1], s52, v[0:1]
	v_and_b32_e32 v0, s57, v0
	v_lshlrev_b32_e32 v1, 2, v0
	v_add_lshl_u32 v1, v1, v74, 2
	; wave barrier
	v_add_u32_e32 v10, 16, v1
	ds_read_b32 v9, v1 offset:16
	v_and_b32_e32 v1, 1, v0
	v_add_co_u32_e32 v2, vcc, -1, v1
	v_addc_co_u32_e64 v3, s[44:45], 0, -1, vcc
	v_cmp_ne_u32_e32 vcc, 0, v1
	v_lshlrev_b32_e32 v49, 30, v0
	v_xor_b32_e32 v1, vcc_hi, v3
	v_not_b32_e32 v3, v49
	v_xor_b32_e32 v2, vcc_lo, v2
	v_cmp_gt_i64_e32 vcc, 0, v[48:49]
	v_ashrrev_i32_e32 v3, 31, v3
	v_and_b32_e32 v2, exec_lo, v2
	v_xor_b32_e32 v11, vcc_hi, v3
	v_xor_b32_e32 v3, vcc_lo, v3
	v_lshlrev_b32_e32 v49, 29, v0
	v_and_b32_e32 v2, v2, v3
	v_not_b32_e32 v3, v49
	v_and_b32_e32 v1, exec_hi, v1
	v_cmp_gt_i64_e32 vcc, 0, v[48:49]
	v_ashrrev_i32_e32 v3, 31, v3
	v_and_b32_e32 v1, v1, v11
	v_xor_b32_e32 v11, vcc_hi, v3
	v_xor_b32_e32 v3, vcc_lo, v3
	v_lshlrev_b32_e32 v49, 28, v0
	v_and_b32_e32 v2, v2, v3
	v_not_b32_e32 v3, v49
	v_cmp_gt_i64_e32 vcc, 0, v[48:49]
	v_ashrrev_i32_e32 v3, 31, v3
	v_and_b32_e32 v1, v1, v11
	v_xor_b32_e32 v11, vcc_hi, v3
	v_xor_b32_e32 v3, vcc_lo, v3
	v_lshlrev_b32_e32 v49, 27, v0
	v_and_b32_e32 v2, v2, v3
	v_not_b32_e32 v3, v49
	;; [unrolled: 8-line block ×3, first 2 shown]
	v_cmp_gt_i64_e32 vcc, 0, v[48:49]
	v_ashrrev_i32_e32 v3, 31, v3
	v_and_b32_e32 v1, v1, v11
	v_xor_b32_e32 v11, vcc_hi, v3
	v_xor_b32_e32 v3, vcc_lo, v3
	v_lshlrev_b32_e32 v49, 25, v0
	v_and_b32_e32 v2, v2, v3
	v_cmp_gt_i64_e32 vcc, 0, v[48:49]
	v_not_b32_e32 v3, v49
	v_lshlrev_b32_e32 v49, 24, v0
	v_ashrrev_i32_e32 v3, 31, v3
	v_not_b32_e32 v0, v49
	v_and_b32_e32 v1, v1, v11
	v_xor_b32_e32 v11, vcc_hi, v3
	v_xor_b32_e32 v3, vcc_lo, v3
	v_cmp_gt_i64_e32 vcc, 0, v[48:49]
	v_ashrrev_i32_e32 v0, 31, v0
	v_and_b32_e32 v2, v2, v3
	v_xor_b32_e32 v3, vcc_hi, v0
	v_xor_b32_e32 v0, vcc_lo, v0
	v_and_b32_e32 v1, v1, v11
	v_and_b32_e32 v0, v2, v0
	;; [unrolled: 1-line block ×3, first 2 shown]
	v_mbcnt_lo_u32_b32 v2, v0, 0
	v_mbcnt_hi_u32_b32 v11, v1, v2
	v_cmp_eq_u32_e32 vcc, 0, v11
	v_cmp_ne_u64_e64 s[44:45], 0, v[0:1]
	s_and_b64 s[58:59], s[44:45], vcc
	; wave barrier
	s_and_saveexec_b64 s[44:45], s[58:59]
	s_cbranch_execz .LBB181_73
; %bb.72:                               ;   in Loop: Header=BB181_67 Depth=1
	v_bcnt_u32_b32 v0, v0, 0
	v_bcnt_u32_b32 v0, v1, v0
	s_waitcnt lgkmcnt(0)
	v_add_u32_e32 v0, v9, v0
	ds_write_b32 v10, v0
.LBB181_73:                             ;   in Loop: Header=BB181_67 Depth=1
	s_or_b64 exec, exec, s[44:45]
	v_cmp_ne_u64_e32 vcc, s[50:51], v[58:59]
	v_cndmask_b32_e32 v1, v72, v59, vcc
	v_cndmask_b32_e32 v0, -1, v58, vcc
	v_lshrrev_b64 v[0:1], s52, v[0:1]
	v_and_b32_e32 v0, s57, v0
	v_lshlrev_b32_e32 v1, 2, v0
	v_add_lshl_u32 v1, v1, v74, 2
	; wave barrier
	v_add_u32_e32 v13, 16, v1
	ds_read_b32 v12, v1 offset:16
	v_and_b32_e32 v1, 1, v0
	v_add_co_u32_e32 v2, vcc, -1, v1
	v_addc_co_u32_e64 v3, s[44:45], 0, -1, vcc
	v_cmp_ne_u32_e32 vcc, 0, v1
	v_lshlrev_b32_e32 v49, 30, v0
	v_xor_b32_e32 v1, vcc_hi, v3
	v_not_b32_e32 v3, v49
	v_xor_b32_e32 v2, vcc_lo, v2
	v_cmp_gt_i64_e32 vcc, 0, v[48:49]
	v_ashrrev_i32_e32 v3, 31, v3
	v_and_b32_e32 v2, exec_lo, v2
	v_xor_b32_e32 v14, vcc_hi, v3
	v_xor_b32_e32 v3, vcc_lo, v3
	v_lshlrev_b32_e32 v49, 29, v0
	v_and_b32_e32 v2, v2, v3
	v_not_b32_e32 v3, v49
	v_and_b32_e32 v1, exec_hi, v1
	v_cmp_gt_i64_e32 vcc, 0, v[48:49]
	v_ashrrev_i32_e32 v3, 31, v3
	v_and_b32_e32 v1, v1, v14
	v_xor_b32_e32 v14, vcc_hi, v3
	v_xor_b32_e32 v3, vcc_lo, v3
	v_lshlrev_b32_e32 v49, 28, v0
	v_and_b32_e32 v2, v2, v3
	v_not_b32_e32 v3, v49
	v_cmp_gt_i64_e32 vcc, 0, v[48:49]
	v_ashrrev_i32_e32 v3, 31, v3
	v_and_b32_e32 v1, v1, v14
	v_xor_b32_e32 v14, vcc_hi, v3
	v_xor_b32_e32 v3, vcc_lo, v3
	v_lshlrev_b32_e32 v49, 27, v0
	v_and_b32_e32 v2, v2, v3
	v_not_b32_e32 v3, v49
	;; [unrolled: 8-line block ×3, first 2 shown]
	v_cmp_gt_i64_e32 vcc, 0, v[48:49]
	v_ashrrev_i32_e32 v3, 31, v3
	v_and_b32_e32 v1, v1, v14
	v_xor_b32_e32 v14, vcc_hi, v3
	v_xor_b32_e32 v3, vcc_lo, v3
	v_lshlrev_b32_e32 v49, 25, v0
	v_and_b32_e32 v2, v2, v3
	v_cmp_gt_i64_e32 vcc, 0, v[48:49]
	v_not_b32_e32 v3, v49
	v_lshlrev_b32_e32 v49, 24, v0
	v_ashrrev_i32_e32 v3, 31, v3
	v_not_b32_e32 v0, v49
	v_and_b32_e32 v1, v1, v14
	v_xor_b32_e32 v14, vcc_hi, v3
	v_xor_b32_e32 v3, vcc_lo, v3
	v_cmp_gt_i64_e32 vcc, 0, v[48:49]
	v_ashrrev_i32_e32 v0, 31, v0
	v_and_b32_e32 v2, v2, v3
	v_xor_b32_e32 v3, vcc_hi, v0
	v_xor_b32_e32 v0, vcc_lo, v0
	v_and_b32_e32 v1, v1, v14
	v_and_b32_e32 v0, v2, v0
	;; [unrolled: 1-line block ×3, first 2 shown]
	v_mbcnt_lo_u32_b32 v2, v0, 0
	v_mbcnt_hi_u32_b32 v14, v1, v2
	v_cmp_eq_u32_e32 vcc, 0, v14
	v_cmp_ne_u64_e64 s[44:45], 0, v[0:1]
	s_and_b64 s[58:59], s[44:45], vcc
	; wave barrier
	s_and_saveexec_b64 s[44:45], s[58:59]
	s_cbranch_execz .LBB181_75
; %bb.74:                               ;   in Loop: Header=BB181_67 Depth=1
	v_bcnt_u32_b32 v0, v0, 0
	v_bcnt_u32_b32 v0, v1, v0
	s_waitcnt lgkmcnt(0)
	v_add_u32_e32 v0, v12, v0
	ds_write_b32 v13, v0
.LBB181_75:                             ;   in Loop: Header=BB181_67 Depth=1
	s_or_b64 exec, exec, s[44:45]
	v_cmp_ne_u64_e32 vcc, s[50:51], v[56:57]
	v_cndmask_b32_e32 v1, v72, v57, vcc
	v_cndmask_b32_e32 v0, -1, v56, vcc
	v_lshrrev_b64 v[0:1], s52, v[0:1]
	v_and_b32_e32 v0, s57, v0
	v_lshlrev_b32_e32 v1, 2, v0
	v_add_lshl_u32 v1, v1, v74, 2
	; wave barrier
	v_add_u32_e32 v16, 16, v1
	ds_read_b32 v15, v1 offset:16
	v_and_b32_e32 v1, 1, v0
	v_add_co_u32_e32 v2, vcc, -1, v1
	v_addc_co_u32_e64 v3, s[44:45], 0, -1, vcc
	v_cmp_ne_u32_e32 vcc, 0, v1
	v_lshlrev_b32_e32 v49, 30, v0
	v_xor_b32_e32 v1, vcc_hi, v3
	v_not_b32_e32 v3, v49
	v_xor_b32_e32 v2, vcc_lo, v2
	v_cmp_gt_i64_e32 vcc, 0, v[48:49]
	v_ashrrev_i32_e32 v3, 31, v3
	v_and_b32_e32 v2, exec_lo, v2
	v_xor_b32_e32 v17, vcc_hi, v3
	v_xor_b32_e32 v3, vcc_lo, v3
	v_lshlrev_b32_e32 v49, 29, v0
	v_and_b32_e32 v2, v2, v3
	v_not_b32_e32 v3, v49
	v_and_b32_e32 v1, exec_hi, v1
	v_cmp_gt_i64_e32 vcc, 0, v[48:49]
	v_ashrrev_i32_e32 v3, 31, v3
	v_and_b32_e32 v1, v1, v17
	v_xor_b32_e32 v17, vcc_hi, v3
	v_xor_b32_e32 v3, vcc_lo, v3
	v_lshlrev_b32_e32 v49, 28, v0
	v_and_b32_e32 v2, v2, v3
	v_not_b32_e32 v3, v49
	v_cmp_gt_i64_e32 vcc, 0, v[48:49]
	v_ashrrev_i32_e32 v3, 31, v3
	v_and_b32_e32 v1, v1, v17
	v_xor_b32_e32 v17, vcc_hi, v3
	v_xor_b32_e32 v3, vcc_lo, v3
	v_lshlrev_b32_e32 v49, 27, v0
	v_and_b32_e32 v2, v2, v3
	v_not_b32_e32 v3, v49
	;; [unrolled: 8-line block ×3, first 2 shown]
	v_cmp_gt_i64_e32 vcc, 0, v[48:49]
	v_ashrrev_i32_e32 v3, 31, v3
	v_and_b32_e32 v1, v1, v17
	v_xor_b32_e32 v17, vcc_hi, v3
	v_xor_b32_e32 v3, vcc_lo, v3
	v_lshlrev_b32_e32 v49, 25, v0
	v_and_b32_e32 v2, v2, v3
	v_cmp_gt_i64_e32 vcc, 0, v[48:49]
	v_not_b32_e32 v3, v49
	v_lshlrev_b32_e32 v49, 24, v0
	v_ashrrev_i32_e32 v3, 31, v3
	v_not_b32_e32 v0, v49
	v_and_b32_e32 v1, v1, v17
	v_xor_b32_e32 v17, vcc_hi, v3
	v_xor_b32_e32 v3, vcc_lo, v3
	v_cmp_gt_i64_e32 vcc, 0, v[48:49]
	v_ashrrev_i32_e32 v0, 31, v0
	v_and_b32_e32 v2, v2, v3
	v_xor_b32_e32 v3, vcc_hi, v0
	v_xor_b32_e32 v0, vcc_lo, v0
	v_and_b32_e32 v1, v1, v17
	v_and_b32_e32 v0, v2, v0
	;; [unrolled: 1-line block ×3, first 2 shown]
	v_mbcnt_lo_u32_b32 v2, v0, 0
	v_mbcnt_hi_u32_b32 v17, v1, v2
	v_cmp_eq_u32_e32 vcc, 0, v17
	v_cmp_ne_u64_e64 s[44:45], 0, v[0:1]
	s_and_b64 s[58:59], s[44:45], vcc
	; wave barrier
	s_and_saveexec_b64 s[44:45], s[58:59]
	s_cbranch_execz .LBB181_77
; %bb.76:                               ;   in Loop: Header=BB181_67 Depth=1
	v_bcnt_u32_b32 v0, v0, 0
	v_bcnt_u32_b32 v0, v1, v0
	s_waitcnt lgkmcnt(0)
	v_add_u32_e32 v0, v15, v0
	ds_write_b32 v16, v0
.LBB181_77:                             ;   in Loop: Header=BB181_67 Depth=1
	s_or_b64 exec, exec, s[44:45]
	v_cmp_ne_u64_e32 vcc, s[50:51], v[54:55]
	v_cndmask_b32_e32 v1, v72, v55, vcc
	v_cndmask_b32_e32 v0, -1, v54, vcc
	v_lshrrev_b64 v[0:1], s52, v[0:1]
	v_and_b32_e32 v0, s57, v0
	v_lshlrev_b32_e32 v1, 2, v0
	v_add_lshl_u32 v1, v1, v74, 2
	; wave barrier
	v_add_u32_e32 v19, 16, v1
	ds_read_b32 v18, v1 offset:16
	v_and_b32_e32 v1, 1, v0
	v_add_co_u32_e32 v2, vcc, -1, v1
	v_addc_co_u32_e64 v3, s[44:45], 0, -1, vcc
	v_cmp_ne_u32_e32 vcc, 0, v1
	v_lshlrev_b32_e32 v49, 30, v0
	v_xor_b32_e32 v1, vcc_hi, v3
	v_not_b32_e32 v3, v49
	v_xor_b32_e32 v2, vcc_lo, v2
	v_cmp_gt_i64_e32 vcc, 0, v[48:49]
	v_ashrrev_i32_e32 v3, 31, v3
	v_and_b32_e32 v2, exec_lo, v2
	v_xor_b32_e32 v20, vcc_hi, v3
	v_xor_b32_e32 v3, vcc_lo, v3
	v_lshlrev_b32_e32 v49, 29, v0
	v_and_b32_e32 v2, v2, v3
	v_not_b32_e32 v3, v49
	v_and_b32_e32 v1, exec_hi, v1
	v_cmp_gt_i64_e32 vcc, 0, v[48:49]
	v_ashrrev_i32_e32 v3, 31, v3
	v_and_b32_e32 v1, v1, v20
	v_xor_b32_e32 v20, vcc_hi, v3
	v_xor_b32_e32 v3, vcc_lo, v3
	v_lshlrev_b32_e32 v49, 28, v0
	v_and_b32_e32 v2, v2, v3
	v_not_b32_e32 v3, v49
	v_cmp_gt_i64_e32 vcc, 0, v[48:49]
	v_ashrrev_i32_e32 v3, 31, v3
	v_and_b32_e32 v1, v1, v20
	v_xor_b32_e32 v20, vcc_hi, v3
	v_xor_b32_e32 v3, vcc_lo, v3
	v_lshlrev_b32_e32 v49, 27, v0
	v_and_b32_e32 v2, v2, v3
	v_not_b32_e32 v3, v49
	;; [unrolled: 8-line block ×3, first 2 shown]
	v_cmp_gt_i64_e32 vcc, 0, v[48:49]
	v_ashrrev_i32_e32 v3, 31, v3
	v_and_b32_e32 v1, v1, v20
	v_xor_b32_e32 v20, vcc_hi, v3
	v_xor_b32_e32 v3, vcc_lo, v3
	v_lshlrev_b32_e32 v49, 25, v0
	v_and_b32_e32 v2, v2, v3
	v_cmp_gt_i64_e32 vcc, 0, v[48:49]
	v_not_b32_e32 v3, v49
	v_lshlrev_b32_e32 v49, 24, v0
	v_ashrrev_i32_e32 v3, 31, v3
	v_not_b32_e32 v0, v49
	v_and_b32_e32 v1, v1, v20
	v_xor_b32_e32 v20, vcc_hi, v3
	v_xor_b32_e32 v3, vcc_lo, v3
	v_cmp_gt_i64_e32 vcc, 0, v[48:49]
	v_ashrrev_i32_e32 v0, 31, v0
	v_and_b32_e32 v2, v2, v3
	v_xor_b32_e32 v3, vcc_hi, v0
	v_xor_b32_e32 v0, vcc_lo, v0
	v_and_b32_e32 v1, v1, v20
	v_and_b32_e32 v0, v2, v0
	v_and_b32_e32 v1, v1, v3
	v_mbcnt_lo_u32_b32 v2, v0, 0
	v_mbcnt_hi_u32_b32 v20, v1, v2
	v_cmp_eq_u32_e32 vcc, 0, v20
	v_cmp_ne_u64_e64 s[44:45], 0, v[0:1]
	s_and_b64 s[58:59], s[44:45], vcc
	; wave barrier
	s_and_saveexec_b64 s[44:45], s[58:59]
	s_cbranch_execz .LBB181_79
; %bb.78:                               ;   in Loop: Header=BB181_67 Depth=1
	v_bcnt_u32_b32 v0, v0, 0
	v_bcnt_u32_b32 v0, v1, v0
	s_waitcnt lgkmcnt(0)
	v_add_u32_e32 v0, v18, v0
	ds_write_b32 v19, v0
.LBB181_79:                             ;   in Loop: Header=BB181_67 Depth=1
	s_or_b64 exec, exec, s[44:45]
	v_cmp_ne_u64_e32 vcc, s[50:51], v[52:53]
	v_cndmask_b32_e32 v1, v72, v53, vcc
	v_cndmask_b32_e32 v0, -1, v52, vcc
	v_lshrrev_b64 v[0:1], s52, v[0:1]
	v_and_b32_e32 v0, s57, v0
	v_lshlrev_b32_e32 v1, 2, v0
	v_add_lshl_u32 v1, v1, v74, 2
	; wave barrier
	v_add_u32_e32 v22, 16, v1
	ds_read_b32 v21, v1 offset:16
	v_and_b32_e32 v1, 1, v0
	v_add_co_u32_e32 v2, vcc, -1, v1
	v_addc_co_u32_e64 v3, s[44:45], 0, -1, vcc
	v_cmp_ne_u32_e32 vcc, 0, v1
	v_lshlrev_b32_e32 v49, 30, v0
	v_xor_b32_e32 v1, vcc_hi, v3
	v_not_b32_e32 v3, v49
	v_xor_b32_e32 v2, vcc_lo, v2
	v_cmp_gt_i64_e32 vcc, 0, v[48:49]
	v_ashrrev_i32_e32 v3, 31, v3
	v_and_b32_e32 v2, exec_lo, v2
	v_xor_b32_e32 v23, vcc_hi, v3
	v_xor_b32_e32 v3, vcc_lo, v3
	v_lshlrev_b32_e32 v49, 29, v0
	v_and_b32_e32 v2, v2, v3
	v_not_b32_e32 v3, v49
	v_and_b32_e32 v1, exec_hi, v1
	v_cmp_gt_i64_e32 vcc, 0, v[48:49]
	v_ashrrev_i32_e32 v3, 31, v3
	v_and_b32_e32 v1, v1, v23
	v_xor_b32_e32 v23, vcc_hi, v3
	v_xor_b32_e32 v3, vcc_lo, v3
	v_lshlrev_b32_e32 v49, 28, v0
	v_and_b32_e32 v2, v2, v3
	v_not_b32_e32 v3, v49
	v_cmp_gt_i64_e32 vcc, 0, v[48:49]
	v_ashrrev_i32_e32 v3, 31, v3
	v_and_b32_e32 v1, v1, v23
	v_xor_b32_e32 v23, vcc_hi, v3
	v_xor_b32_e32 v3, vcc_lo, v3
	v_lshlrev_b32_e32 v49, 27, v0
	v_and_b32_e32 v2, v2, v3
	v_not_b32_e32 v3, v49
	;; [unrolled: 8-line block ×3, first 2 shown]
	v_cmp_gt_i64_e32 vcc, 0, v[48:49]
	v_ashrrev_i32_e32 v3, 31, v3
	v_and_b32_e32 v1, v1, v23
	v_xor_b32_e32 v23, vcc_hi, v3
	v_xor_b32_e32 v3, vcc_lo, v3
	v_lshlrev_b32_e32 v49, 25, v0
	v_and_b32_e32 v2, v2, v3
	v_cmp_gt_i64_e32 vcc, 0, v[48:49]
	v_not_b32_e32 v3, v49
	v_lshlrev_b32_e32 v49, 24, v0
	v_ashrrev_i32_e32 v3, 31, v3
	v_not_b32_e32 v0, v49
	v_and_b32_e32 v1, v1, v23
	v_xor_b32_e32 v23, vcc_hi, v3
	v_xor_b32_e32 v3, vcc_lo, v3
	v_cmp_gt_i64_e32 vcc, 0, v[48:49]
	v_ashrrev_i32_e32 v0, 31, v0
	v_and_b32_e32 v2, v2, v3
	v_xor_b32_e32 v3, vcc_hi, v0
	v_xor_b32_e32 v0, vcc_lo, v0
	v_and_b32_e32 v1, v1, v23
	v_and_b32_e32 v0, v2, v0
	;; [unrolled: 1-line block ×3, first 2 shown]
	v_mbcnt_lo_u32_b32 v2, v0, 0
	v_mbcnt_hi_u32_b32 v23, v1, v2
	v_cmp_eq_u32_e32 vcc, 0, v23
	v_cmp_ne_u64_e64 s[44:45], 0, v[0:1]
	s_and_b64 s[58:59], s[44:45], vcc
	; wave barrier
	s_and_saveexec_b64 s[44:45], s[58:59]
	s_cbranch_execz .LBB181_81
; %bb.80:                               ;   in Loop: Header=BB181_67 Depth=1
	v_bcnt_u32_b32 v0, v0, 0
	v_bcnt_u32_b32 v0, v1, v0
	s_waitcnt lgkmcnt(0)
	v_add_u32_e32 v0, v21, v0
	ds_write_b32 v22, v0
.LBB181_81:                             ;   in Loop: Header=BB181_67 Depth=1
	s_or_b64 exec, exec, s[44:45]
	v_cmp_ne_u64_e32 vcc, s[50:51], v[50:51]
	v_cndmask_b32_e32 v1, v72, v51, vcc
	v_cndmask_b32_e32 v0, -1, v50, vcc
	v_lshrrev_b64 v[0:1], s52, v[0:1]
	v_and_b32_e32 v0, s57, v0
	v_lshlrev_b32_e32 v1, 2, v0
	v_add_lshl_u32 v1, v1, v74, 2
	; wave barrier
	v_add_u32_e32 v25, 16, v1
	ds_read_b32 v24, v1 offset:16
	v_and_b32_e32 v1, 1, v0
	v_add_co_u32_e32 v2, vcc, -1, v1
	v_addc_co_u32_e64 v3, s[44:45], 0, -1, vcc
	v_cmp_ne_u32_e32 vcc, 0, v1
	v_lshlrev_b32_e32 v49, 30, v0
	v_xor_b32_e32 v1, vcc_hi, v3
	v_not_b32_e32 v3, v49
	v_xor_b32_e32 v2, vcc_lo, v2
	v_cmp_gt_i64_e32 vcc, 0, v[48:49]
	v_ashrrev_i32_e32 v3, 31, v3
	v_and_b32_e32 v2, exec_lo, v2
	v_xor_b32_e32 v26, vcc_hi, v3
	v_xor_b32_e32 v3, vcc_lo, v3
	v_lshlrev_b32_e32 v49, 29, v0
	v_and_b32_e32 v2, v2, v3
	v_not_b32_e32 v3, v49
	v_and_b32_e32 v1, exec_hi, v1
	v_cmp_gt_i64_e32 vcc, 0, v[48:49]
	v_ashrrev_i32_e32 v3, 31, v3
	v_and_b32_e32 v1, v1, v26
	v_xor_b32_e32 v26, vcc_hi, v3
	v_xor_b32_e32 v3, vcc_lo, v3
	v_lshlrev_b32_e32 v49, 28, v0
	v_and_b32_e32 v2, v2, v3
	v_not_b32_e32 v3, v49
	v_cmp_gt_i64_e32 vcc, 0, v[48:49]
	v_ashrrev_i32_e32 v3, 31, v3
	v_and_b32_e32 v1, v1, v26
	v_xor_b32_e32 v26, vcc_hi, v3
	v_xor_b32_e32 v3, vcc_lo, v3
	v_lshlrev_b32_e32 v49, 27, v0
	v_and_b32_e32 v2, v2, v3
	v_not_b32_e32 v3, v49
	;; [unrolled: 8-line block ×3, first 2 shown]
	v_cmp_gt_i64_e32 vcc, 0, v[48:49]
	v_ashrrev_i32_e32 v3, 31, v3
	v_and_b32_e32 v1, v1, v26
	v_xor_b32_e32 v26, vcc_hi, v3
	v_xor_b32_e32 v3, vcc_lo, v3
	v_lshlrev_b32_e32 v49, 25, v0
	v_and_b32_e32 v2, v2, v3
	v_cmp_gt_i64_e32 vcc, 0, v[48:49]
	v_not_b32_e32 v3, v49
	v_lshlrev_b32_e32 v49, 24, v0
	v_ashrrev_i32_e32 v3, 31, v3
	v_not_b32_e32 v0, v49
	v_and_b32_e32 v1, v1, v26
	v_xor_b32_e32 v26, vcc_hi, v3
	v_xor_b32_e32 v3, vcc_lo, v3
	v_cmp_gt_i64_e32 vcc, 0, v[48:49]
	v_ashrrev_i32_e32 v0, 31, v0
	v_and_b32_e32 v2, v2, v3
	v_xor_b32_e32 v3, vcc_hi, v0
	v_xor_b32_e32 v0, vcc_lo, v0
	v_and_b32_e32 v1, v1, v26
	v_and_b32_e32 v0, v2, v0
	;; [unrolled: 1-line block ×3, first 2 shown]
	v_mbcnt_lo_u32_b32 v2, v0, 0
	v_mbcnt_hi_u32_b32 v26, v1, v2
	v_cmp_eq_u32_e32 vcc, 0, v26
	v_cmp_ne_u64_e64 s[44:45], 0, v[0:1]
	s_and_b64 s[58:59], s[44:45], vcc
	; wave barrier
	s_and_saveexec_b64 s[44:45], s[58:59]
	s_cbranch_execz .LBB181_83
; %bb.82:                               ;   in Loop: Header=BB181_67 Depth=1
	v_bcnt_u32_b32 v0, v0, 0
	v_bcnt_u32_b32 v0, v1, v0
	s_waitcnt lgkmcnt(0)
	v_add_u32_e32 v0, v24, v0
	ds_write_b32 v25, v0
.LBB181_83:                             ;   in Loop: Header=BB181_67 Depth=1
	s_or_b64 exec, exec, s[44:45]
	; wave barrier
	s_waitcnt lgkmcnt(0)
	s_barrier
	ds_read2_b32 v[2:3], v112 offset0:4 offset1:5
	ds_read2_b32 v[0:1], v73 offset0:2 offset1:3
	s_waitcnt lgkmcnt(1)
	v_add_u32_e32 v27, v3, v2
	s_waitcnt lgkmcnt(0)
	v_add3_u32 v1, v27, v0, v1
	s_nop 1
	v_mov_b32_dpp v27, v1 row_shr:1 row_mask:0xf bank_mask:0xf
	v_cndmask_b32_e64 v27, v27, 0, s[16:17]
	v_add_u32_e32 v1, v27, v1
	s_nop 1
	v_mov_b32_dpp v27, v1 row_shr:2 row_mask:0xf bank_mask:0xf
	v_cndmask_b32_e64 v27, 0, v27, s[18:19]
	v_add_u32_e32 v1, v1, v27
	;; [unrolled: 4-line block ×4, first 2 shown]
	s_nop 1
	v_mov_b32_dpp v27, v1 row_bcast:15 row_mask:0xf bank_mask:0xf
	v_cndmask_b32_e64 v27, v27, 0, s[24:25]
	v_add_u32_e32 v1, v1, v27
	s_nop 1
	v_mov_b32_dpp v27, v1 row_bcast:31 row_mask:0xf bank_mask:0xf
	v_cndmask_b32_e64 v27, 0, v27, s[26:27]
	v_add_u32_e32 v1, v1, v27
	s_and_saveexec_b64 s[44:45], s[28:29]
	s_cbranch_execz .LBB181_85
; %bb.84:                               ;   in Loop: Header=BB181_67 Depth=1
	ds_write_b32 v70, v1
.LBB181_85:                             ;   in Loop: Header=BB181_67 Depth=1
	s_or_b64 exec, exec, s[44:45]
	s_waitcnt lgkmcnt(0)
	s_barrier
	s_and_saveexec_b64 s[44:45], s[30:31]
	s_cbranch_execz .LBB181_87
; %bb.86:                               ;   in Loop: Header=BB181_67 Depth=1
	ds_read_b32 v27, v69
	s_waitcnt lgkmcnt(0)
	s_nop 0
	v_mov_b32_dpp v28, v27 row_shr:1 row_mask:0xf bank_mask:0xf
	v_cndmask_b32_e64 v28, v28, 0, s[40:41]
	v_add_u32_e32 v27, v28, v27
	s_nop 1
	v_mov_b32_dpp v28, v27 row_shr:2 row_mask:0xf bank_mask:0xf
	v_cndmask_b32_e64 v28, 0, v28, s[42:43]
	v_add_u32_e32 v27, v27, v28
	ds_write_b32 v69, v27
.LBB181_87:                             ;   in Loop: Header=BB181_67 Depth=1
	s_or_b64 exec, exec, s[44:45]
	v_mov_b32_e32 v27, 0
	s_waitcnt lgkmcnt(0)
	s_barrier
	s_and_saveexec_b64 s[44:45], s[34:35]
	s_cbranch_execz .LBB181_89
; %bb.88:                               ;   in Loop: Header=BB181_67 Depth=1
	ds_read_b32 v27, v76
.LBB181_89:                             ;   in Loop: Header=BB181_67 Depth=1
	s_or_b64 exec, exec, s[44:45]
	s_waitcnt lgkmcnt(0)
	v_add_u32_e32 v1, v27, v1
	ds_bpermute_b32 v1, v75, v1
	s_cmp_gt_u32 s52, 55
	s_waitcnt lgkmcnt(0)
	v_cndmask_b32_e64 v1, v1, v27, s[36:37]
	v_cndmask_b32_e64 v1, v1, 0, s[38:39]
	v_add_u32_e32 v2, v1, v2
	v_add_u32_e32 v3, v2, v3
	v_add_u32_e32 v0, v3, v0
	ds_write2_b32 v112, v1, v2 offset0:4 offset1:5
	ds_write2_b32 v73, v3, v0 offset0:2 offset1:3
	s_waitcnt lgkmcnt(0)
	s_barrier
	ds_read_b32 v0, v4
	ds_read_b32 v1, v7
	;; [unrolled: 1-line block ×8, first 2 shown]
	s_waitcnt lgkmcnt(7)
	v_add_u32_e32 v84, v0, v5
	s_waitcnt lgkmcnt(6)
	v_add3_u32 v83, v8, v6, v1
	s_waitcnt lgkmcnt(5)
	v_add3_u32 v82, v11, v9, v2
	;; [unrolled: 2-line block ×7, first 2 shown]
	s_cbranch_scc0 .LBB181_66
; %bb.90:
                                        ; implicit-def: $vgpr14_vgpr15
                                        ; implicit-def: $vgpr10_vgpr11
                                        ; implicit-def: $vgpr6_vgpr7
                                        ; implicit-def: $vgpr2_vgpr3
                                        ; implicit-def: $vgpr30_vgpr31
                                        ; implicit-def: $vgpr26_vgpr27
                                        ; implicit-def: $vgpr22_vgpr23
                                        ; implicit-def: $vgpr18_vgpr19
                                        ; implicit-def: $sgpr52_sgpr53
                                        ; implicit-def: $sgpr55
.LBB181_91:
	v_lshlrev_b32_e32 v16, 3, v84
	v_lshlrev_b32_e32 v17, 3, v83
	v_lshlrev_b32_e32 v18, 3, v82
	v_lshlrev_b32_e32 v19, 3, v81
	v_lshlrev_b32_e32 v20, 3, v80
	v_lshlrev_b32_e32 v21, 3, v78
	v_lshlrev_b32_e32 v22, 3, v49
	v_lshlrev_b32_e32 v23, 3, v79
	v_lshlrev_b32_e32 v24, 3, v67
	s_barrier
	ds_write_b64 v16, v[64:65]
	ds_write_b64 v17, v[62:63]
	;; [unrolled: 1-line block ×8, first 2 shown]
	s_waitcnt lgkmcnt(0)
	s_barrier
	ds_read2_b64 v[0:3], v24 offset1:1
	ds_read2_b64 v[4:7], v24 offset0:2 offset1:3
	ds_read2_b64 v[8:11], v24 offset0:4 offset1:5
	;; [unrolled: 1-line block ×3, first 2 shown]
	s_waitcnt lgkmcnt(0)
	s_barrier
	ds_write_b64 v16, v[46:47]
	ds_write_b64 v17, v[44:45]
	;; [unrolled: 1-line block ×8, first 2 shown]
	v_ashrrev_i32_e32 v18, 31, v1
	v_not_b32_e32 v18, v18
	v_cmp_gt_i64_e32 vcc, 0, v[0:1]
	v_xor_b32_e32 v0, v18, v0
	v_ashrrev_i32_e32 v18, 31, v3
	v_bfrev_b32_e32 v16, -2
	v_not_b32_e32 v18, v18
	v_cndmask_b32_e64 v17, v16, 0, vcc
	v_cmp_gt_i64_e32 vcc, 0, v[2:3]
	v_xor_b32_e32 v2, v18, v2
	v_ashrrev_i32_e32 v18, 31, v5
	v_not_b32_e32 v18, v18
	v_xor_b32_e32 v1, v17, v1
	v_cndmask_b32_e64 v17, v16, 0, vcc
	v_cmp_gt_i64_e32 vcc, 0, v[4:5]
	v_xor_b32_e32 v4, v18, v4
	v_ashrrev_i32_e32 v18, 31, v7
	s_waitcnt lgkmcnt(0)
	s_barrier
	ds_read2_b64 v[50:53], v24 offset1:1
	ds_read2_b64 v[54:57], v24 offset0:2 offset1:3
	ds_read2_b64 v[58:61], v24 offset0:4 offset1:5
	;; [unrolled: 1-line block ×3, first 2 shown]
	v_xor_b32_e32 v3, v17, v3
	v_cndmask_b32_e64 v17, v16, 0, vcc
	v_cmp_gt_i64_e32 vcc, 0, v[6:7]
	v_not_b32_e32 v18, v18
	v_xor_b32_e32 v5, v17, v5
	v_cndmask_b32_e64 v17, v16, 0, vcc
	v_xor_b32_e32 v6, v18, v6
	v_cmp_gt_i64_e32 vcc, 0, v[8:9]
	v_ashrrev_i32_e32 v18, 31, v9
	v_xor_b32_e32 v7, v17, v7
	v_cndmask_b32_e64 v17, v16, 0, vcc
	v_not_b32_e32 v18, v18
	v_cmp_gt_i64_e32 vcc, 0, v[10:11]
	v_xor_b32_e32 v9, v17, v9
	v_xor_b32_e32 v8, v18, v8
	v_cndmask_b32_e64 v17, v16, 0, vcc
	v_ashrrev_i32_e32 v18, 31, v11
	v_cmp_gt_i64_e32 vcc, 0, v[12:13]
	v_not_b32_e32 v18, v18
	v_xor_b32_e32 v11, v17, v11
	v_cndmask_b32_e64 v17, v16, 0, vcc
	v_xor_b32_e32 v10, v18, v10
	v_ashrrev_i32_e32 v18, 31, v13
	v_xor_b32_e32 v13, v17, v13
	v_cmp_gt_i64_e32 vcc, 0, v[14:15]
	v_ashrrev_i32_e32 v17, 31, v15
	v_not_b32_e32 v18, v18
	v_cndmask_b32_e64 v16, v16, 0, vcc
	v_not_b32_e32 v17, v17
	v_xor_b32_e32 v12, v18, v12
	v_xor_b32_e32 v15, v16, v15
	;; [unrolled: 1-line block ×3, first 2 shown]
.LBB181_92:
	s_waitcnt lgkmcnt(0)
	s_barrier
	ds_write2_b64 v111, v[0:1], v[2:3] offset1:1
	ds_write2_b64 v111, v[4:5], v[6:7] offset0:2 offset1:3
	ds_write2_b64 v111, v[8:9], v[10:11] offset0:4 offset1:5
	;; [unrolled: 1-line block ×3, first 2 shown]
	s_waitcnt lgkmcnt(0)
	s_barrier
	ds_read_b64 v[14:15], v104 offset:2048
	ds_read_b64 v[12:13], v105 offset:4096
	;; [unrolled: 1-line block ×7, first 2 shown]
	v_mov_b32_e32 v67, 0
	v_lshlrev_b64 v[2:3], 3, v[66:67]
	v_mov_b32_e32 v16, s47
	v_add_co_u32_e32 v2, vcc, s33, v2
	v_addc_co_u32_e32 v3, vcc, v16, v3, vcc
	s_and_saveexec_b64 s[16:17], s[0:1]
	s_cbranch_execnz .LBB181_111
; %bb.93:
	s_or_b64 exec, exec, s[16:17]
	s_and_saveexec_b64 s[16:17], s[2:3]
	s_cbranch_execnz .LBB181_112
.LBB181_94:
	s_or_b64 exec, exec, s[16:17]
	s_and_saveexec_b64 s[16:17], s[4:5]
	s_cbranch_execnz .LBB181_113
.LBB181_95:
	s_or_b64 exec, exec, s[16:17]
	s_and_saveexec_b64 s[16:17], s[6:7]
	s_cbranch_execnz .LBB181_114
.LBB181_96:
	s_or_b64 exec, exec, s[16:17]
	s_and_saveexec_b64 s[16:17], s[8:9]
	s_cbranch_execnz .LBB181_115
.LBB181_97:
	s_or_b64 exec, exec, s[16:17]
	s_and_saveexec_b64 s[16:17], s[10:11]
	s_cbranch_execnz .LBB181_116
.LBB181_98:
	s_or_b64 exec, exec, s[16:17]
	s_and_saveexec_b64 s[16:17], s[12:13]
	s_cbranch_execnz .LBB181_117
.LBB181_99:
	s_or_b64 exec, exec, s[16:17]
	s_and_saveexec_b64 s[16:17], s[14:15]
	s_cbranch_execz .LBB181_101
.LBB181_100:
	s_mul_i32 s18, s46, 0x700
	s_mov_b32 s19, 0
	s_lshl_b64 s[18:19], s[18:19], 3
	s_waitcnt lgkmcnt(1)
	v_mov_b32_e32 v4, s19
	v_add_co_u32_e32 v2, vcc, s18, v2
	v_addc_co_u32_e32 v3, vcc, v3, v4, vcc
	s_waitcnt lgkmcnt(0)
	global_store_dwordx2 v[2:3], v[0:1], off
.LBB181_101:
	s_or_b64 exec, exec, s[16:17]
	s_waitcnt lgkmcnt(0)
	s_barrier
	ds_write2_b64 v111, v[50:51], v[52:53] offset1:1
	ds_write2_b64 v111, v[54:55], v[56:57] offset0:2 offset1:3
	ds_write2_b64 v111, v[58:59], v[60:61] offset0:4 offset1:5
	ds_write2_b64 v111, v[62:63], v[64:65] offset0:6 offset1:7
	s_waitcnt lgkmcnt(0)
	s_barrier
	ds_read_b64 v[14:15], v104 offset:2048
	ds_read_b64 v[12:13], v105 offset:4096
	;; [unrolled: 1-line block ×7, first 2 shown]
	v_mov_b32_e32 v69, 0
	v_lshlrev_b64 v[2:3], 3, v[68:69]
	v_mov_b32_e32 v16, s56
	v_add_co_u32_e32 v2, vcc, s49, v2
	v_addc_co_u32_e32 v3, vcc, v16, v3, vcc
	s_and_saveexec_b64 s[16:17], s[0:1]
	s_cbranch_execnz .LBB181_118
; %bb.102:
	s_or_b64 exec, exec, s[16:17]
	s_and_saveexec_b64 s[0:1], s[2:3]
	s_cbranch_execnz .LBB181_119
.LBB181_103:
	s_or_b64 exec, exec, s[0:1]
	s_and_saveexec_b64 s[0:1], s[4:5]
	s_cbranch_execnz .LBB181_120
.LBB181_104:
	s_or_b64 exec, exec, s[0:1]
	s_and_saveexec_b64 s[0:1], s[6:7]
	s_cbranch_execnz .LBB181_121
.LBB181_105:
	s_or_b64 exec, exec, s[0:1]
	s_and_saveexec_b64 s[0:1], s[8:9]
	s_cbranch_execnz .LBB181_122
.LBB181_106:
	s_or_b64 exec, exec, s[0:1]
	s_and_saveexec_b64 s[0:1], s[10:11]
	s_cbranch_execnz .LBB181_123
.LBB181_107:
	s_or_b64 exec, exec, s[0:1]
	s_and_saveexec_b64 s[0:1], s[12:13]
	s_cbranch_execnz .LBB181_124
.LBB181_108:
	s_or_b64 exec, exec, s[0:1]
	s_and_saveexec_b64 s[0:1], s[14:15]
	s_cbranch_execz .LBB181_110
.LBB181_109:
	s_mul_i32 s0, s48, 0x700
	s_mov_b32 s1, 0
	s_lshl_b64 s[0:1], s[0:1], 3
	s_waitcnt lgkmcnt(1)
	v_mov_b32_e32 v4, s1
	v_add_co_u32_e32 v2, vcc, s0, v2
	v_addc_co_u32_e32 v3, vcc, v3, v4, vcc
	s_waitcnt lgkmcnt(0)
	global_store_dwordx2 v[2:3], v[0:1], off
.LBB181_110:
	s_endpgm
.LBB181_111:
	ds_read_b64 v[16:17], v71
	s_waitcnt lgkmcnt(0)
	global_store_dwordx2 v[2:3], v[16:17], off
	s_or_b64 exec, exec, s[16:17]
	s_and_saveexec_b64 s[16:17], s[2:3]
	s_cbranch_execz .LBB181_94
.LBB181_112:
	s_lshl_b32 s18, s46, 8
	s_mov_b32 s19, 0
	s_lshl_b64 s[18:19], s[18:19], 3
	v_mov_b32_e32 v17, s19
	v_add_co_u32_e32 v16, vcc, s18, v2
	v_addc_co_u32_e32 v17, vcc, v3, v17, vcc
	s_waitcnt lgkmcnt(6)
	global_store_dwordx2 v[16:17], v[14:15], off
	s_or_b64 exec, exec, s[16:17]
	s_and_saveexec_b64 s[16:17], s[4:5]
	s_cbranch_execz .LBB181_95
.LBB181_113:
	s_lshl_b32 s18, s46, 9
	s_mov_b32 s19, 0
	s_lshl_b64 s[18:19], s[18:19], 3
	s_waitcnt lgkmcnt(6)
	v_mov_b32_e32 v15, s19
	v_add_co_u32_e32 v14, vcc, s18, v2
	v_addc_co_u32_e32 v15, vcc, v3, v15, vcc
	s_waitcnt lgkmcnt(5)
	global_store_dwordx2 v[14:15], v[12:13], off
	s_or_b64 exec, exec, s[16:17]
	s_and_saveexec_b64 s[16:17], s[6:7]
	s_cbranch_execz .LBB181_96
.LBB181_114:
	s_mul_i32 s18, s46, 0x300
	s_mov_b32 s19, 0
	s_lshl_b64 s[18:19], s[18:19], 3
	s_waitcnt lgkmcnt(5)
	v_mov_b32_e32 v13, s19
	v_add_co_u32_e32 v12, vcc, s18, v2
	v_addc_co_u32_e32 v13, vcc, v3, v13, vcc
	s_waitcnt lgkmcnt(4)
	global_store_dwordx2 v[12:13], v[10:11], off
	s_or_b64 exec, exec, s[16:17]
	s_and_saveexec_b64 s[16:17], s[8:9]
	s_cbranch_execz .LBB181_97
.LBB181_115:
	s_lshl_b32 s18, s46, 10
	s_mov_b32 s19, 0
	s_lshl_b64 s[18:19], s[18:19], 3
	s_waitcnt lgkmcnt(4)
	v_mov_b32_e32 v11, s19
	v_add_co_u32_e32 v10, vcc, s18, v2
	v_addc_co_u32_e32 v11, vcc, v3, v11, vcc
	s_waitcnt lgkmcnt(3)
	global_store_dwordx2 v[10:11], v[8:9], off
	s_or_b64 exec, exec, s[16:17]
	s_and_saveexec_b64 s[16:17], s[10:11]
	s_cbranch_execz .LBB181_98
.LBB181_116:
	s_mul_i32 s18, s46, 0x500
	s_mov_b32 s19, 0
	s_lshl_b64 s[18:19], s[18:19], 3
	s_waitcnt lgkmcnt(3)
	v_mov_b32_e32 v9, s19
	v_add_co_u32_e32 v8, vcc, s18, v2
	v_addc_co_u32_e32 v9, vcc, v3, v9, vcc
	s_waitcnt lgkmcnt(2)
	global_store_dwordx2 v[8:9], v[6:7], off
	s_or_b64 exec, exec, s[16:17]
	s_and_saveexec_b64 s[16:17], s[12:13]
	s_cbranch_execz .LBB181_99
.LBB181_117:
	s_mul_i32 s18, s46, 0x600
	s_mov_b32 s19, 0
	s_lshl_b64 s[18:19], s[18:19], 3
	s_waitcnt lgkmcnt(2)
	v_mov_b32_e32 v7, s19
	v_add_co_u32_e32 v6, vcc, s18, v2
	v_addc_co_u32_e32 v7, vcc, v3, v7, vcc
	s_waitcnt lgkmcnt(1)
	global_store_dwordx2 v[6:7], v[4:5], off
	s_or_b64 exec, exec, s[16:17]
	s_and_saveexec_b64 s[16:17], s[14:15]
	s_cbranch_execnz .LBB181_100
	s_branch .LBB181_101
.LBB181_118:
	ds_read_b64 v[16:17], v71
	s_waitcnt lgkmcnt(0)
	global_store_dwordx2 v[2:3], v[16:17], off
	s_or_b64 exec, exec, s[16:17]
	s_and_saveexec_b64 s[0:1], s[2:3]
	s_cbranch_execz .LBB181_103
.LBB181_119:
	s_lshl_b32 s2, s48, 8
	s_mov_b32 s3, 0
	s_lshl_b64 s[2:3], s[2:3], 3
	v_mov_b32_e32 v17, s3
	v_add_co_u32_e32 v16, vcc, s2, v2
	v_addc_co_u32_e32 v17, vcc, v3, v17, vcc
	s_waitcnt lgkmcnt(6)
	global_store_dwordx2 v[16:17], v[14:15], off
	s_or_b64 exec, exec, s[0:1]
	s_and_saveexec_b64 s[0:1], s[4:5]
	s_cbranch_execz .LBB181_104
.LBB181_120:
	s_lshl_b32 s2, s48, 9
	s_mov_b32 s3, 0
	s_lshl_b64 s[2:3], s[2:3], 3
	s_waitcnt lgkmcnt(6)
	v_mov_b32_e32 v15, s3
	v_add_co_u32_e32 v14, vcc, s2, v2
	v_addc_co_u32_e32 v15, vcc, v3, v15, vcc
	s_waitcnt lgkmcnt(5)
	global_store_dwordx2 v[14:15], v[12:13], off
	s_or_b64 exec, exec, s[0:1]
	s_and_saveexec_b64 s[0:1], s[6:7]
	s_cbranch_execz .LBB181_105
.LBB181_121:
	s_mul_i32 s2, s48, 0x300
	s_mov_b32 s3, 0
	s_lshl_b64 s[2:3], s[2:3], 3
	s_waitcnt lgkmcnt(5)
	v_mov_b32_e32 v13, s3
	v_add_co_u32_e32 v12, vcc, s2, v2
	v_addc_co_u32_e32 v13, vcc, v3, v13, vcc
	s_waitcnt lgkmcnt(4)
	global_store_dwordx2 v[12:13], v[10:11], off
	s_or_b64 exec, exec, s[0:1]
	s_and_saveexec_b64 s[0:1], s[8:9]
	s_cbranch_execz .LBB181_106
.LBB181_122:
	s_lshl_b32 s2, s48, 10
	s_mov_b32 s3, 0
	s_lshl_b64 s[2:3], s[2:3], 3
	s_waitcnt lgkmcnt(4)
	v_mov_b32_e32 v11, s3
	v_add_co_u32_e32 v10, vcc, s2, v2
	v_addc_co_u32_e32 v11, vcc, v3, v11, vcc
	s_waitcnt lgkmcnt(3)
	global_store_dwordx2 v[10:11], v[8:9], off
	s_or_b64 exec, exec, s[0:1]
	s_and_saveexec_b64 s[0:1], s[10:11]
	s_cbranch_execz .LBB181_107
.LBB181_123:
	s_mul_i32 s2, s48, 0x500
	s_mov_b32 s3, 0
	s_lshl_b64 s[2:3], s[2:3], 3
	s_waitcnt lgkmcnt(3)
	v_mov_b32_e32 v9, s3
	v_add_co_u32_e32 v8, vcc, s2, v2
	v_addc_co_u32_e32 v9, vcc, v3, v9, vcc
	s_waitcnt lgkmcnt(2)
	global_store_dwordx2 v[8:9], v[6:7], off
	s_or_b64 exec, exec, s[0:1]
	s_and_saveexec_b64 s[0:1], s[12:13]
	s_cbranch_execz .LBB181_108
.LBB181_124:
	s_mul_i32 s2, s48, 0x600
	s_mov_b32 s3, 0
	s_lshl_b64 s[2:3], s[2:3], 3
	s_waitcnt lgkmcnt(2)
	v_mov_b32_e32 v7, s3
	v_add_co_u32_e32 v6, vcc, s2, v2
	v_addc_co_u32_e32 v7, vcc, v3, v7, vcc
	s_waitcnt lgkmcnt(1)
	global_store_dwordx2 v[6:7], v[4:5], off
	s_or_b64 exec, exec, s[0:1]
	s_and_saveexec_b64 s[0:1], s[14:15]
	s_cbranch_execnz .LBB181_109
	s_branch .LBB181_110
	.section	.rodata,"a",@progbits
	.p2align	6, 0x0
	.amdhsa_kernel _ZN2at6native18radixSortKVInPlaceILin2ELin1ELi256ELi8EdljEEvNS_4cuda6detail10TensorInfoIT3_T5_EES6_S6_S6_NS4_IT4_S6_EES6_b
		.amdhsa_group_segment_fixed_size 16896
		.amdhsa_private_segment_fixed_size 0
		.amdhsa_kernarg_size 712
		.amdhsa_user_sgpr_count 6
		.amdhsa_user_sgpr_private_segment_buffer 1
		.amdhsa_user_sgpr_dispatch_ptr 0
		.amdhsa_user_sgpr_queue_ptr 0
		.amdhsa_user_sgpr_kernarg_segment_ptr 1
		.amdhsa_user_sgpr_dispatch_id 0
		.amdhsa_user_sgpr_flat_scratch_init 0
		.amdhsa_user_sgpr_kernarg_preload_length 0
		.amdhsa_user_sgpr_kernarg_preload_offset 0
		.amdhsa_user_sgpr_private_segment_size 0
		.amdhsa_uses_dynamic_stack 0
		.amdhsa_system_sgpr_private_segment_wavefront_offset 0
		.amdhsa_system_sgpr_workgroup_id_x 1
		.amdhsa_system_sgpr_workgroup_id_y 1
		.amdhsa_system_sgpr_workgroup_id_z 1
		.amdhsa_system_sgpr_workgroup_info 0
		.amdhsa_system_vgpr_workitem_id 2
		.amdhsa_next_free_vgpr 139
		.amdhsa_next_free_sgpr 62
		.amdhsa_accum_offset 140
		.amdhsa_reserve_vcc 1
		.amdhsa_reserve_flat_scratch 0
		.amdhsa_float_round_mode_32 0
		.amdhsa_float_round_mode_16_64 0
		.amdhsa_float_denorm_mode_32 3
		.amdhsa_float_denorm_mode_16_64 3
		.amdhsa_dx10_clamp 1
		.amdhsa_ieee_mode 1
		.amdhsa_fp16_overflow 0
		.amdhsa_tg_split 0
		.amdhsa_exception_fp_ieee_invalid_op 0
		.amdhsa_exception_fp_denorm_src 0
		.amdhsa_exception_fp_ieee_div_zero 0
		.amdhsa_exception_fp_ieee_overflow 0
		.amdhsa_exception_fp_ieee_underflow 0
		.amdhsa_exception_fp_ieee_inexact 0
		.amdhsa_exception_int_div_zero 0
	.end_amdhsa_kernel
	.section	.text._ZN2at6native18radixSortKVInPlaceILin2ELin1ELi256ELi8EdljEEvNS_4cuda6detail10TensorInfoIT3_T5_EES6_S6_S6_NS4_IT4_S6_EES6_b,"axG",@progbits,_ZN2at6native18radixSortKVInPlaceILin2ELin1ELi256ELi8EdljEEvNS_4cuda6detail10TensorInfoIT3_T5_EES6_S6_S6_NS4_IT4_S6_EES6_b,comdat
.Lfunc_end181:
	.size	_ZN2at6native18radixSortKVInPlaceILin2ELin1ELi256ELi8EdljEEvNS_4cuda6detail10TensorInfoIT3_T5_EES6_S6_S6_NS4_IT4_S6_EES6_b, .Lfunc_end181-_ZN2at6native18radixSortKVInPlaceILin2ELin1ELi256ELi8EdljEEvNS_4cuda6detail10TensorInfoIT3_T5_EES6_S6_S6_NS4_IT4_S6_EES6_b
                                        ; -- End function
	.section	.AMDGPU.csdata,"",@progbits
; Kernel info:
; codeLenInByte = 13812
; NumSgprs: 66
; NumVgprs: 139
; NumAgprs: 0
; TotalNumVgprs: 139
; ScratchSize: 0
; MemoryBound: 0
; FloatMode: 240
; IeeeMode: 1
; LDSByteSize: 16896 bytes/workgroup (compile time only)
; SGPRBlocks: 8
; VGPRBlocks: 17
; NumSGPRsForWavesPerEU: 66
; NumVGPRsForWavesPerEU: 139
; AccumOffset: 140
; Occupancy: 3
; WaveLimiterHint : 1
; COMPUTE_PGM_RSRC2:SCRATCH_EN: 0
; COMPUTE_PGM_RSRC2:USER_SGPR: 6
; COMPUTE_PGM_RSRC2:TRAP_HANDLER: 0
; COMPUTE_PGM_RSRC2:TGID_X_EN: 1
; COMPUTE_PGM_RSRC2:TGID_Y_EN: 1
; COMPUTE_PGM_RSRC2:TGID_Z_EN: 1
; COMPUTE_PGM_RSRC2:TIDIG_COMP_CNT: 2
; COMPUTE_PGM_RSRC3_GFX90A:ACCUM_OFFSET: 34
; COMPUTE_PGM_RSRC3_GFX90A:TG_SPLIT: 0
	.section	.text._ZN2at6native18radixSortKVInPlaceILin2ELin1ELi128ELi8EdljEEvNS_4cuda6detail10TensorInfoIT3_T5_EES6_S6_S6_NS4_IT4_S6_EES6_b,"axG",@progbits,_ZN2at6native18radixSortKVInPlaceILin2ELin1ELi128ELi8EdljEEvNS_4cuda6detail10TensorInfoIT3_T5_EES6_S6_S6_NS4_IT4_S6_EES6_b,comdat
	.protected	_ZN2at6native18radixSortKVInPlaceILin2ELin1ELi128ELi8EdljEEvNS_4cuda6detail10TensorInfoIT3_T5_EES6_S6_S6_NS4_IT4_S6_EES6_b ; -- Begin function _ZN2at6native18radixSortKVInPlaceILin2ELin1ELi128ELi8EdljEEvNS_4cuda6detail10TensorInfoIT3_T5_EES6_S6_S6_NS4_IT4_S6_EES6_b
	.globl	_ZN2at6native18radixSortKVInPlaceILin2ELin1ELi128ELi8EdljEEvNS_4cuda6detail10TensorInfoIT3_T5_EES6_S6_S6_NS4_IT4_S6_EES6_b
	.p2align	8
	.type	_ZN2at6native18radixSortKVInPlaceILin2ELin1ELi128ELi8EdljEEvNS_4cuda6detail10TensorInfoIT3_T5_EES6_S6_S6_NS4_IT4_S6_EES6_b,@function
_ZN2at6native18radixSortKVInPlaceILin2ELin1ELi128ELi8EdljEEvNS_4cuda6detail10TensorInfoIT3_T5_EES6_S6_S6_NS4_IT4_S6_EES6_b: ; @_ZN2at6native18radixSortKVInPlaceILin2ELin1ELi128ELi8EdljEEvNS_4cuda6detail10TensorInfoIT3_T5_EES6_S6_S6_NS4_IT4_S6_EES6_b
; %bb.0:
	s_load_dwordx2 s[0:1], s[4:5], 0x1c8
	s_load_dwordx4 s[44:47], s[4:5], 0xd8
	s_add_u32 s50, s4, 0x1c8
	s_addc_u32 s51, s5, 0
	s_waitcnt lgkmcnt(0)
	s_mul_i32 s1, s1, s8
	s_add_i32 s1, s1, s7
	s_mul_i32 s0, s1, s0
	s_add_i32 s6, s0, s6
	s_cmp_ge_u32 s6, s44
	s_cbranch_scc1 .LBB182_110
; %bb.1:
	s_load_dword s2, s[4:5], 0x1b8
	s_load_dwordx2 s[0:1], s[4:5], 0x0
	s_add_u32 s22, s4, 0xe8
	s_addc_u32 s23, s5, 0
	s_mov_b32 s21, 0
	s_waitcnt lgkmcnt(0)
	s_cmp_lt_i32 s2, 2
	s_mov_b32 s20, s6
	s_cbranch_scc1 .LBB182_4
; %bb.2:
	s_add_i32 s20, s2, -1
	s_add_i32 s7, s2, 1
	s_lshl_b64 s[2:3], s[20:21], 2
	s_add_u32 s2, s2, s22
	s_addc_u32 s3, s3, s23
	s_add_u32 s2, s2, 8
	s_addc_u32 s3, s3, 0
	s_mov_b32 s20, s6
.LBB182_3:                              ; =>This Inner Loop Header: Depth=1
	s_load_dword s8, s[2:3], 0x0
	s_load_dword s10, s[2:3], 0x64
	s_mov_b32 s9, s20
	s_waitcnt lgkmcnt(0)
	v_cvt_f32_u32_e32 v1, s8
	s_sub_i32 s11, 0, s8
	v_rcp_iflag_f32_e32 v1, v1
	v_mul_f32_e32 v1, 0x4f7ffffe, v1
	v_cvt_u32_f32_e32 v1, v1
	v_readfirstlane_b32 s12, v1
	s_mul_i32 s11, s11, s12
	s_mul_hi_u32 s11, s12, s11
	s_add_i32 s12, s12, s11
	s_mul_hi_u32 s11, s20, s12
	s_mul_i32 s12, s11, s8
	s_sub_i32 s12, s20, s12
	s_add_i32 s13, s11, 1
	s_sub_i32 s14, s12, s8
	s_cmp_ge_u32 s12, s8
	s_cselect_b32 s11, s13, s11
	s_cselect_b32 s12, s14, s12
	s_add_i32 s13, s11, 1
	s_cmp_ge_u32 s12, s8
	s_cselect_b32 s20, s13, s11
	s_mul_i32 s8, s20, s8
	s_sub_i32 s8, s9, s8
	s_mul_i32 s8, s10, s8
	s_add_i32 s7, s7, -1
	s_add_i32 s21, s8, s21
	s_add_u32 s2, s2, -4
	s_addc_u32 s3, s3, -1
	s_cmp_gt_u32 s7, 2
	s_cbranch_scc1 .LBB182_3
.LBB182_4:
	s_load_dword s2, s[4:5], 0x6c
	s_load_dwordx2 s[48:49], s[4:5], 0x1c0
	s_mov_b32 s3, 0
	s_mov_b32 s4, -1
	v_and_b32_e32 v70, 0x3ff, v0
	s_waitcnt lgkmcnt(0)
	s_mul_i32 s2, s2, s6
	s_bitcmp1_b32 s49, 0
	s_cselect_b64 s[34:35], -1, 0
	s_and_b64 s[6:7], s[34:35], exec
	s_cselect_b32 s5, -1, 0x7fffffff
	s_lshl_b64 s[2:3], s[2:3], 3
	s_add_u32 s33, s0, s2
	s_mov_b32 s6, s4
	s_mov_b32 s7, s5
	;; [unrolled: 1-line block ×14, first 2 shown]
	v_pk_mov_b32 v[2:3], s[4:5], s[4:5] op_sel:[0,1]
	s_addc_u32 s47, s1, s3
	v_cmp_gt_u32_e64 s[0:1], s45, v70
	v_pk_mov_b32 v[4:5], s[6:7], s[6:7] op_sel:[0,1]
	v_pk_mov_b32 v[6:7], s[8:9], s[8:9] op_sel:[0,1]
	;; [unrolled: 1-line block ×8, first 2 shown]
	v_mul_lo_u32 v66, v70, s46
	s_and_saveexec_b64 s[2:3], s[0:1]
	s_cbranch_execz .LBB182_6
; %bb.5:
	v_mov_b32_e32 v67, 0
	v_lshlrev_b64 v[2:3], 3, v[66:67]
	v_mov_b32_e32 v1, s47
	v_add_co_u32_e32 v2, vcc, s33, v2
	v_addc_co_u32_e32 v3, vcc, v1, v3, vcc
	global_load_dwordx2 v[18:19], v[2:3], off
	v_pk_mov_b32 v[2:3], s[4:5], s[4:5] op_sel:[0,1]
	v_pk_mov_b32 v[4:5], s[6:7], s[6:7] op_sel:[0,1]
	;; [unrolled: 1-line block ×8, first 2 shown]
.LBB182_6:
	s_or_b64 exec, exec, s[2:3]
	v_add_u32_e32 v1, 0x80, v70
	v_cmp_gt_u32_e64 s[2:3], s45, v1
	s_and_saveexec_b64 s[4:5], s[2:3]
	s_cbranch_execz .LBB182_8
; %bb.7:
	v_mul_lo_u32 v2, v1, s46
	v_mov_b32_e32 v3, 0
	v_lshlrev_b64 v[2:3], 3, v[2:3]
	v_mov_b32_e32 v4, s47
	v_add_co_u32_e32 v2, vcc, s33, v2
	v_addc_co_u32_e32 v3, vcc, v4, v3, vcc
	global_load_dwordx2 v[4:5], v[2:3], off
.LBB182_8:
	s_or_b64 exec, exec, s[4:5]
	v_add_u32_e32 v34, 0x100, v70
	v_cmp_gt_u32_e64 s[4:5], s45, v34
	s_and_saveexec_b64 s[6:7], s[4:5]
	s_cbranch_execz .LBB182_10
; %bb.9:
	v_mul_lo_u32 v2, v34, s46
	v_mov_b32_e32 v3, 0
	v_lshlrev_b64 v[2:3], 3, v[2:3]
	v_mov_b32_e32 v6, s47
	v_add_co_u32_e32 v2, vcc, s33, v2
	v_addc_co_u32_e32 v3, vcc, v6, v3, vcc
	global_load_dwordx2 v[6:7], v[2:3], off
.LBB182_10:
	;; [unrolled: 14-line block ×5, first 2 shown]
	s_or_b64 exec, exec, s[12:13]
	s_load_dwordx2 s[18:19], s[22:23], 0x0
	v_add_u32_e32 v38, 0x300, v70
	v_cmp_gt_u32_e64 s[12:13], s45, v38
	s_and_saveexec_b64 s[14:15], s[12:13]
	s_cbranch_execz .LBB182_18
; %bb.17:
	v_mul_lo_u32 v2, v38, s46
	v_mov_b32_e32 v3, 0
	v_lshlrev_b64 v[2:3], 3, v[2:3]
	v_mov_b32_e32 v14, s47
	v_add_co_u32_e32 v2, vcc, s33, v2
	v_addc_co_u32_e32 v3, vcc, v14, v3, vcc
	global_load_dwordx2 v[14:15], v[2:3], off
.LBB182_18:
	s_or_b64 exec, exec, s[14:15]
	s_load_dword s22, s[22:23], 0x6c
	v_add_u32_e32 v39, 0x380, v70
	v_cmp_gt_u32_e64 s[14:15], s45, v39
	s_and_saveexec_b64 s[16:17], s[14:15]
	s_cbranch_execz .LBB182_20
; %bb.19:
	v_mul_lo_u32 v2, v39, s46
	v_mov_b32_e32 v3, 0
	v_lshlrev_b64 v[2:3], 3, v[2:3]
	v_mov_b32_e32 v16, s47
	v_add_co_u32_e32 v2, vcc, s33, v2
	v_addc_co_u32_e32 v3, vcc, v16, v3, vcc
	global_load_dwordx2 v[16:17], v[2:3], off
.LBB182_20:
	s_or_b64 exec, exec, s[16:17]
	v_lshrrev_b32_e32 v2, 5, v70
	v_add_lshl_u32 v71, v2, v70, 3
	v_lshrrev_b32_e32 v2, 5, v1
	v_add_lshl_u32 v104, v2, v70, 3
	;; [unrolled: 2-line block ×8, first 2 shown]
	v_lshlrev_b32_e32 v67, 3, v70
	v_lshrrev_b32_e32 v2, 2, v70
	v_add_lshl_u32 v111, v2, v67, 3
	s_waitcnt vmcnt(0)
	ds_write_b64 v71, v[18:19]
	ds_write_b64 v104, v[4:5] offset:1024
	ds_write_b64 v105, v[6:7] offset:2048
	ds_write_b64 v106, v[8:9] offset:3072
	ds_write_b64 v107, v[10:11] offset:4096
	ds_write_b64 v108, v[12:13] offset:5120
	ds_write_b64 v109, v[14:15] offset:6144
	ds_write_b64 v110, v[16:17] offset:7168
	s_waitcnt lgkmcnt(0)
	s_barrier
	ds_read2_b64 v[30:33], v111 offset1:1
	ds_read2_b64 v[26:29], v111 offset0:2 offset1:3
	ds_read2_b64 v[22:25], v111 offset0:4 offset1:5
	;; [unrolled: 1-line block ×3, first 2 shown]
	s_mul_i32 s16, s22, s20
	s_add_i32 s16, s16, s21
	s_mov_b32 s17, 0
	s_lshl_b64 s[20:21], s[16:17], 3
	s_add_u32 s49, s18, s20
	s_mov_b32 s16, s17
	s_addc_u32 s54, s19, s21
	s_mov_b32 s18, s17
	s_mov_b32 s19, s17
	;; [unrolled: 1-line block ×14, first 2 shown]
	v_pk_mov_b32 v[2:3], s[16:17], s[16:17] op_sel:[0,1]
	v_pk_mov_b32 v[4:5], s[18:19], s[18:19] op_sel:[0,1]
	;; [unrolled: 1-line block ×8, first 2 shown]
	v_pk_mov_b32 v[2:3], 0, 0
	v_mul_lo_u32 v68, v70, s48
	s_waitcnt lgkmcnt(0)
	s_barrier
	s_and_saveexec_b64 s[16:17], s[0:1]
	s_cbranch_execnz .LBB182_57
; %bb.21:
	s_or_b64 exec, exec, s[16:17]
	s_and_saveexec_b64 s[16:17], s[2:3]
	s_cbranch_execnz .LBB182_58
.LBB182_22:
	s_or_b64 exec, exec, s[16:17]
	s_and_saveexec_b64 s[16:17], s[4:5]
	s_cbranch_execnz .LBB182_59
.LBB182_23:
	s_or_b64 exec, exec, s[16:17]
	s_and_saveexec_b64 s[16:17], s[6:7]
	s_cbranch_execnz .LBB182_60
.LBB182_24:
	s_or_b64 exec, exec, s[16:17]
	s_and_saveexec_b64 s[16:17], s[8:9]
	s_cbranch_execnz .LBB182_61
.LBB182_25:
	s_or_b64 exec, exec, s[16:17]
	s_and_saveexec_b64 s[16:17], s[10:11]
	s_cbranch_execnz .LBB182_62
.LBB182_26:
	s_or_b64 exec, exec, s[16:17]
	s_and_saveexec_b64 s[16:17], s[12:13]
	s_cbranch_execnz .LBB182_63
.LBB182_27:
	s_or_b64 exec, exec, s[16:17]
	s_xor_b64 s[16:17], s[34:35], -1
	s_and_saveexec_b64 s[18:19], s[14:15]
	s_cbranch_execz .LBB182_29
.LBB182_28:
	v_mul_lo_u32 v16, v39, s48
	v_mov_b32_e32 v17, 0
	v_lshlrev_b64 v[16:17], 3, v[16:17]
	v_mov_b32_e32 v1, s54
	v_add_co_u32_e32 v16, vcc, s49, v16
	v_addc_co_u32_e32 v17, vcc, v1, v17, vcc
	global_load_dwordx2 v[16:17], v[16:17], off
.LBB182_29:
	s_or_b64 exec, exec, s[18:19]
	s_waitcnt vmcnt(0)
	ds_write_b64 v71, v[2:3]
	ds_write_b64 v104, v[4:5] offset:1024
	ds_write_b64 v105, v[6:7] offset:2048
	;; [unrolled: 1-line block ×7, first 2 shown]
	s_waitcnt lgkmcnt(0)
	s_barrier
	ds_read2_b64 v[46:49], v111 offset1:1
	ds_read2_b64 v[42:45], v111 offset0:2 offset1:3
	ds_read2_b64 v[38:41], v111 offset0:4 offset1:5
	ds_read2_b64 v[34:37], v111 offset0:6 offset1:7
	s_and_b64 vcc, exec, s[16:17]
	v_bfe_u32 v114, v0, 10, 10
	v_bfe_u32 v115, v0, 20, 10
	v_ashrrev_i32_e32 v124, 31, v31
	v_ashrrev_i32_e32 v123, 31, v33
	v_ashrrev_i32_e32 v122, 31, v27
	v_ashrrev_i32_e32 v121, 31, v29
	v_ashrrev_i32_e32 v120, 31, v23
	v_ashrrev_i32_e32 v119, 31, v25
	v_ashrrev_i32_e32 v118, 31, v19
	v_ashrrev_i32_e32 v117, 31, v21
	v_mbcnt_lo_u32_b32 v116, -1, 0
	v_lshlrev_b32_e32 v69, 2, v70
	v_lshlrev_b32_e32 v112, 4, v70
	v_cmp_gt_u32_e64 s[16:17], 2, v70
	v_cmp_lt_u32_e64 s[18:19], 63, v70
	v_cmp_eq_u32_e64 s[20:21], 0, v70
	v_lshrrev_b32_e32 v113, 4, v70
	s_waitcnt lgkmcnt(0)
	s_barrier
	s_cbranch_vccz .LBB182_64
; %bb.30:
	v_bfrev_b32_e32 v125, 1
	v_cmp_lt_i64_e32 vcc, -1, v[30:31]
	v_cndmask_b32_e32 v0, -1, v125, vcc
	v_cmp_lt_i64_e32 vcc, -1, v[32:33]
	v_cndmask_b32_e32 v2, -1, v125, vcc
	;; [unrolled: 2-line block ×7, first 2 shown]
	v_cmp_lt_i64_e32 vcc, -1, v[20:21]
	v_mbcnt_hi_u32_b32 v72, -1, v116
	v_and_b32_e32 v73, 0x3c0, v70
	v_xor_b32_e32 v1, v0, v31
	v_xor_b32_e32 v0, v124, v30
	;; [unrolled: 1-line block ×4, first 2 shown]
	v_cndmask_b32_e32 v14, -1, v125, vcc
	v_add_lshl_u32 v16, v72, v73, 6
	v_and_b32_e32 v74, 0x1e00, v67
	v_xor_b32_e32 v5, v4, v27
	v_xor_b32_e32 v4, v122, v26
	;; [unrolled: 1-line block ×12, first 2 shown]
	ds_write2_b64 v16, v[0:1], v[2:3] offset1:1
	ds_write2_b64 v16, v[4:5], v[6:7] offset0:2 offset1:3
	ds_write2_b64 v16, v[8:9], v[10:11] offset0:4 offset1:5
	;; [unrolled: 1-line block ×3, first 2 shown]
	v_or_b32_e32 v0, v72, v74
	v_lshlrev_b32_e32 v17, 3, v0
	; wave barrier
	ds_read2st64_b64 v[0:3], v17 offset1:1
	ds_read2st64_b64 v[4:7], v17 offset0:2 offset1:3
	ds_read2st64_b64 v[8:11], v17 offset0:4 offset1:5
	;; [unrolled: 1-line block ×3, first 2 shown]
	; wave barrier
	ds_write2_b64 v16, v[46:47], v[48:49] offset1:1
	ds_write2_b64 v16, v[42:43], v[44:45] offset0:2 offset1:3
	ds_write2_b64 v16, v[38:39], v[40:41] offset0:4 offset1:5
	;; [unrolled: 1-line block ×3, first 2 shown]
	; wave barrier
	ds_read2st64_b64 v[50:53], v17 offset1:1
	ds_read2st64_b64 v[54:57], v17 offset0:2 offset1:3
	ds_read2st64_b64 v[58:61], v17 offset0:4 offset1:5
	;; [unrolled: 1-line block ×3, first 2 shown]
	s_waitcnt lgkmcnt(0)
	s_barrier
	s_load_dword s24, s[50:51], 0xc
	s_getpc_b64 s[22:23]
	s_add_u32 s22, s22, _ZN7rocprim17ROCPRIM_400000_NS16block_radix_sortIdLj128ELj8ElLj1ELj1ELj0ELNS0_26block_radix_rank_algorithmE1ELNS0_18block_padding_hintE2ELNS0_4arch9wavefront6targetE1EE19radix_bits_per_passE@rel32@lo+4
	s_addc_u32 s23, s23, _ZN7rocprim17ROCPRIM_400000_NS16block_radix_sortIdLj128ELj8ElLj1ELj1ELj0ELNS0_26block_radix_rank_algorithmE1ELNS0_18block_padding_hintE2ELNS0_4arch9wavefront6targetE1EE19radix_bits_per_passE@rel32@hi+12
	s_load_dword s55, s[22:23], 0x0
	s_mov_b32 s44, -1
	v_and_b32_e32 v129, 60, v113
	s_waitcnt lgkmcnt(0)
	s_lshr_b32 s22, s24, 16
	s_and_b32 s23, s24, 0xffff
	v_mad_u32_u24 v16, v115, s22, v114
	v_mad_u64_u32 v[16:17], s[22:23], v16, s23, v[70:71]
	v_lshrrev_b32_e32 v127, 6, v16
	v_and_b32_e32 v16, 15, v72
	v_cmp_eq_u32_e64 s[22:23], 0, v16
	v_cmp_lt_u32_e64 s[24:25], 1, v16
	v_cmp_lt_u32_e64 s[26:27], 3, v16
	;; [unrolled: 1-line block ×3, first 2 shown]
	v_and_b32_e32 v16, 16, v72
	v_cmp_eq_u32_e64 s[30:31], 0, v16
	v_min_u32_e32 v16, 64, v73
	v_or_b32_e32 v16, 63, v16
	v_cmp_eq_u32_e64 s[36:37], v16, v70
	v_add_u32_e32 v16, -1, v72
	v_and_b32_e32 v17, 64, v72
	v_cmp_lt_i32_e32 vcc, v16, v17
	v_cndmask_b32_e32 v16, v16, v72, vcc
	v_lshlrev_b32_e32 v128, 2, v16
	v_and_b32_e32 v16, 1, v72
	v_cmp_eq_u32_e64 s[40:41], 0, v16
	v_and_or_b32 v16, v72, 63, v74
	s_brev_b32 s45, -2
	v_or_b32_e32 v126, 8, v112
	v_cmp_lt_u32_e64 s[34:35], 31, v72
	s_mov_b32 s56, 64
	v_cmp_eq_u32_e64 s[38:39], 0, v72
	v_add_u32_e32 v130, -4, v129
	v_lshlrev_b32_e32 v131, 3, v16
	s_mov_b64 s[52:53], 0
	v_mov_b32_e32 v86, 0
	s_branch .LBB182_32
.LBB182_31:                             ;   in Loop: Header=BB182_32 Depth=1
	v_lshlrev_b32_e32 v50, 3, v138
	v_lshlrev_b32_e32 v51, 3, v137
	;; [unrolled: 1-line block ×8, first 2 shown]
	s_barrier
	ds_write_b64 v50, v[102:103]
	ds_write_b64 v51, v[100:101]
	;; [unrolled: 1-line block ×8, first 2 shown]
	s_waitcnt lgkmcnt(0)
	s_barrier
	ds_read2st64_b64 v[0:3], v131 offset1:1
	ds_read2st64_b64 v[4:7], v131 offset0:2 offset1:3
	ds_read2st64_b64 v[8:11], v131 offset0:4 offset1:5
	;; [unrolled: 1-line block ×3, first 2 shown]
	s_waitcnt lgkmcnt(0)
	s_barrier
	ds_write_b64 v50, v[84:85]
	ds_write_b64 v51, v[82:83]
	;; [unrolled: 1-line block ×8, first 2 shown]
	s_waitcnt lgkmcnt(0)
	s_barrier
	ds_read2st64_b64 v[50:53], v131 offset1:1
	ds_read2st64_b64 v[54:57], v131 offset0:2 offset1:3
	ds_read2st64_b64 v[58:61], v131 offset0:4 offset1:5
	;; [unrolled: 1-line block ×3, first 2 shown]
	s_add_u32 s52, s52, 8
	s_addc_u32 s53, s53, 0
	s_add_i32 s56, s56, -8
	s_waitcnt lgkmcnt(0)
	s_barrier
	s_cbranch_execz .LBB182_56
.LBB182_32:                             ; =>This Inner Loop Header: Depth=1
	v_pk_mov_b32 v[102:103], v[0:1], v[0:1] op_sel:[0,1]
	s_min_u32 s42, s55, s56
	v_cmp_ne_u64_e32 vcc, s[44:45], v[102:103]
	s_lshl_b32 s42, -1, s42
	v_cndmask_b32_e32 v1, v125, v103, vcc
	v_cndmask_b32_e32 v0, 0, v102, vcc
	s_not_b32 s57, s42
	v_lshrrev_b64 v[0:1], s52, v[0:1]
	v_and_b32_e32 v0, s57, v0
	v_lshl_add_u32 v1, v0, 1, v127
	v_pk_mov_b32 v[98:99], v[4:5], v[4:5] op_sel:[0,1]
	v_lshl_add_u32 v4, v1, 2, 8
	v_and_b32_e32 v1, 1, v0
	v_pk_mov_b32 v[100:101], v[2:3], v[2:3] op_sel:[0,1]
	v_add_co_u32_e32 v2, vcc, -1, v1
	v_addc_co_u32_e64 v3, s[42:43], 0, -1, vcc
	v_cmp_ne_u32_e32 vcc, 0, v1
	v_lshlrev_b32_e32 v87, 30, v0
	v_xor_b32_e32 v1, vcc_hi, v3
	v_not_b32_e32 v3, v87
	v_xor_b32_e32 v2, vcc_lo, v2
	v_cmp_gt_i64_e32 vcc, 0, v[86:87]
	v_ashrrev_i32_e32 v3, 31, v3
	v_and_b32_e32 v2, exec_lo, v2
	v_xor_b32_e32 v5, vcc_hi, v3
	v_xor_b32_e32 v3, vcc_lo, v3
	v_lshlrev_b32_e32 v87, 29, v0
	v_and_b32_e32 v2, v2, v3
	v_not_b32_e32 v3, v87
	v_and_b32_e32 v1, exec_hi, v1
	v_cmp_gt_i64_e32 vcc, 0, v[86:87]
	v_ashrrev_i32_e32 v3, 31, v3
	v_and_b32_e32 v1, v1, v5
	v_xor_b32_e32 v5, vcc_hi, v3
	v_xor_b32_e32 v3, vcc_lo, v3
	v_lshlrev_b32_e32 v87, 28, v0
	v_and_b32_e32 v2, v2, v3
	v_not_b32_e32 v3, v87
	v_cmp_gt_i64_e32 vcc, 0, v[86:87]
	v_ashrrev_i32_e32 v3, 31, v3
	v_and_b32_e32 v1, v1, v5
	v_xor_b32_e32 v5, vcc_hi, v3
	v_xor_b32_e32 v3, vcc_lo, v3
	v_lshlrev_b32_e32 v87, 27, v0
	v_and_b32_e32 v2, v2, v3
	v_not_b32_e32 v3, v87
	;; [unrolled: 8-line block ×3, first 2 shown]
	v_cmp_gt_i64_e32 vcc, 0, v[86:87]
	v_ashrrev_i32_e32 v3, 31, v3
	v_and_b32_e32 v1, v1, v5
	v_xor_b32_e32 v5, vcc_hi, v3
	v_xor_b32_e32 v3, vcc_lo, v3
	v_lshlrev_b32_e32 v87, 25, v0
	v_and_b32_e32 v2, v2, v3
	v_cmp_gt_i64_e32 vcc, 0, v[86:87]
	v_not_b32_e32 v3, v87
	v_lshlrev_b32_e32 v87, 24, v0
	v_ashrrev_i32_e32 v3, 31, v3
	v_not_b32_e32 v0, v87
	v_and_b32_e32 v1, v1, v5
	v_xor_b32_e32 v5, vcc_hi, v3
	v_xor_b32_e32 v3, vcc_lo, v3
	v_cmp_gt_i64_e32 vcc, 0, v[86:87]
	v_ashrrev_i32_e32 v0, 31, v0
	v_and_b32_e32 v2, v2, v3
	v_xor_b32_e32 v3, vcc_hi, v0
	v_xor_b32_e32 v0, vcc_lo, v0
	v_and_b32_e32 v1, v1, v5
	v_and_b32_e32 v0, v2, v0
	;; [unrolled: 1-line block ×3, first 2 shown]
	v_mbcnt_lo_u32_b32 v2, v0, 0
	v_mbcnt_hi_u32_b32 v5, v1, v2
	v_cmp_eq_u32_e32 vcc, 0, v5
	v_cmp_ne_u64_e64 s[42:43], 0, v[0:1]
	v_pk_mov_b32 v[88:89], v[14:15], v[14:15] op_sel:[0,1]
	v_pk_mov_b32 v[90:91], v[12:13], v[12:13] op_sel:[0,1]
	;; [unrolled: 1-line block ×13, first 2 shown]
	s_and_b64 s[58:59], s[42:43], vcc
	ds_write2_b32 v112, v86, v86 offset0:2 offset1:3
	ds_write2_b32 v126, v86, v86 offset0:2 offset1:3
	s_waitcnt lgkmcnt(0)
	s_barrier
	s_waitcnt lgkmcnt(0)
	; wave barrier
	s_and_saveexec_b64 s[42:43], s[58:59]
	s_cbranch_execz .LBB182_34
; %bb.33:                               ;   in Loop: Header=BB182_32 Depth=1
	v_bcnt_u32_b32 v0, v0, 0
	v_bcnt_u32_b32 v0, v1, v0
	ds_write_b32 v4, v0
.LBB182_34:                             ;   in Loop: Header=BB182_32 Depth=1
	s_or_b64 exec, exec, s[42:43]
	v_cmp_ne_u64_e32 vcc, s[44:45], v[100:101]
	v_cndmask_b32_e32 v1, v125, v101, vcc
	v_cndmask_b32_e32 v0, 0, v100, vcc
	v_lshrrev_b64 v[0:1], s52, v[0:1]
	v_and_b32_e32 v0, s57, v0
	v_lshlrev_b32_e32 v1, 1, v0
	v_add_lshl_u32 v1, v1, v127, 2
	; wave barrier
	v_add_u32_e32 v7, 8, v1
	ds_read_b32 v6, v1 offset:8
	v_and_b32_e32 v1, 1, v0
	v_add_co_u32_e32 v2, vcc, -1, v1
	v_addc_co_u32_e64 v3, s[42:43], 0, -1, vcc
	v_cmp_ne_u32_e32 vcc, 0, v1
	v_lshlrev_b32_e32 v87, 30, v0
	v_xor_b32_e32 v1, vcc_hi, v3
	v_not_b32_e32 v3, v87
	v_xor_b32_e32 v2, vcc_lo, v2
	v_cmp_gt_i64_e32 vcc, 0, v[86:87]
	v_ashrrev_i32_e32 v3, 31, v3
	v_and_b32_e32 v2, exec_lo, v2
	v_xor_b32_e32 v8, vcc_hi, v3
	v_xor_b32_e32 v3, vcc_lo, v3
	v_lshlrev_b32_e32 v87, 29, v0
	v_and_b32_e32 v2, v2, v3
	v_not_b32_e32 v3, v87
	v_and_b32_e32 v1, exec_hi, v1
	v_cmp_gt_i64_e32 vcc, 0, v[86:87]
	v_ashrrev_i32_e32 v3, 31, v3
	v_and_b32_e32 v1, v1, v8
	v_xor_b32_e32 v8, vcc_hi, v3
	v_xor_b32_e32 v3, vcc_lo, v3
	v_lshlrev_b32_e32 v87, 28, v0
	v_and_b32_e32 v2, v2, v3
	v_not_b32_e32 v3, v87
	v_cmp_gt_i64_e32 vcc, 0, v[86:87]
	v_ashrrev_i32_e32 v3, 31, v3
	v_and_b32_e32 v1, v1, v8
	v_xor_b32_e32 v8, vcc_hi, v3
	v_xor_b32_e32 v3, vcc_lo, v3
	v_lshlrev_b32_e32 v87, 27, v0
	v_and_b32_e32 v2, v2, v3
	v_not_b32_e32 v3, v87
	;; [unrolled: 8-line block ×3, first 2 shown]
	v_cmp_gt_i64_e32 vcc, 0, v[86:87]
	v_ashrrev_i32_e32 v3, 31, v3
	v_and_b32_e32 v1, v1, v8
	v_xor_b32_e32 v8, vcc_hi, v3
	v_xor_b32_e32 v3, vcc_lo, v3
	v_lshlrev_b32_e32 v87, 25, v0
	v_and_b32_e32 v2, v2, v3
	v_cmp_gt_i64_e32 vcc, 0, v[86:87]
	v_not_b32_e32 v3, v87
	v_lshlrev_b32_e32 v87, 24, v0
	v_ashrrev_i32_e32 v3, 31, v3
	v_not_b32_e32 v0, v87
	v_and_b32_e32 v1, v1, v8
	v_xor_b32_e32 v8, vcc_hi, v3
	v_xor_b32_e32 v3, vcc_lo, v3
	v_cmp_gt_i64_e32 vcc, 0, v[86:87]
	v_ashrrev_i32_e32 v0, 31, v0
	v_and_b32_e32 v2, v2, v3
	v_xor_b32_e32 v3, vcc_hi, v0
	v_xor_b32_e32 v0, vcc_lo, v0
	v_and_b32_e32 v1, v1, v8
	v_and_b32_e32 v0, v2, v0
	;; [unrolled: 1-line block ×3, first 2 shown]
	v_mbcnt_lo_u32_b32 v2, v0, 0
	v_mbcnt_hi_u32_b32 v8, v1, v2
	v_cmp_eq_u32_e32 vcc, 0, v8
	v_cmp_ne_u64_e64 s[42:43], 0, v[0:1]
	s_and_b64 s[58:59], s[42:43], vcc
	; wave barrier
	s_and_saveexec_b64 s[42:43], s[58:59]
	s_cbranch_execz .LBB182_36
; %bb.35:                               ;   in Loop: Header=BB182_32 Depth=1
	v_bcnt_u32_b32 v0, v0, 0
	v_bcnt_u32_b32 v0, v1, v0
	s_waitcnt lgkmcnt(0)
	v_add_u32_e32 v0, v6, v0
	ds_write_b32 v7, v0
.LBB182_36:                             ;   in Loop: Header=BB182_32 Depth=1
	s_or_b64 exec, exec, s[42:43]
	v_cmp_ne_u64_e32 vcc, s[44:45], v[98:99]
	v_cndmask_b32_e32 v1, v125, v99, vcc
	v_cndmask_b32_e32 v0, 0, v98, vcc
	v_lshrrev_b64 v[0:1], s52, v[0:1]
	v_and_b32_e32 v0, s57, v0
	v_lshlrev_b32_e32 v1, 1, v0
	v_add_lshl_u32 v1, v1, v127, 2
	; wave barrier
	v_add_u32_e32 v10, 8, v1
	ds_read_b32 v9, v1 offset:8
	v_and_b32_e32 v1, 1, v0
	v_add_co_u32_e32 v2, vcc, -1, v1
	v_addc_co_u32_e64 v3, s[42:43], 0, -1, vcc
	v_cmp_ne_u32_e32 vcc, 0, v1
	v_lshlrev_b32_e32 v87, 30, v0
	v_xor_b32_e32 v1, vcc_hi, v3
	v_not_b32_e32 v3, v87
	v_xor_b32_e32 v2, vcc_lo, v2
	v_cmp_gt_i64_e32 vcc, 0, v[86:87]
	v_ashrrev_i32_e32 v3, 31, v3
	v_and_b32_e32 v2, exec_lo, v2
	v_xor_b32_e32 v11, vcc_hi, v3
	v_xor_b32_e32 v3, vcc_lo, v3
	v_lshlrev_b32_e32 v87, 29, v0
	v_and_b32_e32 v2, v2, v3
	v_not_b32_e32 v3, v87
	v_and_b32_e32 v1, exec_hi, v1
	v_cmp_gt_i64_e32 vcc, 0, v[86:87]
	v_ashrrev_i32_e32 v3, 31, v3
	v_and_b32_e32 v1, v1, v11
	v_xor_b32_e32 v11, vcc_hi, v3
	v_xor_b32_e32 v3, vcc_lo, v3
	v_lshlrev_b32_e32 v87, 28, v0
	v_and_b32_e32 v2, v2, v3
	v_not_b32_e32 v3, v87
	v_cmp_gt_i64_e32 vcc, 0, v[86:87]
	v_ashrrev_i32_e32 v3, 31, v3
	v_and_b32_e32 v1, v1, v11
	v_xor_b32_e32 v11, vcc_hi, v3
	v_xor_b32_e32 v3, vcc_lo, v3
	v_lshlrev_b32_e32 v87, 27, v0
	v_and_b32_e32 v2, v2, v3
	v_not_b32_e32 v3, v87
	;; [unrolled: 8-line block ×3, first 2 shown]
	v_cmp_gt_i64_e32 vcc, 0, v[86:87]
	v_ashrrev_i32_e32 v3, 31, v3
	v_and_b32_e32 v1, v1, v11
	v_xor_b32_e32 v11, vcc_hi, v3
	v_xor_b32_e32 v3, vcc_lo, v3
	v_lshlrev_b32_e32 v87, 25, v0
	v_and_b32_e32 v2, v2, v3
	v_cmp_gt_i64_e32 vcc, 0, v[86:87]
	v_not_b32_e32 v3, v87
	v_lshlrev_b32_e32 v87, 24, v0
	v_ashrrev_i32_e32 v3, 31, v3
	v_not_b32_e32 v0, v87
	v_and_b32_e32 v1, v1, v11
	v_xor_b32_e32 v11, vcc_hi, v3
	v_xor_b32_e32 v3, vcc_lo, v3
	v_cmp_gt_i64_e32 vcc, 0, v[86:87]
	v_ashrrev_i32_e32 v0, 31, v0
	v_and_b32_e32 v2, v2, v3
	v_xor_b32_e32 v3, vcc_hi, v0
	v_xor_b32_e32 v0, vcc_lo, v0
	v_and_b32_e32 v1, v1, v11
	v_and_b32_e32 v0, v2, v0
	;; [unrolled: 1-line block ×3, first 2 shown]
	v_mbcnt_lo_u32_b32 v2, v0, 0
	v_mbcnt_hi_u32_b32 v11, v1, v2
	v_cmp_eq_u32_e32 vcc, 0, v11
	v_cmp_ne_u64_e64 s[42:43], 0, v[0:1]
	s_and_b64 s[58:59], s[42:43], vcc
	; wave barrier
	s_and_saveexec_b64 s[42:43], s[58:59]
	s_cbranch_execz .LBB182_38
; %bb.37:                               ;   in Loop: Header=BB182_32 Depth=1
	v_bcnt_u32_b32 v0, v0, 0
	v_bcnt_u32_b32 v0, v1, v0
	s_waitcnt lgkmcnt(0)
	v_add_u32_e32 v0, v9, v0
	ds_write_b32 v10, v0
.LBB182_38:                             ;   in Loop: Header=BB182_32 Depth=1
	s_or_b64 exec, exec, s[42:43]
	v_cmp_ne_u64_e32 vcc, s[44:45], v[96:97]
	v_cndmask_b32_e32 v1, v125, v97, vcc
	v_cndmask_b32_e32 v0, 0, v96, vcc
	v_lshrrev_b64 v[0:1], s52, v[0:1]
	v_and_b32_e32 v0, s57, v0
	v_lshlrev_b32_e32 v1, 1, v0
	v_add_lshl_u32 v1, v1, v127, 2
	; wave barrier
	v_add_u32_e32 v13, 8, v1
	ds_read_b32 v12, v1 offset:8
	v_and_b32_e32 v1, 1, v0
	v_add_co_u32_e32 v2, vcc, -1, v1
	v_addc_co_u32_e64 v3, s[42:43], 0, -1, vcc
	v_cmp_ne_u32_e32 vcc, 0, v1
	v_lshlrev_b32_e32 v87, 30, v0
	v_xor_b32_e32 v1, vcc_hi, v3
	v_not_b32_e32 v3, v87
	v_xor_b32_e32 v2, vcc_lo, v2
	v_cmp_gt_i64_e32 vcc, 0, v[86:87]
	v_ashrrev_i32_e32 v3, 31, v3
	v_and_b32_e32 v2, exec_lo, v2
	v_xor_b32_e32 v14, vcc_hi, v3
	v_xor_b32_e32 v3, vcc_lo, v3
	v_lshlrev_b32_e32 v87, 29, v0
	v_and_b32_e32 v2, v2, v3
	v_not_b32_e32 v3, v87
	v_and_b32_e32 v1, exec_hi, v1
	v_cmp_gt_i64_e32 vcc, 0, v[86:87]
	v_ashrrev_i32_e32 v3, 31, v3
	v_and_b32_e32 v1, v1, v14
	v_xor_b32_e32 v14, vcc_hi, v3
	v_xor_b32_e32 v3, vcc_lo, v3
	v_lshlrev_b32_e32 v87, 28, v0
	v_and_b32_e32 v2, v2, v3
	v_not_b32_e32 v3, v87
	v_cmp_gt_i64_e32 vcc, 0, v[86:87]
	v_ashrrev_i32_e32 v3, 31, v3
	v_and_b32_e32 v1, v1, v14
	v_xor_b32_e32 v14, vcc_hi, v3
	v_xor_b32_e32 v3, vcc_lo, v3
	v_lshlrev_b32_e32 v87, 27, v0
	v_and_b32_e32 v2, v2, v3
	v_not_b32_e32 v3, v87
	;; [unrolled: 8-line block ×3, first 2 shown]
	v_cmp_gt_i64_e32 vcc, 0, v[86:87]
	v_ashrrev_i32_e32 v3, 31, v3
	v_and_b32_e32 v1, v1, v14
	v_xor_b32_e32 v14, vcc_hi, v3
	v_xor_b32_e32 v3, vcc_lo, v3
	v_lshlrev_b32_e32 v87, 25, v0
	v_and_b32_e32 v2, v2, v3
	v_cmp_gt_i64_e32 vcc, 0, v[86:87]
	v_not_b32_e32 v3, v87
	v_lshlrev_b32_e32 v87, 24, v0
	v_ashrrev_i32_e32 v3, 31, v3
	v_not_b32_e32 v0, v87
	v_and_b32_e32 v1, v1, v14
	v_xor_b32_e32 v14, vcc_hi, v3
	v_xor_b32_e32 v3, vcc_lo, v3
	v_cmp_gt_i64_e32 vcc, 0, v[86:87]
	v_ashrrev_i32_e32 v0, 31, v0
	v_and_b32_e32 v2, v2, v3
	v_xor_b32_e32 v3, vcc_hi, v0
	v_xor_b32_e32 v0, vcc_lo, v0
	v_and_b32_e32 v1, v1, v14
	v_and_b32_e32 v0, v2, v0
	;; [unrolled: 1-line block ×3, first 2 shown]
	v_mbcnt_lo_u32_b32 v2, v0, 0
	v_mbcnt_hi_u32_b32 v14, v1, v2
	v_cmp_eq_u32_e32 vcc, 0, v14
	v_cmp_ne_u64_e64 s[42:43], 0, v[0:1]
	s_and_b64 s[58:59], s[42:43], vcc
	; wave barrier
	s_and_saveexec_b64 s[42:43], s[58:59]
	s_cbranch_execz .LBB182_40
; %bb.39:                               ;   in Loop: Header=BB182_32 Depth=1
	v_bcnt_u32_b32 v0, v0, 0
	v_bcnt_u32_b32 v0, v1, v0
	s_waitcnt lgkmcnt(0)
	v_add_u32_e32 v0, v12, v0
	ds_write_b32 v13, v0
.LBB182_40:                             ;   in Loop: Header=BB182_32 Depth=1
	s_or_b64 exec, exec, s[42:43]
	v_cmp_ne_u64_e32 vcc, s[44:45], v[94:95]
	v_cndmask_b32_e32 v1, v125, v95, vcc
	v_cndmask_b32_e32 v0, 0, v94, vcc
	v_lshrrev_b64 v[0:1], s52, v[0:1]
	v_and_b32_e32 v0, s57, v0
	v_lshlrev_b32_e32 v1, 1, v0
	v_add_lshl_u32 v1, v1, v127, 2
	; wave barrier
	v_add_u32_e32 v50, 8, v1
	ds_read_b32 v15, v1 offset:8
	v_and_b32_e32 v1, 1, v0
	v_add_co_u32_e32 v2, vcc, -1, v1
	v_addc_co_u32_e64 v3, s[42:43], 0, -1, vcc
	v_cmp_ne_u32_e32 vcc, 0, v1
	v_lshlrev_b32_e32 v87, 30, v0
	v_xor_b32_e32 v1, vcc_hi, v3
	v_not_b32_e32 v3, v87
	v_xor_b32_e32 v2, vcc_lo, v2
	v_cmp_gt_i64_e32 vcc, 0, v[86:87]
	v_ashrrev_i32_e32 v3, 31, v3
	v_and_b32_e32 v2, exec_lo, v2
	v_xor_b32_e32 v51, vcc_hi, v3
	v_xor_b32_e32 v3, vcc_lo, v3
	v_lshlrev_b32_e32 v87, 29, v0
	v_and_b32_e32 v2, v2, v3
	v_not_b32_e32 v3, v87
	v_and_b32_e32 v1, exec_hi, v1
	v_cmp_gt_i64_e32 vcc, 0, v[86:87]
	v_ashrrev_i32_e32 v3, 31, v3
	v_and_b32_e32 v1, v1, v51
	v_xor_b32_e32 v51, vcc_hi, v3
	v_xor_b32_e32 v3, vcc_lo, v3
	v_lshlrev_b32_e32 v87, 28, v0
	v_and_b32_e32 v2, v2, v3
	v_not_b32_e32 v3, v87
	v_cmp_gt_i64_e32 vcc, 0, v[86:87]
	v_ashrrev_i32_e32 v3, 31, v3
	v_and_b32_e32 v1, v1, v51
	v_xor_b32_e32 v51, vcc_hi, v3
	v_xor_b32_e32 v3, vcc_lo, v3
	v_lshlrev_b32_e32 v87, 27, v0
	v_and_b32_e32 v2, v2, v3
	v_not_b32_e32 v3, v87
	;; [unrolled: 8-line block ×3, first 2 shown]
	v_cmp_gt_i64_e32 vcc, 0, v[86:87]
	v_ashrrev_i32_e32 v3, 31, v3
	v_and_b32_e32 v1, v1, v51
	v_xor_b32_e32 v51, vcc_hi, v3
	v_xor_b32_e32 v3, vcc_lo, v3
	v_lshlrev_b32_e32 v87, 25, v0
	v_and_b32_e32 v2, v2, v3
	v_cmp_gt_i64_e32 vcc, 0, v[86:87]
	v_not_b32_e32 v3, v87
	v_lshlrev_b32_e32 v87, 24, v0
	v_ashrrev_i32_e32 v3, 31, v3
	v_not_b32_e32 v0, v87
	v_and_b32_e32 v1, v1, v51
	v_xor_b32_e32 v51, vcc_hi, v3
	v_xor_b32_e32 v3, vcc_lo, v3
	v_cmp_gt_i64_e32 vcc, 0, v[86:87]
	v_ashrrev_i32_e32 v0, 31, v0
	v_and_b32_e32 v2, v2, v3
	v_xor_b32_e32 v3, vcc_hi, v0
	v_xor_b32_e32 v0, vcc_lo, v0
	v_and_b32_e32 v1, v1, v51
	v_and_b32_e32 v0, v2, v0
	;; [unrolled: 1-line block ×3, first 2 shown]
	v_mbcnt_lo_u32_b32 v2, v0, 0
	v_mbcnt_hi_u32_b32 v51, v1, v2
	v_cmp_eq_u32_e32 vcc, 0, v51
	v_cmp_ne_u64_e64 s[42:43], 0, v[0:1]
	s_and_b64 s[58:59], s[42:43], vcc
	; wave barrier
	s_and_saveexec_b64 s[42:43], s[58:59]
	s_cbranch_execz .LBB182_42
; %bb.41:                               ;   in Loop: Header=BB182_32 Depth=1
	v_bcnt_u32_b32 v0, v0, 0
	v_bcnt_u32_b32 v0, v1, v0
	s_waitcnt lgkmcnt(0)
	v_add_u32_e32 v0, v15, v0
	ds_write_b32 v50, v0
.LBB182_42:                             ;   in Loop: Header=BB182_32 Depth=1
	s_or_b64 exec, exec, s[42:43]
	v_cmp_ne_u64_e32 vcc, s[44:45], v[92:93]
	v_cndmask_b32_e32 v1, v125, v93, vcc
	v_cndmask_b32_e32 v0, 0, v92, vcc
	v_lshrrev_b64 v[0:1], s52, v[0:1]
	v_and_b32_e32 v0, s57, v0
	v_lshlrev_b32_e32 v1, 1, v0
	v_add_lshl_u32 v1, v1, v127, 2
	; wave barrier
	v_add_u32_e32 v53, 8, v1
	ds_read_b32 v52, v1 offset:8
	v_and_b32_e32 v1, 1, v0
	v_add_co_u32_e32 v2, vcc, -1, v1
	v_addc_co_u32_e64 v3, s[42:43], 0, -1, vcc
	v_cmp_ne_u32_e32 vcc, 0, v1
	v_lshlrev_b32_e32 v87, 30, v0
	v_xor_b32_e32 v1, vcc_hi, v3
	v_not_b32_e32 v3, v87
	v_xor_b32_e32 v2, vcc_lo, v2
	v_cmp_gt_i64_e32 vcc, 0, v[86:87]
	v_ashrrev_i32_e32 v3, 31, v3
	v_and_b32_e32 v2, exec_lo, v2
	v_xor_b32_e32 v54, vcc_hi, v3
	v_xor_b32_e32 v3, vcc_lo, v3
	v_lshlrev_b32_e32 v87, 29, v0
	v_and_b32_e32 v2, v2, v3
	v_not_b32_e32 v3, v87
	v_and_b32_e32 v1, exec_hi, v1
	v_cmp_gt_i64_e32 vcc, 0, v[86:87]
	v_ashrrev_i32_e32 v3, 31, v3
	v_and_b32_e32 v1, v1, v54
	v_xor_b32_e32 v54, vcc_hi, v3
	v_xor_b32_e32 v3, vcc_lo, v3
	v_lshlrev_b32_e32 v87, 28, v0
	v_and_b32_e32 v2, v2, v3
	v_not_b32_e32 v3, v87
	v_cmp_gt_i64_e32 vcc, 0, v[86:87]
	v_ashrrev_i32_e32 v3, 31, v3
	v_and_b32_e32 v1, v1, v54
	v_xor_b32_e32 v54, vcc_hi, v3
	v_xor_b32_e32 v3, vcc_lo, v3
	v_lshlrev_b32_e32 v87, 27, v0
	v_and_b32_e32 v2, v2, v3
	v_not_b32_e32 v3, v87
	;; [unrolled: 8-line block ×3, first 2 shown]
	v_cmp_gt_i64_e32 vcc, 0, v[86:87]
	v_ashrrev_i32_e32 v3, 31, v3
	v_and_b32_e32 v1, v1, v54
	v_xor_b32_e32 v54, vcc_hi, v3
	v_xor_b32_e32 v3, vcc_lo, v3
	v_lshlrev_b32_e32 v87, 25, v0
	v_and_b32_e32 v2, v2, v3
	v_cmp_gt_i64_e32 vcc, 0, v[86:87]
	v_not_b32_e32 v3, v87
	v_lshlrev_b32_e32 v87, 24, v0
	v_ashrrev_i32_e32 v3, 31, v3
	v_not_b32_e32 v0, v87
	v_and_b32_e32 v1, v1, v54
	v_xor_b32_e32 v54, vcc_hi, v3
	v_xor_b32_e32 v3, vcc_lo, v3
	v_cmp_gt_i64_e32 vcc, 0, v[86:87]
	v_ashrrev_i32_e32 v0, 31, v0
	v_and_b32_e32 v2, v2, v3
	v_xor_b32_e32 v3, vcc_hi, v0
	v_xor_b32_e32 v0, vcc_lo, v0
	v_and_b32_e32 v1, v1, v54
	v_and_b32_e32 v0, v2, v0
	;; [unrolled: 1-line block ×3, first 2 shown]
	v_mbcnt_lo_u32_b32 v2, v0, 0
	v_mbcnt_hi_u32_b32 v54, v1, v2
	v_cmp_eq_u32_e32 vcc, 0, v54
	v_cmp_ne_u64_e64 s[42:43], 0, v[0:1]
	s_and_b64 s[58:59], s[42:43], vcc
	; wave barrier
	s_and_saveexec_b64 s[42:43], s[58:59]
	s_cbranch_execz .LBB182_44
; %bb.43:                               ;   in Loop: Header=BB182_32 Depth=1
	v_bcnt_u32_b32 v0, v0, 0
	v_bcnt_u32_b32 v0, v1, v0
	s_waitcnt lgkmcnt(0)
	v_add_u32_e32 v0, v52, v0
	ds_write_b32 v53, v0
.LBB182_44:                             ;   in Loop: Header=BB182_32 Depth=1
	s_or_b64 exec, exec, s[42:43]
	v_cmp_ne_u64_e32 vcc, s[44:45], v[90:91]
	v_cndmask_b32_e32 v1, v125, v91, vcc
	v_cndmask_b32_e32 v0, 0, v90, vcc
	v_lshrrev_b64 v[0:1], s52, v[0:1]
	v_and_b32_e32 v0, s57, v0
	v_lshlrev_b32_e32 v1, 1, v0
	v_add_lshl_u32 v1, v1, v127, 2
	; wave barrier
	v_add_u32_e32 v56, 8, v1
	ds_read_b32 v55, v1 offset:8
	v_and_b32_e32 v1, 1, v0
	v_add_co_u32_e32 v2, vcc, -1, v1
	v_addc_co_u32_e64 v3, s[42:43], 0, -1, vcc
	v_cmp_ne_u32_e32 vcc, 0, v1
	v_lshlrev_b32_e32 v87, 30, v0
	v_xor_b32_e32 v1, vcc_hi, v3
	v_not_b32_e32 v3, v87
	v_xor_b32_e32 v2, vcc_lo, v2
	v_cmp_gt_i64_e32 vcc, 0, v[86:87]
	v_ashrrev_i32_e32 v3, 31, v3
	v_and_b32_e32 v2, exec_lo, v2
	v_xor_b32_e32 v57, vcc_hi, v3
	v_xor_b32_e32 v3, vcc_lo, v3
	v_lshlrev_b32_e32 v87, 29, v0
	v_and_b32_e32 v2, v2, v3
	v_not_b32_e32 v3, v87
	v_and_b32_e32 v1, exec_hi, v1
	v_cmp_gt_i64_e32 vcc, 0, v[86:87]
	v_ashrrev_i32_e32 v3, 31, v3
	v_and_b32_e32 v1, v1, v57
	v_xor_b32_e32 v57, vcc_hi, v3
	v_xor_b32_e32 v3, vcc_lo, v3
	v_lshlrev_b32_e32 v87, 28, v0
	v_and_b32_e32 v2, v2, v3
	v_not_b32_e32 v3, v87
	v_cmp_gt_i64_e32 vcc, 0, v[86:87]
	v_ashrrev_i32_e32 v3, 31, v3
	v_and_b32_e32 v1, v1, v57
	v_xor_b32_e32 v57, vcc_hi, v3
	v_xor_b32_e32 v3, vcc_lo, v3
	v_lshlrev_b32_e32 v87, 27, v0
	v_and_b32_e32 v2, v2, v3
	v_not_b32_e32 v3, v87
	;; [unrolled: 8-line block ×3, first 2 shown]
	v_cmp_gt_i64_e32 vcc, 0, v[86:87]
	v_ashrrev_i32_e32 v3, 31, v3
	v_and_b32_e32 v1, v1, v57
	v_xor_b32_e32 v57, vcc_hi, v3
	v_xor_b32_e32 v3, vcc_lo, v3
	v_lshlrev_b32_e32 v87, 25, v0
	v_and_b32_e32 v2, v2, v3
	v_cmp_gt_i64_e32 vcc, 0, v[86:87]
	v_not_b32_e32 v3, v87
	v_lshlrev_b32_e32 v87, 24, v0
	v_ashrrev_i32_e32 v3, 31, v3
	v_not_b32_e32 v0, v87
	v_and_b32_e32 v1, v1, v57
	v_xor_b32_e32 v57, vcc_hi, v3
	v_xor_b32_e32 v3, vcc_lo, v3
	v_cmp_gt_i64_e32 vcc, 0, v[86:87]
	v_ashrrev_i32_e32 v0, 31, v0
	v_and_b32_e32 v2, v2, v3
	v_xor_b32_e32 v3, vcc_hi, v0
	v_xor_b32_e32 v0, vcc_lo, v0
	v_and_b32_e32 v1, v1, v57
	v_and_b32_e32 v0, v2, v0
	;; [unrolled: 1-line block ×3, first 2 shown]
	v_mbcnt_lo_u32_b32 v2, v0, 0
	v_mbcnt_hi_u32_b32 v57, v1, v2
	v_cmp_eq_u32_e32 vcc, 0, v57
	v_cmp_ne_u64_e64 s[42:43], 0, v[0:1]
	s_and_b64 s[58:59], s[42:43], vcc
	; wave barrier
	s_and_saveexec_b64 s[42:43], s[58:59]
	s_cbranch_execz .LBB182_46
; %bb.45:                               ;   in Loop: Header=BB182_32 Depth=1
	v_bcnt_u32_b32 v0, v0, 0
	v_bcnt_u32_b32 v0, v1, v0
	s_waitcnt lgkmcnt(0)
	v_add_u32_e32 v0, v55, v0
	ds_write_b32 v56, v0
.LBB182_46:                             ;   in Loop: Header=BB182_32 Depth=1
	s_or_b64 exec, exec, s[42:43]
	v_cmp_ne_u64_e32 vcc, s[44:45], v[88:89]
	v_cndmask_b32_e32 v1, v125, v89, vcc
	v_cndmask_b32_e32 v0, 0, v88, vcc
	v_lshrrev_b64 v[0:1], s52, v[0:1]
	v_and_b32_e32 v0, s57, v0
	v_lshlrev_b32_e32 v1, 1, v0
	v_add_lshl_u32 v1, v1, v127, 2
	; wave barrier
	v_add_u32_e32 v59, 8, v1
	ds_read_b32 v58, v1 offset:8
	v_and_b32_e32 v1, 1, v0
	v_add_co_u32_e32 v2, vcc, -1, v1
	v_addc_co_u32_e64 v3, s[42:43], 0, -1, vcc
	v_cmp_ne_u32_e32 vcc, 0, v1
	v_lshlrev_b32_e32 v87, 30, v0
	v_xor_b32_e32 v1, vcc_hi, v3
	v_not_b32_e32 v3, v87
	v_xor_b32_e32 v2, vcc_lo, v2
	v_cmp_gt_i64_e32 vcc, 0, v[86:87]
	v_ashrrev_i32_e32 v3, 31, v3
	v_and_b32_e32 v2, exec_lo, v2
	v_xor_b32_e32 v60, vcc_hi, v3
	v_xor_b32_e32 v3, vcc_lo, v3
	v_lshlrev_b32_e32 v87, 29, v0
	v_and_b32_e32 v2, v2, v3
	v_not_b32_e32 v3, v87
	v_and_b32_e32 v1, exec_hi, v1
	v_cmp_gt_i64_e32 vcc, 0, v[86:87]
	v_ashrrev_i32_e32 v3, 31, v3
	v_and_b32_e32 v1, v1, v60
	v_xor_b32_e32 v60, vcc_hi, v3
	v_xor_b32_e32 v3, vcc_lo, v3
	v_lshlrev_b32_e32 v87, 28, v0
	v_and_b32_e32 v2, v2, v3
	v_not_b32_e32 v3, v87
	v_cmp_gt_i64_e32 vcc, 0, v[86:87]
	v_ashrrev_i32_e32 v3, 31, v3
	v_and_b32_e32 v1, v1, v60
	v_xor_b32_e32 v60, vcc_hi, v3
	v_xor_b32_e32 v3, vcc_lo, v3
	v_lshlrev_b32_e32 v87, 27, v0
	v_and_b32_e32 v2, v2, v3
	v_not_b32_e32 v3, v87
	;; [unrolled: 8-line block ×3, first 2 shown]
	v_cmp_gt_i64_e32 vcc, 0, v[86:87]
	v_ashrrev_i32_e32 v3, 31, v3
	v_and_b32_e32 v1, v1, v60
	v_xor_b32_e32 v60, vcc_hi, v3
	v_xor_b32_e32 v3, vcc_lo, v3
	v_lshlrev_b32_e32 v87, 25, v0
	v_and_b32_e32 v2, v2, v3
	v_cmp_gt_i64_e32 vcc, 0, v[86:87]
	v_not_b32_e32 v3, v87
	v_lshlrev_b32_e32 v87, 24, v0
	v_ashrrev_i32_e32 v3, 31, v3
	v_not_b32_e32 v0, v87
	v_and_b32_e32 v1, v1, v60
	v_xor_b32_e32 v60, vcc_hi, v3
	v_xor_b32_e32 v3, vcc_lo, v3
	v_cmp_gt_i64_e32 vcc, 0, v[86:87]
	v_ashrrev_i32_e32 v0, 31, v0
	v_and_b32_e32 v2, v2, v3
	v_xor_b32_e32 v3, vcc_hi, v0
	v_xor_b32_e32 v0, vcc_lo, v0
	v_and_b32_e32 v1, v1, v60
	v_and_b32_e32 v0, v2, v0
	;; [unrolled: 1-line block ×3, first 2 shown]
	v_mbcnt_lo_u32_b32 v2, v0, 0
	v_mbcnt_hi_u32_b32 v60, v1, v2
	v_cmp_eq_u32_e32 vcc, 0, v60
	v_cmp_ne_u64_e64 s[42:43], 0, v[0:1]
	s_and_b64 s[58:59], s[42:43], vcc
	; wave barrier
	s_and_saveexec_b64 s[42:43], s[58:59]
	s_cbranch_execz .LBB182_48
; %bb.47:                               ;   in Loop: Header=BB182_32 Depth=1
	v_bcnt_u32_b32 v0, v0, 0
	v_bcnt_u32_b32 v0, v1, v0
	s_waitcnt lgkmcnt(0)
	v_add_u32_e32 v0, v58, v0
	ds_write_b32 v59, v0
.LBB182_48:                             ;   in Loop: Header=BB182_32 Depth=1
	s_or_b64 exec, exec, s[42:43]
	; wave barrier
	s_waitcnt lgkmcnt(0)
	s_barrier
	ds_read2_b32 v[2:3], v112 offset0:2 offset1:3
	ds_read2_b32 v[0:1], v126 offset0:2 offset1:3
	s_waitcnt lgkmcnt(1)
	v_add_u32_e32 v61, v3, v2
	s_waitcnt lgkmcnt(0)
	v_add3_u32 v1, v61, v0, v1
	s_nop 1
	v_mov_b32_dpp v61, v1 row_shr:1 row_mask:0xf bank_mask:0xf
	v_cndmask_b32_e64 v61, v61, 0, s[22:23]
	v_add_u32_e32 v1, v61, v1
	s_nop 1
	v_mov_b32_dpp v61, v1 row_shr:2 row_mask:0xf bank_mask:0xf
	v_cndmask_b32_e64 v61, 0, v61, s[24:25]
	v_add_u32_e32 v1, v1, v61
	;; [unrolled: 4-line block ×4, first 2 shown]
	s_nop 1
	v_mov_b32_dpp v61, v1 row_bcast:15 row_mask:0xf bank_mask:0xf
	v_cndmask_b32_e64 v61, v61, 0, s[30:31]
	v_add_u32_e32 v1, v1, v61
	s_nop 1
	v_mov_b32_dpp v61, v1 row_bcast:31 row_mask:0xf bank_mask:0xf
	v_cndmask_b32_e64 v61, 0, v61, s[34:35]
	v_add_u32_e32 v1, v1, v61
	s_and_saveexec_b64 s[42:43], s[36:37]
	s_cbranch_execz .LBB182_50
; %bb.49:                               ;   in Loop: Header=BB182_32 Depth=1
	ds_write_b32 v129, v1
.LBB182_50:                             ;   in Loop: Header=BB182_32 Depth=1
	s_or_b64 exec, exec, s[42:43]
	s_waitcnt lgkmcnt(0)
	s_barrier
	s_and_saveexec_b64 s[42:43], s[16:17]
	s_cbranch_execz .LBB182_52
; %bb.51:                               ;   in Loop: Header=BB182_32 Depth=1
	ds_read_b32 v61, v69
	s_waitcnt lgkmcnt(0)
	s_nop 0
	v_mov_b32_dpp v62, v61 row_shr:1 row_mask:0xf bank_mask:0xf
	v_cndmask_b32_e64 v62, v62, 0, s[40:41]
	v_add_u32_e32 v61, v62, v61
	ds_write_b32 v69, v61
.LBB182_52:                             ;   in Loop: Header=BB182_32 Depth=1
	s_or_b64 exec, exec, s[42:43]
	v_mov_b32_e32 v61, 0
	s_waitcnt lgkmcnt(0)
	s_barrier
	s_and_saveexec_b64 s[42:43], s[18:19]
	s_cbranch_execz .LBB182_54
; %bb.53:                               ;   in Loop: Header=BB182_32 Depth=1
	ds_read_b32 v61, v130
.LBB182_54:                             ;   in Loop: Header=BB182_32 Depth=1
	s_or_b64 exec, exec, s[42:43]
	s_waitcnt lgkmcnt(0)
	v_add_u32_e32 v1, v61, v1
	ds_bpermute_b32 v1, v128, v1
	s_cmp_gt_u32 s52, 55
	s_waitcnt lgkmcnt(0)
	v_cndmask_b32_e64 v1, v1, v61, s[38:39]
	v_cndmask_b32_e64 v1, v1, 0, s[20:21]
	v_add_u32_e32 v2, v1, v2
	v_add_u32_e32 v3, v2, v3
	;; [unrolled: 1-line block ×3, first 2 shown]
	ds_write2_b32 v112, v1, v2 offset0:2 offset1:3
	ds_write2_b32 v126, v3, v0 offset0:2 offset1:3
	s_waitcnt lgkmcnt(0)
	s_barrier
	ds_read_b32 v0, v4
	ds_read_b32 v1, v7
	;; [unrolled: 1-line block ×8, first 2 shown]
	s_waitcnt lgkmcnt(7)
	v_add_u32_e32 v138, v0, v5
	s_waitcnt lgkmcnt(6)
	v_add3_u32 v137, v8, v6, v1
	s_waitcnt lgkmcnt(5)
	v_add3_u32 v136, v11, v9, v2
	s_waitcnt lgkmcnt(4)
	v_add3_u32 v135, v14, v12, v3
	s_waitcnt lgkmcnt(3)
	v_add3_u32 v134, v51, v15, v4
	s_waitcnt lgkmcnt(2)
	v_add3_u32 v132, v54, v52, v7
	s_waitcnt lgkmcnt(1)
	v_add3_u32 v87, v57, v55, v10
	s_waitcnt lgkmcnt(0)
	v_add3_u32 v133, v60, v58, v13
	s_cbranch_scc0 .LBB182_31
; %bb.55:
                                        ; implicit-def: $vgpr14_vgpr15
                                        ; implicit-def: $vgpr10_vgpr11
                                        ; implicit-def: $vgpr6_vgpr7
                                        ; implicit-def: $vgpr2_vgpr3
                                        ; implicit-def: $vgpr64_vgpr65
                                        ; implicit-def: $vgpr60_vgpr61
                                        ; implicit-def: $vgpr56_vgpr57
                                        ; implicit-def: $vgpr52_vgpr53
                                        ; implicit-def: $sgpr52_sgpr53
                                        ; implicit-def: $sgpr56
.LBB182_56:
	v_lshlrev_b32_e32 v50, 3, v138
	v_lshlrev_b32_e32 v51, 3, v137
	;; [unrolled: 1-line block ×9, first 2 shown]
	s_barrier
	ds_write_b64 v50, v[102:103]
	ds_write_b64 v51, v[100:101]
	;; [unrolled: 1-line block ×8, first 2 shown]
	s_waitcnt lgkmcnt(0)
	s_barrier
	ds_read2_b64 v[0:3], v62 offset1:1
	ds_read2_b64 v[4:7], v62 offset0:2 offset1:3
	ds_read2_b64 v[8:11], v62 offset0:4 offset1:5
	;; [unrolled: 1-line block ×3, first 2 shown]
	s_waitcnt lgkmcnt(0)
	s_barrier
	ds_write_b64 v50, v[84:85]
	ds_write_b64 v51, v[82:83]
	;; [unrolled: 1-line block ×8, first 2 shown]
	v_ashrrev_i32_e32 v72, 31, v1
	v_not_b32_e32 v72, v72
	v_cmp_lt_i64_e32 vcc, -1, v[0:1]
	v_xor_b32_e32 v0, v72, v0
	v_ashrrev_i32_e32 v72, 31, v3
	v_bfrev_b32_e32 v16, 1
	v_not_b32_e32 v72, v72
	v_cndmask_b32_e64 v17, v16, -1, vcc
	v_cmp_lt_i64_e32 vcc, -1, v[2:3]
	v_xor_b32_e32 v2, v72, v2
	v_ashrrev_i32_e32 v72, 31, v5
	v_not_b32_e32 v72, v72
	v_xor_b32_e32 v1, v17, v1
	v_cndmask_b32_e64 v17, v16, -1, vcc
	v_cmp_lt_i64_e32 vcc, -1, v[4:5]
	v_xor_b32_e32 v4, v72, v4
	v_ashrrev_i32_e32 v72, 31, v7
	s_waitcnt lgkmcnt(0)
	s_barrier
	ds_read2_b64 v[50:53], v62 offset1:1
	ds_read2_b64 v[54:57], v62 offset0:2 offset1:3
	ds_read2_b64 v[58:61], v62 offset0:4 offset1:5
	;; [unrolled: 1-line block ×3, first 2 shown]
	v_xor_b32_e32 v3, v17, v3
	v_cndmask_b32_e64 v17, v16, -1, vcc
	v_cmp_lt_i64_e32 vcc, -1, v[6:7]
	v_not_b32_e32 v72, v72
	v_xor_b32_e32 v5, v17, v5
	v_cndmask_b32_e64 v17, v16, -1, vcc
	v_xor_b32_e32 v6, v72, v6
	v_cmp_lt_i64_e32 vcc, -1, v[8:9]
	v_ashrrev_i32_e32 v72, 31, v9
	v_xor_b32_e32 v7, v17, v7
	v_cndmask_b32_e64 v17, v16, -1, vcc
	v_not_b32_e32 v72, v72
	v_cmp_lt_i64_e32 vcc, -1, v[10:11]
	v_xor_b32_e32 v9, v17, v9
	v_xor_b32_e32 v8, v72, v8
	v_cndmask_b32_e64 v17, v16, -1, vcc
	v_ashrrev_i32_e32 v72, 31, v11
	v_cmp_lt_i64_e32 vcc, -1, v[12:13]
	v_not_b32_e32 v72, v72
	v_xor_b32_e32 v11, v17, v11
	v_cndmask_b32_e64 v17, v16, -1, vcc
	v_xor_b32_e32 v10, v72, v10
	v_ashrrev_i32_e32 v72, 31, v13
	v_xor_b32_e32 v13, v17, v13
	v_cmp_lt_i64_e32 vcc, -1, v[14:15]
	v_ashrrev_i32_e32 v17, 31, v15
	v_not_b32_e32 v72, v72
	v_cndmask_b32_e64 v16, v16, -1, vcc
	v_not_b32_e32 v17, v17
	v_xor_b32_e32 v12, v72, v12
	v_xor_b32_e32 v15, v16, v15
	;; [unrolled: 1-line block ×3, first 2 shown]
	s_branch .LBB182_92
.LBB182_57:
	v_mov_b32_e32 v69, 0
	v_lshlrev_b64 v[2:3], 3, v[68:69]
	v_mov_b32_e32 v4, s54
	v_add_co_u32_e32 v2, vcc, s49, v2
	v_addc_co_u32_e32 v3, vcc, v4, v3, vcc
	global_load_dwordx2 v[2:3], v[2:3], off
	v_mov_b32_e32 v4, v69
	v_mov_b32_e32 v5, v69
	;; [unrolled: 1-line block ×14, first 2 shown]
	s_or_b64 exec, exec, s[16:17]
	s_and_saveexec_b64 s[16:17], s[2:3]
	s_cbranch_execz .LBB182_22
.LBB182_58:
	v_mul_lo_u32 v4, v1, s48
	v_mov_b32_e32 v5, 0
	v_lshlrev_b64 v[4:5], 3, v[4:5]
	v_mov_b32_e32 v1, s54
	v_add_co_u32_e32 v4, vcc, s49, v4
	v_addc_co_u32_e32 v5, vcc, v1, v5, vcc
	global_load_dwordx2 v[4:5], v[4:5], off
	s_or_b64 exec, exec, s[16:17]
	s_and_saveexec_b64 s[16:17], s[4:5]
	s_cbranch_execz .LBB182_23
.LBB182_59:
	v_mul_lo_u32 v6, v34, s48
	v_mov_b32_e32 v7, 0
	v_lshlrev_b64 v[6:7], 3, v[6:7]
	v_mov_b32_e32 v1, s54
	v_add_co_u32_e32 v6, vcc, s49, v6
	v_addc_co_u32_e32 v7, vcc, v1, v7, vcc
	global_load_dwordx2 v[6:7], v[6:7], off
	s_or_b64 exec, exec, s[16:17]
	s_and_saveexec_b64 s[16:17], s[6:7]
	s_cbranch_execz .LBB182_24
.LBB182_60:
	v_mul_lo_u32 v8, v35, s48
	v_mov_b32_e32 v9, 0
	v_lshlrev_b64 v[8:9], 3, v[8:9]
	v_mov_b32_e32 v1, s54
	v_add_co_u32_e32 v8, vcc, s49, v8
	v_addc_co_u32_e32 v9, vcc, v1, v9, vcc
	global_load_dwordx2 v[8:9], v[8:9], off
	s_or_b64 exec, exec, s[16:17]
	s_and_saveexec_b64 s[16:17], s[8:9]
	s_cbranch_execz .LBB182_25
.LBB182_61:
	v_mul_lo_u32 v10, v36, s48
	v_mov_b32_e32 v11, 0
	v_lshlrev_b64 v[10:11], 3, v[10:11]
	v_mov_b32_e32 v1, s54
	v_add_co_u32_e32 v10, vcc, s49, v10
	v_addc_co_u32_e32 v11, vcc, v1, v11, vcc
	global_load_dwordx2 v[10:11], v[10:11], off
	s_or_b64 exec, exec, s[16:17]
	s_and_saveexec_b64 s[16:17], s[10:11]
	s_cbranch_execz .LBB182_26
.LBB182_62:
	v_mul_lo_u32 v12, v37, s48
	v_mov_b32_e32 v13, 0
	v_lshlrev_b64 v[12:13], 3, v[12:13]
	v_mov_b32_e32 v1, s54
	v_add_co_u32_e32 v12, vcc, s49, v12
	v_addc_co_u32_e32 v13, vcc, v1, v13, vcc
	global_load_dwordx2 v[12:13], v[12:13], off
	s_or_b64 exec, exec, s[16:17]
	s_and_saveexec_b64 s[16:17], s[12:13]
	s_cbranch_execz .LBB182_27
.LBB182_63:
	v_mul_lo_u32 v14, v38, s48
	v_mov_b32_e32 v15, 0
	v_lshlrev_b64 v[14:15], 3, v[14:15]
	v_mov_b32_e32 v1, s54
	v_add_co_u32_e32 v14, vcc, s49, v14
	v_addc_co_u32_e32 v15, vcc, v1, v15, vcc
	global_load_dwordx2 v[14:15], v[14:15], off
	s_or_b64 exec, exec, s[16:17]
	s_xor_b64 s[16:17], s[34:35], -1
	s_and_saveexec_b64 s[18:19], s[14:15]
	s_cbranch_execnz .LBB182_28
	s_branch .LBB182_29
.LBB182_64:
                                        ; implicit-def: $vgpr64_vgpr65
                                        ; implicit-def: $vgpr60_vgpr61
                                        ; implicit-def: $vgpr56_vgpr57
                                        ; implicit-def: $vgpr52_vgpr53
                                        ; implicit-def: $vgpr0_vgpr1_vgpr2_vgpr3_vgpr4_vgpr5_vgpr6_vgpr7_vgpr8_vgpr9_vgpr10_vgpr11_vgpr12_vgpr13_vgpr14_vgpr15
	s_cbranch_execz .LBB182_92
; %bb.65:
	v_bfrev_b32_e32 v72, -2
	v_cmp_gt_i64_e32 vcc, 0, v[30:31]
	v_cndmask_b32_e64 v0, v72, 0, vcc
	v_not_b32_e32 v2, v124
	v_cmp_gt_i64_e32 vcc, 0, v[32:33]
	v_xor_b32_e32 v1, v0, v31
	v_xor_b32_e32 v0, v2, v30
	v_cndmask_b32_e64 v2, v72, 0, vcc
	v_not_b32_e32 v4, v123
	v_cmp_gt_i64_e32 vcc, 0, v[26:27]
	v_xor_b32_e32 v3, v2, v33
	v_xor_b32_e32 v2, v4, v32
	;; [unrolled: 5-line block ×7, first 2 shown]
	v_cndmask_b32_e64 v14, v72, 0, vcc
	v_not_b32_e32 v16, v117
	s_waitcnt lgkmcnt(3)
	v_mbcnt_hi_u32_b32 v50, -1, v116
	v_and_b32_e32 v51, 0x3c0, v70
	v_xor_b32_e32 v15, v14, v21
	v_xor_b32_e32 v14, v16, v20
	v_add_lshl_u32 v16, v50, v51, 6
	v_and_b32_e32 v52, 0x1e00, v67
	ds_write2_b64 v16, v[0:1], v[2:3] offset1:1
	ds_write2_b64 v16, v[4:5], v[6:7] offset0:2 offset1:3
	ds_write2_b64 v16, v[8:9], v[10:11] offset0:4 offset1:5
	ds_write2_b64 v16, v[12:13], v[14:15] offset0:6 offset1:7
	v_or_b32_e32 v0, v50, v52
	v_lshlrev_b32_e32 v28, 3, v0
	; wave barrier
	ds_read2st64_b64 v[0:3], v28 offset1:1
	ds_read2st64_b64 v[4:7], v28 offset0:2 offset1:3
	ds_read2st64_b64 v[8:11], v28 offset0:4 offset1:5
	;; [unrolled: 1-line block ×3, first 2 shown]
	; wave barrier
	ds_write2_b64 v16, v[46:47], v[48:49] offset1:1
	ds_write2_b64 v16, v[42:43], v[44:45] offset0:2 offset1:3
	ds_write2_b64 v16, v[38:39], v[40:41] offset0:4 offset1:5
	;; [unrolled: 1-line block ×3, first 2 shown]
	; wave barrier
	ds_read2st64_b64 v[16:19], v28 offset1:1
	ds_read2st64_b64 v[20:23], v28 offset0:2 offset1:3
	ds_read2st64_b64 v[24:27], v28 offset0:4 offset1:5
	;; [unrolled: 1-line block ×3, first 2 shown]
	s_waitcnt lgkmcnt(0)
	s_barrier
	s_load_dword s18, s[50:51], 0xc
	s_getpc_b64 s[16:17]
	s_add_u32 s16, s16, _ZN7rocprim17ROCPRIM_400000_NS16block_radix_sortIdLj128ELj8ElLj1ELj1ELj0ELNS0_26block_radix_rank_algorithmE1ELNS0_18block_padding_hintE2ELNS0_4arch9wavefront6targetE1EE19radix_bits_per_passE@rel32@lo+4
	s_addc_u32 s17, s17, _ZN7rocprim17ROCPRIM_400000_NS16block_radix_sortIdLj128ELj8ElLj1ELj1ELj0ELNS0_26block_radix_rank_algorithmE1ELNS0_18block_padding_hintE2ELNS0_4arch9wavefront6targetE1EE19radix_bits_per_passE@rel32@hi+12
	s_load_dword s52, s[16:17], 0x0
	s_mov_b32 s50, 0
	v_cmp_gt_u32_e64 s[30:31], 2, v70
	s_waitcnt lgkmcnt(0)
	s_lshr_b32 s16, s18, 16
	s_and_b32 s17, s18, 0xffff
	v_mad_u32_u24 v32, v115, s16, v114
	v_mad_u64_u32 v[32:33], s[16:17], v32, s17, v[70:71]
	v_lshrrev_b32_e32 v74, 6, v32
	v_and_b32_e32 v32, 15, v50
	v_cmp_eq_u32_e64 s[16:17], 0, v32
	v_cmp_lt_u32_e64 s[18:19], 1, v32
	v_cmp_lt_u32_e64 s[20:21], 3, v32
	v_cmp_lt_u32_e64 s[22:23], 7, v32
	v_and_b32_e32 v32, 16, v50
	v_cmp_eq_u32_e64 s[24:25], 0, v32
	v_min_u32_e32 v32, 64, v51
	v_or_b32_e32 v32, 63, v32
	v_cmp_eq_u32_e64 s[28:29], v32, v70
	v_add_u32_e32 v32, -1, v50
	v_and_b32_e32 v33, 64, v50
	v_cmp_lt_i32_e32 vcc, v32, v33
	v_cndmask_b32_e32 v32, v32, v50, vcc
	v_lshlrev_b32_e32 v75, 2, v32
	v_and_b32_e32 v32, 1, v50
	v_cmp_lt_u32_e64 s[34:35], 63, v70
	v_cmp_eq_u32_e64 s[38:39], 0, v70
	v_and_b32_e32 v70, 60, v113
	v_cmp_eq_u32_e64 s[40:41], 0, v32
	v_and_or_b32 v32, v50, 63, v52
	s_mov_b64 s[44:45], 0
	s_brev_b32 s51, 1
	v_or_b32_e32 v73, 8, v112
	v_cmp_lt_u32_e64 s[26:27], 31, v50
	s_mov_b32 s53, 64
	v_cmp_eq_u32_e64 s[36:37], 0, v50
	v_add_u32_e32 v76, -4, v70
	v_lshlrev_b32_e32 v77, 3, v32
	v_mov_b32_e32 v48, 0
	s_branch .LBB182_67
.LBB182_66:                             ;   in Loop: Header=BB182_67 Depth=1
	v_lshlrev_b32_e32 v16, 3, v84
	v_lshlrev_b32_e32 v17, 3, v83
	v_lshlrev_b32_e32 v18, 3, v82
	v_lshlrev_b32_e32 v19, 3, v81
	v_lshlrev_b32_e32 v20, 3, v80
	v_lshlrev_b32_e32 v21, 3, v78
	v_lshlrev_b32_e32 v22, 3, v49
	v_lshlrev_b32_e32 v23, 3, v79
	s_barrier
	ds_write_b64 v16, v[64:65]
	ds_write_b64 v17, v[62:63]
	ds_write_b64 v18, v[60:61]
	ds_write_b64 v19, v[58:59]
	ds_write_b64 v20, v[56:57]
	ds_write_b64 v21, v[54:55]
	ds_write_b64 v22, v[52:53]
	ds_write_b64 v23, v[50:51]
	s_waitcnt lgkmcnt(0)
	s_barrier
	ds_read2st64_b64 v[0:3], v77 offset1:1
	ds_read2st64_b64 v[4:7], v77 offset0:2 offset1:3
	ds_read2st64_b64 v[8:11], v77 offset0:4 offset1:5
	;; [unrolled: 1-line block ×3, first 2 shown]
	s_waitcnt lgkmcnt(0)
	s_barrier
	ds_write_b64 v16, v[46:47]
	ds_write_b64 v17, v[44:45]
	;; [unrolled: 1-line block ×8, first 2 shown]
	s_waitcnt lgkmcnt(0)
	s_barrier
	ds_read2st64_b64 v[16:19], v77 offset1:1
	ds_read2st64_b64 v[20:23], v77 offset0:2 offset1:3
	ds_read2st64_b64 v[24:27], v77 offset0:4 offset1:5
	;; [unrolled: 1-line block ×3, first 2 shown]
	s_add_u32 s44, s44, 8
	s_addc_u32 s45, s45, 0
	s_add_i32 s53, s53, -8
	s_waitcnt lgkmcnt(0)
	s_barrier
	s_cbranch_execz .LBB182_91
.LBB182_67:                             ; =>This Inner Loop Header: Depth=1
	v_pk_mov_b32 v[64:65], v[0:1], v[0:1] op_sel:[0,1]
	s_min_u32 s42, s52, s53
	v_cmp_ne_u64_e32 vcc, s[50:51], v[64:65]
	s_lshl_b32 s42, -1, s42
	v_cndmask_b32_e32 v1, v72, v65, vcc
	v_cndmask_b32_e32 v0, -1, v64, vcc
	s_not_b32 s55, s42
	v_lshrrev_b64 v[0:1], s44, v[0:1]
	v_and_b32_e32 v0, s55, v0
	v_lshl_add_u32 v1, v0, 1, v74
	v_pk_mov_b32 v[60:61], v[4:5], v[4:5] op_sel:[0,1]
	v_lshl_add_u32 v4, v1, 2, 8
	v_and_b32_e32 v1, 1, v0
	v_pk_mov_b32 v[62:63], v[2:3], v[2:3] op_sel:[0,1]
	v_add_co_u32_e32 v2, vcc, -1, v1
	v_addc_co_u32_e64 v3, s[42:43], 0, -1, vcc
	v_cmp_ne_u32_e32 vcc, 0, v1
	v_lshlrev_b32_e32 v49, 30, v0
	v_xor_b32_e32 v1, vcc_hi, v3
	v_not_b32_e32 v3, v49
	v_xor_b32_e32 v2, vcc_lo, v2
	v_cmp_gt_i64_e32 vcc, 0, v[48:49]
	v_ashrrev_i32_e32 v3, 31, v3
	v_and_b32_e32 v2, exec_lo, v2
	v_xor_b32_e32 v5, vcc_hi, v3
	v_xor_b32_e32 v3, vcc_lo, v3
	v_lshlrev_b32_e32 v49, 29, v0
	v_and_b32_e32 v2, v2, v3
	v_not_b32_e32 v3, v49
	v_and_b32_e32 v1, exec_hi, v1
	v_cmp_gt_i64_e32 vcc, 0, v[48:49]
	v_ashrrev_i32_e32 v3, 31, v3
	v_and_b32_e32 v1, v1, v5
	v_xor_b32_e32 v5, vcc_hi, v3
	v_xor_b32_e32 v3, vcc_lo, v3
	v_lshlrev_b32_e32 v49, 28, v0
	v_and_b32_e32 v2, v2, v3
	v_not_b32_e32 v3, v49
	v_cmp_gt_i64_e32 vcc, 0, v[48:49]
	v_ashrrev_i32_e32 v3, 31, v3
	v_and_b32_e32 v1, v1, v5
	v_xor_b32_e32 v5, vcc_hi, v3
	v_xor_b32_e32 v3, vcc_lo, v3
	v_lshlrev_b32_e32 v49, 27, v0
	v_and_b32_e32 v2, v2, v3
	v_not_b32_e32 v3, v49
	;; [unrolled: 8-line block ×3, first 2 shown]
	v_cmp_gt_i64_e32 vcc, 0, v[48:49]
	v_ashrrev_i32_e32 v3, 31, v3
	v_and_b32_e32 v1, v1, v5
	v_xor_b32_e32 v5, vcc_hi, v3
	v_xor_b32_e32 v3, vcc_lo, v3
	v_lshlrev_b32_e32 v49, 25, v0
	v_and_b32_e32 v2, v2, v3
	v_cmp_gt_i64_e32 vcc, 0, v[48:49]
	v_not_b32_e32 v3, v49
	v_lshlrev_b32_e32 v49, 24, v0
	v_ashrrev_i32_e32 v3, 31, v3
	v_not_b32_e32 v0, v49
	v_and_b32_e32 v1, v1, v5
	v_xor_b32_e32 v5, vcc_hi, v3
	v_xor_b32_e32 v3, vcc_lo, v3
	v_cmp_gt_i64_e32 vcc, 0, v[48:49]
	v_ashrrev_i32_e32 v0, 31, v0
	v_and_b32_e32 v2, v2, v3
	v_xor_b32_e32 v3, vcc_hi, v0
	v_xor_b32_e32 v0, vcc_lo, v0
	v_and_b32_e32 v1, v1, v5
	v_and_b32_e32 v0, v2, v0
	;; [unrolled: 1-line block ×3, first 2 shown]
	v_mbcnt_lo_u32_b32 v2, v0, 0
	v_mbcnt_hi_u32_b32 v5, v1, v2
	v_cmp_eq_u32_e32 vcc, 0, v5
	v_cmp_ne_u64_e64 s[42:43], 0, v[0:1]
	v_pk_mov_b32 v[50:51], v[14:15], v[14:15] op_sel:[0,1]
	v_pk_mov_b32 v[52:53], v[12:13], v[12:13] op_sel:[0,1]
	;; [unrolled: 1-line block ×13, first 2 shown]
	s_and_b64 s[56:57], s[42:43], vcc
	ds_write2_b32 v112, v48, v48 offset0:2 offset1:3
	ds_write2_b32 v73, v48, v48 offset0:2 offset1:3
	s_waitcnt lgkmcnt(0)
	s_barrier
	s_waitcnt lgkmcnt(0)
	; wave barrier
	s_and_saveexec_b64 s[42:43], s[56:57]
	s_cbranch_execz .LBB182_69
; %bb.68:                               ;   in Loop: Header=BB182_67 Depth=1
	v_bcnt_u32_b32 v0, v0, 0
	v_bcnt_u32_b32 v0, v1, v0
	ds_write_b32 v4, v0
.LBB182_69:                             ;   in Loop: Header=BB182_67 Depth=1
	s_or_b64 exec, exec, s[42:43]
	v_cmp_ne_u64_e32 vcc, s[50:51], v[62:63]
	v_cndmask_b32_e32 v1, v72, v63, vcc
	v_cndmask_b32_e32 v0, -1, v62, vcc
	v_lshrrev_b64 v[0:1], s44, v[0:1]
	v_and_b32_e32 v0, s55, v0
	v_lshlrev_b32_e32 v1, 1, v0
	v_add_lshl_u32 v1, v1, v74, 2
	; wave barrier
	v_add_u32_e32 v7, 8, v1
	ds_read_b32 v6, v1 offset:8
	v_and_b32_e32 v1, 1, v0
	v_add_co_u32_e32 v2, vcc, -1, v1
	v_addc_co_u32_e64 v3, s[42:43], 0, -1, vcc
	v_cmp_ne_u32_e32 vcc, 0, v1
	v_lshlrev_b32_e32 v49, 30, v0
	v_xor_b32_e32 v1, vcc_hi, v3
	v_not_b32_e32 v3, v49
	v_xor_b32_e32 v2, vcc_lo, v2
	v_cmp_gt_i64_e32 vcc, 0, v[48:49]
	v_ashrrev_i32_e32 v3, 31, v3
	v_and_b32_e32 v2, exec_lo, v2
	v_xor_b32_e32 v8, vcc_hi, v3
	v_xor_b32_e32 v3, vcc_lo, v3
	v_lshlrev_b32_e32 v49, 29, v0
	v_and_b32_e32 v2, v2, v3
	v_not_b32_e32 v3, v49
	v_and_b32_e32 v1, exec_hi, v1
	v_cmp_gt_i64_e32 vcc, 0, v[48:49]
	v_ashrrev_i32_e32 v3, 31, v3
	v_and_b32_e32 v1, v1, v8
	v_xor_b32_e32 v8, vcc_hi, v3
	v_xor_b32_e32 v3, vcc_lo, v3
	v_lshlrev_b32_e32 v49, 28, v0
	v_and_b32_e32 v2, v2, v3
	v_not_b32_e32 v3, v49
	v_cmp_gt_i64_e32 vcc, 0, v[48:49]
	v_ashrrev_i32_e32 v3, 31, v3
	v_and_b32_e32 v1, v1, v8
	v_xor_b32_e32 v8, vcc_hi, v3
	v_xor_b32_e32 v3, vcc_lo, v3
	v_lshlrev_b32_e32 v49, 27, v0
	v_and_b32_e32 v2, v2, v3
	v_not_b32_e32 v3, v49
	;; [unrolled: 8-line block ×3, first 2 shown]
	v_cmp_gt_i64_e32 vcc, 0, v[48:49]
	v_ashrrev_i32_e32 v3, 31, v3
	v_and_b32_e32 v1, v1, v8
	v_xor_b32_e32 v8, vcc_hi, v3
	v_xor_b32_e32 v3, vcc_lo, v3
	v_lshlrev_b32_e32 v49, 25, v0
	v_and_b32_e32 v2, v2, v3
	v_cmp_gt_i64_e32 vcc, 0, v[48:49]
	v_not_b32_e32 v3, v49
	v_lshlrev_b32_e32 v49, 24, v0
	v_ashrrev_i32_e32 v3, 31, v3
	v_not_b32_e32 v0, v49
	v_and_b32_e32 v1, v1, v8
	v_xor_b32_e32 v8, vcc_hi, v3
	v_xor_b32_e32 v3, vcc_lo, v3
	v_cmp_gt_i64_e32 vcc, 0, v[48:49]
	v_ashrrev_i32_e32 v0, 31, v0
	v_and_b32_e32 v2, v2, v3
	v_xor_b32_e32 v3, vcc_hi, v0
	v_xor_b32_e32 v0, vcc_lo, v0
	v_and_b32_e32 v1, v1, v8
	v_and_b32_e32 v0, v2, v0
	;; [unrolled: 1-line block ×3, first 2 shown]
	v_mbcnt_lo_u32_b32 v2, v0, 0
	v_mbcnt_hi_u32_b32 v8, v1, v2
	v_cmp_eq_u32_e32 vcc, 0, v8
	v_cmp_ne_u64_e64 s[42:43], 0, v[0:1]
	s_and_b64 s[56:57], s[42:43], vcc
	; wave barrier
	s_and_saveexec_b64 s[42:43], s[56:57]
	s_cbranch_execz .LBB182_71
; %bb.70:                               ;   in Loop: Header=BB182_67 Depth=1
	v_bcnt_u32_b32 v0, v0, 0
	v_bcnt_u32_b32 v0, v1, v0
	s_waitcnt lgkmcnt(0)
	v_add_u32_e32 v0, v6, v0
	ds_write_b32 v7, v0
.LBB182_71:                             ;   in Loop: Header=BB182_67 Depth=1
	s_or_b64 exec, exec, s[42:43]
	v_cmp_ne_u64_e32 vcc, s[50:51], v[60:61]
	v_cndmask_b32_e32 v1, v72, v61, vcc
	v_cndmask_b32_e32 v0, -1, v60, vcc
	v_lshrrev_b64 v[0:1], s44, v[0:1]
	v_and_b32_e32 v0, s55, v0
	v_lshlrev_b32_e32 v1, 1, v0
	v_add_lshl_u32 v1, v1, v74, 2
	; wave barrier
	v_add_u32_e32 v10, 8, v1
	ds_read_b32 v9, v1 offset:8
	v_and_b32_e32 v1, 1, v0
	v_add_co_u32_e32 v2, vcc, -1, v1
	v_addc_co_u32_e64 v3, s[42:43], 0, -1, vcc
	v_cmp_ne_u32_e32 vcc, 0, v1
	v_lshlrev_b32_e32 v49, 30, v0
	v_xor_b32_e32 v1, vcc_hi, v3
	v_not_b32_e32 v3, v49
	v_xor_b32_e32 v2, vcc_lo, v2
	v_cmp_gt_i64_e32 vcc, 0, v[48:49]
	v_ashrrev_i32_e32 v3, 31, v3
	v_and_b32_e32 v2, exec_lo, v2
	v_xor_b32_e32 v11, vcc_hi, v3
	v_xor_b32_e32 v3, vcc_lo, v3
	v_lshlrev_b32_e32 v49, 29, v0
	v_and_b32_e32 v2, v2, v3
	v_not_b32_e32 v3, v49
	v_and_b32_e32 v1, exec_hi, v1
	v_cmp_gt_i64_e32 vcc, 0, v[48:49]
	v_ashrrev_i32_e32 v3, 31, v3
	v_and_b32_e32 v1, v1, v11
	v_xor_b32_e32 v11, vcc_hi, v3
	v_xor_b32_e32 v3, vcc_lo, v3
	v_lshlrev_b32_e32 v49, 28, v0
	v_and_b32_e32 v2, v2, v3
	v_not_b32_e32 v3, v49
	v_cmp_gt_i64_e32 vcc, 0, v[48:49]
	v_ashrrev_i32_e32 v3, 31, v3
	v_and_b32_e32 v1, v1, v11
	v_xor_b32_e32 v11, vcc_hi, v3
	v_xor_b32_e32 v3, vcc_lo, v3
	v_lshlrev_b32_e32 v49, 27, v0
	v_and_b32_e32 v2, v2, v3
	v_not_b32_e32 v3, v49
	v_cmp_gt_i64_e32 vcc, 0, v[48:49]
	v_ashrrev_i32_e32 v3, 31, v3
	v_and_b32_e32 v1, v1, v11
	v_xor_b32_e32 v11, vcc_hi, v3
	v_xor_b32_e32 v3, vcc_lo, v3
	v_lshlrev_b32_e32 v49, 26, v0
	v_and_b32_e32 v2, v2, v3
	v_not_b32_e32 v3, v49
	v_cmp_gt_i64_e32 vcc, 0, v[48:49]
	v_ashrrev_i32_e32 v3, 31, v3
	v_and_b32_e32 v1, v1, v11
	v_xor_b32_e32 v11, vcc_hi, v3
	v_xor_b32_e32 v3, vcc_lo, v3
	v_lshlrev_b32_e32 v49, 25, v0
	v_and_b32_e32 v2, v2, v3
	v_cmp_gt_i64_e32 vcc, 0, v[48:49]
	v_not_b32_e32 v3, v49
	v_lshlrev_b32_e32 v49, 24, v0
	v_ashrrev_i32_e32 v3, 31, v3
	v_not_b32_e32 v0, v49
	v_and_b32_e32 v1, v1, v11
	v_xor_b32_e32 v11, vcc_hi, v3
	v_xor_b32_e32 v3, vcc_lo, v3
	v_cmp_gt_i64_e32 vcc, 0, v[48:49]
	v_ashrrev_i32_e32 v0, 31, v0
	v_and_b32_e32 v2, v2, v3
	v_xor_b32_e32 v3, vcc_hi, v0
	v_xor_b32_e32 v0, vcc_lo, v0
	v_and_b32_e32 v1, v1, v11
	v_and_b32_e32 v0, v2, v0
	;; [unrolled: 1-line block ×3, first 2 shown]
	v_mbcnt_lo_u32_b32 v2, v0, 0
	v_mbcnt_hi_u32_b32 v11, v1, v2
	v_cmp_eq_u32_e32 vcc, 0, v11
	v_cmp_ne_u64_e64 s[42:43], 0, v[0:1]
	s_and_b64 s[56:57], s[42:43], vcc
	; wave barrier
	s_and_saveexec_b64 s[42:43], s[56:57]
	s_cbranch_execz .LBB182_73
; %bb.72:                               ;   in Loop: Header=BB182_67 Depth=1
	v_bcnt_u32_b32 v0, v0, 0
	v_bcnt_u32_b32 v0, v1, v0
	s_waitcnt lgkmcnt(0)
	v_add_u32_e32 v0, v9, v0
	ds_write_b32 v10, v0
.LBB182_73:                             ;   in Loop: Header=BB182_67 Depth=1
	s_or_b64 exec, exec, s[42:43]
	v_cmp_ne_u64_e32 vcc, s[50:51], v[58:59]
	v_cndmask_b32_e32 v1, v72, v59, vcc
	v_cndmask_b32_e32 v0, -1, v58, vcc
	v_lshrrev_b64 v[0:1], s44, v[0:1]
	v_and_b32_e32 v0, s55, v0
	v_lshlrev_b32_e32 v1, 1, v0
	v_add_lshl_u32 v1, v1, v74, 2
	; wave barrier
	v_add_u32_e32 v13, 8, v1
	ds_read_b32 v12, v1 offset:8
	v_and_b32_e32 v1, 1, v0
	v_add_co_u32_e32 v2, vcc, -1, v1
	v_addc_co_u32_e64 v3, s[42:43], 0, -1, vcc
	v_cmp_ne_u32_e32 vcc, 0, v1
	v_lshlrev_b32_e32 v49, 30, v0
	v_xor_b32_e32 v1, vcc_hi, v3
	v_not_b32_e32 v3, v49
	v_xor_b32_e32 v2, vcc_lo, v2
	v_cmp_gt_i64_e32 vcc, 0, v[48:49]
	v_ashrrev_i32_e32 v3, 31, v3
	v_and_b32_e32 v2, exec_lo, v2
	v_xor_b32_e32 v14, vcc_hi, v3
	v_xor_b32_e32 v3, vcc_lo, v3
	v_lshlrev_b32_e32 v49, 29, v0
	v_and_b32_e32 v2, v2, v3
	v_not_b32_e32 v3, v49
	v_and_b32_e32 v1, exec_hi, v1
	v_cmp_gt_i64_e32 vcc, 0, v[48:49]
	v_ashrrev_i32_e32 v3, 31, v3
	v_and_b32_e32 v1, v1, v14
	v_xor_b32_e32 v14, vcc_hi, v3
	v_xor_b32_e32 v3, vcc_lo, v3
	v_lshlrev_b32_e32 v49, 28, v0
	v_and_b32_e32 v2, v2, v3
	v_not_b32_e32 v3, v49
	v_cmp_gt_i64_e32 vcc, 0, v[48:49]
	v_ashrrev_i32_e32 v3, 31, v3
	v_and_b32_e32 v1, v1, v14
	v_xor_b32_e32 v14, vcc_hi, v3
	v_xor_b32_e32 v3, vcc_lo, v3
	v_lshlrev_b32_e32 v49, 27, v0
	v_and_b32_e32 v2, v2, v3
	v_not_b32_e32 v3, v49
	v_cmp_gt_i64_e32 vcc, 0, v[48:49]
	v_ashrrev_i32_e32 v3, 31, v3
	v_and_b32_e32 v1, v1, v14
	v_xor_b32_e32 v14, vcc_hi, v3
	v_xor_b32_e32 v3, vcc_lo, v3
	v_lshlrev_b32_e32 v49, 26, v0
	v_and_b32_e32 v2, v2, v3
	v_not_b32_e32 v3, v49
	v_cmp_gt_i64_e32 vcc, 0, v[48:49]
	v_ashrrev_i32_e32 v3, 31, v3
	v_and_b32_e32 v1, v1, v14
	v_xor_b32_e32 v14, vcc_hi, v3
	v_xor_b32_e32 v3, vcc_lo, v3
	v_lshlrev_b32_e32 v49, 25, v0
	v_and_b32_e32 v2, v2, v3
	v_cmp_gt_i64_e32 vcc, 0, v[48:49]
	v_not_b32_e32 v3, v49
	v_lshlrev_b32_e32 v49, 24, v0
	v_ashrrev_i32_e32 v3, 31, v3
	v_not_b32_e32 v0, v49
	v_and_b32_e32 v1, v1, v14
	v_xor_b32_e32 v14, vcc_hi, v3
	v_xor_b32_e32 v3, vcc_lo, v3
	v_cmp_gt_i64_e32 vcc, 0, v[48:49]
	v_ashrrev_i32_e32 v0, 31, v0
	v_and_b32_e32 v2, v2, v3
	v_xor_b32_e32 v3, vcc_hi, v0
	v_xor_b32_e32 v0, vcc_lo, v0
	v_and_b32_e32 v1, v1, v14
	v_and_b32_e32 v0, v2, v0
	;; [unrolled: 1-line block ×3, first 2 shown]
	v_mbcnt_lo_u32_b32 v2, v0, 0
	v_mbcnt_hi_u32_b32 v14, v1, v2
	v_cmp_eq_u32_e32 vcc, 0, v14
	v_cmp_ne_u64_e64 s[42:43], 0, v[0:1]
	s_and_b64 s[56:57], s[42:43], vcc
	; wave barrier
	s_and_saveexec_b64 s[42:43], s[56:57]
	s_cbranch_execz .LBB182_75
; %bb.74:                               ;   in Loop: Header=BB182_67 Depth=1
	v_bcnt_u32_b32 v0, v0, 0
	v_bcnt_u32_b32 v0, v1, v0
	s_waitcnt lgkmcnt(0)
	v_add_u32_e32 v0, v12, v0
	ds_write_b32 v13, v0
.LBB182_75:                             ;   in Loop: Header=BB182_67 Depth=1
	s_or_b64 exec, exec, s[42:43]
	v_cmp_ne_u64_e32 vcc, s[50:51], v[56:57]
	v_cndmask_b32_e32 v1, v72, v57, vcc
	v_cndmask_b32_e32 v0, -1, v56, vcc
	v_lshrrev_b64 v[0:1], s44, v[0:1]
	v_and_b32_e32 v0, s55, v0
	v_lshlrev_b32_e32 v1, 1, v0
	v_add_lshl_u32 v1, v1, v74, 2
	; wave barrier
	v_add_u32_e32 v16, 8, v1
	ds_read_b32 v15, v1 offset:8
	v_and_b32_e32 v1, 1, v0
	v_add_co_u32_e32 v2, vcc, -1, v1
	v_addc_co_u32_e64 v3, s[42:43], 0, -1, vcc
	v_cmp_ne_u32_e32 vcc, 0, v1
	v_lshlrev_b32_e32 v49, 30, v0
	v_xor_b32_e32 v1, vcc_hi, v3
	v_not_b32_e32 v3, v49
	v_xor_b32_e32 v2, vcc_lo, v2
	v_cmp_gt_i64_e32 vcc, 0, v[48:49]
	v_ashrrev_i32_e32 v3, 31, v3
	v_and_b32_e32 v2, exec_lo, v2
	v_xor_b32_e32 v17, vcc_hi, v3
	v_xor_b32_e32 v3, vcc_lo, v3
	v_lshlrev_b32_e32 v49, 29, v0
	v_and_b32_e32 v2, v2, v3
	v_not_b32_e32 v3, v49
	v_and_b32_e32 v1, exec_hi, v1
	v_cmp_gt_i64_e32 vcc, 0, v[48:49]
	v_ashrrev_i32_e32 v3, 31, v3
	v_and_b32_e32 v1, v1, v17
	v_xor_b32_e32 v17, vcc_hi, v3
	v_xor_b32_e32 v3, vcc_lo, v3
	v_lshlrev_b32_e32 v49, 28, v0
	v_and_b32_e32 v2, v2, v3
	v_not_b32_e32 v3, v49
	v_cmp_gt_i64_e32 vcc, 0, v[48:49]
	v_ashrrev_i32_e32 v3, 31, v3
	v_and_b32_e32 v1, v1, v17
	v_xor_b32_e32 v17, vcc_hi, v3
	v_xor_b32_e32 v3, vcc_lo, v3
	v_lshlrev_b32_e32 v49, 27, v0
	v_and_b32_e32 v2, v2, v3
	v_not_b32_e32 v3, v49
	;; [unrolled: 8-line block ×3, first 2 shown]
	v_cmp_gt_i64_e32 vcc, 0, v[48:49]
	v_ashrrev_i32_e32 v3, 31, v3
	v_and_b32_e32 v1, v1, v17
	v_xor_b32_e32 v17, vcc_hi, v3
	v_xor_b32_e32 v3, vcc_lo, v3
	v_lshlrev_b32_e32 v49, 25, v0
	v_and_b32_e32 v2, v2, v3
	v_cmp_gt_i64_e32 vcc, 0, v[48:49]
	v_not_b32_e32 v3, v49
	v_lshlrev_b32_e32 v49, 24, v0
	v_ashrrev_i32_e32 v3, 31, v3
	v_not_b32_e32 v0, v49
	v_and_b32_e32 v1, v1, v17
	v_xor_b32_e32 v17, vcc_hi, v3
	v_xor_b32_e32 v3, vcc_lo, v3
	v_cmp_gt_i64_e32 vcc, 0, v[48:49]
	v_ashrrev_i32_e32 v0, 31, v0
	v_and_b32_e32 v2, v2, v3
	v_xor_b32_e32 v3, vcc_hi, v0
	v_xor_b32_e32 v0, vcc_lo, v0
	v_and_b32_e32 v1, v1, v17
	v_and_b32_e32 v0, v2, v0
	;; [unrolled: 1-line block ×3, first 2 shown]
	v_mbcnt_lo_u32_b32 v2, v0, 0
	v_mbcnt_hi_u32_b32 v17, v1, v2
	v_cmp_eq_u32_e32 vcc, 0, v17
	v_cmp_ne_u64_e64 s[42:43], 0, v[0:1]
	s_and_b64 s[56:57], s[42:43], vcc
	; wave barrier
	s_and_saveexec_b64 s[42:43], s[56:57]
	s_cbranch_execz .LBB182_77
; %bb.76:                               ;   in Loop: Header=BB182_67 Depth=1
	v_bcnt_u32_b32 v0, v0, 0
	v_bcnt_u32_b32 v0, v1, v0
	s_waitcnt lgkmcnt(0)
	v_add_u32_e32 v0, v15, v0
	ds_write_b32 v16, v0
.LBB182_77:                             ;   in Loop: Header=BB182_67 Depth=1
	s_or_b64 exec, exec, s[42:43]
	v_cmp_ne_u64_e32 vcc, s[50:51], v[54:55]
	v_cndmask_b32_e32 v1, v72, v55, vcc
	v_cndmask_b32_e32 v0, -1, v54, vcc
	v_lshrrev_b64 v[0:1], s44, v[0:1]
	v_and_b32_e32 v0, s55, v0
	v_lshlrev_b32_e32 v1, 1, v0
	v_add_lshl_u32 v1, v1, v74, 2
	; wave barrier
	v_add_u32_e32 v19, 8, v1
	ds_read_b32 v18, v1 offset:8
	v_and_b32_e32 v1, 1, v0
	v_add_co_u32_e32 v2, vcc, -1, v1
	v_addc_co_u32_e64 v3, s[42:43], 0, -1, vcc
	v_cmp_ne_u32_e32 vcc, 0, v1
	v_lshlrev_b32_e32 v49, 30, v0
	v_xor_b32_e32 v1, vcc_hi, v3
	v_not_b32_e32 v3, v49
	v_xor_b32_e32 v2, vcc_lo, v2
	v_cmp_gt_i64_e32 vcc, 0, v[48:49]
	v_ashrrev_i32_e32 v3, 31, v3
	v_and_b32_e32 v2, exec_lo, v2
	v_xor_b32_e32 v20, vcc_hi, v3
	v_xor_b32_e32 v3, vcc_lo, v3
	v_lshlrev_b32_e32 v49, 29, v0
	v_and_b32_e32 v2, v2, v3
	v_not_b32_e32 v3, v49
	v_and_b32_e32 v1, exec_hi, v1
	v_cmp_gt_i64_e32 vcc, 0, v[48:49]
	v_ashrrev_i32_e32 v3, 31, v3
	v_and_b32_e32 v1, v1, v20
	v_xor_b32_e32 v20, vcc_hi, v3
	v_xor_b32_e32 v3, vcc_lo, v3
	v_lshlrev_b32_e32 v49, 28, v0
	v_and_b32_e32 v2, v2, v3
	v_not_b32_e32 v3, v49
	v_cmp_gt_i64_e32 vcc, 0, v[48:49]
	v_ashrrev_i32_e32 v3, 31, v3
	v_and_b32_e32 v1, v1, v20
	v_xor_b32_e32 v20, vcc_hi, v3
	v_xor_b32_e32 v3, vcc_lo, v3
	v_lshlrev_b32_e32 v49, 27, v0
	v_and_b32_e32 v2, v2, v3
	v_not_b32_e32 v3, v49
	;; [unrolled: 8-line block ×3, first 2 shown]
	v_cmp_gt_i64_e32 vcc, 0, v[48:49]
	v_ashrrev_i32_e32 v3, 31, v3
	v_and_b32_e32 v1, v1, v20
	v_xor_b32_e32 v20, vcc_hi, v3
	v_xor_b32_e32 v3, vcc_lo, v3
	v_lshlrev_b32_e32 v49, 25, v0
	v_and_b32_e32 v2, v2, v3
	v_cmp_gt_i64_e32 vcc, 0, v[48:49]
	v_not_b32_e32 v3, v49
	v_lshlrev_b32_e32 v49, 24, v0
	v_ashrrev_i32_e32 v3, 31, v3
	v_not_b32_e32 v0, v49
	v_and_b32_e32 v1, v1, v20
	v_xor_b32_e32 v20, vcc_hi, v3
	v_xor_b32_e32 v3, vcc_lo, v3
	v_cmp_gt_i64_e32 vcc, 0, v[48:49]
	v_ashrrev_i32_e32 v0, 31, v0
	v_and_b32_e32 v2, v2, v3
	v_xor_b32_e32 v3, vcc_hi, v0
	v_xor_b32_e32 v0, vcc_lo, v0
	v_and_b32_e32 v1, v1, v20
	v_and_b32_e32 v0, v2, v0
	;; [unrolled: 1-line block ×3, first 2 shown]
	v_mbcnt_lo_u32_b32 v2, v0, 0
	v_mbcnt_hi_u32_b32 v20, v1, v2
	v_cmp_eq_u32_e32 vcc, 0, v20
	v_cmp_ne_u64_e64 s[42:43], 0, v[0:1]
	s_and_b64 s[56:57], s[42:43], vcc
	; wave barrier
	s_and_saveexec_b64 s[42:43], s[56:57]
	s_cbranch_execz .LBB182_79
; %bb.78:                               ;   in Loop: Header=BB182_67 Depth=1
	v_bcnt_u32_b32 v0, v0, 0
	v_bcnt_u32_b32 v0, v1, v0
	s_waitcnt lgkmcnt(0)
	v_add_u32_e32 v0, v18, v0
	ds_write_b32 v19, v0
.LBB182_79:                             ;   in Loop: Header=BB182_67 Depth=1
	s_or_b64 exec, exec, s[42:43]
	v_cmp_ne_u64_e32 vcc, s[50:51], v[52:53]
	v_cndmask_b32_e32 v1, v72, v53, vcc
	v_cndmask_b32_e32 v0, -1, v52, vcc
	v_lshrrev_b64 v[0:1], s44, v[0:1]
	v_and_b32_e32 v0, s55, v0
	v_lshlrev_b32_e32 v1, 1, v0
	v_add_lshl_u32 v1, v1, v74, 2
	; wave barrier
	v_add_u32_e32 v22, 8, v1
	ds_read_b32 v21, v1 offset:8
	v_and_b32_e32 v1, 1, v0
	v_add_co_u32_e32 v2, vcc, -1, v1
	v_addc_co_u32_e64 v3, s[42:43], 0, -1, vcc
	v_cmp_ne_u32_e32 vcc, 0, v1
	v_lshlrev_b32_e32 v49, 30, v0
	v_xor_b32_e32 v1, vcc_hi, v3
	v_not_b32_e32 v3, v49
	v_xor_b32_e32 v2, vcc_lo, v2
	v_cmp_gt_i64_e32 vcc, 0, v[48:49]
	v_ashrrev_i32_e32 v3, 31, v3
	v_and_b32_e32 v2, exec_lo, v2
	v_xor_b32_e32 v23, vcc_hi, v3
	v_xor_b32_e32 v3, vcc_lo, v3
	v_lshlrev_b32_e32 v49, 29, v0
	v_and_b32_e32 v2, v2, v3
	v_not_b32_e32 v3, v49
	v_and_b32_e32 v1, exec_hi, v1
	v_cmp_gt_i64_e32 vcc, 0, v[48:49]
	v_ashrrev_i32_e32 v3, 31, v3
	v_and_b32_e32 v1, v1, v23
	v_xor_b32_e32 v23, vcc_hi, v3
	v_xor_b32_e32 v3, vcc_lo, v3
	v_lshlrev_b32_e32 v49, 28, v0
	v_and_b32_e32 v2, v2, v3
	v_not_b32_e32 v3, v49
	v_cmp_gt_i64_e32 vcc, 0, v[48:49]
	v_ashrrev_i32_e32 v3, 31, v3
	v_and_b32_e32 v1, v1, v23
	v_xor_b32_e32 v23, vcc_hi, v3
	v_xor_b32_e32 v3, vcc_lo, v3
	v_lshlrev_b32_e32 v49, 27, v0
	v_and_b32_e32 v2, v2, v3
	v_not_b32_e32 v3, v49
	;; [unrolled: 8-line block ×3, first 2 shown]
	v_cmp_gt_i64_e32 vcc, 0, v[48:49]
	v_ashrrev_i32_e32 v3, 31, v3
	v_and_b32_e32 v1, v1, v23
	v_xor_b32_e32 v23, vcc_hi, v3
	v_xor_b32_e32 v3, vcc_lo, v3
	v_lshlrev_b32_e32 v49, 25, v0
	v_and_b32_e32 v2, v2, v3
	v_cmp_gt_i64_e32 vcc, 0, v[48:49]
	v_not_b32_e32 v3, v49
	v_lshlrev_b32_e32 v49, 24, v0
	v_ashrrev_i32_e32 v3, 31, v3
	v_not_b32_e32 v0, v49
	v_and_b32_e32 v1, v1, v23
	v_xor_b32_e32 v23, vcc_hi, v3
	v_xor_b32_e32 v3, vcc_lo, v3
	v_cmp_gt_i64_e32 vcc, 0, v[48:49]
	v_ashrrev_i32_e32 v0, 31, v0
	v_and_b32_e32 v2, v2, v3
	v_xor_b32_e32 v3, vcc_hi, v0
	v_xor_b32_e32 v0, vcc_lo, v0
	v_and_b32_e32 v1, v1, v23
	v_and_b32_e32 v0, v2, v0
	;; [unrolled: 1-line block ×3, first 2 shown]
	v_mbcnt_lo_u32_b32 v2, v0, 0
	v_mbcnt_hi_u32_b32 v23, v1, v2
	v_cmp_eq_u32_e32 vcc, 0, v23
	v_cmp_ne_u64_e64 s[42:43], 0, v[0:1]
	s_and_b64 s[56:57], s[42:43], vcc
	; wave barrier
	s_and_saveexec_b64 s[42:43], s[56:57]
	s_cbranch_execz .LBB182_81
; %bb.80:                               ;   in Loop: Header=BB182_67 Depth=1
	v_bcnt_u32_b32 v0, v0, 0
	v_bcnt_u32_b32 v0, v1, v0
	s_waitcnt lgkmcnt(0)
	v_add_u32_e32 v0, v21, v0
	ds_write_b32 v22, v0
.LBB182_81:                             ;   in Loop: Header=BB182_67 Depth=1
	s_or_b64 exec, exec, s[42:43]
	v_cmp_ne_u64_e32 vcc, s[50:51], v[50:51]
	v_cndmask_b32_e32 v1, v72, v51, vcc
	v_cndmask_b32_e32 v0, -1, v50, vcc
	v_lshrrev_b64 v[0:1], s44, v[0:1]
	v_and_b32_e32 v0, s55, v0
	v_lshlrev_b32_e32 v1, 1, v0
	v_add_lshl_u32 v1, v1, v74, 2
	; wave barrier
	v_add_u32_e32 v25, 8, v1
	ds_read_b32 v24, v1 offset:8
	v_and_b32_e32 v1, 1, v0
	v_add_co_u32_e32 v2, vcc, -1, v1
	v_addc_co_u32_e64 v3, s[42:43], 0, -1, vcc
	v_cmp_ne_u32_e32 vcc, 0, v1
	v_lshlrev_b32_e32 v49, 30, v0
	v_xor_b32_e32 v1, vcc_hi, v3
	v_not_b32_e32 v3, v49
	v_xor_b32_e32 v2, vcc_lo, v2
	v_cmp_gt_i64_e32 vcc, 0, v[48:49]
	v_ashrrev_i32_e32 v3, 31, v3
	v_and_b32_e32 v2, exec_lo, v2
	v_xor_b32_e32 v26, vcc_hi, v3
	v_xor_b32_e32 v3, vcc_lo, v3
	v_lshlrev_b32_e32 v49, 29, v0
	v_and_b32_e32 v2, v2, v3
	v_not_b32_e32 v3, v49
	v_and_b32_e32 v1, exec_hi, v1
	v_cmp_gt_i64_e32 vcc, 0, v[48:49]
	v_ashrrev_i32_e32 v3, 31, v3
	v_and_b32_e32 v1, v1, v26
	v_xor_b32_e32 v26, vcc_hi, v3
	v_xor_b32_e32 v3, vcc_lo, v3
	v_lshlrev_b32_e32 v49, 28, v0
	v_and_b32_e32 v2, v2, v3
	v_not_b32_e32 v3, v49
	v_cmp_gt_i64_e32 vcc, 0, v[48:49]
	v_ashrrev_i32_e32 v3, 31, v3
	v_and_b32_e32 v1, v1, v26
	v_xor_b32_e32 v26, vcc_hi, v3
	v_xor_b32_e32 v3, vcc_lo, v3
	v_lshlrev_b32_e32 v49, 27, v0
	v_and_b32_e32 v2, v2, v3
	v_not_b32_e32 v3, v49
	;; [unrolled: 8-line block ×3, first 2 shown]
	v_cmp_gt_i64_e32 vcc, 0, v[48:49]
	v_ashrrev_i32_e32 v3, 31, v3
	v_and_b32_e32 v1, v1, v26
	v_xor_b32_e32 v26, vcc_hi, v3
	v_xor_b32_e32 v3, vcc_lo, v3
	v_lshlrev_b32_e32 v49, 25, v0
	v_and_b32_e32 v2, v2, v3
	v_cmp_gt_i64_e32 vcc, 0, v[48:49]
	v_not_b32_e32 v3, v49
	v_lshlrev_b32_e32 v49, 24, v0
	v_ashrrev_i32_e32 v3, 31, v3
	v_not_b32_e32 v0, v49
	v_and_b32_e32 v1, v1, v26
	v_xor_b32_e32 v26, vcc_hi, v3
	v_xor_b32_e32 v3, vcc_lo, v3
	v_cmp_gt_i64_e32 vcc, 0, v[48:49]
	v_ashrrev_i32_e32 v0, 31, v0
	v_and_b32_e32 v2, v2, v3
	v_xor_b32_e32 v3, vcc_hi, v0
	v_xor_b32_e32 v0, vcc_lo, v0
	v_and_b32_e32 v1, v1, v26
	v_and_b32_e32 v0, v2, v0
	;; [unrolled: 1-line block ×3, first 2 shown]
	v_mbcnt_lo_u32_b32 v2, v0, 0
	v_mbcnt_hi_u32_b32 v26, v1, v2
	v_cmp_eq_u32_e32 vcc, 0, v26
	v_cmp_ne_u64_e64 s[42:43], 0, v[0:1]
	s_and_b64 s[56:57], s[42:43], vcc
	; wave barrier
	s_and_saveexec_b64 s[42:43], s[56:57]
	s_cbranch_execz .LBB182_83
; %bb.82:                               ;   in Loop: Header=BB182_67 Depth=1
	v_bcnt_u32_b32 v0, v0, 0
	v_bcnt_u32_b32 v0, v1, v0
	s_waitcnt lgkmcnt(0)
	v_add_u32_e32 v0, v24, v0
	ds_write_b32 v25, v0
.LBB182_83:                             ;   in Loop: Header=BB182_67 Depth=1
	s_or_b64 exec, exec, s[42:43]
	; wave barrier
	s_waitcnt lgkmcnt(0)
	s_barrier
	ds_read2_b32 v[2:3], v112 offset0:2 offset1:3
	ds_read2_b32 v[0:1], v73 offset0:2 offset1:3
	s_waitcnt lgkmcnt(1)
	v_add_u32_e32 v27, v3, v2
	s_waitcnt lgkmcnt(0)
	v_add3_u32 v1, v27, v0, v1
	s_nop 1
	v_mov_b32_dpp v27, v1 row_shr:1 row_mask:0xf bank_mask:0xf
	v_cndmask_b32_e64 v27, v27, 0, s[16:17]
	v_add_u32_e32 v1, v27, v1
	s_nop 1
	v_mov_b32_dpp v27, v1 row_shr:2 row_mask:0xf bank_mask:0xf
	v_cndmask_b32_e64 v27, 0, v27, s[18:19]
	v_add_u32_e32 v1, v1, v27
	;; [unrolled: 4-line block ×4, first 2 shown]
	s_nop 1
	v_mov_b32_dpp v27, v1 row_bcast:15 row_mask:0xf bank_mask:0xf
	v_cndmask_b32_e64 v27, v27, 0, s[24:25]
	v_add_u32_e32 v1, v1, v27
	s_nop 1
	v_mov_b32_dpp v27, v1 row_bcast:31 row_mask:0xf bank_mask:0xf
	v_cndmask_b32_e64 v27, 0, v27, s[26:27]
	v_add_u32_e32 v1, v1, v27
	s_and_saveexec_b64 s[42:43], s[28:29]
	s_cbranch_execz .LBB182_85
; %bb.84:                               ;   in Loop: Header=BB182_67 Depth=1
	ds_write_b32 v70, v1
.LBB182_85:                             ;   in Loop: Header=BB182_67 Depth=1
	s_or_b64 exec, exec, s[42:43]
	s_waitcnt lgkmcnt(0)
	s_barrier
	s_and_saveexec_b64 s[42:43], s[30:31]
	s_cbranch_execz .LBB182_87
; %bb.86:                               ;   in Loop: Header=BB182_67 Depth=1
	ds_read_b32 v27, v69
	s_waitcnt lgkmcnt(0)
	s_nop 0
	v_mov_b32_dpp v28, v27 row_shr:1 row_mask:0xf bank_mask:0xf
	v_cndmask_b32_e64 v28, v28, 0, s[40:41]
	v_add_u32_e32 v27, v28, v27
	ds_write_b32 v69, v27
.LBB182_87:                             ;   in Loop: Header=BB182_67 Depth=1
	s_or_b64 exec, exec, s[42:43]
	v_mov_b32_e32 v27, 0
	s_waitcnt lgkmcnt(0)
	s_barrier
	s_and_saveexec_b64 s[42:43], s[34:35]
	s_cbranch_execz .LBB182_89
; %bb.88:                               ;   in Loop: Header=BB182_67 Depth=1
	ds_read_b32 v27, v76
.LBB182_89:                             ;   in Loop: Header=BB182_67 Depth=1
	s_or_b64 exec, exec, s[42:43]
	s_waitcnt lgkmcnt(0)
	v_add_u32_e32 v1, v27, v1
	ds_bpermute_b32 v1, v75, v1
	s_cmp_gt_u32 s44, 55
	s_waitcnt lgkmcnt(0)
	v_cndmask_b32_e64 v1, v1, v27, s[36:37]
	v_cndmask_b32_e64 v1, v1, 0, s[38:39]
	v_add_u32_e32 v2, v1, v2
	v_add_u32_e32 v3, v2, v3
	;; [unrolled: 1-line block ×3, first 2 shown]
	ds_write2_b32 v112, v1, v2 offset0:2 offset1:3
	ds_write2_b32 v73, v3, v0 offset0:2 offset1:3
	s_waitcnt lgkmcnt(0)
	s_barrier
	ds_read_b32 v0, v4
	ds_read_b32 v1, v7
	;; [unrolled: 1-line block ×8, first 2 shown]
	s_waitcnt lgkmcnt(7)
	v_add_u32_e32 v84, v0, v5
	s_waitcnt lgkmcnt(6)
	v_add3_u32 v83, v8, v6, v1
	s_waitcnt lgkmcnt(5)
	v_add3_u32 v82, v11, v9, v2
	;; [unrolled: 2-line block ×7, first 2 shown]
	s_cbranch_scc0 .LBB182_66
; %bb.90:
                                        ; implicit-def: $vgpr14_vgpr15
                                        ; implicit-def: $vgpr10_vgpr11
                                        ; implicit-def: $vgpr6_vgpr7
                                        ; implicit-def: $vgpr2_vgpr3
                                        ; implicit-def: $vgpr30_vgpr31
                                        ; implicit-def: $vgpr26_vgpr27
                                        ; implicit-def: $vgpr22_vgpr23
                                        ; implicit-def: $vgpr18_vgpr19
                                        ; implicit-def: $sgpr44_sgpr45
                                        ; implicit-def: $sgpr53
.LBB182_91:
	v_lshlrev_b32_e32 v16, 3, v84
	v_lshlrev_b32_e32 v17, 3, v83
	;; [unrolled: 1-line block ×9, first 2 shown]
	s_barrier
	ds_write_b64 v16, v[64:65]
	ds_write_b64 v17, v[62:63]
	;; [unrolled: 1-line block ×8, first 2 shown]
	s_waitcnt lgkmcnt(0)
	s_barrier
	ds_read2_b64 v[0:3], v24 offset1:1
	ds_read2_b64 v[4:7], v24 offset0:2 offset1:3
	ds_read2_b64 v[8:11], v24 offset0:4 offset1:5
	;; [unrolled: 1-line block ×3, first 2 shown]
	s_waitcnt lgkmcnt(0)
	s_barrier
	ds_write_b64 v16, v[46:47]
	ds_write_b64 v17, v[44:45]
	;; [unrolled: 1-line block ×8, first 2 shown]
	v_ashrrev_i32_e32 v18, 31, v1
	v_not_b32_e32 v18, v18
	v_cmp_gt_i64_e32 vcc, 0, v[0:1]
	v_xor_b32_e32 v0, v18, v0
	v_ashrrev_i32_e32 v18, 31, v3
	v_bfrev_b32_e32 v16, -2
	v_not_b32_e32 v18, v18
	v_cndmask_b32_e64 v17, v16, 0, vcc
	v_cmp_gt_i64_e32 vcc, 0, v[2:3]
	v_xor_b32_e32 v2, v18, v2
	v_ashrrev_i32_e32 v18, 31, v5
	v_not_b32_e32 v18, v18
	v_xor_b32_e32 v1, v17, v1
	v_cndmask_b32_e64 v17, v16, 0, vcc
	v_cmp_gt_i64_e32 vcc, 0, v[4:5]
	v_xor_b32_e32 v4, v18, v4
	v_ashrrev_i32_e32 v18, 31, v7
	s_waitcnt lgkmcnt(0)
	s_barrier
	ds_read2_b64 v[50:53], v24 offset1:1
	ds_read2_b64 v[54:57], v24 offset0:2 offset1:3
	ds_read2_b64 v[58:61], v24 offset0:4 offset1:5
	;; [unrolled: 1-line block ×3, first 2 shown]
	v_xor_b32_e32 v3, v17, v3
	v_cndmask_b32_e64 v17, v16, 0, vcc
	v_cmp_gt_i64_e32 vcc, 0, v[6:7]
	v_not_b32_e32 v18, v18
	v_xor_b32_e32 v5, v17, v5
	v_cndmask_b32_e64 v17, v16, 0, vcc
	v_xor_b32_e32 v6, v18, v6
	v_cmp_gt_i64_e32 vcc, 0, v[8:9]
	v_ashrrev_i32_e32 v18, 31, v9
	v_xor_b32_e32 v7, v17, v7
	v_cndmask_b32_e64 v17, v16, 0, vcc
	v_not_b32_e32 v18, v18
	v_cmp_gt_i64_e32 vcc, 0, v[10:11]
	v_xor_b32_e32 v9, v17, v9
	v_xor_b32_e32 v8, v18, v8
	v_cndmask_b32_e64 v17, v16, 0, vcc
	v_ashrrev_i32_e32 v18, 31, v11
	v_cmp_gt_i64_e32 vcc, 0, v[12:13]
	v_not_b32_e32 v18, v18
	v_xor_b32_e32 v11, v17, v11
	v_cndmask_b32_e64 v17, v16, 0, vcc
	v_xor_b32_e32 v10, v18, v10
	v_ashrrev_i32_e32 v18, 31, v13
	v_xor_b32_e32 v13, v17, v13
	v_cmp_gt_i64_e32 vcc, 0, v[14:15]
	v_ashrrev_i32_e32 v17, 31, v15
	v_not_b32_e32 v18, v18
	v_cndmask_b32_e64 v16, v16, 0, vcc
	v_not_b32_e32 v17, v17
	v_xor_b32_e32 v12, v18, v12
	v_xor_b32_e32 v15, v16, v15
	;; [unrolled: 1-line block ×3, first 2 shown]
.LBB182_92:
	s_waitcnt lgkmcnt(0)
	s_barrier
	ds_write2_b64 v111, v[0:1], v[2:3] offset1:1
	ds_write2_b64 v111, v[4:5], v[6:7] offset0:2 offset1:3
	ds_write2_b64 v111, v[8:9], v[10:11] offset0:4 offset1:5
	;; [unrolled: 1-line block ×3, first 2 shown]
	s_waitcnt lgkmcnt(0)
	s_barrier
	ds_read_b64 v[14:15], v104 offset:1024
	ds_read_b64 v[12:13], v105 offset:2048
	;; [unrolled: 1-line block ×7, first 2 shown]
	v_mov_b32_e32 v67, 0
	v_lshlrev_b64 v[2:3], 3, v[66:67]
	v_mov_b32_e32 v16, s47
	v_add_co_u32_e32 v2, vcc, s33, v2
	v_addc_co_u32_e32 v3, vcc, v16, v3, vcc
	s_and_saveexec_b64 s[16:17], s[0:1]
	s_cbranch_execnz .LBB182_111
; %bb.93:
	s_or_b64 exec, exec, s[16:17]
	s_and_saveexec_b64 s[16:17], s[2:3]
	s_cbranch_execnz .LBB182_112
.LBB182_94:
	s_or_b64 exec, exec, s[16:17]
	s_and_saveexec_b64 s[16:17], s[4:5]
	s_cbranch_execnz .LBB182_113
.LBB182_95:
	s_or_b64 exec, exec, s[16:17]
	s_and_saveexec_b64 s[16:17], s[6:7]
	s_cbranch_execnz .LBB182_114
.LBB182_96:
	s_or_b64 exec, exec, s[16:17]
	s_and_saveexec_b64 s[16:17], s[8:9]
	s_cbranch_execnz .LBB182_115
.LBB182_97:
	s_or_b64 exec, exec, s[16:17]
	s_and_saveexec_b64 s[16:17], s[10:11]
	s_cbranch_execnz .LBB182_116
.LBB182_98:
	s_or_b64 exec, exec, s[16:17]
	s_and_saveexec_b64 s[16:17], s[12:13]
	s_cbranch_execnz .LBB182_117
.LBB182_99:
	s_or_b64 exec, exec, s[16:17]
	s_and_saveexec_b64 s[16:17], s[14:15]
	s_cbranch_execz .LBB182_101
.LBB182_100:
	s_mul_i32 s18, s46, 0x380
	s_mov_b32 s19, 0
	s_lshl_b64 s[18:19], s[18:19], 3
	s_waitcnt lgkmcnt(1)
	v_mov_b32_e32 v4, s19
	v_add_co_u32_e32 v2, vcc, s18, v2
	v_addc_co_u32_e32 v3, vcc, v3, v4, vcc
	s_waitcnt lgkmcnt(0)
	global_store_dwordx2 v[2:3], v[0:1], off
.LBB182_101:
	s_or_b64 exec, exec, s[16:17]
	s_waitcnt lgkmcnt(0)
	s_barrier
	ds_write2_b64 v111, v[50:51], v[52:53] offset1:1
	ds_write2_b64 v111, v[54:55], v[56:57] offset0:2 offset1:3
	ds_write2_b64 v111, v[58:59], v[60:61] offset0:4 offset1:5
	;; [unrolled: 1-line block ×3, first 2 shown]
	s_waitcnt lgkmcnt(0)
	s_barrier
	ds_read_b64 v[14:15], v104 offset:1024
	ds_read_b64 v[12:13], v105 offset:2048
	;; [unrolled: 1-line block ×7, first 2 shown]
	v_mov_b32_e32 v69, 0
	v_lshlrev_b64 v[2:3], 3, v[68:69]
	v_mov_b32_e32 v16, s54
	v_add_co_u32_e32 v2, vcc, s49, v2
	v_addc_co_u32_e32 v3, vcc, v16, v3, vcc
	s_and_saveexec_b64 s[16:17], s[0:1]
	s_cbranch_execnz .LBB182_118
; %bb.102:
	s_or_b64 exec, exec, s[16:17]
	s_and_saveexec_b64 s[0:1], s[2:3]
	s_cbranch_execnz .LBB182_119
.LBB182_103:
	s_or_b64 exec, exec, s[0:1]
	s_and_saveexec_b64 s[0:1], s[4:5]
	s_cbranch_execnz .LBB182_120
.LBB182_104:
	s_or_b64 exec, exec, s[0:1]
	s_and_saveexec_b64 s[0:1], s[6:7]
	s_cbranch_execnz .LBB182_121
.LBB182_105:
	s_or_b64 exec, exec, s[0:1]
	s_and_saveexec_b64 s[0:1], s[8:9]
	s_cbranch_execnz .LBB182_122
.LBB182_106:
	s_or_b64 exec, exec, s[0:1]
	s_and_saveexec_b64 s[0:1], s[10:11]
	s_cbranch_execnz .LBB182_123
.LBB182_107:
	s_or_b64 exec, exec, s[0:1]
	s_and_saveexec_b64 s[0:1], s[12:13]
	s_cbranch_execnz .LBB182_124
.LBB182_108:
	s_or_b64 exec, exec, s[0:1]
	s_and_saveexec_b64 s[0:1], s[14:15]
	s_cbranch_execz .LBB182_110
.LBB182_109:
	s_mul_i32 s0, s48, 0x380
	s_mov_b32 s1, 0
	s_lshl_b64 s[0:1], s[0:1], 3
	s_waitcnt lgkmcnt(1)
	v_mov_b32_e32 v4, s1
	v_add_co_u32_e32 v2, vcc, s0, v2
	v_addc_co_u32_e32 v3, vcc, v3, v4, vcc
	s_waitcnt lgkmcnt(0)
	global_store_dwordx2 v[2:3], v[0:1], off
.LBB182_110:
	s_endpgm
.LBB182_111:
	ds_read_b64 v[16:17], v71
	s_waitcnt lgkmcnt(0)
	global_store_dwordx2 v[2:3], v[16:17], off
	s_or_b64 exec, exec, s[16:17]
	s_and_saveexec_b64 s[16:17], s[2:3]
	s_cbranch_execz .LBB182_94
.LBB182_112:
	s_lshl_b32 s18, s46, 7
	s_mov_b32 s19, 0
	s_lshl_b64 s[18:19], s[18:19], 3
	v_mov_b32_e32 v17, s19
	v_add_co_u32_e32 v16, vcc, s18, v2
	v_addc_co_u32_e32 v17, vcc, v3, v17, vcc
	s_waitcnt lgkmcnt(6)
	global_store_dwordx2 v[16:17], v[14:15], off
	s_or_b64 exec, exec, s[16:17]
	s_and_saveexec_b64 s[16:17], s[4:5]
	s_cbranch_execz .LBB182_95
.LBB182_113:
	s_lshl_b32 s18, s46, 8
	s_mov_b32 s19, 0
	s_lshl_b64 s[18:19], s[18:19], 3
	s_waitcnt lgkmcnt(6)
	v_mov_b32_e32 v15, s19
	v_add_co_u32_e32 v14, vcc, s18, v2
	v_addc_co_u32_e32 v15, vcc, v3, v15, vcc
	s_waitcnt lgkmcnt(5)
	global_store_dwordx2 v[14:15], v[12:13], off
	s_or_b64 exec, exec, s[16:17]
	s_and_saveexec_b64 s[16:17], s[6:7]
	s_cbranch_execz .LBB182_96
.LBB182_114:
	s_mul_i32 s18, s46, 0x180
	s_mov_b32 s19, 0
	s_lshl_b64 s[18:19], s[18:19], 3
	s_waitcnt lgkmcnt(5)
	v_mov_b32_e32 v13, s19
	v_add_co_u32_e32 v12, vcc, s18, v2
	v_addc_co_u32_e32 v13, vcc, v3, v13, vcc
	s_waitcnt lgkmcnt(4)
	global_store_dwordx2 v[12:13], v[10:11], off
	s_or_b64 exec, exec, s[16:17]
	s_and_saveexec_b64 s[16:17], s[8:9]
	s_cbranch_execz .LBB182_97
.LBB182_115:
	s_lshl_b32 s18, s46, 9
	s_mov_b32 s19, 0
	s_lshl_b64 s[18:19], s[18:19], 3
	s_waitcnt lgkmcnt(4)
	v_mov_b32_e32 v11, s19
	v_add_co_u32_e32 v10, vcc, s18, v2
	v_addc_co_u32_e32 v11, vcc, v3, v11, vcc
	s_waitcnt lgkmcnt(3)
	global_store_dwordx2 v[10:11], v[8:9], off
	s_or_b64 exec, exec, s[16:17]
	s_and_saveexec_b64 s[16:17], s[10:11]
	s_cbranch_execz .LBB182_98
.LBB182_116:
	s_mul_i32 s18, s46, 0x280
	s_mov_b32 s19, 0
	s_lshl_b64 s[18:19], s[18:19], 3
	s_waitcnt lgkmcnt(3)
	v_mov_b32_e32 v9, s19
	v_add_co_u32_e32 v8, vcc, s18, v2
	v_addc_co_u32_e32 v9, vcc, v3, v9, vcc
	s_waitcnt lgkmcnt(2)
	global_store_dwordx2 v[8:9], v[6:7], off
	s_or_b64 exec, exec, s[16:17]
	s_and_saveexec_b64 s[16:17], s[12:13]
	s_cbranch_execz .LBB182_99
.LBB182_117:
	s_mul_i32 s18, s46, 0x300
	s_mov_b32 s19, 0
	s_lshl_b64 s[18:19], s[18:19], 3
	s_waitcnt lgkmcnt(2)
	v_mov_b32_e32 v7, s19
	v_add_co_u32_e32 v6, vcc, s18, v2
	v_addc_co_u32_e32 v7, vcc, v3, v7, vcc
	s_waitcnt lgkmcnt(1)
	global_store_dwordx2 v[6:7], v[4:5], off
	s_or_b64 exec, exec, s[16:17]
	s_and_saveexec_b64 s[16:17], s[14:15]
	s_cbranch_execnz .LBB182_100
	s_branch .LBB182_101
.LBB182_118:
	ds_read_b64 v[16:17], v71
	s_waitcnt lgkmcnt(0)
	global_store_dwordx2 v[2:3], v[16:17], off
	s_or_b64 exec, exec, s[16:17]
	s_and_saveexec_b64 s[0:1], s[2:3]
	s_cbranch_execz .LBB182_103
.LBB182_119:
	s_lshl_b32 s2, s48, 7
	s_mov_b32 s3, 0
	s_lshl_b64 s[2:3], s[2:3], 3
	v_mov_b32_e32 v17, s3
	v_add_co_u32_e32 v16, vcc, s2, v2
	v_addc_co_u32_e32 v17, vcc, v3, v17, vcc
	s_waitcnt lgkmcnt(6)
	global_store_dwordx2 v[16:17], v[14:15], off
	s_or_b64 exec, exec, s[0:1]
	s_and_saveexec_b64 s[0:1], s[4:5]
	s_cbranch_execz .LBB182_104
.LBB182_120:
	s_lshl_b32 s2, s48, 8
	s_mov_b32 s3, 0
	s_lshl_b64 s[2:3], s[2:3], 3
	s_waitcnt lgkmcnt(6)
	v_mov_b32_e32 v15, s3
	v_add_co_u32_e32 v14, vcc, s2, v2
	v_addc_co_u32_e32 v15, vcc, v3, v15, vcc
	s_waitcnt lgkmcnt(5)
	global_store_dwordx2 v[14:15], v[12:13], off
	s_or_b64 exec, exec, s[0:1]
	s_and_saveexec_b64 s[0:1], s[6:7]
	s_cbranch_execz .LBB182_105
.LBB182_121:
	s_mul_i32 s2, s48, 0x180
	s_mov_b32 s3, 0
	s_lshl_b64 s[2:3], s[2:3], 3
	s_waitcnt lgkmcnt(5)
	v_mov_b32_e32 v13, s3
	v_add_co_u32_e32 v12, vcc, s2, v2
	v_addc_co_u32_e32 v13, vcc, v3, v13, vcc
	s_waitcnt lgkmcnt(4)
	global_store_dwordx2 v[12:13], v[10:11], off
	s_or_b64 exec, exec, s[0:1]
	s_and_saveexec_b64 s[0:1], s[8:9]
	s_cbranch_execz .LBB182_106
.LBB182_122:
	s_lshl_b32 s2, s48, 9
	s_mov_b32 s3, 0
	s_lshl_b64 s[2:3], s[2:3], 3
	s_waitcnt lgkmcnt(4)
	v_mov_b32_e32 v11, s3
	v_add_co_u32_e32 v10, vcc, s2, v2
	v_addc_co_u32_e32 v11, vcc, v3, v11, vcc
	s_waitcnt lgkmcnt(3)
	global_store_dwordx2 v[10:11], v[8:9], off
	s_or_b64 exec, exec, s[0:1]
	s_and_saveexec_b64 s[0:1], s[10:11]
	s_cbranch_execz .LBB182_107
.LBB182_123:
	s_mul_i32 s2, s48, 0x280
	s_mov_b32 s3, 0
	s_lshl_b64 s[2:3], s[2:3], 3
	s_waitcnt lgkmcnt(3)
	v_mov_b32_e32 v9, s3
	v_add_co_u32_e32 v8, vcc, s2, v2
	v_addc_co_u32_e32 v9, vcc, v3, v9, vcc
	s_waitcnt lgkmcnt(2)
	global_store_dwordx2 v[8:9], v[6:7], off
	s_or_b64 exec, exec, s[0:1]
	s_and_saveexec_b64 s[0:1], s[12:13]
	s_cbranch_execz .LBB182_108
.LBB182_124:
	s_mul_i32 s2, s48, 0x300
	s_mov_b32 s3, 0
	s_lshl_b64 s[2:3], s[2:3], 3
	s_waitcnt lgkmcnt(2)
	v_mov_b32_e32 v7, s3
	v_add_co_u32_e32 v6, vcc, s2, v2
	v_addc_co_u32_e32 v7, vcc, v3, v7, vcc
	s_waitcnt lgkmcnt(1)
	global_store_dwordx2 v[6:7], v[4:5], off
	s_or_b64 exec, exec, s[0:1]
	s_and_saveexec_b64 s[0:1], s[14:15]
	s_cbranch_execnz .LBB182_109
	s_branch .LBB182_110
	.section	.rodata,"a",@progbits
	.p2align	6, 0x0
	.amdhsa_kernel _ZN2at6native18radixSortKVInPlaceILin2ELin1ELi128ELi8EdljEEvNS_4cuda6detail10TensorInfoIT3_T5_EES6_S6_S6_NS4_IT4_S6_EES6_b
		.amdhsa_group_segment_fixed_size 8448
		.amdhsa_private_segment_fixed_size 0
		.amdhsa_kernarg_size 712
		.amdhsa_user_sgpr_count 6
		.amdhsa_user_sgpr_private_segment_buffer 1
		.amdhsa_user_sgpr_dispatch_ptr 0
		.amdhsa_user_sgpr_queue_ptr 0
		.amdhsa_user_sgpr_kernarg_segment_ptr 1
		.amdhsa_user_sgpr_dispatch_id 0
		.amdhsa_user_sgpr_flat_scratch_init 0
		.amdhsa_user_sgpr_kernarg_preload_length 0
		.amdhsa_user_sgpr_kernarg_preload_offset 0
		.amdhsa_user_sgpr_private_segment_size 0
		.amdhsa_uses_dynamic_stack 0
		.amdhsa_system_sgpr_private_segment_wavefront_offset 0
		.amdhsa_system_sgpr_workgroup_id_x 1
		.amdhsa_system_sgpr_workgroup_id_y 1
		.amdhsa_system_sgpr_workgroup_id_z 1
		.amdhsa_system_sgpr_workgroup_info 0
		.amdhsa_system_vgpr_workitem_id 2
		.amdhsa_next_free_vgpr 139
		.amdhsa_next_free_sgpr 60
		.amdhsa_accum_offset 140
		.amdhsa_reserve_vcc 1
		.amdhsa_reserve_flat_scratch 0
		.amdhsa_float_round_mode_32 0
		.amdhsa_float_round_mode_16_64 0
		.amdhsa_float_denorm_mode_32 3
		.amdhsa_float_denorm_mode_16_64 3
		.amdhsa_dx10_clamp 1
		.amdhsa_ieee_mode 1
		.amdhsa_fp16_overflow 0
		.amdhsa_tg_split 0
		.amdhsa_exception_fp_ieee_invalid_op 0
		.amdhsa_exception_fp_denorm_src 0
		.amdhsa_exception_fp_ieee_div_zero 0
		.amdhsa_exception_fp_ieee_overflow 0
		.amdhsa_exception_fp_ieee_underflow 0
		.amdhsa_exception_fp_ieee_inexact 0
		.amdhsa_exception_int_div_zero 0
	.end_amdhsa_kernel
	.section	.text._ZN2at6native18radixSortKVInPlaceILin2ELin1ELi128ELi8EdljEEvNS_4cuda6detail10TensorInfoIT3_T5_EES6_S6_S6_NS4_IT4_S6_EES6_b,"axG",@progbits,_ZN2at6native18radixSortKVInPlaceILin2ELin1ELi128ELi8EdljEEvNS_4cuda6detail10TensorInfoIT3_T5_EES6_S6_S6_NS4_IT4_S6_EES6_b,comdat
.Lfunc_end182:
	.size	_ZN2at6native18radixSortKVInPlaceILin2ELin1ELi128ELi8EdljEEvNS_4cuda6detail10TensorInfoIT3_T5_EES6_S6_S6_NS4_IT4_S6_EES6_b, .Lfunc_end182-_ZN2at6native18radixSortKVInPlaceILin2ELin1ELi128ELi8EdljEEvNS_4cuda6detail10TensorInfoIT3_T5_EES6_S6_S6_NS4_IT4_S6_EES6_b
                                        ; -- End function
	.section	.AMDGPU.csdata,"",@progbits
; Kernel info:
; codeLenInByte = 13740
; NumSgprs: 64
; NumVgprs: 139
; NumAgprs: 0
; TotalNumVgprs: 139
; ScratchSize: 0
; MemoryBound: 0
; FloatMode: 240
; IeeeMode: 1
; LDSByteSize: 8448 bytes/workgroup (compile time only)
; SGPRBlocks: 7
; VGPRBlocks: 17
; NumSGPRsForWavesPerEU: 64
; NumVGPRsForWavesPerEU: 139
; AccumOffset: 140
; Occupancy: 3
; WaveLimiterHint : 1
; COMPUTE_PGM_RSRC2:SCRATCH_EN: 0
; COMPUTE_PGM_RSRC2:USER_SGPR: 6
; COMPUTE_PGM_RSRC2:TRAP_HANDLER: 0
; COMPUTE_PGM_RSRC2:TGID_X_EN: 1
; COMPUTE_PGM_RSRC2:TGID_Y_EN: 1
; COMPUTE_PGM_RSRC2:TGID_Z_EN: 1
; COMPUTE_PGM_RSRC2:TIDIG_COMP_CNT: 2
; COMPUTE_PGM_RSRC3_GFX90A:ACCUM_OFFSET: 34
; COMPUTE_PGM_RSRC3_GFX90A:TG_SPLIT: 0
	.section	.text._ZN2at6native18radixSortKVInPlaceILin2ELin1ELi32ELi4EdljEEvNS_4cuda6detail10TensorInfoIT3_T5_EES6_S6_S6_NS4_IT4_S6_EES6_b,"axG",@progbits,_ZN2at6native18radixSortKVInPlaceILin2ELin1ELi32ELi4EdljEEvNS_4cuda6detail10TensorInfoIT3_T5_EES6_S6_S6_NS4_IT4_S6_EES6_b,comdat
	.protected	_ZN2at6native18radixSortKVInPlaceILin2ELin1ELi32ELi4EdljEEvNS_4cuda6detail10TensorInfoIT3_T5_EES6_S6_S6_NS4_IT4_S6_EES6_b ; -- Begin function _ZN2at6native18radixSortKVInPlaceILin2ELin1ELi32ELi4EdljEEvNS_4cuda6detail10TensorInfoIT3_T5_EES6_S6_S6_NS4_IT4_S6_EES6_b
	.globl	_ZN2at6native18radixSortKVInPlaceILin2ELin1ELi32ELi4EdljEEvNS_4cuda6detail10TensorInfoIT3_T5_EES6_S6_S6_NS4_IT4_S6_EES6_b
	.p2align	8
	.type	_ZN2at6native18radixSortKVInPlaceILin2ELin1ELi32ELi4EdljEEvNS_4cuda6detail10TensorInfoIT3_T5_EES6_S6_S6_NS4_IT4_S6_EES6_b,@function
_ZN2at6native18radixSortKVInPlaceILin2ELin1ELi32ELi4EdljEEvNS_4cuda6detail10TensorInfoIT3_T5_EES6_S6_S6_NS4_IT4_S6_EES6_b: ; @_ZN2at6native18radixSortKVInPlaceILin2ELin1ELi32ELi4EdljEEvNS_4cuda6detail10TensorInfoIT3_T5_EES6_S6_S6_NS4_IT4_S6_EES6_b
; %bb.0:
	s_load_dwordx2 s[0:1], s[4:5], 0x1c8
	s_load_dwordx4 s[24:27], s[4:5], 0xd8
	s_waitcnt lgkmcnt(0)
	s_mul_i32 s1, s1, s8
	s_add_i32 s1, s1, s7
	s_mul_i32 s0, s1, s0
	s_add_i32 s6, s0, s6
	s_cmp_ge_u32 s6, s24
	s_cbranch_scc1 .LBB183_60
; %bb.1:
	s_load_dword s2, s[4:5], 0x1b8
	s_load_dwordx2 s[0:1], s[4:5], 0x0
	s_add_u32 s14, s4, 0xe8
	s_addc_u32 s15, s5, 0
	s_mov_b32 s13, 0
	s_waitcnt lgkmcnt(0)
	s_cmp_lt_i32 s2, 2
	s_mov_b32 s12, s6
	s_cbranch_scc1 .LBB183_4
; %bb.2:
	s_add_i32 s12, s2, -1
	s_add_i32 s7, s2, 1
	s_lshl_b64 s[2:3], s[12:13], 2
	s_add_u32 s2, s2, s14
	s_addc_u32 s3, s3, s15
	s_add_u32 s2, s2, 8
	s_addc_u32 s3, s3, 0
	s_mov_b32 s12, s6
.LBB183_3:                              ; =>This Inner Loop Header: Depth=1
	s_load_dword s8, s[2:3], 0x0
	s_load_dword s10, s[2:3], 0x64
	s_mov_b32 s9, s12
	s_waitcnt lgkmcnt(0)
	v_cvt_f32_u32_e32 v1, s8
	s_sub_i32 s11, 0, s8
	v_rcp_iflag_f32_e32 v1, v1
	v_mul_f32_e32 v1, 0x4f7ffffe, v1
	v_cvt_u32_f32_e32 v1, v1
	v_readfirstlane_b32 s12, v1
	s_mul_i32 s11, s11, s12
	s_mul_hi_u32 s11, s12, s11
	s_add_i32 s12, s12, s11
	s_mul_hi_u32 s11, s9, s12
	s_mul_i32 s12, s11, s8
	s_sub_i32 s12, s9, s12
	s_add_i32 s16, s11, 1
	s_sub_i32 s17, s12, s8
	s_cmp_ge_u32 s12, s8
	s_cselect_b32 s11, s16, s11
	s_cselect_b32 s12, s17, s12
	s_add_i32 s16, s11, 1
	s_cmp_ge_u32 s12, s8
	s_cselect_b32 s12, s16, s11
	s_mul_i32 s8, s12, s8
	s_sub_i32 s8, s9, s8
	s_mul_i32 s8, s10, s8
	s_add_i32 s7, s7, -1
	s_add_i32 s13, s8, s13
	s_add_u32 s2, s2, -4
	s_addc_u32 s3, s3, -1
	s_cmp_gt_u32 s7, 2
	s_cbranch_scc1 .LBB183_3
.LBB183_4:
	s_load_dword s2, s[4:5], 0x6c
	s_load_dwordx2 s[28:29], s[4:5], 0x1c0
	s_mov_b32 s3, 0
	s_mov_b32 s4, -1
	s_mov_b32 s8, s4
	s_waitcnt lgkmcnt(0)
	s_mul_i32 s2, s2, s6
	s_bitcmp1_b32 s29, 0
	s_cselect_b64 s[16:17], -1, 0
	s_and_b64 s[6:7], s[16:17], exec
	s_cselect_b32 s5, -1, 0x7fffffff
	s_lshl_b64 s[2:3], s[2:3], 3
	s_add_u32 s27, s0, s2
	s_mov_b32 s6, s4
	s_mov_b32 s7, s5
	;; [unrolled: 1-line block ×5, first 2 shown]
	v_pk_mov_b32 v[2:3], s[4:5], s[4:5] op_sel:[0,1]
	s_addc_u32 s29, s1, s3
	v_cmp_gt_u32_e64 s[0:1], s25, v0
	v_pk_mov_b32 v[4:5], s[6:7], s[6:7] op_sel:[0,1]
	v_pk_mov_b32 v[6:7], s[8:9], s[8:9] op_sel:[0,1]
	v_pk_mov_b32 v[8:9], s[10:11], s[10:11] op_sel:[0,1]
	v_pk_mov_b32 v[10:11], s[4:5], s[4:5] op_sel:[0,1]
	v_mul_lo_u32 v34, v0, s26
	s_and_saveexec_b64 s[2:3], s[0:1]
	s_cbranch_execz .LBB183_6
; %bb.5:
	v_mov_b32_e32 v35, 0
	v_lshlrev_b64 v[2:3], 3, v[34:35]
	v_mov_b32_e32 v1, s29
	v_add_co_u32_e32 v2, vcc, s27, v2
	v_addc_co_u32_e32 v3, vcc, v1, v3, vcc
	global_load_dwordx2 v[10:11], v[2:3], off
	v_pk_mov_b32 v[2:3], s[4:5], s[4:5] op_sel:[0,1]
	v_pk_mov_b32 v[4:5], s[6:7], s[6:7] op_sel:[0,1]
	;; [unrolled: 1-line block ×4, first 2 shown]
.LBB183_6:
	s_or_b64 exec, exec, s[2:3]
	v_or_b32_e32 v1, 32, v0
	v_cmp_gt_u32_e64 s[2:3], s25, v1
	s_and_saveexec_b64 s[4:5], s[2:3]
	s_cbranch_execz .LBB183_8
; %bb.7:
	v_mul_lo_u32 v2, v1, s26
	v_mov_b32_e32 v3, 0
	v_lshlrev_b64 v[2:3], 3, v[2:3]
	v_mov_b32_e32 v4, s29
	v_add_co_u32_e32 v2, vcc, s27, v2
	v_addc_co_u32_e32 v3, vcc, v4, v3, vcc
	global_load_dwordx2 v[4:5], v[2:3], off
.LBB183_8:
	s_or_b64 exec, exec, s[4:5]
	s_load_dwordx2 s[10:11], s[14:15], 0x0
	v_or_b32_e32 v18, 64, v0
	v_cmp_gt_u32_e64 s[4:5], s25, v18
	s_and_saveexec_b64 s[6:7], s[4:5]
	s_cbranch_execz .LBB183_10
; %bb.9:
	v_mul_lo_u32 v2, v18, s26
	v_mov_b32_e32 v3, 0
	v_lshlrev_b64 v[2:3], 3, v[2:3]
	v_mov_b32_e32 v6, s29
	v_add_co_u32_e32 v2, vcc, s27, v2
	v_addc_co_u32_e32 v3, vcc, v6, v3, vcc
	global_load_dwordx2 v[6:7], v[2:3], off
.LBB183_10:
	s_or_b64 exec, exec, s[6:7]
	s_load_dword s14, s[14:15], 0x6c
	v_or_b32_e32 v19, 0x60, v0
	v_cmp_gt_u32_e64 s[6:7], s25, v19
	s_and_saveexec_b64 s[8:9], s[6:7]
	s_cbranch_execz .LBB183_12
; %bb.11:
	v_mul_lo_u32 v2, v19, s26
	v_mov_b32_e32 v3, 0
	v_lshlrev_b64 v[2:3], 3, v[2:3]
	v_mov_b32_e32 v8, s29
	v_add_co_u32_e32 v2, vcc, s27, v2
	v_addc_co_u32_e32 v3, vcc, v8, v3, vcc
	global_load_dwordx2 v[8:9], v[2:3], off
.LBB183_12:
	s_or_b64 exec, exec, s[8:9]
	v_lshrrev_b32_e32 v2, 5, v1
	v_add_lshl_u32 v55, v2, v0, 3
	v_lshrrev_b32_e32 v2, 5, v18
	v_add_lshl_u32 v56, v2, v0, 3
	;; [unrolled: 2-line block ×3, first 2 shown]
	v_lshlrev_b32_e32 v26, 2, v0
	v_lshrrev_b32_e32 v2, 3, v0
	v_or_b32_e32 v2, v2, v26
	s_waitcnt lgkmcnt(0)
	s_mul_i32 s8, s14, s12
	v_lshlrev_b32_e32 v54, 3, v0
	v_lshlrev_b32_e32 v58, 3, v2
	s_add_i32 s8, s8, s13
	s_mov_b32 s9, 0
	s_waitcnt vmcnt(0)
	ds_write_b64 v54, v[10:11]
	ds_write_b64 v55, v[4:5] offset:256
	ds_write_b64 v56, v[6:7] offset:512
	;; [unrolled: 1-line block ×3, first 2 shown]
	s_waitcnt lgkmcnt(0)
	; wave barrier
	s_waitcnt lgkmcnt(0)
	ds_read2_b64 v[14:17], v58 offset1:1
	ds_read2_b64 v[10:13], v58 offset0:2 offset1:3
	s_lshl_b64 s[12:13], s[8:9], 3
	s_add_u32 s33, s10, s12
	s_mov_b32 s8, s9
	s_addc_u32 s40, s11, s13
	s_mov_b32 s10, s9
	s_mov_b32 s11, s9
	;; [unrolled: 1-line block ×6, first 2 shown]
	v_pk_mov_b32 v[2:3], s[8:9], s[8:9] op_sel:[0,1]
	v_pk_mov_b32 v[4:5], s[10:11], s[10:11] op_sel:[0,1]
	;; [unrolled: 1-line block ×4, first 2 shown]
	v_pk_mov_b32 v[2:3], 0, 0
	v_mul_lo_u32 v36, v0, s28
	s_waitcnt lgkmcnt(0)
	; wave barrier
	s_waitcnt lgkmcnt(0)
	s_and_saveexec_b64 s[8:9], s[0:1]
	s_cbranch_execnz .LBB183_32
; %bb.13:
	s_or_b64 exec, exec, s[8:9]
	s_and_saveexec_b64 s[8:9], s[2:3]
	s_cbranch_execnz .LBB183_33
.LBB183_14:
	s_or_b64 exec, exec, s[8:9]
	s_and_saveexec_b64 s[8:9], s[4:5]
	s_cbranch_execnz .LBB183_34
.LBB183_15:
	s_or_b64 exec, exec, s[8:9]
	s_xor_b64 s[30:31], s[16:17], -1
	s_and_saveexec_b64 s[8:9], s[6:7]
	s_cbranch_execz .LBB183_17
.LBB183_16:
	v_mul_lo_u32 v8, v19, s28
	v_mov_b32_e32 v9, 0
	v_lshlrev_b64 v[8:9], 3, v[8:9]
	v_mov_b32_e32 v18, s40
	v_add_co_u32_e32 v8, vcc, s33, v8
	v_addc_co_u32_e32 v9, vcc, v18, v9, vcc
	global_load_dwordx2 v[8:9], v[8:9], off
.LBB183_17:
	s_or_b64 exec, exec, s[8:9]
	s_waitcnt vmcnt(0)
	ds_write_b64 v54, v[2:3]
	ds_write_b64 v55, v[4:5] offset:256
	ds_write_b64 v56, v[6:7] offset:512
	;; [unrolled: 1-line block ×3, first 2 shown]
	v_mbcnt_lo_u32_b32 v2, -1, 0
	v_mbcnt_hi_u32_b32 v2, -1, v2
	s_getpc_b64 s[8:9]
	s_add_u32 s8, s8, _ZN7rocprim17ROCPRIM_400000_NS16block_radix_sortIdLj32ELj4ElLj1ELj1ELj0ELNS0_26block_radix_rank_algorithmE1ELNS0_18block_padding_hintE2ELNS0_4arch9wavefront6targetE1EE19radix_bits_per_passE@rel32@lo+4
	s_addc_u32 s9, s9, _ZN7rocprim17ROCPRIM_400000_NS16block_radix_sortIdLj32ELj4ElLj1ELj1ELj0ELNS0_26block_radix_rank_algorithmE1ELNS0_18block_padding_hintE2ELNS0_4arch9wavefront6targetE1EE19radix_bits_per_passE@rel32@hi+12
	v_and_b32_e32 v3, 15, v2
	s_waitcnt lgkmcnt(0)
	; wave barrier
	s_waitcnt lgkmcnt(0)
	ds_read2_b64 v[18:21], v58 offset1:1
	ds_read2_b64 v[22:25], v58 offset0:2 offset1:3
	s_load_dword s41, s[8:9], 0x0
	v_cmp_eq_u32_e64 s[10:11], 0, v3
	v_cmp_lt_u32_e64 s[12:13], 1, v3
	v_cmp_lt_u32_e64 s[14:15], 3, v3
	;; [unrolled: 1-line block ×3, first 2 shown]
	v_and_b32_e32 v3, 16, v2
	v_cmp_eq_u32_e64 s[18:19], 0, v3
	v_add_u32_e32 v3, -1, v2
	v_and_b32_e32 v4, 0x60, v2
	v_cmp_lt_i32_e32 vcc, v3, v4
	s_movk_i32 s8, 0x100
	v_cndmask_b32_e32 v3, v3, v2, vcc
	v_cmp_gt_u32_e64 s[8:9], s8, v0
	v_lshlrev_b32_e32 v37, 5, v0
	s_mov_b32 s42, 0
	s_mov_b32 s24, -1
	v_cmp_eq_u32_e64 s[20:21], 31, v0
	v_lshlrev_b32_e32 v59, 2, v3
	v_cmp_eq_u32_e64 s[22:23], 0, v2
	v_lshlrev_b32_e32 v35, 3, v26
	s_and_b64 vcc, exec, s[30:31]
	v_ashrrev_i32_e32 v64, 31, v15
	v_ashrrev_i32_e32 v63, 31, v17
	v_ashrrev_i32_e32 v62, 31, v11
	v_ashrrev_i32_e32 v61, 31, v13
	v_add_u32_e64 v60, 7, 2
	s_waitcnt lgkmcnt(0)
	; wave barrier
	s_waitcnt lgkmcnt(0)
	s_cbranch_vccz .LBB183_35
; %bb.18:
	v_bfrev_b32_e32 v65, 1
	v_cmp_lt_i64_e32 vcc, -1, v[14:15]
	v_cndmask_b32_e32 v2, -1, v65, vcc
	v_cmp_lt_i64_e32 vcc, -1, v[16:17]
	v_cndmask_b32_e32 v4, -1, v65, vcc
	;; [unrolled: 2-line block ×4, first 2 shown]
	v_xor_b32_e32 v3, v2, v15
	v_xor_b32_e32 v2, v64, v14
	;; [unrolled: 1-line block ×8, first 2 shown]
	v_and_b32_e32 v66, 14, v60
	v_mov_b32_e32 v67, 0
	s_brev_b32 s25, -2
	s_movk_i32 s43, 0xe0
	v_pk_mov_b32 v[26:27], v[18:19], v[18:19] op_sel:[0,1]
	v_pk_mov_b32 v[28:29], v[20:21], v[20:21] op_sel:[0,1]
	;; [unrolled: 1-line block ×4, first 2 shown]
	s_branch .LBB183_20
.LBB183_19:                             ;   in Loop: Header=BB183_20 Depth=1
	v_lshlrev_b32_e32 v26, 3, v71
	v_lshlrev_b32_e32 v27, 3, v69
	;; [unrolled: 1-line block ×4, first 2 shown]
	s_waitcnt lgkmcnt(0)
	; wave barrier
	ds_write_b64 v26, v[52:53]
	ds_write_b64 v27, v[50:51]
	ds_write_b64 v28, v[48:49]
	ds_write_b64 v29, v[46:47]
	s_waitcnt lgkmcnt(0)
	; wave barrier
	s_waitcnt lgkmcnt(0)
	ds_read2_b64 v[2:5], v35 offset1:1
	ds_read2_b64 v[6:9], v35 offset0:2 offset1:3
	s_waitcnt lgkmcnt(0)
	; wave barrier
	s_waitcnt lgkmcnt(0)
	ds_write_b64 v26, v[44:45]
	ds_write_b64 v27, v[42:43]
	;; [unrolled: 1-line block ×4, first 2 shown]
	s_waitcnt lgkmcnt(0)
	; wave barrier
	s_waitcnt lgkmcnt(0)
	ds_read2_b64 v[26:29], v35 offset1:1
	ds_read2_b64 v[30:33], v35 offset0:2 offset1:3
	s_add_i32 s42, s42, 4
	s_waitcnt lgkmcnt(0)
	; wave barrier
	s_waitcnt lgkmcnt(0)
	s_cbranch_execz .LBB183_31
.LBB183_20:                             ; =>This Loop Header: Depth=1
                                        ;     Child Loop BB183_23 Depth 2
	v_pk_mov_b32 v[46:47], v[8:9], v[8:9] op_sel:[0,1]
	v_pk_mov_b32 v[48:49], v[6:7], v[6:7] op_sel:[0,1]
	;; [unrolled: 1-line block ×8, first 2 shown]
	s_and_saveexec_b64 s[30:31], s[8:9]
	s_cbranch_execz .LBB183_27
; %bb.21:                               ;   in Loop: Header=BB183_20 Depth=1
	s_mov_b32 s44, 0
	s_mov_b64 s[34:35], 0
	v_pk_mov_b32 v[2:3], v[0:1], v[0:1] op_sel:[0,1]
	s_branch .LBB183_23
.LBB183_22:                             ;   in Loop: Header=BB183_23 Depth=2
	s_or_b64 exec, exec, s[38:39]
	s_add_i32 s44, s44, 2
	v_cmp_eq_u32_e32 vcc, s44, v66
	v_add_u32_e32 v3, 64, v3
	s_or_b64 s[34:35], vcc, s[34:35]
	v_add_u32_e32 v2, 64, v2
	s_andn2_b64 exec, exec, s[34:35]
	s_cbranch_execz .LBB183_27
.LBB183_23:                             ;   Parent Loop BB183_20 Depth=1
                                        ; =>  This Inner Loop Header: Depth=2
	s_or_b32 s36, s44, 1
	v_cmp_le_u32_e64 s[36:37], s36, 7
	v_cmp_le_u32_e64 s[46:47], s44, 7
	s_and_saveexec_b64 s[38:39], s[46:47]
	s_cbranch_execz .LBB183_25
; %bb.24:                               ;   in Loop: Header=BB183_23 Depth=2
	v_lshlrev_b32_e32 v4, 2, v2
	ds_write_b32 v4, v67
.LBB183_25:                             ;   in Loop: Header=BB183_23 Depth=2
	s_or_b64 exec, exec, s[38:39]
	s_and_saveexec_b64 s[38:39], s[36:37]
	s_cbranch_execz .LBB183_22
; %bb.26:                               ;   in Loop: Header=BB183_23 Depth=2
	v_lshlrev_b32_e32 v4, 2, v3
	ds_write_b32 v4, v67
	s_branch .LBB183_22
.LBB183_27:                             ;   in Loop: Header=BB183_20 Depth=1
	s_or_b64 exec, exec, s[30:31]
	s_sub_i32 s30, 64, s42
	s_min_u32 s30, s41, s30
	v_cmp_ne_u64_e32 vcc, s[24:25], v[52:53]
	s_lshl_b32 s30, -1, s30
	v_cndmask_b32_e32 v3, v65, v53, vcc
	v_cndmask_b32_e32 v2, 0, v52, vcc
	s_not_b32 s30, s30
	v_lshrrev_b64 v[2:3], s42, v[2:3]
	v_and_b32_e32 v2, s30, v2
	v_lshrrev_b32_e32 v3, 3, v2
	v_lshlrev_b32_e32 v2, 5, v2
	v_and_or_b32 v2, v2, s43, v0
	v_lshlrev_b32_e32 v2, 1, v2
	v_add_lshl_u32 v27, v2, v3, 1
	ds_read_u16 v26, v27
	v_cmp_ne_u64_e32 vcc, s[24:25], v[50:51]
	v_cndmask_b32_e32 v3, v65, v51, vcc
	s_waitcnt lgkmcnt(0)
	v_add_u16_e32 v2, 1, v26
	ds_write_b16 v27, v2
	v_cndmask_b32_e32 v2, 0, v50, vcc
	v_lshrrev_b64 v[2:3], s42, v[2:3]
	v_and_b32_e32 v2, s30, v2
	v_lshrrev_b32_e32 v3, 3, v2
	v_lshlrev_b32_e32 v2, 5, v2
	v_and_or_b32 v2, v2, s43, v0
	v_lshlrev_b32_e32 v2, 1, v2
	v_add_lshl_u32 v29, v2, v3, 1
	ds_read_u16 v28, v29
	v_cmp_ne_u64_e32 vcc, s[24:25], v[48:49]
	v_cndmask_b32_e32 v3, v65, v49, vcc
	s_waitcnt lgkmcnt(0)
	v_add_u16_e32 v2, 1, v28
	ds_write_b16 v29, v2
	v_cndmask_b32_e32 v2, 0, v48, vcc
	;; [unrolled: 14-line block ×3, first 2 shown]
	v_lshrrev_b64 v[2:3], s42, v[2:3]
	v_and_b32_e32 v2, s30, v2
	v_lshrrev_b32_e32 v3, 3, v2
	v_lshlrev_b32_e32 v2, 5, v2
	v_and_or_b32 v2, v2, s43, v0
	v_lshlrev_b32_e32 v2, 1, v2
	v_add_lshl_u32 v33, v2, v3, 1
	ds_read_u16 v32, v33
	s_waitcnt lgkmcnt(0)
	v_add_u16_e32 v2, 1, v32
	ds_write_b16 v33, v2
	s_waitcnt lgkmcnt(0)
	; wave barrier
	s_waitcnt lgkmcnt(0)
	ds_read2_b32 v[8:9], v37 offset1:1
	ds_read2_b32 v[6:7], v37 offset0:2 offset1:3
	ds_read2_b32 v[2:3], v37 offset0:4 offset1:5
	ds_read2_b32 v[4:5], v37 offset0:6 offset1:7
	s_waitcnt lgkmcnt(3)
	v_add_u32_e32 v68, v9, v8
	s_waitcnt lgkmcnt(2)
	v_add3_u32 v68, v68, v6, v7
	s_waitcnt lgkmcnt(1)
	v_add3_u32 v68, v68, v2, v3
	s_waitcnt lgkmcnt(0)
	v_add3_u32 v5, v68, v4, v5
	s_nop 1
	v_mov_b32_dpp v68, v5 row_shr:1 row_mask:0xf bank_mask:0xf
	v_cndmask_b32_e64 v68, v68, 0, s[10:11]
	v_add_u32_e32 v5, v68, v5
	s_nop 1
	v_mov_b32_dpp v68, v5 row_shr:2 row_mask:0xf bank_mask:0xf
	v_cndmask_b32_e64 v68, 0, v68, s[12:13]
	v_add_u32_e32 v5, v5, v68
	;; [unrolled: 4-line block ×4, first 2 shown]
	s_nop 1
	v_mov_b32_dpp v68, v5 row_bcast:15 row_mask:0xf bank_mask:0xf
	v_cndmask_b32_e64 v68, v68, 0, s[18:19]
	v_add_u32_e32 v5, v5, v68
	s_and_saveexec_b64 s[30:31], s[20:21]
	s_cbranch_execz .LBB183_29
; %bb.28:                               ;   in Loop: Header=BB183_20 Depth=1
	ds_write_b32 v67, v5 offset:1024
.LBB183_29:                             ;   in Loop: Header=BB183_20 Depth=1
	s_or_b64 exec, exec, s[30:31]
	ds_bpermute_b32 v5, v59, v5
	s_waitcnt lgkmcnt(0)
	; wave barrier
	s_waitcnt lgkmcnt(0)
	ds_read_b32 v68, v67 offset:1024
	s_cmp_gt_u32 s42, 59
	v_cndmask_b32_e64 v5, v5, 0, s[22:23]
	s_waitcnt lgkmcnt(0)
	v_lshl_add_u32 v5, v68, 16, v5
	v_add_u32_e32 v8, v5, v8
	v_add_u32_e32 v9, v8, v9
	ds_write2_b32 v37, v5, v8 offset1:1
	v_add_u32_e32 v5, v9, v6
	v_add_u32_e32 v6, v5, v7
	;; [unrolled: 1-line block ×5, first 2 shown]
	ds_write2_b32 v37, v9, v5 offset0:2 offset1:3
	ds_write2_b32 v37, v6, v2 offset0:4 offset1:5
	;; [unrolled: 1-line block ×3, first 2 shown]
	s_waitcnt lgkmcnt(0)
	; wave barrier
	s_waitcnt lgkmcnt(0)
	ds_read_u16 v2, v27
	ds_read_u16 v3, v29
	ds_read_u16 v4, v31
	ds_read_u16 v5, v33
	s_waitcnt lgkmcnt(3)
	v_add_u32_sdwa v71, v2, v26 dst_sel:DWORD dst_unused:UNUSED_PAD src0_sel:DWORD src1_sel:WORD_0
	s_waitcnt lgkmcnt(2)
	v_add_u32_sdwa v69, v3, v28 dst_sel:DWORD dst_unused:UNUSED_PAD src0_sel:DWORD src1_sel:WORD_0
	;; [unrolled: 2-line block ×4, first 2 shown]
	s_cbranch_scc0 .LBB183_19
; %bb.30:
                                        ; implicit-def: $vgpr8_vgpr9
                                        ; implicit-def: $vgpr4_vgpr5
                                        ; implicit-def: $vgpr32_vgpr33
                                        ; implicit-def: $vgpr28_vgpr29
                                        ; implicit-def: $sgpr42
.LBB183_31:
	v_lshlrev_b32_e32 v26, 3, v71
	v_lshlrev_b32_e32 v27, 3, v69
	;; [unrolled: 1-line block ×4, first 2 shown]
	s_waitcnt lgkmcnt(0)
	; wave barrier
	ds_write_b64 v26, v[52:53]
	ds_write_b64 v27, v[50:51]
	;; [unrolled: 1-line block ×4, first 2 shown]
	s_waitcnt lgkmcnt(0)
	; wave barrier
	s_waitcnt lgkmcnt(0)
	ds_read2_b64 v[2:5], v35 offset1:1
	ds_read2_b64 v[6:9], v35 offset0:2 offset1:3
	s_waitcnt lgkmcnt(0)
	; wave barrier
	s_waitcnt lgkmcnt(0)
	ds_write_b64 v26, v[44:45]
	ds_write_b64 v27, v[42:43]
	;; [unrolled: 1-line block ×4, first 2 shown]
	v_bfrev_b32_e32 v38, 1
	v_cmp_lt_i64_e32 vcc, -1, v[2:3]
	v_ashrrev_i32_e32 v40, 31, v3
	s_waitcnt lgkmcnt(0)
	; wave barrier
	s_waitcnt lgkmcnt(0)
	ds_read2_b64 v[26:29], v35 offset1:1
	ds_read2_b64 v[30:33], v35 offset0:2 offset1:3
	v_cndmask_b32_e64 v39, v38, -1, vcc
	v_not_b32_e32 v40, v40
	v_cmp_lt_i64_e32 vcc, -1, v[4:5]
	v_xor_b32_e32 v3, v39, v3
	v_xor_b32_e32 v2, v40, v2
	v_cndmask_b32_e64 v39, v38, -1, vcc
	v_ashrrev_i32_e32 v40, 31, v5
	v_cmp_lt_i64_e32 vcc, -1, v[6:7]
	v_not_b32_e32 v40, v40
	v_xor_b32_e32 v5, v39, v5
	v_cndmask_b32_e64 v39, v38, -1, vcc
	v_xor_b32_e32 v4, v40, v4
	v_ashrrev_i32_e32 v40, 31, v7
	v_xor_b32_e32 v7, v39, v7
	v_cmp_lt_i64_e32 vcc, -1, v[8:9]
	v_ashrrev_i32_e32 v39, 31, v9
	v_not_b32_e32 v40, v40
	v_cndmask_b32_e64 v38, v38, -1, vcc
	v_not_b32_e32 v39, v39
	v_xor_b32_e32 v6, v40, v6
	v_xor_b32_e32 v9, v38, v9
	;; [unrolled: 1-line block ×3, first 2 shown]
	s_branch .LBB183_50
.LBB183_32:
	v_mov_b32_e32 v37, 0
	v_lshlrev_b64 v[2:3], 3, v[36:37]
	v_mov_b32_e32 v4, s40
	v_add_co_u32_e32 v2, vcc, s33, v2
	v_addc_co_u32_e32 v3, vcc, v4, v3, vcc
	global_load_dwordx2 v[2:3], v[2:3], off
	v_mov_b32_e32 v4, v37
	v_mov_b32_e32 v5, v37
	v_mov_b32_e32 v6, v37
	v_mov_b32_e32 v7, v37
	v_mov_b32_e32 v8, v37
	v_mov_b32_e32 v9, v37
	s_or_b64 exec, exec, s[8:9]
	s_and_saveexec_b64 s[8:9], s[2:3]
	s_cbranch_execz .LBB183_14
.LBB183_33:
	v_mul_lo_u32 v4, v1, s28
	v_mov_b32_e32 v5, 0
	v_lshlrev_b64 v[4:5], 3, v[4:5]
	v_mov_b32_e32 v20, s40
	v_add_co_u32_e32 v4, vcc, s33, v4
	v_addc_co_u32_e32 v5, vcc, v20, v5, vcc
	global_load_dwordx2 v[4:5], v[4:5], off
	s_or_b64 exec, exec, s[8:9]
	s_and_saveexec_b64 s[8:9], s[4:5]
	s_cbranch_execz .LBB183_15
.LBB183_34:
	v_mul_lo_u32 v6, v18, s28
	v_mov_b32_e32 v7, 0
	v_lshlrev_b64 v[6:7], 3, v[6:7]
	v_mov_b32_e32 v18, s40
	v_add_co_u32_e32 v6, vcc, s33, v6
	v_addc_co_u32_e32 v7, vcc, v18, v7, vcc
	global_load_dwordx2 v[6:7], v[6:7], off
	s_or_b64 exec, exec, s[8:9]
	s_xor_b64 s[30:31], s[16:17], -1
	s_and_saveexec_b64 s[8:9], s[6:7]
	s_cbranch_execnz .LBB183_16
	s_branch .LBB183_17
.LBB183_35:
                                        ; implicit-def: $vgpr32_vgpr33
                                        ; implicit-def: $vgpr28_vgpr29
                                        ; implicit-def: $vgpr2_vgpr3_vgpr4_vgpr5_vgpr6_vgpr7_vgpr8_vgpr9
	s_cbranch_execz .LBB183_50
; %bb.36:
	v_bfrev_b32_e32 v38, -2
	v_cmp_gt_i64_e32 vcc, 0, v[14:15]
	v_cndmask_b32_e64 v2, v38, 0, vcc
	v_not_b32_e32 v4, v64
	v_cmp_gt_i64_e32 vcc, 0, v[16:17]
	v_xor_b32_e32 v3, v2, v15
	v_xor_b32_e32 v2, v4, v14
	v_cndmask_b32_e64 v4, v38, 0, vcc
	v_not_b32_e32 v6, v63
	v_cmp_gt_i64_e32 vcc, 0, v[10:11]
	v_xor_b32_e32 v5, v4, v17
	v_xor_b32_e32 v4, v6, v16
	v_cndmask_b32_e64 v6, v38, 0, vcc
	v_not_b32_e32 v8, v62
	v_cmp_gt_i64_e32 vcc, 0, v[12:13]
	s_mov_b32 s24, 0
	v_xor_b32_e32 v7, v6, v11
	v_xor_b32_e32 v6, v8, v10
	v_cndmask_b32_e64 v8, v38, 0, vcc
	v_not_b32_e32 v10, v61
	s_brev_b32 s25, 1
	v_xor_b32_e32 v9, v8, v13
	v_xor_b32_e32 v8, v10, v12
	v_and_b32_e32 v39, 14, v60
	v_mov_b32_e32 v40, 0
	s_movk_i32 s42, 0xe0
	s_mov_b32 s43, s24
	s_branch .LBB183_38
.LBB183_37:                             ;   in Loop: Header=BB183_38 Depth=1
	v_lshlrev_b32_e32 v18, 3, v44
	v_lshlrev_b32_e32 v19, 3, v42
	;; [unrolled: 1-line block ×4, first 2 shown]
	s_waitcnt lgkmcnt(0)
	; wave barrier
	ds_write_b64 v18, v[32:33]
	ds_write_b64 v19, v[30:31]
	ds_write_b64 v20, v[28:29]
	ds_write_b64 v21, v[26:27]
	s_waitcnt lgkmcnt(0)
	; wave barrier
	s_waitcnt lgkmcnt(0)
	ds_read2_b64 v[2:5], v35 offset1:1
	ds_read2_b64 v[6:9], v35 offset0:2 offset1:3
	s_waitcnt lgkmcnt(0)
	; wave barrier
	s_waitcnt lgkmcnt(0)
	ds_write_b64 v18, v[16:17]
	ds_write_b64 v19, v[14:15]
	;; [unrolled: 1-line block ×4, first 2 shown]
	s_waitcnt lgkmcnt(0)
	; wave barrier
	s_waitcnt lgkmcnt(0)
	ds_read2_b64 v[18:21], v35 offset1:1
	ds_read2_b64 v[22:25], v35 offset0:2 offset1:3
	s_add_i32 s43, s43, 4
	s_waitcnt lgkmcnt(0)
	; wave barrier
	s_waitcnt lgkmcnt(0)
	s_cbranch_execz .LBB183_49
.LBB183_38:                             ; =>This Loop Header: Depth=1
                                        ;     Child Loop BB183_41 Depth 2
	s_waitcnt lgkmcnt(1)
	v_pk_mov_b32 v[26:27], v[8:9], v[8:9] op_sel:[0,1]
	v_pk_mov_b32 v[28:29], v[6:7], v[6:7] op_sel:[0,1]
	s_waitcnt lgkmcnt(0)
	v_pk_mov_b32 v[30:31], v[4:5], v[4:5] op_sel:[0,1]
	v_pk_mov_b32 v[32:33], v[2:3], v[2:3] op_sel:[0,1]
	;; [unrolled: 1-line block ×6, first 2 shown]
	s_and_saveexec_b64 s[30:31], s[8:9]
	s_cbranch_execz .LBB183_45
; %bb.39:                               ;   in Loop: Header=BB183_38 Depth=1
	s_mov_b32 s44, 0
	s_mov_b64 s[34:35], 0
	v_pk_mov_b32 v[2:3], v[0:1], v[0:1] op_sel:[0,1]
	s_branch .LBB183_41
.LBB183_40:                             ;   in Loop: Header=BB183_41 Depth=2
	s_or_b64 exec, exec, s[38:39]
	s_add_i32 s44, s44, 2
	v_cmp_eq_u32_e32 vcc, s44, v39
	v_add_u32_e32 v3, 64, v3
	s_or_b64 s[34:35], vcc, s[34:35]
	v_add_u32_e32 v2, 64, v2
	s_andn2_b64 exec, exec, s[34:35]
	s_cbranch_execz .LBB183_45
.LBB183_41:                             ;   Parent Loop BB183_38 Depth=1
                                        ; =>  This Inner Loop Header: Depth=2
	s_or_b32 s36, s44, 1
	v_cmp_le_u32_e64 s[36:37], s36, 7
	v_cmp_le_u32_e64 s[46:47], s44, 7
	s_and_saveexec_b64 s[38:39], s[46:47]
	s_cbranch_execz .LBB183_43
; %bb.42:                               ;   in Loop: Header=BB183_41 Depth=2
	v_lshlrev_b32_e32 v4, 2, v2
	ds_write_b32 v4, v40
.LBB183_43:                             ;   in Loop: Header=BB183_41 Depth=2
	s_or_b64 exec, exec, s[38:39]
	s_and_saveexec_b64 s[38:39], s[36:37]
	s_cbranch_execz .LBB183_40
; %bb.44:                               ;   in Loop: Header=BB183_41 Depth=2
	v_lshlrev_b32_e32 v4, 2, v3
	ds_write_b32 v4, v40
	s_branch .LBB183_40
.LBB183_45:                             ;   in Loop: Header=BB183_38 Depth=1
	s_or_b64 exec, exec, s[30:31]
	s_sub_i32 s30, 64, s43
	s_min_u32 s30, s41, s30
	v_cmp_ne_u64_e32 vcc, s[24:25], v[32:33]
	s_lshl_b32 s30, -1, s30
	v_cndmask_b32_e32 v3, v38, v33, vcc
	v_cndmask_b32_e32 v2, -1, v32, vcc
	s_not_b32 s30, s30
	v_lshrrev_b64 v[2:3], s43, v[2:3]
	v_and_b32_e32 v2, s30, v2
	v_lshrrev_b32_e32 v3, 3, v2
	v_lshlrev_b32_e32 v2, 5, v2
	v_and_or_b32 v2, v2, s42, v0
	v_lshlrev_b32_e32 v2, 1, v2
	v_add_lshl_u32 v19, v2, v3, 1
	ds_read_u16 v18, v19
	v_cmp_ne_u64_e32 vcc, s[24:25], v[30:31]
	v_cndmask_b32_e32 v3, v38, v31, vcc
	s_waitcnt lgkmcnt(0)
	v_add_u16_e32 v2, 1, v18
	ds_write_b16 v19, v2
	v_cndmask_b32_e32 v2, -1, v30, vcc
	v_lshrrev_b64 v[2:3], s43, v[2:3]
	v_and_b32_e32 v2, s30, v2
	v_lshrrev_b32_e32 v3, 3, v2
	v_lshlrev_b32_e32 v2, 5, v2
	v_and_or_b32 v2, v2, s42, v0
	v_lshlrev_b32_e32 v2, 1, v2
	v_add_lshl_u32 v21, v2, v3, 1
	ds_read_u16 v20, v21
	v_cmp_ne_u64_e32 vcc, s[24:25], v[28:29]
	v_cndmask_b32_e32 v3, v38, v29, vcc
	s_waitcnt lgkmcnt(0)
	v_add_u16_e32 v2, 1, v20
	ds_write_b16 v21, v2
	v_cndmask_b32_e32 v2, -1, v28, vcc
	v_lshrrev_b64 v[2:3], s43, v[2:3]
	v_and_b32_e32 v2, s30, v2
	v_lshrrev_b32_e32 v3, 3, v2
	v_lshlrev_b32_e32 v2, 5, v2
	v_and_or_b32 v2, v2, s42, v0
	v_lshlrev_b32_e32 v2, 1, v2
	v_add_lshl_u32 v23, v2, v3, 1
	ds_read_u16 v22, v23
	v_cmp_ne_u64_e32 vcc, s[24:25], v[26:27]
	v_cndmask_b32_e32 v3, v38, v27, vcc
	s_waitcnt lgkmcnt(0)
	v_add_u16_e32 v2, 1, v22
	ds_write_b16 v23, v2
	v_cndmask_b32_e32 v2, -1, v26, vcc
	v_lshrrev_b64 v[2:3], s43, v[2:3]
	v_and_b32_e32 v2, s30, v2
	v_lshrrev_b32_e32 v3, 3, v2
	v_lshlrev_b32_e32 v2, 5, v2
	v_and_or_b32 v2, v2, s42, v0
	v_lshlrev_b32_e32 v2, 1, v2
	v_add_lshl_u32 v25, v2, v3, 1
	ds_read_u16 v24, v25
	s_waitcnt lgkmcnt(0)
	v_add_u16_e32 v2, 1, v24
	ds_write_b16 v25, v2
	s_waitcnt lgkmcnt(0)
	; wave barrier
	s_waitcnt lgkmcnt(0)
	ds_read2_b32 v[8:9], v37 offset1:1
	ds_read2_b32 v[6:7], v37 offset0:2 offset1:3
	ds_read2_b32 v[2:3], v37 offset0:4 offset1:5
	;; [unrolled: 1-line block ×3, first 2 shown]
	s_waitcnt lgkmcnt(3)
	v_add_u32_e32 v41, v9, v8
	s_waitcnt lgkmcnt(2)
	v_add3_u32 v41, v41, v6, v7
	s_waitcnt lgkmcnt(1)
	v_add3_u32 v41, v41, v2, v3
	;; [unrolled: 2-line block ×3, first 2 shown]
	s_nop 1
	v_mov_b32_dpp v41, v5 row_shr:1 row_mask:0xf bank_mask:0xf
	v_cndmask_b32_e64 v41, v41, 0, s[10:11]
	v_add_u32_e32 v5, v41, v5
	s_nop 1
	v_mov_b32_dpp v41, v5 row_shr:2 row_mask:0xf bank_mask:0xf
	v_cndmask_b32_e64 v41, 0, v41, s[12:13]
	v_add_u32_e32 v5, v5, v41
	;; [unrolled: 4-line block ×4, first 2 shown]
	s_nop 1
	v_mov_b32_dpp v41, v5 row_bcast:15 row_mask:0xf bank_mask:0xf
	v_cndmask_b32_e64 v41, v41, 0, s[18:19]
	v_add_u32_e32 v5, v5, v41
	s_and_saveexec_b64 s[30:31], s[20:21]
	s_cbranch_execz .LBB183_47
; %bb.46:                               ;   in Loop: Header=BB183_38 Depth=1
	ds_write_b32 v40, v5 offset:1024
.LBB183_47:                             ;   in Loop: Header=BB183_38 Depth=1
	s_or_b64 exec, exec, s[30:31]
	ds_bpermute_b32 v5, v59, v5
	s_waitcnt lgkmcnt(0)
	; wave barrier
	s_waitcnt lgkmcnt(0)
	ds_read_b32 v41, v40 offset:1024
	s_cmp_gt_u32 s43, 59
	v_cndmask_b32_e64 v5, v5, 0, s[22:23]
	s_waitcnt lgkmcnt(0)
	v_lshl_add_u32 v5, v41, 16, v5
	v_add_u32_e32 v8, v5, v8
	v_add_u32_e32 v9, v8, v9
	ds_write2_b32 v37, v5, v8 offset1:1
	v_add_u32_e32 v5, v9, v6
	v_add_u32_e32 v6, v5, v7
	;; [unrolled: 1-line block ×5, first 2 shown]
	ds_write2_b32 v37, v9, v5 offset0:2 offset1:3
	ds_write2_b32 v37, v6, v2 offset0:4 offset1:5
	ds_write2_b32 v37, v3, v4 offset0:6 offset1:7
	s_waitcnt lgkmcnt(0)
	; wave barrier
	s_waitcnt lgkmcnt(0)
	ds_read_u16 v2, v19
	ds_read_u16 v3, v21
	;; [unrolled: 1-line block ×4, first 2 shown]
	s_waitcnt lgkmcnt(3)
	v_add_u32_sdwa v44, v2, v18 dst_sel:DWORD dst_unused:UNUSED_PAD src0_sel:DWORD src1_sel:WORD_0
	s_waitcnt lgkmcnt(2)
	v_add_u32_sdwa v42, v3, v20 dst_sel:DWORD dst_unused:UNUSED_PAD src0_sel:DWORD src1_sel:WORD_0
	;; [unrolled: 2-line block ×4, first 2 shown]
	s_cbranch_scc0 .LBB183_37
; %bb.48:
                                        ; implicit-def: $vgpr8_vgpr9
                                        ; implicit-def: $vgpr4_vgpr5
                                        ; implicit-def: $vgpr24_vgpr25
                                        ; implicit-def: $vgpr20_vgpr21
                                        ; implicit-def: $sgpr43
.LBB183_49:
	v_lshlrev_b32_e32 v0, 3, v44
	v_lshlrev_b32_e32 v1, 3, v42
	;; [unrolled: 1-line block ×4, first 2 shown]
	s_waitcnt lgkmcnt(0)
	; wave barrier
	ds_write_b64 v0, v[32:33]
	ds_write_b64 v1, v[30:31]
	ds_write_b64 v18, v[28:29]
	ds_write_b64 v19, v[26:27]
	s_waitcnt lgkmcnt(0)
	; wave barrier
	s_waitcnt lgkmcnt(0)
	ds_read2_b64 v[2:5], v35 offset1:1
	ds_read2_b64 v[6:9], v35 offset0:2 offset1:3
	s_waitcnt lgkmcnt(0)
	; wave barrier
	s_waitcnt lgkmcnt(0)
	ds_write_b64 v0, v[16:17]
	ds_write_b64 v1, v[14:15]
	;; [unrolled: 1-line block ×4, first 2 shown]
	v_bfrev_b32_e32 v0, -2
	v_cmp_gt_i64_e32 vcc, 0, v[2:3]
	v_ashrrev_i32_e32 v10, 31, v3
	s_waitcnt lgkmcnt(0)
	; wave barrier
	s_waitcnt lgkmcnt(0)
	ds_read2_b64 v[26:29], v35 offset1:1
	ds_read2_b64 v[30:33], v35 offset0:2 offset1:3
	v_cndmask_b32_e64 v1, v0, 0, vcc
	v_not_b32_e32 v10, v10
	v_cmp_gt_i64_e32 vcc, 0, v[4:5]
	v_xor_b32_e32 v3, v1, v3
	v_xor_b32_e32 v2, v10, v2
	v_cndmask_b32_e64 v1, v0, 0, vcc
	v_ashrrev_i32_e32 v10, 31, v5
	v_cmp_gt_i64_e32 vcc, 0, v[6:7]
	v_not_b32_e32 v10, v10
	v_xor_b32_e32 v5, v1, v5
	v_cndmask_b32_e64 v1, v0, 0, vcc
	v_xor_b32_e32 v4, v10, v4
	v_ashrrev_i32_e32 v10, 31, v7
	v_xor_b32_e32 v7, v1, v7
	v_cmp_gt_i64_e32 vcc, 0, v[8:9]
	v_ashrrev_i32_e32 v1, 31, v9
	v_not_b32_e32 v10, v10
	v_cndmask_b32_e64 v0, v0, 0, vcc
	v_not_b32_e32 v1, v1
	v_xor_b32_e32 v6, v10, v6
	v_xor_b32_e32 v9, v0, v9
	;; [unrolled: 1-line block ×3, first 2 shown]
.LBB183_50:
	s_waitcnt lgkmcnt(0)
	; wave barrier
	s_waitcnt lgkmcnt(0)
	ds_write2_b64 v58, v[2:3], v[4:5] offset1:1
	ds_write2_b64 v58, v[6:7], v[8:9] offset0:2 offset1:3
	s_waitcnt lgkmcnt(0)
	; wave barrier
	s_waitcnt lgkmcnt(0)
	ds_read_b64 v[6:7], v55 offset:256
	ds_read_b64 v[4:5], v56 offset:512
	;; [unrolled: 1-line block ×3, first 2 shown]
	v_mov_b32_e32 v35, 0
	v_lshlrev_b64 v[2:3], 3, v[34:35]
	v_mov_b32_e32 v8, s29
	v_add_co_u32_e32 v2, vcc, s27, v2
	v_addc_co_u32_e32 v3, vcc, v8, v3, vcc
	s_and_saveexec_b64 s[8:9], s[0:1]
	s_cbranch_execnz .LBB183_61
; %bb.51:
	s_or_b64 exec, exec, s[8:9]
	s_and_saveexec_b64 s[8:9], s[2:3]
	s_cbranch_execnz .LBB183_62
.LBB183_52:
	s_or_b64 exec, exec, s[8:9]
	s_and_saveexec_b64 s[8:9], s[4:5]
	s_cbranch_execnz .LBB183_63
.LBB183_53:
	s_or_b64 exec, exec, s[8:9]
	s_and_saveexec_b64 s[8:9], s[6:7]
	s_cbranch_execz .LBB183_55
.LBB183_54:
	s_mul_i32 s10, s26, 0x60
	s_mov_b32 s11, 0
	s_lshl_b64 s[10:11], s[10:11], 3
	s_waitcnt lgkmcnt(1)
	v_mov_b32_e32 v4, s11
	v_add_co_u32_e32 v2, vcc, s10, v2
	v_addc_co_u32_e32 v3, vcc, v3, v4, vcc
	s_waitcnt lgkmcnt(0)
	global_store_dwordx2 v[2:3], v[0:1], off
.LBB183_55:
	s_or_b64 exec, exec, s[8:9]
	s_waitcnt lgkmcnt(0)
	; wave barrier
	s_waitcnt lgkmcnt(0)
	ds_write2_b64 v58, v[26:27], v[28:29] offset1:1
	ds_write2_b64 v58, v[30:31], v[32:33] offset0:2 offset1:3
	s_waitcnt lgkmcnt(0)
	; wave barrier
	s_waitcnt lgkmcnt(0)
	ds_read_b64 v[6:7], v55 offset:256
	ds_read_b64 v[4:5], v56 offset:512
	;; [unrolled: 1-line block ×3, first 2 shown]
	v_mov_b32_e32 v37, 0
	v_lshlrev_b64 v[2:3], 3, v[36:37]
	v_mov_b32_e32 v8, s40
	v_add_co_u32_e32 v2, vcc, s33, v2
	v_addc_co_u32_e32 v3, vcc, v8, v3, vcc
	s_and_saveexec_b64 s[8:9], s[0:1]
	s_cbranch_execnz .LBB183_64
; %bb.56:
	s_or_b64 exec, exec, s[8:9]
	s_and_saveexec_b64 s[0:1], s[2:3]
	s_cbranch_execnz .LBB183_65
.LBB183_57:
	s_or_b64 exec, exec, s[0:1]
	s_and_saveexec_b64 s[0:1], s[4:5]
	s_cbranch_execnz .LBB183_66
.LBB183_58:
	s_or_b64 exec, exec, s[0:1]
	s_and_saveexec_b64 s[0:1], s[6:7]
	s_cbranch_execz .LBB183_60
.LBB183_59:
	s_mul_i32 s0, s28, 0x60
	s_mov_b32 s1, 0
	s_lshl_b64 s[0:1], s[0:1], 3
	s_waitcnt lgkmcnt(1)
	v_mov_b32_e32 v4, s1
	v_add_co_u32_e32 v2, vcc, s0, v2
	v_addc_co_u32_e32 v3, vcc, v3, v4, vcc
	s_waitcnt lgkmcnt(0)
	global_store_dwordx2 v[2:3], v[0:1], off
.LBB183_60:
	s_endpgm
.LBB183_61:
	ds_read_b64 v[8:9], v54
	s_waitcnt lgkmcnt(0)
	global_store_dwordx2 v[2:3], v[8:9], off
	s_or_b64 exec, exec, s[8:9]
	s_and_saveexec_b64 s[8:9], s[2:3]
	s_cbranch_execz .LBB183_52
.LBB183_62:
	s_lshl_b32 s10, s26, 5
	s_mov_b32 s11, 0
	s_lshl_b64 s[10:11], s[10:11], 3
	v_mov_b32_e32 v9, s11
	v_add_co_u32_e32 v8, vcc, s10, v2
	v_addc_co_u32_e32 v9, vcc, v3, v9, vcc
	s_waitcnt lgkmcnt(2)
	global_store_dwordx2 v[8:9], v[6:7], off
	s_or_b64 exec, exec, s[8:9]
	s_and_saveexec_b64 s[8:9], s[4:5]
	s_cbranch_execz .LBB183_53
.LBB183_63:
	s_lshl_b32 s10, s26, 6
	s_mov_b32 s11, 0
	s_lshl_b64 s[10:11], s[10:11], 3
	s_waitcnt lgkmcnt(2)
	v_mov_b32_e32 v7, s11
	v_add_co_u32_e32 v6, vcc, s10, v2
	v_addc_co_u32_e32 v7, vcc, v3, v7, vcc
	s_waitcnt lgkmcnt(1)
	global_store_dwordx2 v[6:7], v[4:5], off
	s_or_b64 exec, exec, s[8:9]
	s_and_saveexec_b64 s[8:9], s[6:7]
	s_cbranch_execnz .LBB183_54
	s_branch .LBB183_55
.LBB183_64:
	ds_read_b64 v[8:9], v54
	s_waitcnt lgkmcnt(0)
	global_store_dwordx2 v[2:3], v[8:9], off
	s_or_b64 exec, exec, s[8:9]
	s_and_saveexec_b64 s[0:1], s[2:3]
	s_cbranch_execz .LBB183_57
.LBB183_65:
	s_lshl_b32 s2, s28, 5
	s_mov_b32 s3, 0
	s_lshl_b64 s[2:3], s[2:3], 3
	v_mov_b32_e32 v9, s3
	v_add_co_u32_e32 v8, vcc, s2, v2
	v_addc_co_u32_e32 v9, vcc, v3, v9, vcc
	s_waitcnt lgkmcnt(2)
	global_store_dwordx2 v[8:9], v[6:7], off
	s_or_b64 exec, exec, s[0:1]
	s_and_saveexec_b64 s[0:1], s[4:5]
	s_cbranch_execz .LBB183_58
.LBB183_66:
	s_lshl_b32 s2, s28, 6
	s_mov_b32 s3, 0
	s_lshl_b64 s[2:3], s[2:3], 3
	s_waitcnt lgkmcnt(2)
	v_mov_b32_e32 v7, s3
	v_add_co_u32_e32 v6, vcc, s2, v2
	v_addc_co_u32_e32 v7, vcc, v3, v7, vcc
	s_waitcnt lgkmcnt(1)
	global_store_dwordx2 v[6:7], v[4:5], off
	s_or_b64 exec, exec, s[0:1]
	s_and_saveexec_b64 s[0:1], s[6:7]
	s_cbranch_execnz .LBB183_59
	s_branch .LBB183_60
	.section	.rodata,"a",@progbits
	.p2align	6, 0x0
	.amdhsa_kernel _ZN2at6native18radixSortKVInPlaceILin2ELin1ELi32ELi4EdljEEvNS_4cuda6detail10TensorInfoIT3_T5_EES6_S6_S6_NS4_IT4_S6_EES6_b
		.amdhsa_group_segment_fixed_size 1056
		.amdhsa_private_segment_fixed_size 0
		.amdhsa_kernarg_size 712
		.amdhsa_user_sgpr_count 6
		.amdhsa_user_sgpr_private_segment_buffer 1
		.amdhsa_user_sgpr_dispatch_ptr 0
		.amdhsa_user_sgpr_queue_ptr 0
		.amdhsa_user_sgpr_kernarg_segment_ptr 1
		.amdhsa_user_sgpr_dispatch_id 0
		.amdhsa_user_sgpr_flat_scratch_init 0
		.amdhsa_user_sgpr_kernarg_preload_length 0
		.amdhsa_user_sgpr_kernarg_preload_offset 0
		.amdhsa_user_sgpr_private_segment_size 0
		.amdhsa_uses_dynamic_stack 0
		.amdhsa_system_sgpr_private_segment_wavefront_offset 0
		.amdhsa_system_sgpr_workgroup_id_x 1
		.amdhsa_system_sgpr_workgroup_id_y 1
		.amdhsa_system_sgpr_workgroup_id_z 1
		.amdhsa_system_sgpr_workgroup_info 0
		.amdhsa_system_vgpr_workitem_id 0
		.amdhsa_next_free_vgpr 72
		.amdhsa_next_free_sgpr 48
		.amdhsa_accum_offset 72
		.amdhsa_reserve_vcc 1
		.amdhsa_reserve_flat_scratch 0
		.amdhsa_float_round_mode_32 0
		.amdhsa_float_round_mode_16_64 0
		.amdhsa_float_denorm_mode_32 3
		.amdhsa_float_denorm_mode_16_64 3
		.amdhsa_dx10_clamp 1
		.amdhsa_ieee_mode 1
		.amdhsa_fp16_overflow 0
		.amdhsa_tg_split 0
		.amdhsa_exception_fp_ieee_invalid_op 0
		.amdhsa_exception_fp_denorm_src 0
		.amdhsa_exception_fp_ieee_div_zero 0
		.amdhsa_exception_fp_ieee_overflow 0
		.amdhsa_exception_fp_ieee_underflow 0
		.amdhsa_exception_fp_ieee_inexact 0
		.amdhsa_exception_int_div_zero 0
	.end_amdhsa_kernel
	.section	.text._ZN2at6native18radixSortKVInPlaceILin2ELin1ELi32ELi4EdljEEvNS_4cuda6detail10TensorInfoIT3_T5_EES6_S6_S6_NS4_IT4_S6_EES6_b,"axG",@progbits,_ZN2at6native18radixSortKVInPlaceILin2ELin1ELi32ELi4EdljEEvNS_4cuda6detail10TensorInfoIT3_T5_EES6_S6_S6_NS4_IT4_S6_EES6_b,comdat
.Lfunc_end183:
	.size	_ZN2at6native18radixSortKVInPlaceILin2ELin1ELi32ELi4EdljEEvNS_4cuda6detail10TensorInfoIT3_T5_EES6_S6_S6_NS4_IT4_S6_EES6_b, .Lfunc_end183-_ZN2at6native18radixSortKVInPlaceILin2ELin1ELi32ELi4EdljEEvNS_4cuda6detail10TensorInfoIT3_T5_EES6_S6_S6_NS4_IT4_S6_EES6_b
                                        ; -- End function
	.section	.AMDGPU.csdata,"",@progbits
; Kernel info:
; codeLenInByte = 5044
; NumSgprs: 52
; NumVgprs: 72
; NumAgprs: 0
; TotalNumVgprs: 72
; ScratchSize: 0
; MemoryBound: 0
; FloatMode: 240
; IeeeMode: 1
; LDSByteSize: 1056 bytes/workgroup (compile time only)
; SGPRBlocks: 6
; VGPRBlocks: 8
; NumSGPRsForWavesPerEU: 52
; NumVGPRsForWavesPerEU: 72
; AccumOffset: 72
; Occupancy: 7
; WaveLimiterHint : 1
; COMPUTE_PGM_RSRC2:SCRATCH_EN: 0
; COMPUTE_PGM_RSRC2:USER_SGPR: 6
; COMPUTE_PGM_RSRC2:TRAP_HANDLER: 0
; COMPUTE_PGM_RSRC2:TGID_X_EN: 1
; COMPUTE_PGM_RSRC2:TGID_Y_EN: 1
; COMPUTE_PGM_RSRC2:TGID_Z_EN: 1
; COMPUTE_PGM_RSRC2:TIDIG_COMP_CNT: 0
; COMPUTE_PGM_RSRC3_GFX90A:ACCUM_OFFSET: 17
; COMPUTE_PGM_RSRC3_GFX90A:TG_SPLIT: 0
	.section	.text._ZN2at6native18radixSortKVInPlaceILin2ELin1ELi16ELi2EdljEEvNS_4cuda6detail10TensorInfoIT3_T5_EES6_S6_S6_NS4_IT4_S6_EES6_b,"axG",@progbits,_ZN2at6native18radixSortKVInPlaceILin2ELin1ELi16ELi2EdljEEvNS_4cuda6detail10TensorInfoIT3_T5_EES6_S6_S6_NS4_IT4_S6_EES6_b,comdat
	.protected	_ZN2at6native18radixSortKVInPlaceILin2ELin1ELi16ELi2EdljEEvNS_4cuda6detail10TensorInfoIT3_T5_EES6_S6_S6_NS4_IT4_S6_EES6_b ; -- Begin function _ZN2at6native18radixSortKVInPlaceILin2ELin1ELi16ELi2EdljEEvNS_4cuda6detail10TensorInfoIT3_T5_EES6_S6_S6_NS4_IT4_S6_EES6_b
	.globl	_ZN2at6native18radixSortKVInPlaceILin2ELin1ELi16ELi2EdljEEvNS_4cuda6detail10TensorInfoIT3_T5_EES6_S6_S6_NS4_IT4_S6_EES6_b
	.p2align	8
	.type	_ZN2at6native18radixSortKVInPlaceILin2ELin1ELi16ELi2EdljEEvNS_4cuda6detail10TensorInfoIT3_T5_EES6_S6_S6_NS4_IT4_S6_EES6_b,@function
_ZN2at6native18radixSortKVInPlaceILin2ELin1ELi16ELi2EdljEEvNS_4cuda6detail10TensorInfoIT3_T5_EES6_S6_S6_NS4_IT4_S6_EES6_b: ; @_ZN2at6native18radixSortKVInPlaceILin2ELin1ELi16ELi2EdljEEvNS_4cuda6detail10TensorInfoIT3_T5_EES6_S6_S6_NS4_IT4_S6_EES6_b
; %bb.0:
	s_load_dwordx2 s[0:1], s[4:5], 0x1c8
	s_load_dwordx4 s[16:19], s[4:5], 0xd8
	s_waitcnt lgkmcnt(0)
	s_mul_i32 s1, s1, s8
	s_add_i32 s1, s1, s7
	s_mul_i32 s10, s1, s0
	s_add_i32 s10, s10, s6
	s_cmp_ge_u32 s10, s16
	s_cbranch_scc1 .LBB184_50
; %bb.1:
	s_load_dword s6, s[4:5], 0x1b8
	s_load_dwordx2 s[0:1], s[4:5], 0x0
	s_add_u32 s2, s4, 0xe8
	s_addc_u32 s3, s5, 0
	s_mov_b32 s9, 0
	s_waitcnt lgkmcnt(0)
	s_cmp_lt_i32 s6, 2
	s_mov_b32 s8, s10
	s_cbranch_scc1 .LBB184_4
; %bb.2:
	s_add_i32 s8, s6, -1
	s_add_i32 s11, s6, 1
	s_lshl_b64 s[6:7], s[8:9], 2
	s_add_u32 s6, s6, s2
	s_addc_u32 s7, s7, s3
	s_add_u32 s6, s6, 8
	s_addc_u32 s7, s7, 0
	s_mov_b32 s8, s10
.LBB184_3:                              ; =>This Inner Loop Header: Depth=1
	s_load_dword s12, s[6:7], 0x0
	s_load_dword s14, s[6:7], 0x64
	s_mov_b32 s13, s8
	s_waitcnt lgkmcnt(0)
	v_cvt_f32_u32_e32 v1, s12
	s_sub_i32 s8, 0, s12
	v_rcp_iflag_f32_e32 v1, v1
	v_mul_f32_e32 v1, 0x4f7ffffe, v1
	v_cvt_u32_f32_e32 v1, v1
	v_readfirstlane_b32 s15, v1
	s_mul_i32 s8, s8, s15
	s_mul_hi_u32 s8, s15, s8
	s_add_i32 s15, s15, s8
	s_mul_hi_u32 s8, s13, s15
	s_mul_i32 s15, s8, s12
	s_sub_i32 s15, s13, s15
	s_add_i32 s16, s8, 1
	s_sub_i32 s19, s15, s12
	s_cmp_ge_u32 s15, s12
	s_cselect_b32 s8, s16, s8
	s_cselect_b32 s15, s19, s15
	s_add_i32 s16, s8, 1
	s_cmp_ge_u32 s15, s12
	s_cselect_b32 s8, s16, s8
	s_mul_i32 s12, s8, s12
	s_sub_i32 s12, s13, s12
	s_mul_i32 s12, s14, s12
	s_add_i32 s11, s11, -1
	s_add_i32 s9, s12, s9
	s_add_u32 s6, s6, -4
	s_addc_u32 s7, s7, -1
	s_cmp_gt_u32 s11, 2
	s_cbranch_scc1 .LBB184_3
.LBB184_4:
	s_load_dword s6, s[4:5], 0x6c
	s_load_dwordx2 s[20:21], s[4:5], 0x1c0
	s_mov_b32 s7, 0
	s_load_dwordx2 s[12:13], s[2:3], 0x0
	s_mov_b32 s4, -1
	s_waitcnt lgkmcnt(0)
	s_mul_i32 s6, s6, s10
	s_bitcmp1_b32 s21, 0
	s_cselect_b64 s[10:11], -1, 0
	s_and_b64 s[14:15], s[10:11], exec
	s_cselect_b32 s5, -1, 0x7fffffff
	s_lshl_b64 s[6:7], s[6:7], 3
	s_add_u32 s19, s0, s6
	s_addc_u32 s21, s1, s7
	s_mov_b32 s6, s4
	s_mov_b32 s7, s5
	v_pk_mov_b32 v[2:3], s[4:5], s[4:5] op_sel:[0,1]
	v_cmp_gt_u32_e64 s[0:1], s17, v0
	v_pk_mov_b32 v[4:5], s[6:7], s[6:7] op_sel:[0,1]
	v_pk_mov_b32 v[6:7], s[4:5], s[4:5] op_sel:[0,1]
	v_mul_lo_u32 v18, v0, s18
	s_and_saveexec_b64 s[14:15], s[0:1]
	s_cbranch_execz .LBB184_6
; %bb.5:
	v_mov_b32_e32 v19, 0
	v_lshlrev_b64 v[2:3], 3, v[18:19]
	v_mov_b32_e32 v1, s21
	v_add_co_u32_e32 v2, vcc, s19, v2
	v_addc_co_u32_e32 v3, vcc, v1, v3, vcc
	global_load_dwordx2 v[6:7], v[2:3], off
	v_pk_mov_b32 v[2:3], s[4:5], s[4:5] op_sel:[0,1]
	v_pk_mov_b32 v[4:5], s[6:7], s[6:7] op_sel:[0,1]
.LBB184_6:
	s_or_b64 exec, exec, s[14:15]
	s_load_dword s6, s[2:3], 0x6c
	v_or_b32_e32 v1, 16, v0
	v_cmp_gt_u32_e64 s[2:3], s17, v1
	s_and_saveexec_b64 s[4:5], s[2:3]
	s_cbranch_execz .LBB184_8
; %bb.7:
	v_mul_lo_u32 v2, v1, s18
	v_mov_b32_e32 v3, 0
	v_lshlrev_b64 v[2:3], 3, v[2:3]
	v_mov_b32_e32 v4, s21
	v_add_co_u32_e32 v2, vcc, s19, v2
	v_addc_co_u32_e32 v3, vcc, v4, v3, vcc
	global_load_dwordx2 v[4:5], v[2:3], off
.LBB184_8:
	s_or_b64 exec, exec, s[4:5]
	s_waitcnt lgkmcnt(0)
	s_mul_i32 s4, s6, s8
	s_add_i32 s4, s4, s9
	s_mov_b32 s5, 0
	s_lshl_b64 s[6:7], s[4:5], 3
	v_lshlrev_b32_e32 v30, 3, v0
	v_lshlrev_b32_e32 v31, 4, v0
	s_add_u32 s33, s12, s6
	s_waitcnt vmcnt(0)
	ds_write2_b64 v30, v[6:7], v[4:5] offset1:16
	s_waitcnt lgkmcnt(0)
	; wave barrier
	s_waitcnt lgkmcnt(0)
	ds_read2_b64 v[2:5], v31 offset1:1
	s_addc_u32 s34, s13, s7
	s_mov_b32 s6, s5
	s_mov_b32 s7, s5
	;; [unrolled: 1-line block ×3, first 2 shown]
	v_pk_mov_b32 v[8:9], s[6:7], s[6:7] op_sel:[0,1]
	v_pk_mov_b32 v[6:7], s[4:5], s[4:5] op_sel:[0,1]
	v_pk_mov_b32 v[6:7], 0, 0
	v_mul_lo_u32 v20, v0, s20
	s_waitcnt lgkmcnt(0)
	; wave barrier
	s_waitcnt lgkmcnt(0)
	s_and_saveexec_b64 s[4:5], s[0:1]
	s_cbranch_execz .LBB184_10
; %bb.9:
	v_mov_b32_e32 v21, 0
	v_lshlrev_b64 v[6:7], 3, v[20:21]
	v_mov_b32_e32 v8, s34
	v_add_co_u32_e32 v6, vcc, s33, v6
	v_addc_co_u32_e32 v7, vcc, v8, v7, vcc
	global_load_dwordx2 v[6:7], v[6:7], off
	v_mov_b32_e32 v8, v21
	v_mov_b32_e32 v9, v21
.LBB184_10:
	s_or_b64 exec, exec, s[4:5]
	s_xor_b64 s[24:25], s[10:11], -1
	v_lshlrev_b32_e32 v10, 1, v0
	s_and_saveexec_b64 s[4:5], s[2:3]
	s_cbranch_execz .LBB184_12
; %bb.11:
	v_mul_lo_u32 v8, v1, s20
	v_mov_b32_e32 v9, 0
	v_lshlrev_b64 v[8:9], 3, v[8:9]
	v_mov_b32_e32 v11, s34
	v_add_co_u32_e32 v8, vcc, s33, v8
	v_addc_co_u32_e32 v9, vcc, v11, v9, vcc
	global_load_dwordx2 v[8:9], v[8:9], off
.LBB184_12:
	s_or_b64 exec, exec, s[4:5]
	v_mbcnt_lo_u32_b32 v11, -1, 0
	s_getpc_b64 s[4:5]
	s_add_u32 s4, s4, _ZN7rocprim17ROCPRIM_400000_NS16block_radix_sortIdLj16ELj2ElLj1ELj1ELj0ELNS0_26block_radix_rank_algorithmE1ELNS0_18block_padding_hintE2ELNS0_4arch9wavefront6targetE1EE19radix_bits_per_passE@rel32@lo+4
	s_addc_u32 s5, s5, _ZN7rocprim17ROCPRIM_400000_NS16block_radix_sortIdLj16ELj2ElLj1ELj1ELj0ELNS0_26block_radix_rank_algorithmE1ELNS0_18block_padding_hintE2ELNS0_4arch9wavefront6targetE1EE19radix_bits_per_passE@rel32@hi+12
	v_mbcnt_hi_u32_b32 v11, -1, v11
	s_waitcnt vmcnt(0)
	ds_write2_b64 v30, v[6:7], v[8:9] offset1:16
	s_waitcnt lgkmcnt(0)
	; wave barrier
	s_waitcnt lgkmcnt(0)
	ds_read2_b64 v[6:9], v31 offset1:1
	s_load_dword s35, s[4:5], 0x0
	v_and_b32_e32 v12, 15, v11
	v_cmp_eq_u32_e64 s[6:7], 0, v12
	v_cmp_lt_u32_e64 s[8:9], 1, v12
	v_cmp_lt_u32_e64 s[10:11], 3, v12
	;; [unrolled: 1-line block ×3, first 2 shown]
	v_add_u32_e32 v12, -1, v11
	v_and_b32_e32 v13, 0x70, v11
	v_cmp_lt_i32_e32 vcc, v12, v13
	s_movk_i32 s4, 0x80
	v_cndmask_b32_e32 v12, v12, v11, vcc
	v_cmp_gt_u32_e64 s[4:5], s4, v0
	v_lshlrev_b32_e32 v21, 5, v0
	s_mov_b32 s36, 0
	s_mov_b32 s22, -1
	v_cmp_eq_u32_e64 s[14:15], 15, v0
	s_movk_i32 s37, 0x70
	v_lshlrev_b32_e32 v32, 2, v12
	v_cmp_eq_u32_e64 s[16:17], 0, v11
	v_lshlrev_b32_e32 v19, 3, v10
	s_and_b64 vcc, exec, s[24:25]
	v_ashrrev_i32_e32 v35, 31, v3
	v_ashrrev_i32_e32 v34, 31, v5
	v_add_u32_e64 v33, 7, 2
	s_waitcnt lgkmcnt(0)
	; wave barrier
	s_waitcnt lgkmcnt(0)
	s_cbranch_vccz .LBB184_27
; %bb.13:
	v_bfrev_b32_e32 v36, 1
	v_cmp_lt_i64_e32 vcc, -1, v[2:3]
	v_cndmask_b32_e32 v10, -1, v36, vcc
	v_cmp_lt_i64_e32 vcc, -1, v[4:5]
	v_cndmask_b32_e32 v12, -1, v36, vcc
	v_xor_b32_e32 v11, v10, v3
	v_xor_b32_e32 v10, v35, v2
	;; [unrolled: 1-line block ×4, first 2 shown]
	v_and_b32_e32 v37, 14, v33
	v_mov_b32_e32 v38, 0
	s_brev_b32 s23, -2
	v_pk_mov_b32 v[14:15], v[6:7], v[6:7] op_sel:[0,1]
	v_pk_mov_b32 v[16:17], v[8:9], v[8:9] op_sel:[0,1]
	s_branch .LBB184_15
.LBB184_14:                             ;   in Loop: Header=BB184_15 Depth=1
	v_lshlrev_b32_e32 v14, 3, v39
	v_lshlrev_b32_e32 v15, 3, v40
	s_waitcnt lgkmcnt(0)
	; wave barrier
	ds_write_b64 v14, v[28:29]
	ds_write_b64 v15, v[26:27]
	s_waitcnt lgkmcnt(0)
	; wave barrier
	s_waitcnt lgkmcnt(0)
	ds_read2_b64 v[10:13], v19 offset1:1
	s_waitcnt lgkmcnt(0)
	; wave barrier
	s_waitcnt lgkmcnt(0)
	ds_write_b64 v14, v[24:25]
	ds_write_b64 v15, v[22:23]
	s_waitcnt lgkmcnt(0)
	; wave barrier
	s_waitcnt lgkmcnt(0)
	ds_read2_b64 v[14:17], v19 offset1:1
	s_add_i32 s36, s36, 4
	s_waitcnt lgkmcnt(0)
	; wave barrier
	s_waitcnt lgkmcnt(0)
	s_cbranch_execz .LBB184_26
.LBB184_15:                             ; =>This Loop Header: Depth=1
                                        ;     Child Loop BB184_18 Depth 2
	v_pk_mov_b32 v[26:27], v[12:13], v[12:13] op_sel:[0,1]
	v_pk_mov_b32 v[28:29], v[10:11], v[10:11] op_sel:[0,1]
	;; [unrolled: 1-line block ×4, first 2 shown]
	s_and_saveexec_b64 s[24:25], s[4:5]
	s_cbranch_execz .LBB184_22
; %bb.16:                               ;   in Loop: Header=BB184_15 Depth=1
	s_mov_b32 s38, 0
	s_mov_b64 s[26:27], 0
	v_pk_mov_b32 v[10:11], v[0:1], v[0:1] op_sel:[0,1]
	s_branch .LBB184_18
.LBB184_17:                             ;   in Loop: Header=BB184_18 Depth=2
	s_or_b64 exec, exec, s[30:31]
	s_add_i32 s38, s38, 2
	v_cmp_eq_u32_e32 vcc, s38, v37
	v_add_u32_e32 v11, 32, v11
	s_or_b64 s[26:27], vcc, s[26:27]
	v_add_u32_e32 v10, 32, v10
	s_andn2_b64 exec, exec, s[26:27]
	s_cbranch_execz .LBB184_22
.LBB184_18:                             ;   Parent Loop BB184_15 Depth=1
                                        ; =>  This Inner Loop Header: Depth=2
	s_or_b32 s28, s38, 1
	v_cmp_le_u32_e64 s[28:29], s28, 7
	v_cmp_le_u32_e64 s[40:41], s38, 7
	s_and_saveexec_b64 s[30:31], s[40:41]
	s_cbranch_execz .LBB184_20
; %bb.19:                               ;   in Loop: Header=BB184_18 Depth=2
	v_lshlrev_b32_e32 v12, 2, v10
	ds_write_b32 v12, v38
.LBB184_20:                             ;   in Loop: Header=BB184_18 Depth=2
	s_or_b64 exec, exec, s[30:31]
	s_and_saveexec_b64 s[30:31], s[28:29]
	s_cbranch_execz .LBB184_17
; %bb.21:                               ;   in Loop: Header=BB184_18 Depth=2
	v_lshlrev_b32_e32 v12, 2, v11
	ds_write_b32 v12, v38
	s_branch .LBB184_17
.LBB184_22:                             ;   in Loop: Header=BB184_15 Depth=1
	s_or_b64 exec, exec, s[24:25]
	s_sub_i32 s24, 64, s36
	s_min_u32 s24, s35, s24
	v_cmp_ne_u64_e32 vcc, s[22:23], v[28:29]
	s_lshl_b32 s24, -1, s24
	v_cndmask_b32_e32 v11, v36, v29, vcc
	v_cndmask_b32_e32 v10, 0, v28, vcc
	s_not_b32 s24, s24
	v_lshrrev_b64 v[10:11], s36, v[10:11]
	v_and_b32_e32 v10, s24, v10
	v_lshrrev_b32_e32 v11, 3, v10
	v_lshlrev_b32_e32 v10, 4, v10
	v_and_or_b32 v10, v10, s37, v0
	v_lshlrev_b32_e32 v10, 1, v10
	v_add_lshl_u32 v40, v10, v11, 1
	ds_read_u16 v39, v40
	v_cmp_ne_u64_e32 vcc, s[22:23], v[26:27]
	v_cndmask_b32_e32 v11, v36, v27, vcc
	s_waitcnt lgkmcnt(0)
	v_add_u16_e32 v10, 1, v39
	ds_write_b16 v40, v10
	v_cndmask_b32_e32 v10, 0, v26, vcc
	v_lshrrev_b64 v[10:11], s36, v[10:11]
	v_and_b32_e32 v10, s24, v10
	v_lshrrev_b32_e32 v11, 3, v10
	v_lshlrev_b32_e32 v10, 4, v10
	v_and_or_b32 v10, v10, s37, v0
	v_lshlrev_b32_e32 v10, 1, v10
	v_add_lshl_u32 v42, v10, v11, 1
	ds_read_u16 v41, v42
	s_waitcnt lgkmcnt(0)
	v_add_u16_e32 v10, 1, v41
	ds_write_b16 v42, v10
	s_waitcnt lgkmcnt(0)
	; wave barrier
	s_waitcnt lgkmcnt(0)
	ds_read2_b32 v[16:17], v21 offset1:1
	ds_read2_b32 v[14:15], v21 offset0:2 offset1:3
	ds_read2_b32 v[10:11], v21 offset0:4 offset1:5
	;; [unrolled: 1-line block ×3, first 2 shown]
	s_waitcnt lgkmcnt(3)
	v_add_u32_e32 v43, v17, v16
	s_waitcnt lgkmcnt(2)
	v_add3_u32 v43, v43, v14, v15
	s_waitcnt lgkmcnt(1)
	v_add3_u32 v43, v43, v10, v11
	s_waitcnt lgkmcnt(0)
	v_add3_u32 v13, v43, v12, v13
	s_nop 1
	v_mov_b32_dpp v43, v13 row_shr:1 row_mask:0xf bank_mask:0xf
	v_cndmask_b32_e64 v43, v43, 0, s[6:7]
	v_add_u32_e32 v13, v43, v13
	s_nop 1
	v_mov_b32_dpp v43, v13 row_shr:2 row_mask:0xf bank_mask:0xf
	v_cndmask_b32_e64 v43, 0, v43, s[8:9]
	v_add_u32_e32 v13, v13, v43
	;; [unrolled: 4-line block ×4, first 2 shown]
	s_and_saveexec_b64 s[24:25], s[14:15]
	s_cbranch_execz .LBB184_24
; %bb.23:                               ;   in Loop: Header=BB184_15 Depth=1
	ds_write_b32 v38, v13 offset:512
.LBB184_24:                             ;   in Loop: Header=BB184_15 Depth=1
	s_or_b64 exec, exec, s[24:25]
	ds_bpermute_b32 v13, v32, v13
	s_waitcnt lgkmcnt(0)
	; wave barrier
	s_waitcnt lgkmcnt(0)
	ds_read_b32 v43, v38 offset:512
	s_cmp_gt_u32 s36, 59
	v_cndmask_b32_e64 v13, v13, 0, s[16:17]
	s_waitcnt lgkmcnt(0)
	v_lshl_add_u32 v13, v43, 16, v13
	v_add_u32_e32 v16, v13, v16
	v_add_u32_e32 v17, v16, v17
	ds_write2_b32 v21, v13, v16 offset1:1
	v_add_u32_e32 v13, v17, v14
	v_add_u32_e32 v14, v13, v15
	;; [unrolled: 1-line block ×5, first 2 shown]
	ds_write2_b32 v21, v17, v13 offset0:2 offset1:3
	ds_write2_b32 v21, v14, v10 offset0:4 offset1:5
	;; [unrolled: 1-line block ×3, first 2 shown]
	s_waitcnt lgkmcnt(0)
	; wave barrier
	s_waitcnt lgkmcnt(0)
	ds_read_u16 v10, v40
	ds_read_u16 v11, v42
	s_waitcnt lgkmcnt(1)
	v_add_u32_sdwa v39, v10, v39 dst_sel:DWORD dst_unused:UNUSED_PAD src0_sel:DWORD src1_sel:WORD_0
	s_waitcnt lgkmcnt(0)
	v_add_u32_sdwa v40, v11, v41 dst_sel:DWORD dst_unused:UNUSED_PAD src0_sel:DWORD src1_sel:WORD_0
	s_cbranch_scc0 .LBB184_14
; %bb.25:
                                        ; implicit-def: $vgpr12_vgpr13
                                        ; implicit-def: $vgpr16_vgpr17
                                        ; implicit-def: $sgpr36
.LBB184_26:
	v_lshlrev_b32_e32 v10, 3, v39
	v_lshlrev_b32_e32 v11, 3, v40
	s_waitcnt lgkmcnt(0)
	; wave barrier
	ds_write_b64 v10, v[28:29]
	ds_write_b64 v11, v[26:27]
	s_waitcnt lgkmcnt(0)
	; wave barrier
	s_waitcnt lgkmcnt(0)
	ds_read2_b64 v[14:17], v19 offset1:1
	s_waitcnt lgkmcnt(0)
	; wave barrier
	s_waitcnt lgkmcnt(0)
	ds_write_b64 v10, v[24:25]
	ds_write_b64 v11, v[22:23]
	s_waitcnt lgkmcnt(0)
	; wave barrier
	s_waitcnt lgkmcnt(0)
	ds_read2_b64 v[10:13], v19 offset1:1
	v_bfrev_b32_e32 v22, 1
	v_cmp_lt_i64_e32 vcc, -1, v[14:15]
	v_cndmask_b32_e64 v23, v22, -1, vcc
	v_ashrrev_i32_e32 v24, 31, v15
	v_xor_b32_e32 v15, v23, v15
	v_cmp_lt_i64_e32 vcc, -1, v[16:17]
	v_ashrrev_i32_e32 v23, 31, v17
	v_not_b32_e32 v24, v24
	v_cndmask_b32_e64 v22, v22, -1, vcc
	v_not_b32_e32 v23, v23
	v_xor_b32_e32 v14, v24, v14
	v_xor_b32_e32 v17, v22, v17
	;; [unrolled: 1-line block ×3, first 2 shown]
	s_branch .LBB184_42
.LBB184_27:
                                        ; implicit-def: $vgpr12_vgpr13
                                        ; implicit-def: $vgpr14_vgpr15_vgpr16_vgpr17
	s_cbranch_execz .LBB184_42
; %bb.28:
	v_bfrev_b32_e32 v22, -2
	v_cmp_gt_i64_e32 vcc, 0, v[2:3]
	s_waitcnt lgkmcnt(0)
	v_cndmask_b32_e64 v10, v22, 0, vcc
	v_not_b32_e32 v11, v35
	v_cmp_gt_i64_e32 vcc, 0, v[4:5]
	s_mov_b32 s22, 0
	v_xor_b32_e32 v3, v10, v3
	v_xor_b32_e32 v2, v11, v2
	v_cndmask_b32_e64 v10, v22, 0, vcc
	v_not_b32_e32 v11, v34
	s_brev_b32 s23, 1
	v_xor_b32_e32 v5, v10, v5
	v_xor_b32_e32 v4, v11, v4
	v_and_b32_e32 v23, 14, v33
	v_mov_b32_e32 v24, 0
	s_movk_i32 s36, 0x70
	s_mov_b32 s37, s22
	s_branch .LBB184_30
.LBB184_29:                             ;   in Loop: Header=BB184_30 Depth=1
	v_lshlrev_b32_e32 v6, 3, v25
	v_lshlrev_b32_e32 v7, 3, v26
	s_waitcnt lgkmcnt(0)
	; wave barrier
	ds_write_b64 v6, v[16:17]
	ds_write_b64 v7, v[14:15]
	s_waitcnt lgkmcnt(0)
	; wave barrier
	s_waitcnt lgkmcnt(0)
	ds_read2_b64 v[2:5], v19 offset1:1
	s_waitcnt lgkmcnt(0)
	; wave barrier
	s_waitcnt lgkmcnt(0)
	ds_write_b64 v6, v[12:13]
	ds_write_b64 v7, v[10:11]
	s_waitcnt lgkmcnt(0)
	; wave barrier
	s_waitcnt lgkmcnt(0)
	ds_read2_b64 v[6:9], v19 offset1:1
	s_add_i32 s37, s37, 4
	s_waitcnt lgkmcnt(0)
	; wave barrier
	s_waitcnt lgkmcnt(0)
	s_cbranch_execz .LBB184_41
.LBB184_30:                             ; =>This Loop Header: Depth=1
                                        ;     Child Loop BB184_33 Depth 2
	v_pk_mov_b32 v[14:15], v[4:5], v[4:5] op_sel:[0,1]
	v_pk_mov_b32 v[16:17], v[2:3], v[2:3] op_sel:[0,1]
	;; [unrolled: 1-line block ×4, first 2 shown]
	s_and_saveexec_b64 s[24:25], s[4:5]
	s_cbranch_execz .LBB184_37
; %bb.31:                               ;   in Loop: Header=BB184_30 Depth=1
	s_mov_b32 s38, 0
	s_mov_b64 s[26:27], 0
	v_pk_mov_b32 v[2:3], v[0:1], v[0:1] op_sel:[0,1]
	s_branch .LBB184_33
.LBB184_32:                             ;   in Loop: Header=BB184_33 Depth=2
	s_or_b64 exec, exec, s[30:31]
	s_add_i32 s38, s38, 2
	v_cmp_eq_u32_e32 vcc, s38, v23
	v_add_u32_e32 v3, 32, v3
	s_or_b64 s[26:27], vcc, s[26:27]
	v_add_u32_e32 v2, 32, v2
	s_andn2_b64 exec, exec, s[26:27]
	s_cbranch_execz .LBB184_37
.LBB184_33:                             ;   Parent Loop BB184_30 Depth=1
                                        ; =>  This Inner Loop Header: Depth=2
	s_or_b32 s28, s38, 1
	v_cmp_le_u32_e64 s[28:29], s28, 7
	v_cmp_le_u32_e64 s[40:41], s38, 7
	s_and_saveexec_b64 s[30:31], s[40:41]
	s_cbranch_execz .LBB184_35
; %bb.34:                               ;   in Loop: Header=BB184_33 Depth=2
	v_lshlrev_b32_e32 v4, 2, v2
	ds_write_b32 v4, v24
.LBB184_35:                             ;   in Loop: Header=BB184_33 Depth=2
	s_or_b64 exec, exec, s[30:31]
	s_and_saveexec_b64 s[30:31], s[28:29]
	s_cbranch_execz .LBB184_32
; %bb.36:                               ;   in Loop: Header=BB184_33 Depth=2
	v_lshlrev_b32_e32 v4, 2, v3
	ds_write_b32 v4, v24
	s_branch .LBB184_32
.LBB184_37:                             ;   in Loop: Header=BB184_30 Depth=1
	s_or_b64 exec, exec, s[24:25]
	s_sub_i32 s24, 64, s37
	s_min_u32 s24, s35, s24
	v_cmp_ne_u64_e32 vcc, s[22:23], v[16:17]
	s_lshl_b32 s24, -1, s24
	v_cndmask_b32_e32 v3, v22, v17, vcc
	v_cndmask_b32_e32 v2, -1, v16, vcc
	s_not_b32 s24, s24
	v_lshrrev_b64 v[2:3], s37, v[2:3]
	v_and_b32_e32 v2, s24, v2
	v_lshrrev_b32_e32 v3, 3, v2
	v_lshlrev_b32_e32 v2, 4, v2
	v_and_or_b32 v2, v2, s36, v0
	v_lshlrev_b32_e32 v2, 1, v2
	v_add_lshl_u32 v26, v2, v3, 1
	ds_read_u16 v25, v26
	v_cmp_ne_u64_e32 vcc, s[22:23], v[14:15]
	v_cndmask_b32_e32 v3, v22, v15, vcc
	s_waitcnt lgkmcnt(0)
	v_add_u16_e32 v2, 1, v25
	ds_write_b16 v26, v2
	v_cndmask_b32_e32 v2, -1, v14, vcc
	v_lshrrev_b64 v[2:3], s37, v[2:3]
	v_and_b32_e32 v2, s24, v2
	v_lshrrev_b32_e32 v3, 3, v2
	v_lshlrev_b32_e32 v2, 4, v2
	v_and_or_b32 v2, v2, s36, v0
	v_lshlrev_b32_e32 v2, 1, v2
	v_add_lshl_u32 v28, v2, v3, 1
	ds_read_u16 v27, v28
	s_waitcnt lgkmcnt(0)
	v_add_u16_e32 v2, 1, v27
	ds_write_b16 v28, v2
	s_waitcnt lgkmcnt(0)
	; wave barrier
	s_waitcnt lgkmcnt(0)
	ds_read2_b32 v[8:9], v21 offset1:1
	ds_read2_b32 v[6:7], v21 offset0:2 offset1:3
	ds_read2_b32 v[2:3], v21 offset0:4 offset1:5
	;; [unrolled: 1-line block ×3, first 2 shown]
	s_waitcnt lgkmcnt(3)
	v_add_u32_e32 v29, v9, v8
	s_waitcnt lgkmcnt(2)
	v_add3_u32 v29, v29, v6, v7
	s_waitcnt lgkmcnt(1)
	v_add3_u32 v29, v29, v2, v3
	;; [unrolled: 2-line block ×3, first 2 shown]
	s_nop 1
	v_mov_b32_dpp v29, v5 row_shr:1 row_mask:0xf bank_mask:0xf
	v_cndmask_b32_e64 v29, v29, 0, s[6:7]
	v_add_u32_e32 v5, v29, v5
	s_nop 1
	v_mov_b32_dpp v29, v5 row_shr:2 row_mask:0xf bank_mask:0xf
	v_cndmask_b32_e64 v29, 0, v29, s[8:9]
	v_add_u32_e32 v5, v5, v29
	;; [unrolled: 4-line block ×4, first 2 shown]
	s_and_saveexec_b64 s[24:25], s[14:15]
	s_cbranch_execz .LBB184_39
; %bb.38:                               ;   in Loop: Header=BB184_30 Depth=1
	ds_write_b32 v24, v5 offset:512
.LBB184_39:                             ;   in Loop: Header=BB184_30 Depth=1
	s_or_b64 exec, exec, s[24:25]
	ds_bpermute_b32 v5, v32, v5
	s_waitcnt lgkmcnt(0)
	; wave barrier
	s_waitcnt lgkmcnt(0)
	ds_read_b32 v29, v24 offset:512
	s_cmp_gt_u32 s37, 59
	v_cndmask_b32_e64 v5, v5, 0, s[16:17]
	s_waitcnt lgkmcnt(0)
	v_lshl_add_u32 v5, v29, 16, v5
	v_add_u32_e32 v8, v5, v8
	v_add_u32_e32 v9, v8, v9
	ds_write2_b32 v21, v5, v8 offset1:1
	v_add_u32_e32 v5, v9, v6
	v_add_u32_e32 v6, v5, v7
	;; [unrolled: 1-line block ×5, first 2 shown]
	ds_write2_b32 v21, v9, v5 offset0:2 offset1:3
	ds_write2_b32 v21, v6, v2 offset0:4 offset1:5
	;; [unrolled: 1-line block ×3, first 2 shown]
	s_waitcnt lgkmcnt(0)
	; wave barrier
	s_waitcnt lgkmcnt(0)
	ds_read_u16 v2, v26
	ds_read_u16 v3, v28
	s_waitcnt lgkmcnt(1)
	v_add_u32_sdwa v25, v2, v25 dst_sel:DWORD dst_unused:UNUSED_PAD src0_sel:DWORD src1_sel:WORD_0
	s_waitcnt lgkmcnt(0)
	v_add_u32_sdwa v26, v3, v27 dst_sel:DWORD dst_unused:UNUSED_PAD src0_sel:DWORD src1_sel:WORD_0
	s_cbranch_scc0 .LBB184_29
; %bb.40:
                                        ; implicit-def: $vgpr4_vgpr5
                                        ; implicit-def: $vgpr8_vgpr9
                                        ; implicit-def: $sgpr37
.LBB184_41:
	v_lshlrev_b32_e32 v4, 3, v25
	v_lshlrev_b32_e32 v5, 3, v26
	s_waitcnt lgkmcnt(0)
	; wave barrier
	ds_write_b64 v4, v[16:17]
	ds_write_b64 v5, v[14:15]
	s_waitcnt lgkmcnt(0)
	; wave barrier
	s_waitcnt lgkmcnt(0)
	ds_read2_b64 v[0:3], v19 offset1:1
	s_waitcnt lgkmcnt(0)
	; wave barrier
	s_waitcnt lgkmcnt(0)
	ds_write_b64 v4, v[12:13]
	ds_write_b64 v5, v[10:11]
	s_waitcnt lgkmcnt(0)
	; wave barrier
	s_waitcnt lgkmcnt(0)
	ds_read2_b64 v[10:13], v19 offset1:1
	v_bfrev_b32_e32 v4, -2
	v_cmp_gt_i64_e32 vcc, 0, v[0:1]
	v_cndmask_b32_e64 v5, v4, 0, vcc
	v_ashrrev_i32_e32 v6, 31, v1
	v_not_b32_e32 v6, v6
	v_xor_b32_e32 v15, v5, v1
	v_cmp_gt_i64_e32 vcc, 0, v[2:3]
	v_ashrrev_i32_e32 v1, 31, v3
	v_xor_b32_e32 v14, v6, v0
	v_cndmask_b32_e64 v0, v4, 0, vcc
	v_not_b32_e32 v1, v1
	v_xor_b32_e32 v17, v0, v3
	v_xor_b32_e32 v16, v1, v2
.LBB184_42:
	s_waitcnt lgkmcnt(0)
	; wave barrier
	s_waitcnt lgkmcnt(0)
	ds_write2_b64 v31, v[14:15], v[16:17] offset1:1
	s_waitcnt lgkmcnt(0)
	; wave barrier
	s_waitcnt lgkmcnt(0)
	ds_read_b64 v[0:1], v30 offset:128
	v_mov_b32_e32 v19, 0
	v_lshlrev_b64 v[2:3], 3, v[18:19]
	v_mov_b32_e32 v4, s21
	v_add_co_u32_e32 v2, vcc, s19, v2
	v_addc_co_u32_e32 v3, vcc, v4, v3, vcc
	s_and_saveexec_b64 s[4:5], s[0:1]
	s_cbranch_execz .LBB184_44
; %bb.43:
	ds_read_b64 v[4:5], v30
	s_waitcnt lgkmcnt(0)
	global_store_dwordx2 v[2:3], v[4:5], off
.LBB184_44:
	s_or_b64 exec, exec, s[4:5]
	s_and_saveexec_b64 s[4:5], s[2:3]
	s_cbranch_execz .LBB184_46
; %bb.45:
	s_lshl_b32 s6, s18, 4
	s_mov_b32 s7, 0
	s_lshl_b64 s[6:7], s[6:7], 3
	v_mov_b32_e32 v4, s7
	v_add_co_u32_e32 v2, vcc, s6, v2
	v_addc_co_u32_e32 v3, vcc, v3, v4, vcc
	s_waitcnt lgkmcnt(0)
	global_store_dwordx2 v[2:3], v[0:1], off
.LBB184_46:
	s_or_b64 exec, exec, s[4:5]
	s_waitcnt lgkmcnt(0)
	; wave barrier
	s_waitcnt lgkmcnt(0)
	ds_write2_b64 v31, v[10:11], v[12:13] offset1:1
	s_waitcnt lgkmcnt(0)
	; wave barrier
	s_waitcnt lgkmcnt(0)
	ds_read_b64 v[0:1], v30 offset:128
	v_mov_b32_e32 v21, 0
	v_lshlrev_b64 v[2:3], 3, v[20:21]
	v_mov_b32_e32 v4, s34
	v_add_co_u32_e32 v2, vcc, s33, v2
	v_addc_co_u32_e32 v3, vcc, v4, v3, vcc
	s_and_saveexec_b64 s[4:5], s[0:1]
	s_cbranch_execz .LBB184_48
; %bb.47:
	ds_read_b64 v[4:5], v30
	s_waitcnt lgkmcnt(0)
	global_store_dwordx2 v[2:3], v[4:5], off
.LBB184_48:
	s_or_b64 exec, exec, s[4:5]
	s_and_saveexec_b64 s[0:1], s[2:3]
	s_cbranch_execz .LBB184_50
; %bb.49:
	s_lshl_b32 s0, s20, 4
	s_mov_b32 s1, 0
	s_lshl_b64 s[0:1], s[0:1], 3
	v_mov_b32_e32 v4, s1
	v_add_co_u32_e32 v2, vcc, s0, v2
	v_addc_co_u32_e32 v3, vcc, v3, v4, vcc
	s_waitcnt lgkmcnt(0)
	global_store_dwordx2 v[2:3], v[0:1], off
.LBB184_50:
	s_endpgm
	.section	.rodata,"a",@progbits
	.p2align	6, 0x0
	.amdhsa_kernel _ZN2at6native18radixSortKVInPlaceILin2ELin1ELi16ELi2EdljEEvNS_4cuda6detail10TensorInfoIT3_T5_EES6_S6_S6_NS4_IT4_S6_EES6_b
		.amdhsa_group_segment_fixed_size 528
		.amdhsa_private_segment_fixed_size 0
		.amdhsa_kernarg_size 712
		.amdhsa_user_sgpr_count 6
		.amdhsa_user_sgpr_private_segment_buffer 1
		.amdhsa_user_sgpr_dispatch_ptr 0
		.amdhsa_user_sgpr_queue_ptr 0
		.amdhsa_user_sgpr_kernarg_segment_ptr 1
		.amdhsa_user_sgpr_dispatch_id 0
		.amdhsa_user_sgpr_flat_scratch_init 0
		.amdhsa_user_sgpr_kernarg_preload_length 0
		.amdhsa_user_sgpr_kernarg_preload_offset 0
		.amdhsa_user_sgpr_private_segment_size 0
		.amdhsa_uses_dynamic_stack 0
		.amdhsa_system_sgpr_private_segment_wavefront_offset 0
		.amdhsa_system_sgpr_workgroup_id_x 1
		.amdhsa_system_sgpr_workgroup_id_y 1
		.amdhsa_system_sgpr_workgroup_id_z 1
		.amdhsa_system_sgpr_workgroup_info 0
		.amdhsa_system_vgpr_workitem_id 0
		.amdhsa_next_free_vgpr 44
		.amdhsa_next_free_sgpr 42
		.amdhsa_accum_offset 44
		.amdhsa_reserve_vcc 1
		.amdhsa_reserve_flat_scratch 0
		.amdhsa_float_round_mode_32 0
		.amdhsa_float_round_mode_16_64 0
		.amdhsa_float_denorm_mode_32 3
		.amdhsa_float_denorm_mode_16_64 3
		.amdhsa_dx10_clamp 1
		.amdhsa_ieee_mode 1
		.amdhsa_fp16_overflow 0
		.amdhsa_tg_split 0
		.amdhsa_exception_fp_ieee_invalid_op 0
		.amdhsa_exception_fp_denorm_src 0
		.amdhsa_exception_fp_ieee_div_zero 0
		.amdhsa_exception_fp_ieee_overflow 0
		.amdhsa_exception_fp_ieee_underflow 0
		.amdhsa_exception_fp_ieee_inexact 0
		.amdhsa_exception_int_div_zero 0
	.end_amdhsa_kernel
	.section	.text._ZN2at6native18radixSortKVInPlaceILin2ELin1ELi16ELi2EdljEEvNS_4cuda6detail10TensorInfoIT3_T5_EES6_S6_S6_NS4_IT4_S6_EES6_b,"axG",@progbits,_ZN2at6native18radixSortKVInPlaceILin2ELin1ELi16ELi2EdljEEvNS_4cuda6detail10TensorInfoIT3_T5_EES6_S6_S6_NS4_IT4_S6_EES6_b,comdat
.Lfunc_end184:
	.size	_ZN2at6native18radixSortKVInPlaceILin2ELin1ELi16ELi2EdljEEvNS_4cuda6detail10TensorInfoIT3_T5_EES6_S6_S6_NS4_IT4_S6_EES6_b, .Lfunc_end184-_ZN2at6native18radixSortKVInPlaceILin2ELin1ELi16ELi2EdljEEvNS_4cuda6detail10TensorInfoIT3_T5_EES6_S6_S6_NS4_IT4_S6_EES6_b
                                        ; -- End function
	.section	.AMDGPU.csdata,"",@progbits
; Kernel info:
; codeLenInByte = 3264
; NumSgprs: 46
; NumVgprs: 44
; NumAgprs: 0
; TotalNumVgprs: 44
; ScratchSize: 0
; MemoryBound: 0
; FloatMode: 240
; IeeeMode: 1
; LDSByteSize: 528 bytes/workgroup (compile time only)
; SGPRBlocks: 5
; VGPRBlocks: 5
; NumSGPRsForWavesPerEU: 46
; NumVGPRsForWavesPerEU: 44
; AccumOffset: 44
; Occupancy: 8
; WaveLimiterHint : 1
; COMPUTE_PGM_RSRC2:SCRATCH_EN: 0
; COMPUTE_PGM_RSRC2:USER_SGPR: 6
; COMPUTE_PGM_RSRC2:TRAP_HANDLER: 0
; COMPUTE_PGM_RSRC2:TGID_X_EN: 1
; COMPUTE_PGM_RSRC2:TGID_Y_EN: 1
; COMPUTE_PGM_RSRC2:TGID_Z_EN: 1
; COMPUTE_PGM_RSRC2:TIDIG_COMP_CNT: 0
; COMPUTE_PGM_RSRC3_GFX90A:ACCUM_OFFSET: 10
; COMPUTE_PGM_RSRC3_GFX90A:TG_SPLIT: 0
	.section	.text._ZN2at6native18radixSortKVInPlaceILi2ELin1ELi512ELi8EdljEEvNS_4cuda6detail10TensorInfoIT3_T5_EES6_S6_S6_NS4_IT4_S6_EES6_b,"axG",@progbits,_ZN2at6native18radixSortKVInPlaceILi2ELin1ELi512ELi8EdljEEvNS_4cuda6detail10TensorInfoIT3_T5_EES6_S6_S6_NS4_IT4_S6_EES6_b,comdat
	.protected	_ZN2at6native18radixSortKVInPlaceILi2ELin1ELi512ELi8EdljEEvNS_4cuda6detail10TensorInfoIT3_T5_EES6_S6_S6_NS4_IT4_S6_EES6_b ; -- Begin function _ZN2at6native18radixSortKVInPlaceILi2ELin1ELi512ELi8EdljEEvNS_4cuda6detail10TensorInfoIT3_T5_EES6_S6_S6_NS4_IT4_S6_EES6_b
	.globl	_ZN2at6native18radixSortKVInPlaceILi2ELin1ELi512ELi8EdljEEvNS_4cuda6detail10TensorInfoIT3_T5_EES6_S6_S6_NS4_IT4_S6_EES6_b
	.p2align	8
	.type	_ZN2at6native18radixSortKVInPlaceILi2ELin1ELi512ELi8EdljEEvNS_4cuda6detail10TensorInfoIT3_T5_EES6_S6_S6_NS4_IT4_S6_EES6_b,@function
_ZN2at6native18radixSortKVInPlaceILi2ELin1ELi512ELi8EdljEEvNS_4cuda6detail10TensorInfoIT3_T5_EES6_S6_S6_NS4_IT4_S6_EES6_b: ; @_ZN2at6native18radixSortKVInPlaceILi2ELin1ELi512ELi8EdljEEvNS_4cuda6detail10TensorInfoIT3_T5_EES6_S6_S6_NS4_IT4_S6_EES6_b
; %bb.0:
	s_load_dwordx2 s[0:1], s[4:5], 0x1c8
	s_load_dwordx4 s[48:51], s[4:5], 0xd8
	s_add_u32 s54, s4, 0x1c8
	s_addc_u32 s55, s5, 0
	s_waitcnt lgkmcnt(0)
	s_mul_i32 s1, s1, s8
	s_add_i32 s1, s1, s7
	s_mul_i32 s8, s1, s0
	s_add_i32 s8, s8, s6
	s_cmp_ge_u32 s8, s48
	s_cbranch_scc1 .LBB185_110
; %bb.1:
	s_load_dword s9, s[4:5], 0xc
	s_load_dwordx2 s[0:1], s[4:5], 0x6c
	s_load_dword s6, s[4:5], 0x1b8
	s_add_u32 s22, s4, 0xe8
	s_load_dwordx2 s[2:3], s[4:5], 0x0
	s_waitcnt lgkmcnt(0)
	v_cvt_f32_u32_e32 v1, s9
	s_addc_u32 s23, s5, 0
	s_sub_i32 s7, 0, s9
	s_mov_b32 s21, 0
	v_rcp_iflag_f32_e32 v1, v1
	s_mov_b32 s20, s8
	v_mul_f32_e32 v1, 0x4f7ffffe, v1
	v_cvt_u32_f32_e32 v1, v1
	v_readfirstlane_b32 s10, v1
	s_mul_i32 s7, s7, s10
	s_mul_hi_u32 s7, s10, s7
	s_add_i32 s10, s10, s7
	s_mul_hi_u32 s10, s8, s10
	s_cmp_lt_i32 s6, 2
	s_cbranch_scc1 .LBB185_4
; %bb.2:
	s_add_i32 s20, s6, -1
	s_add_i32 s11, s6, 1
	s_lshl_b64 s[6:7], s[20:21], 2
	s_add_u32 s6, s6, s22
	s_addc_u32 s7, s7, s23
	s_add_u32 s6, s6, 8
	s_addc_u32 s7, s7, 0
	s_mov_b32 s20, s8
.LBB185_3:                              ; =>This Inner Loop Header: Depth=1
	s_load_dword s12, s[6:7], 0x0
	s_load_dword s14, s[6:7], 0x64
	s_mov_b32 s13, s20
	s_waitcnt lgkmcnt(0)
	v_cvt_f32_u32_e32 v1, s12
	s_sub_i32 s15, 0, s12
	v_rcp_iflag_f32_e32 v1, v1
	v_mul_f32_e32 v1, 0x4f7ffffe, v1
	v_cvt_u32_f32_e32 v1, v1
	v_readfirstlane_b32 s16, v1
	s_mul_i32 s15, s15, s16
	s_mul_hi_u32 s15, s16, s15
	s_add_i32 s16, s16, s15
	s_mul_hi_u32 s15, s20, s16
	s_mul_i32 s16, s15, s12
	s_sub_i32 s16, s20, s16
	s_add_i32 s17, s15, 1
	s_sub_i32 s18, s16, s12
	s_cmp_ge_u32 s16, s12
	s_cselect_b32 s15, s17, s15
	s_cselect_b32 s16, s18, s16
	s_add_i32 s17, s15, 1
	s_cmp_ge_u32 s16, s12
	s_cselect_b32 s20, s17, s15
	s_mul_i32 s12, s20, s12
	s_sub_i32 s12, s13, s12
	s_mul_i32 s12, s14, s12
	s_add_i32 s11, s11, -1
	s_add_i32 s21, s12, s21
	s_add_u32 s6, s6, -4
	s_addc_u32 s7, s7, -1
	s_cmp_gt_u32 s11, 2
	s_cbranch_scc1 .LBB185_3
.LBB185_4:
	s_mul_i32 s6, s10, s9
	s_sub_i32 s6, s8, s6
	s_add_i32 s7, s10, 1
	s_sub_i32 s11, s6, s9
	s_cmp_ge_u32 s6, s9
	s_cselect_b32 s7, s7, s10
	s_cselect_b32 s6, s11, s6
	s_add_i32 s10, s7, 1
	s_cmp_ge_u32 s6, s9
	s_cselect_b32 s6, s10, s7
	s_load_dwordx2 s[52:53], s[4:5], 0x1c0
	s_mul_i32 s7, s6, s9
	s_sub_i32 s4, s8, s7
	s_mul_i32 s4, s4, s1
	s_mul_i32 s0, s6, s0
	s_add_i32 s0, s0, s4
	s_waitcnt lgkmcnt(0)
	s_bitcmp1_b32 s53, 0
	s_cselect_b64 s[34:35], -1, 0
	s_and_b64 s[6:7], s[34:35], exec
	s_mov_b32 s1, 0
	s_mov_b32 s4, -1
	s_cselect_b32 s5, -1, 0x7fffffff
	s_lshl_b64 s[0:1], s[0:1], 3
	s_add_u32 s33, s2, s0
	v_and_b32_e32 v70, 0x3ff, v0
	s_mov_b32 s6, s4
	s_mov_b32 s7, s5
	;; [unrolled: 1-line block ×14, first 2 shown]
	v_pk_mov_b32 v[2:3], s[4:5], s[4:5] op_sel:[0,1]
	s_addc_u32 s51, s3, s1
	v_cmp_gt_u32_e64 s[0:1], s49, v70
	v_pk_mov_b32 v[4:5], s[6:7], s[6:7] op_sel:[0,1]
	v_pk_mov_b32 v[6:7], s[8:9], s[8:9] op_sel:[0,1]
	;; [unrolled: 1-line block ×8, first 2 shown]
	v_mul_lo_u32 v66, v70, s50
	s_and_saveexec_b64 s[2:3], s[0:1]
	s_cbranch_execz .LBB185_6
; %bb.5:
	v_mov_b32_e32 v67, 0
	v_lshlrev_b64 v[2:3], 3, v[66:67]
	v_mov_b32_e32 v1, s51
	v_add_co_u32_e32 v2, vcc, s33, v2
	v_addc_co_u32_e32 v3, vcc, v1, v3, vcc
	global_load_dwordx2 v[18:19], v[2:3], off
	v_pk_mov_b32 v[2:3], s[4:5], s[4:5] op_sel:[0,1]
	v_pk_mov_b32 v[4:5], s[6:7], s[6:7] op_sel:[0,1]
	;; [unrolled: 1-line block ×8, first 2 shown]
.LBB185_6:
	s_or_b64 exec, exec, s[2:3]
	v_add_u32_e32 v1, 0x200, v70
	v_cmp_gt_u32_e64 s[2:3], s49, v1
	s_and_saveexec_b64 s[4:5], s[2:3]
	s_cbranch_execz .LBB185_8
; %bb.7:
	v_mul_lo_u32 v2, v1, s50
	v_mov_b32_e32 v3, 0
	v_lshlrev_b64 v[2:3], 3, v[2:3]
	v_mov_b32_e32 v4, s51
	v_add_co_u32_e32 v2, vcc, s33, v2
	v_addc_co_u32_e32 v3, vcc, v4, v3, vcc
	global_load_dwordx2 v[4:5], v[2:3], off
.LBB185_8:
	s_or_b64 exec, exec, s[4:5]
	v_or_b32_e32 v34, 0x400, v70
	v_cmp_gt_u32_e64 s[4:5], s49, v34
	s_and_saveexec_b64 s[6:7], s[4:5]
	s_cbranch_execz .LBB185_10
; %bb.9:
	v_mul_lo_u32 v2, v34, s50
	v_mov_b32_e32 v3, 0
	v_lshlrev_b64 v[2:3], 3, v[2:3]
	v_mov_b32_e32 v6, s51
	v_add_co_u32_e32 v2, vcc, s33, v2
	v_addc_co_u32_e32 v3, vcc, v6, v3, vcc
	global_load_dwordx2 v[6:7], v[2:3], off
.LBB185_10:
	s_or_b64 exec, exec, s[6:7]
	v_add_u32_e32 v35, 0x600, v70
	v_cmp_gt_u32_e64 s[6:7], s49, v35
	s_and_saveexec_b64 s[8:9], s[6:7]
	s_cbranch_execz .LBB185_12
; %bb.11:
	v_mul_lo_u32 v2, v35, s50
	v_mov_b32_e32 v3, 0
	v_lshlrev_b64 v[2:3], 3, v[2:3]
	v_mov_b32_e32 v8, s51
	v_add_co_u32_e32 v2, vcc, s33, v2
	v_addc_co_u32_e32 v3, vcc, v8, v3, vcc
	global_load_dwordx2 v[8:9], v[2:3], off
.LBB185_12:
	s_or_b64 exec, exec, s[8:9]
	v_or_b32_e32 v36, 0x800, v70
	v_cmp_gt_u32_e64 s[8:9], s49, v36
	s_and_saveexec_b64 s[10:11], s[8:9]
	s_cbranch_execz .LBB185_14
; %bb.13:
	v_mul_lo_u32 v2, v36, s50
	v_mov_b32_e32 v3, 0
	v_lshlrev_b64 v[2:3], 3, v[2:3]
	v_mov_b32_e32 v10, s51
	v_add_co_u32_e32 v2, vcc, s33, v2
	v_addc_co_u32_e32 v3, vcc, v10, v3, vcc
	global_load_dwordx2 v[10:11], v[2:3], off
.LBB185_14:
	s_or_b64 exec, exec, s[10:11]
	v_add_u32_e32 v37, 0xa00, v70
	v_cmp_gt_u32_e64 s[10:11], s49, v37
	s_and_saveexec_b64 s[12:13], s[10:11]
	s_cbranch_execz .LBB185_16
; %bb.15:
	v_mul_lo_u32 v2, v37, s50
	v_mov_b32_e32 v3, 0
	v_lshlrev_b64 v[2:3], 3, v[2:3]
	v_mov_b32_e32 v12, s51
	v_add_co_u32_e32 v2, vcc, s33, v2
	v_addc_co_u32_e32 v3, vcc, v12, v3, vcc
	global_load_dwordx2 v[12:13], v[2:3], off
.LBB185_16:
	s_or_b64 exec, exec, s[12:13]
	s_load_dwordx2 s[18:19], s[22:23], 0x0
	v_or_b32_e32 v38, 0xc00, v70
	v_cmp_gt_u32_e64 s[12:13], s49, v38
	s_and_saveexec_b64 s[14:15], s[12:13]
	s_cbranch_execz .LBB185_18
; %bb.17:
	v_mul_lo_u32 v2, v38, s50
	v_mov_b32_e32 v3, 0
	v_lshlrev_b64 v[2:3], 3, v[2:3]
	v_mov_b32_e32 v14, s51
	v_add_co_u32_e32 v2, vcc, s33, v2
	v_addc_co_u32_e32 v3, vcc, v14, v3, vcc
	global_load_dwordx2 v[14:15], v[2:3], off
.LBB185_18:
	s_or_b64 exec, exec, s[14:15]
	s_load_dword s22, s[22:23], 0x6c
	v_add_u32_e32 v39, 0xe00, v70
	v_cmp_gt_u32_e64 s[14:15], s49, v39
	s_and_saveexec_b64 s[16:17], s[14:15]
	s_cbranch_execz .LBB185_20
; %bb.19:
	v_mul_lo_u32 v2, v39, s50
	v_mov_b32_e32 v3, 0
	v_lshlrev_b64 v[2:3], 3, v[2:3]
	v_mov_b32_e32 v16, s51
	v_add_co_u32_e32 v2, vcc, s33, v2
	v_addc_co_u32_e32 v3, vcc, v16, v3, vcc
	global_load_dwordx2 v[16:17], v[2:3], off
.LBB185_20:
	s_or_b64 exec, exec, s[16:17]
	v_lshrrev_b32_e32 v2, 5, v70
	v_add_lshl_u32 v71, v2, v70, 3
	v_lshrrev_b32_e32 v2, 5, v1
	v_add_lshl_u32 v104, v2, v70, 3
	;; [unrolled: 2-line block ×8, first 2 shown]
	v_lshlrev_b32_e32 v67, 3, v70
	v_lshrrev_b32_e32 v2, 2, v70
	v_add_lshl_u32 v111, v2, v67, 3
	s_waitcnt vmcnt(0)
	ds_write_b64 v71, v[18:19]
	ds_write_b64 v104, v[4:5] offset:4096
	ds_write_b64 v105, v[6:7] offset:8192
	;; [unrolled: 1-line block ×7, first 2 shown]
	s_waitcnt lgkmcnt(0)
	s_barrier
	ds_read2_b64 v[30:33], v111 offset1:1
	ds_read2_b64 v[26:29], v111 offset0:2 offset1:3
	ds_read2_b64 v[22:25], v111 offset0:4 offset1:5
	;; [unrolled: 1-line block ×3, first 2 shown]
	s_mul_i32 s16, s22, s20
	s_add_i32 s16, s16, s21
	s_mov_b32 s17, 0
	s_lshl_b64 s[20:21], s[16:17], 3
	s_add_u32 s53, s18, s20
	s_mov_b32 s16, s17
	s_addc_u32 s58, s19, s21
	s_mov_b32 s18, s17
	s_mov_b32 s19, s17
	s_mov_b32 s20, s17
	s_mov_b32 s21, s17
	s_mov_b32 s22, s17
	s_mov_b32 s23, s17
	s_mov_b32 s24, s17
	s_mov_b32 s25, s17
	s_mov_b32 s26, s17
	s_mov_b32 s27, s17
	s_mov_b32 s28, s17
	s_mov_b32 s29, s17
	s_mov_b32 s30, s17
	s_mov_b32 s31, s17
	v_pk_mov_b32 v[2:3], s[16:17], s[16:17] op_sel:[0,1]
	v_pk_mov_b32 v[4:5], s[18:19], s[18:19] op_sel:[0,1]
	;; [unrolled: 1-line block ×8, first 2 shown]
	v_pk_mov_b32 v[2:3], 0, 0
	v_mul_lo_u32 v68, v70, s52
	s_waitcnt lgkmcnt(0)
	s_barrier
	s_and_saveexec_b64 s[16:17], s[0:1]
	s_cbranch_execnz .LBB185_57
; %bb.21:
	s_or_b64 exec, exec, s[16:17]
	s_and_saveexec_b64 s[16:17], s[2:3]
	s_cbranch_execnz .LBB185_58
.LBB185_22:
	s_or_b64 exec, exec, s[16:17]
	s_and_saveexec_b64 s[16:17], s[4:5]
	s_cbranch_execnz .LBB185_59
.LBB185_23:
	s_or_b64 exec, exec, s[16:17]
	s_and_saveexec_b64 s[16:17], s[6:7]
	s_cbranch_execnz .LBB185_60
.LBB185_24:
	s_or_b64 exec, exec, s[16:17]
	s_and_saveexec_b64 s[16:17], s[8:9]
	s_cbranch_execnz .LBB185_61
.LBB185_25:
	s_or_b64 exec, exec, s[16:17]
	s_and_saveexec_b64 s[16:17], s[10:11]
	s_cbranch_execnz .LBB185_62
.LBB185_26:
	s_or_b64 exec, exec, s[16:17]
	s_and_saveexec_b64 s[16:17], s[12:13]
	s_cbranch_execnz .LBB185_63
.LBB185_27:
	s_or_b64 exec, exec, s[16:17]
	s_xor_b64 s[16:17], s[34:35], -1
	s_and_saveexec_b64 s[18:19], s[14:15]
	s_cbranch_execz .LBB185_29
.LBB185_28:
	v_mul_lo_u32 v16, v39, s52
	v_mov_b32_e32 v17, 0
	v_lshlrev_b64 v[16:17], 3, v[16:17]
	v_mov_b32_e32 v1, s58
	v_add_co_u32_e32 v16, vcc, s53, v16
	v_addc_co_u32_e32 v17, vcc, v1, v17, vcc
	global_load_dwordx2 v[16:17], v[16:17], off
.LBB185_29:
	s_or_b64 exec, exec, s[18:19]
	s_waitcnt vmcnt(0)
	ds_write_b64 v71, v[2:3]
	ds_write_b64 v104, v[4:5] offset:4096
	ds_write_b64 v105, v[6:7] offset:8192
	;; [unrolled: 1-line block ×7, first 2 shown]
	s_waitcnt lgkmcnt(0)
	s_barrier
	ds_read2_b64 v[46:49], v111 offset1:1
	ds_read2_b64 v[42:45], v111 offset0:2 offset1:3
	ds_read2_b64 v[38:41], v111 offset0:4 offset1:5
	;; [unrolled: 1-line block ×3, first 2 shown]
	s_and_b64 vcc, exec, s[16:17]
	v_bfe_u32 v114, v0, 10, 10
	v_bfe_u32 v115, v0, 20, 10
	v_ashrrev_i32_e32 v124, 31, v31
	v_ashrrev_i32_e32 v123, 31, v33
	;; [unrolled: 1-line block ×8, first 2 shown]
	v_mbcnt_lo_u32_b32 v116, -1, 0
	v_lshlrev_b32_e32 v69, 2, v70
	v_lshlrev_b32_e32 v112, 4, v70
	v_cmp_gt_u32_e64 s[16:17], 8, v70
	v_cmp_lt_u32_e64 s[18:19], 63, v70
	v_cmp_eq_u32_e64 s[20:21], 0, v70
	v_lshrrev_b32_e32 v113, 4, v70
	s_waitcnt lgkmcnt(0)
	s_barrier
	s_cbranch_vccz .LBB185_64
; %bb.30:
	v_bfrev_b32_e32 v125, 1
	v_cmp_lt_i64_e32 vcc, -1, v[30:31]
	v_cndmask_b32_e32 v0, -1, v125, vcc
	v_cmp_lt_i64_e32 vcc, -1, v[32:33]
	v_cndmask_b32_e32 v2, -1, v125, vcc
	;; [unrolled: 2-line block ×7, first 2 shown]
	v_cmp_lt_i64_e32 vcc, -1, v[20:21]
	v_mbcnt_hi_u32_b32 v72, -1, v116
	v_and_b32_e32 v73, 0x3c0, v70
	v_xor_b32_e32 v1, v0, v31
	v_xor_b32_e32 v0, v124, v30
	;; [unrolled: 1-line block ×4, first 2 shown]
	v_cndmask_b32_e32 v14, -1, v125, vcc
	v_add_lshl_u32 v16, v72, v73, 6
	v_and_b32_e32 v74, 0x1e00, v67
	v_xor_b32_e32 v5, v4, v27
	v_xor_b32_e32 v4, v122, v26
	;; [unrolled: 1-line block ×12, first 2 shown]
	ds_write2_b64 v16, v[0:1], v[2:3] offset1:1
	ds_write2_b64 v16, v[4:5], v[6:7] offset0:2 offset1:3
	ds_write2_b64 v16, v[8:9], v[10:11] offset0:4 offset1:5
	;; [unrolled: 1-line block ×3, first 2 shown]
	v_or_b32_e32 v0, v72, v74
	v_lshlrev_b32_e32 v17, 3, v0
	; wave barrier
	ds_read2st64_b64 v[0:3], v17 offset1:1
	ds_read2st64_b64 v[4:7], v17 offset0:2 offset1:3
	ds_read2st64_b64 v[8:11], v17 offset0:4 offset1:5
	;; [unrolled: 1-line block ×3, first 2 shown]
	; wave barrier
	ds_write2_b64 v16, v[46:47], v[48:49] offset1:1
	ds_write2_b64 v16, v[42:43], v[44:45] offset0:2 offset1:3
	ds_write2_b64 v16, v[38:39], v[40:41] offset0:4 offset1:5
	;; [unrolled: 1-line block ×3, first 2 shown]
	; wave barrier
	ds_read2st64_b64 v[50:53], v17 offset1:1
	ds_read2st64_b64 v[54:57], v17 offset0:2 offset1:3
	ds_read2st64_b64 v[58:61], v17 offset0:4 offset1:5
	;; [unrolled: 1-line block ×3, first 2 shown]
	s_waitcnt lgkmcnt(0)
	s_barrier
	s_load_dword s24, s[54:55], 0xc
	s_getpc_b64 s[22:23]
	s_add_u32 s22, s22, _ZN7rocprim17ROCPRIM_400000_NS16block_radix_sortIdLj512ELj8ElLj1ELj1ELj0ELNS0_26block_radix_rank_algorithmE1ELNS0_18block_padding_hintE2ELNS0_4arch9wavefront6targetE1EE19radix_bits_per_passE@rel32@lo+4
	s_addc_u32 s23, s23, _ZN7rocprim17ROCPRIM_400000_NS16block_radix_sortIdLj512ELj8ElLj1ELj1ELj0ELNS0_26block_radix_rank_algorithmE1ELNS0_18block_padding_hintE2ELNS0_4arch9wavefront6targetE1EE19radix_bits_per_passE@rel32@hi+12
	s_load_dword s59, s[22:23], 0x0
	s_mov_b32 s48, -1
	v_and_b32_e32 v129, 60, v113
	s_waitcnt lgkmcnt(0)
	s_lshr_b32 s22, s24, 16
	s_and_b32 s23, s24, 0xffff
	v_mad_u32_u24 v16, v115, s22, v114
	v_mad_u64_u32 v[16:17], s[22:23], v16, s23, v[70:71]
	v_lshrrev_b32_e32 v127, 6, v16
	v_and_b32_e32 v16, 15, v72
	v_cmp_eq_u32_e64 s[22:23], 0, v16
	v_cmp_lt_u32_e64 s[24:25], 1, v16
	v_cmp_lt_u32_e64 s[26:27], 3, v16
	;; [unrolled: 1-line block ×3, first 2 shown]
	v_and_b32_e32 v16, 16, v72
	v_cmp_eq_u32_e64 s[30:31], 0, v16
	v_min_u32_e32 v16, 0x1c0, v73
	v_or_b32_e32 v16, 63, v16
	v_cmp_eq_u32_e64 s[36:37], v16, v70
	v_add_u32_e32 v16, -1, v72
	v_and_b32_e32 v17, 64, v72
	v_cmp_lt_i32_e32 vcc, v16, v17
	v_cndmask_b32_e32 v16, v16, v72, vcc
	v_lshlrev_b32_e32 v128, 2, v16
	v_and_b32_e32 v16, 7, v72
	v_cmp_eq_u32_e64 s[40:41], 0, v16
	v_cmp_lt_u32_e64 s[42:43], 1, v16
	v_cmp_lt_u32_e64 s[44:45], 3, v16
	v_and_or_b32 v16, v72, 63, v74
	s_brev_b32 s49, -2
	v_add_u32_e32 v126, 32, v112
	v_cmp_lt_u32_e64 s[34:35], 31, v72
	s_mov_b32 s60, 64
	v_cmp_eq_u32_e64 s[38:39], 0, v72
	v_add_u32_e32 v130, -4, v129
	v_lshlrev_b32_e32 v131, 3, v16
	s_mov_b64 s[56:57], 0
	v_mov_b32_e32 v86, 0
	s_branch .LBB185_32
.LBB185_31:                             ;   in Loop: Header=BB185_32 Depth=1
	v_lshlrev_b32_e32 v50, 3, v138
	v_lshlrev_b32_e32 v51, 3, v137
	;; [unrolled: 1-line block ×8, first 2 shown]
	s_barrier
	ds_write_b64 v50, v[102:103]
	ds_write_b64 v51, v[100:101]
	;; [unrolled: 1-line block ×8, first 2 shown]
	s_waitcnt lgkmcnt(0)
	s_barrier
	ds_read2st64_b64 v[0:3], v131 offset1:1
	ds_read2st64_b64 v[4:7], v131 offset0:2 offset1:3
	ds_read2st64_b64 v[8:11], v131 offset0:4 offset1:5
	;; [unrolled: 1-line block ×3, first 2 shown]
	s_waitcnt lgkmcnt(0)
	s_barrier
	ds_write_b64 v50, v[84:85]
	ds_write_b64 v51, v[82:83]
	;; [unrolled: 1-line block ×8, first 2 shown]
	s_waitcnt lgkmcnt(0)
	s_barrier
	ds_read2st64_b64 v[50:53], v131 offset1:1
	ds_read2st64_b64 v[54:57], v131 offset0:2 offset1:3
	ds_read2st64_b64 v[58:61], v131 offset0:4 offset1:5
	;; [unrolled: 1-line block ×3, first 2 shown]
	s_add_u32 s56, s56, 8
	s_addc_u32 s57, s57, 0
	s_add_i32 s60, s60, -8
	s_waitcnt lgkmcnt(0)
	s_barrier
	s_cbranch_execz .LBB185_56
.LBB185_32:                             ; =>This Inner Loop Header: Depth=1
	v_pk_mov_b32 v[102:103], v[0:1], v[0:1] op_sel:[0,1]
	s_min_u32 s46, s59, s60
	v_cmp_ne_u64_e32 vcc, s[48:49], v[102:103]
	s_lshl_b32 s46, -1, s46
	v_cndmask_b32_e32 v1, v125, v103, vcc
	v_cndmask_b32_e32 v0, 0, v102, vcc
	s_not_b32 s61, s46
	v_lshrrev_b64 v[0:1], s56, v[0:1]
	v_and_b32_e32 v0, s61, v0
	v_lshl_add_u32 v1, v0, 3, v127
	v_pk_mov_b32 v[98:99], v[4:5], v[4:5] op_sel:[0,1]
	v_lshl_add_u32 v4, v1, 2, 32
	v_and_b32_e32 v1, 1, v0
	v_pk_mov_b32 v[100:101], v[2:3], v[2:3] op_sel:[0,1]
	v_add_co_u32_e32 v2, vcc, -1, v1
	v_addc_co_u32_e64 v3, s[46:47], 0, -1, vcc
	v_cmp_ne_u32_e32 vcc, 0, v1
	v_lshlrev_b32_e32 v87, 30, v0
	v_xor_b32_e32 v1, vcc_hi, v3
	v_not_b32_e32 v3, v87
	v_xor_b32_e32 v2, vcc_lo, v2
	v_cmp_gt_i64_e32 vcc, 0, v[86:87]
	v_ashrrev_i32_e32 v3, 31, v3
	v_and_b32_e32 v2, exec_lo, v2
	v_xor_b32_e32 v5, vcc_hi, v3
	v_xor_b32_e32 v3, vcc_lo, v3
	v_lshlrev_b32_e32 v87, 29, v0
	v_and_b32_e32 v2, v2, v3
	v_not_b32_e32 v3, v87
	v_and_b32_e32 v1, exec_hi, v1
	v_cmp_gt_i64_e32 vcc, 0, v[86:87]
	v_ashrrev_i32_e32 v3, 31, v3
	v_and_b32_e32 v1, v1, v5
	v_xor_b32_e32 v5, vcc_hi, v3
	v_xor_b32_e32 v3, vcc_lo, v3
	v_lshlrev_b32_e32 v87, 28, v0
	v_and_b32_e32 v2, v2, v3
	v_not_b32_e32 v3, v87
	v_cmp_gt_i64_e32 vcc, 0, v[86:87]
	v_ashrrev_i32_e32 v3, 31, v3
	v_and_b32_e32 v1, v1, v5
	v_xor_b32_e32 v5, vcc_hi, v3
	v_xor_b32_e32 v3, vcc_lo, v3
	v_lshlrev_b32_e32 v87, 27, v0
	v_and_b32_e32 v2, v2, v3
	v_not_b32_e32 v3, v87
	;; [unrolled: 8-line block ×3, first 2 shown]
	v_cmp_gt_i64_e32 vcc, 0, v[86:87]
	v_ashrrev_i32_e32 v3, 31, v3
	v_and_b32_e32 v1, v1, v5
	v_xor_b32_e32 v5, vcc_hi, v3
	v_xor_b32_e32 v3, vcc_lo, v3
	v_lshlrev_b32_e32 v87, 25, v0
	v_and_b32_e32 v2, v2, v3
	v_cmp_gt_i64_e32 vcc, 0, v[86:87]
	v_not_b32_e32 v3, v87
	v_lshlrev_b32_e32 v87, 24, v0
	v_ashrrev_i32_e32 v3, 31, v3
	v_not_b32_e32 v0, v87
	v_and_b32_e32 v1, v1, v5
	v_xor_b32_e32 v5, vcc_hi, v3
	v_xor_b32_e32 v3, vcc_lo, v3
	v_cmp_gt_i64_e32 vcc, 0, v[86:87]
	v_ashrrev_i32_e32 v0, 31, v0
	v_and_b32_e32 v2, v2, v3
	v_xor_b32_e32 v3, vcc_hi, v0
	v_xor_b32_e32 v0, vcc_lo, v0
	v_and_b32_e32 v1, v1, v5
	v_and_b32_e32 v0, v2, v0
	;; [unrolled: 1-line block ×3, first 2 shown]
	v_mbcnt_lo_u32_b32 v2, v0, 0
	v_mbcnt_hi_u32_b32 v5, v1, v2
	v_cmp_eq_u32_e32 vcc, 0, v5
	v_cmp_ne_u64_e64 s[46:47], 0, v[0:1]
	v_pk_mov_b32 v[88:89], v[14:15], v[14:15] op_sel:[0,1]
	v_pk_mov_b32 v[90:91], v[12:13], v[12:13] op_sel:[0,1]
	;; [unrolled: 1-line block ×13, first 2 shown]
	s_and_b64 s[62:63], s[46:47], vcc
	ds_write2_b32 v112, v86, v86 offset0:8 offset1:9
	ds_write2_b32 v126, v86, v86 offset0:2 offset1:3
	s_waitcnt lgkmcnt(0)
	s_barrier
	s_waitcnt lgkmcnt(0)
	; wave barrier
	s_and_saveexec_b64 s[46:47], s[62:63]
	s_cbranch_execz .LBB185_34
; %bb.33:                               ;   in Loop: Header=BB185_32 Depth=1
	v_bcnt_u32_b32 v0, v0, 0
	v_bcnt_u32_b32 v0, v1, v0
	ds_write_b32 v4, v0
.LBB185_34:                             ;   in Loop: Header=BB185_32 Depth=1
	s_or_b64 exec, exec, s[46:47]
	v_cmp_ne_u64_e32 vcc, s[48:49], v[100:101]
	v_cndmask_b32_e32 v1, v125, v101, vcc
	v_cndmask_b32_e32 v0, 0, v100, vcc
	v_lshrrev_b64 v[0:1], s56, v[0:1]
	v_and_b32_e32 v0, s61, v0
	v_lshlrev_b32_e32 v1, 3, v0
	v_add_lshl_u32 v1, v1, v127, 2
	; wave barrier
	v_add_u32_e32 v7, 32, v1
	ds_read_b32 v6, v1 offset:32
	v_and_b32_e32 v1, 1, v0
	v_add_co_u32_e32 v2, vcc, -1, v1
	v_addc_co_u32_e64 v3, s[46:47], 0, -1, vcc
	v_cmp_ne_u32_e32 vcc, 0, v1
	v_lshlrev_b32_e32 v87, 30, v0
	v_xor_b32_e32 v1, vcc_hi, v3
	v_not_b32_e32 v3, v87
	v_xor_b32_e32 v2, vcc_lo, v2
	v_cmp_gt_i64_e32 vcc, 0, v[86:87]
	v_ashrrev_i32_e32 v3, 31, v3
	v_and_b32_e32 v2, exec_lo, v2
	v_xor_b32_e32 v8, vcc_hi, v3
	v_xor_b32_e32 v3, vcc_lo, v3
	v_lshlrev_b32_e32 v87, 29, v0
	v_and_b32_e32 v2, v2, v3
	v_not_b32_e32 v3, v87
	v_and_b32_e32 v1, exec_hi, v1
	v_cmp_gt_i64_e32 vcc, 0, v[86:87]
	v_ashrrev_i32_e32 v3, 31, v3
	v_and_b32_e32 v1, v1, v8
	v_xor_b32_e32 v8, vcc_hi, v3
	v_xor_b32_e32 v3, vcc_lo, v3
	v_lshlrev_b32_e32 v87, 28, v0
	v_and_b32_e32 v2, v2, v3
	v_not_b32_e32 v3, v87
	v_cmp_gt_i64_e32 vcc, 0, v[86:87]
	v_ashrrev_i32_e32 v3, 31, v3
	v_and_b32_e32 v1, v1, v8
	v_xor_b32_e32 v8, vcc_hi, v3
	v_xor_b32_e32 v3, vcc_lo, v3
	v_lshlrev_b32_e32 v87, 27, v0
	v_and_b32_e32 v2, v2, v3
	v_not_b32_e32 v3, v87
	;; [unrolled: 8-line block ×3, first 2 shown]
	v_cmp_gt_i64_e32 vcc, 0, v[86:87]
	v_ashrrev_i32_e32 v3, 31, v3
	v_and_b32_e32 v1, v1, v8
	v_xor_b32_e32 v8, vcc_hi, v3
	v_xor_b32_e32 v3, vcc_lo, v3
	v_lshlrev_b32_e32 v87, 25, v0
	v_and_b32_e32 v2, v2, v3
	v_cmp_gt_i64_e32 vcc, 0, v[86:87]
	v_not_b32_e32 v3, v87
	v_lshlrev_b32_e32 v87, 24, v0
	v_ashrrev_i32_e32 v3, 31, v3
	v_not_b32_e32 v0, v87
	v_and_b32_e32 v1, v1, v8
	v_xor_b32_e32 v8, vcc_hi, v3
	v_xor_b32_e32 v3, vcc_lo, v3
	v_cmp_gt_i64_e32 vcc, 0, v[86:87]
	v_ashrrev_i32_e32 v0, 31, v0
	v_and_b32_e32 v2, v2, v3
	v_xor_b32_e32 v3, vcc_hi, v0
	v_xor_b32_e32 v0, vcc_lo, v0
	v_and_b32_e32 v1, v1, v8
	v_and_b32_e32 v0, v2, v0
	;; [unrolled: 1-line block ×3, first 2 shown]
	v_mbcnt_lo_u32_b32 v2, v0, 0
	v_mbcnt_hi_u32_b32 v8, v1, v2
	v_cmp_eq_u32_e32 vcc, 0, v8
	v_cmp_ne_u64_e64 s[46:47], 0, v[0:1]
	s_and_b64 s[62:63], s[46:47], vcc
	; wave barrier
	s_and_saveexec_b64 s[46:47], s[62:63]
	s_cbranch_execz .LBB185_36
; %bb.35:                               ;   in Loop: Header=BB185_32 Depth=1
	v_bcnt_u32_b32 v0, v0, 0
	v_bcnt_u32_b32 v0, v1, v0
	s_waitcnt lgkmcnt(0)
	v_add_u32_e32 v0, v6, v0
	ds_write_b32 v7, v0
.LBB185_36:                             ;   in Loop: Header=BB185_32 Depth=1
	s_or_b64 exec, exec, s[46:47]
	v_cmp_ne_u64_e32 vcc, s[48:49], v[98:99]
	v_cndmask_b32_e32 v1, v125, v99, vcc
	v_cndmask_b32_e32 v0, 0, v98, vcc
	v_lshrrev_b64 v[0:1], s56, v[0:1]
	v_and_b32_e32 v0, s61, v0
	v_lshlrev_b32_e32 v1, 3, v0
	v_add_lshl_u32 v1, v1, v127, 2
	; wave barrier
	v_add_u32_e32 v10, 32, v1
	ds_read_b32 v9, v1 offset:32
	v_and_b32_e32 v1, 1, v0
	v_add_co_u32_e32 v2, vcc, -1, v1
	v_addc_co_u32_e64 v3, s[46:47], 0, -1, vcc
	v_cmp_ne_u32_e32 vcc, 0, v1
	v_lshlrev_b32_e32 v87, 30, v0
	v_xor_b32_e32 v1, vcc_hi, v3
	v_not_b32_e32 v3, v87
	v_xor_b32_e32 v2, vcc_lo, v2
	v_cmp_gt_i64_e32 vcc, 0, v[86:87]
	v_ashrrev_i32_e32 v3, 31, v3
	v_and_b32_e32 v2, exec_lo, v2
	v_xor_b32_e32 v11, vcc_hi, v3
	v_xor_b32_e32 v3, vcc_lo, v3
	v_lshlrev_b32_e32 v87, 29, v0
	v_and_b32_e32 v2, v2, v3
	v_not_b32_e32 v3, v87
	v_and_b32_e32 v1, exec_hi, v1
	v_cmp_gt_i64_e32 vcc, 0, v[86:87]
	v_ashrrev_i32_e32 v3, 31, v3
	v_and_b32_e32 v1, v1, v11
	v_xor_b32_e32 v11, vcc_hi, v3
	v_xor_b32_e32 v3, vcc_lo, v3
	v_lshlrev_b32_e32 v87, 28, v0
	v_and_b32_e32 v2, v2, v3
	v_not_b32_e32 v3, v87
	v_cmp_gt_i64_e32 vcc, 0, v[86:87]
	v_ashrrev_i32_e32 v3, 31, v3
	v_and_b32_e32 v1, v1, v11
	v_xor_b32_e32 v11, vcc_hi, v3
	v_xor_b32_e32 v3, vcc_lo, v3
	v_lshlrev_b32_e32 v87, 27, v0
	v_and_b32_e32 v2, v2, v3
	v_not_b32_e32 v3, v87
	v_cmp_gt_i64_e32 vcc, 0, v[86:87]
	v_ashrrev_i32_e32 v3, 31, v3
	v_and_b32_e32 v1, v1, v11
	v_xor_b32_e32 v11, vcc_hi, v3
	v_xor_b32_e32 v3, vcc_lo, v3
	v_lshlrev_b32_e32 v87, 26, v0
	v_and_b32_e32 v2, v2, v3
	v_not_b32_e32 v3, v87
	v_cmp_gt_i64_e32 vcc, 0, v[86:87]
	v_ashrrev_i32_e32 v3, 31, v3
	v_and_b32_e32 v1, v1, v11
	v_xor_b32_e32 v11, vcc_hi, v3
	v_xor_b32_e32 v3, vcc_lo, v3
	v_lshlrev_b32_e32 v87, 25, v0
	v_and_b32_e32 v2, v2, v3
	v_cmp_gt_i64_e32 vcc, 0, v[86:87]
	v_not_b32_e32 v3, v87
	v_lshlrev_b32_e32 v87, 24, v0
	v_ashrrev_i32_e32 v3, 31, v3
	v_not_b32_e32 v0, v87
	v_and_b32_e32 v1, v1, v11
	v_xor_b32_e32 v11, vcc_hi, v3
	v_xor_b32_e32 v3, vcc_lo, v3
	v_cmp_gt_i64_e32 vcc, 0, v[86:87]
	v_ashrrev_i32_e32 v0, 31, v0
	v_and_b32_e32 v2, v2, v3
	v_xor_b32_e32 v3, vcc_hi, v0
	v_xor_b32_e32 v0, vcc_lo, v0
	v_and_b32_e32 v1, v1, v11
	v_and_b32_e32 v0, v2, v0
	;; [unrolled: 1-line block ×3, first 2 shown]
	v_mbcnt_lo_u32_b32 v2, v0, 0
	v_mbcnt_hi_u32_b32 v11, v1, v2
	v_cmp_eq_u32_e32 vcc, 0, v11
	v_cmp_ne_u64_e64 s[46:47], 0, v[0:1]
	s_and_b64 s[62:63], s[46:47], vcc
	; wave barrier
	s_and_saveexec_b64 s[46:47], s[62:63]
	s_cbranch_execz .LBB185_38
; %bb.37:                               ;   in Loop: Header=BB185_32 Depth=1
	v_bcnt_u32_b32 v0, v0, 0
	v_bcnt_u32_b32 v0, v1, v0
	s_waitcnt lgkmcnt(0)
	v_add_u32_e32 v0, v9, v0
	ds_write_b32 v10, v0
.LBB185_38:                             ;   in Loop: Header=BB185_32 Depth=1
	s_or_b64 exec, exec, s[46:47]
	v_cmp_ne_u64_e32 vcc, s[48:49], v[96:97]
	v_cndmask_b32_e32 v1, v125, v97, vcc
	v_cndmask_b32_e32 v0, 0, v96, vcc
	v_lshrrev_b64 v[0:1], s56, v[0:1]
	v_and_b32_e32 v0, s61, v0
	v_lshlrev_b32_e32 v1, 3, v0
	v_add_lshl_u32 v1, v1, v127, 2
	; wave barrier
	v_add_u32_e32 v13, 32, v1
	ds_read_b32 v12, v1 offset:32
	v_and_b32_e32 v1, 1, v0
	v_add_co_u32_e32 v2, vcc, -1, v1
	v_addc_co_u32_e64 v3, s[46:47], 0, -1, vcc
	v_cmp_ne_u32_e32 vcc, 0, v1
	v_lshlrev_b32_e32 v87, 30, v0
	v_xor_b32_e32 v1, vcc_hi, v3
	v_not_b32_e32 v3, v87
	v_xor_b32_e32 v2, vcc_lo, v2
	v_cmp_gt_i64_e32 vcc, 0, v[86:87]
	v_ashrrev_i32_e32 v3, 31, v3
	v_and_b32_e32 v2, exec_lo, v2
	v_xor_b32_e32 v14, vcc_hi, v3
	v_xor_b32_e32 v3, vcc_lo, v3
	v_lshlrev_b32_e32 v87, 29, v0
	v_and_b32_e32 v2, v2, v3
	v_not_b32_e32 v3, v87
	v_and_b32_e32 v1, exec_hi, v1
	v_cmp_gt_i64_e32 vcc, 0, v[86:87]
	v_ashrrev_i32_e32 v3, 31, v3
	v_and_b32_e32 v1, v1, v14
	v_xor_b32_e32 v14, vcc_hi, v3
	v_xor_b32_e32 v3, vcc_lo, v3
	v_lshlrev_b32_e32 v87, 28, v0
	v_and_b32_e32 v2, v2, v3
	v_not_b32_e32 v3, v87
	v_cmp_gt_i64_e32 vcc, 0, v[86:87]
	v_ashrrev_i32_e32 v3, 31, v3
	v_and_b32_e32 v1, v1, v14
	v_xor_b32_e32 v14, vcc_hi, v3
	v_xor_b32_e32 v3, vcc_lo, v3
	v_lshlrev_b32_e32 v87, 27, v0
	v_and_b32_e32 v2, v2, v3
	v_not_b32_e32 v3, v87
	;; [unrolled: 8-line block ×3, first 2 shown]
	v_cmp_gt_i64_e32 vcc, 0, v[86:87]
	v_ashrrev_i32_e32 v3, 31, v3
	v_and_b32_e32 v1, v1, v14
	v_xor_b32_e32 v14, vcc_hi, v3
	v_xor_b32_e32 v3, vcc_lo, v3
	v_lshlrev_b32_e32 v87, 25, v0
	v_and_b32_e32 v2, v2, v3
	v_cmp_gt_i64_e32 vcc, 0, v[86:87]
	v_not_b32_e32 v3, v87
	v_lshlrev_b32_e32 v87, 24, v0
	v_ashrrev_i32_e32 v3, 31, v3
	v_not_b32_e32 v0, v87
	v_and_b32_e32 v1, v1, v14
	v_xor_b32_e32 v14, vcc_hi, v3
	v_xor_b32_e32 v3, vcc_lo, v3
	v_cmp_gt_i64_e32 vcc, 0, v[86:87]
	v_ashrrev_i32_e32 v0, 31, v0
	v_and_b32_e32 v2, v2, v3
	v_xor_b32_e32 v3, vcc_hi, v0
	v_xor_b32_e32 v0, vcc_lo, v0
	v_and_b32_e32 v1, v1, v14
	v_and_b32_e32 v0, v2, v0
	;; [unrolled: 1-line block ×3, first 2 shown]
	v_mbcnt_lo_u32_b32 v2, v0, 0
	v_mbcnt_hi_u32_b32 v14, v1, v2
	v_cmp_eq_u32_e32 vcc, 0, v14
	v_cmp_ne_u64_e64 s[46:47], 0, v[0:1]
	s_and_b64 s[62:63], s[46:47], vcc
	; wave barrier
	s_and_saveexec_b64 s[46:47], s[62:63]
	s_cbranch_execz .LBB185_40
; %bb.39:                               ;   in Loop: Header=BB185_32 Depth=1
	v_bcnt_u32_b32 v0, v0, 0
	v_bcnt_u32_b32 v0, v1, v0
	s_waitcnt lgkmcnt(0)
	v_add_u32_e32 v0, v12, v0
	ds_write_b32 v13, v0
.LBB185_40:                             ;   in Loop: Header=BB185_32 Depth=1
	s_or_b64 exec, exec, s[46:47]
	v_cmp_ne_u64_e32 vcc, s[48:49], v[94:95]
	v_cndmask_b32_e32 v1, v125, v95, vcc
	v_cndmask_b32_e32 v0, 0, v94, vcc
	v_lshrrev_b64 v[0:1], s56, v[0:1]
	v_and_b32_e32 v0, s61, v0
	v_lshlrev_b32_e32 v1, 3, v0
	v_add_lshl_u32 v1, v1, v127, 2
	; wave barrier
	v_add_u32_e32 v50, 32, v1
	ds_read_b32 v15, v1 offset:32
	v_and_b32_e32 v1, 1, v0
	v_add_co_u32_e32 v2, vcc, -1, v1
	v_addc_co_u32_e64 v3, s[46:47], 0, -1, vcc
	v_cmp_ne_u32_e32 vcc, 0, v1
	v_lshlrev_b32_e32 v87, 30, v0
	v_xor_b32_e32 v1, vcc_hi, v3
	v_not_b32_e32 v3, v87
	v_xor_b32_e32 v2, vcc_lo, v2
	v_cmp_gt_i64_e32 vcc, 0, v[86:87]
	v_ashrrev_i32_e32 v3, 31, v3
	v_and_b32_e32 v2, exec_lo, v2
	v_xor_b32_e32 v51, vcc_hi, v3
	v_xor_b32_e32 v3, vcc_lo, v3
	v_lshlrev_b32_e32 v87, 29, v0
	v_and_b32_e32 v2, v2, v3
	v_not_b32_e32 v3, v87
	v_and_b32_e32 v1, exec_hi, v1
	v_cmp_gt_i64_e32 vcc, 0, v[86:87]
	v_ashrrev_i32_e32 v3, 31, v3
	v_and_b32_e32 v1, v1, v51
	v_xor_b32_e32 v51, vcc_hi, v3
	v_xor_b32_e32 v3, vcc_lo, v3
	v_lshlrev_b32_e32 v87, 28, v0
	v_and_b32_e32 v2, v2, v3
	v_not_b32_e32 v3, v87
	v_cmp_gt_i64_e32 vcc, 0, v[86:87]
	v_ashrrev_i32_e32 v3, 31, v3
	v_and_b32_e32 v1, v1, v51
	v_xor_b32_e32 v51, vcc_hi, v3
	v_xor_b32_e32 v3, vcc_lo, v3
	v_lshlrev_b32_e32 v87, 27, v0
	v_and_b32_e32 v2, v2, v3
	v_not_b32_e32 v3, v87
	;; [unrolled: 8-line block ×3, first 2 shown]
	v_cmp_gt_i64_e32 vcc, 0, v[86:87]
	v_ashrrev_i32_e32 v3, 31, v3
	v_and_b32_e32 v1, v1, v51
	v_xor_b32_e32 v51, vcc_hi, v3
	v_xor_b32_e32 v3, vcc_lo, v3
	v_lshlrev_b32_e32 v87, 25, v0
	v_and_b32_e32 v2, v2, v3
	v_cmp_gt_i64_e32 vcc, 0, v[86:87]
	v_not_b32_e32 v3, v87
	v_lshlrev_b32_e32 v87, 24, v0
	v_ashrrev_i32_e32 v3, 31, v3
	v_not_b32_e32 v0, v87
	v_and_b32_e32 v1, v1, v51
	v_xor_b32_e32 v51, vcc_hi, v3
	v_xor_b32_e32 v3, vcc_lo, v3
	v_cmp_gt_i64_e32 vcc, 0, v[86:87]
	v_ashrrev_i32_e32 v0, 31, v0
	v_and_b32_e32 v2, v2, v3
	v_xor_b32_e32 v3, vcc_hi, v0
	v_xor_b32_e32 v0, vcc_lo, v0
	v_and_b32_e32 v1, v1, v51
	v_and_b32_e32 v0, v2, v0
	;; [unrolled: 1-line block ×3, first 2 shown]
	v_mbcnt_lo_u32_b32 v2, v0, 0
	v_mbcnt_hi_u32_b32 v51, v1, v2
	v_cmp_eq_u32_e32 vcc, 0, v51
	v_cmp_ne_u64_e64 s[46:47], 0, v[0:1]
	s_and_b64 s[62:63], s[46:47], vcc
	; wave barrier
	s_and_saveexec_b64 s[46:47], s[62:63]
	s_cbranch_execz .LBB185_42
; %bb.41:                               ;   in Loop: Header=BB185_32 Depth=1
	v_bcnt_u32_b32 v0, v0, 0
	v_bcnt_u32_b32 v0, v1, v0
	s_waitcnt lgkmcnt(0)
	v_add_u32_e32 v0, v15, v0
	ds_write_b32 v50, v0
.LBB185_42:                             ;   in Loop: Header=BB185_32 Depth=1
	s_or_b64 exec, exec, s[46:47]
	v_cmp_ne_u64_e32 vcc, s[48:49], v[92:93]
	v_cndmask_b32_e32 v1, v125, v93, vcc
	v_cndmask_b32_e32 v0, 0, v92, vcc
	v_lshrrev_b64 v[0:1], s56, v[0:1]
	v_and_b32_e32 v0, s61, v0
	v_lshlrev_b32_e32 v1, 3, v0
	v_add_lshl_u32 v1, v1, v127, 2
	; wave barrier
	v_add_u32_e32 v53, 32, v1
	ds_read_b32 v52, v1 offset:32
	v_and_b32_e32 v1, 1, v0
	v_add_co_u32_e32 v2, vcc, -1, v1
	v_addc_co_u32_e64 v3, s[46:47], 0, -1, vcc
	v_cmp_ne_u32_e32 vcc, 0, v1
	v_lshlrev_b32_e32 v87, 30, v0
	v_xor_b32_e32 v1, vcc_hi, v3
	v_not_b32_e32 v3, v87
	v_xor_b32_e32 v2, vcc_lo, v2
	v_cmp_gt_i64_e32 vcc, 0, v[86:87]
	v_ashrrev_i32_e32 v3, 31, v3
	v_and_b32_e32 v2, exec_lo, v2
	v_xor_b32_e32 v54, vcc_hi, v3
	v_xor_b32_e32 v3, vcc_lo, v3
	v_lshlrev_b32_e32 v87, 29, v0
	v_and_b32_e32 v2, v2, v3
	v_not_b32_e32 v3, v87
	v_and_b32_e32 v1, exec_hi, v1
	v_cmp_gt_i64_e32 vcc, 0, v[86:87]
	v_ashrrev_i32_e32 v3, 31, v3
	v_and_b32_e32 v1, v1, v54
	v_xor_b32_e32 v54, vcc_hi, v3
	v_xor_b32_e32 v3, vcc_lo, v3
	v_lshlrev_b32_e32 v87, 28, v0
	v_and_b32_e32 v2, v2, v3
	v_not_b32_e32 v3, v87
	v_cmp_gt_i64_e32 vcc, 0, v[86:87]
	v_ashrrev_i32_e32 v3, 31, v3
	v_and_b32_e32 v1, v1, v54
	v_xor_b32_e32 v54, vcc_hi, v3
	v_xor_b32_e32 v3, vcc_lo, v3
	v_lshlrev_b32_e32 v87, 27, v0
	v_and_b32_e32 v2, v2, v3
	v_not_b32_e32 v3, v87
	;; [unrolled: 8-line block ×3, first 2 shown]
	v_cmp_gt_i64_e32 vcc, 0, v[86:87]
	v_ashrrev_i32_e32 v3, 31, v3
	v_and_b32_e32 v1, v1, v54
	v_xor_b32_e32 v54, vcc_hi, v3
	v_xor_b32_e32 v3, vcc_lo, v3
	v_lshlrev_b32_e32 v87, 25, v0
	v_and_b32_e32 v2, v2, v3
	v_cmp_gt_i64_e32 vcc, 0, v[86:87]
	v_not_b32_e32 v3, v87
	v_lshlrev_b32_e32 v87, 24, v0
	v_ashrrev_i32_e32 v3, 31, v3
	v_not_b32_e32 v0, v87
	v_and_b32_e32 v1, v1, v54
	v_xor_b32_e32 v54, vcc_hi, v3
	v_xor_b32_e32 v3, vcc_lo, v3
	v_cmp_gt_i64_e32 vcc, 0, v[86:87]
	v_ashrrev_i32_e32 v0, 31, v0
	v_and_b32_e32 v2, v2, v3
	v_xor_b32_e32 v3, vcc_hi, v0
	v_xor_b32_e32 v0, vcc_lo, v0
	v_and_b32_e32 v1, v1, v54
	v_and_b32_e32 v0, v2, v0
	;; [unrolled: 1-line block ×3, first 2 shown]
	v_mbcnt_lo_u32_b32 v2, v0, 0
	v_mbcnt_hi_u32_b32 v54, v1, v2
	v_cmp_eq_u32_e32 vcc, 0, v54
	v_cmp_ne_u64_e64 s[46:47], 0, v[0:1]
	s_and_b64 s[62:63], s[46:47], vcc
	; wave barrier
	s_and_saveexec_b64 s[46:47], s[62:63]
	s_cbranch_execz .LBB185_44
; %bb.43:                               ;   in Loop: Header=BB185_32 Depth=1
	v_bcnt_u32_b32 v0, v0, 0
	v_bcnt_u32_b32 v0, v1, v0
	s_waitcnt lgkmcnt(0)
	v_add_u32_e32 v0, v52, v0
	ds_write_b32 v53, v0
.LBB185_44:                             ;   in Loop: Header=BB185_32 Depth=1
	s_or_b64 exec, exec, s[46:47]
	v_cmp_ne_u64_e32 vcc, s[48:49], v[90:91]
	v_cndmask_b32_e32 v1, v125, v91, vcc
	v_cndmask_b32_e32 v0, 0, v90, vcc
	v_lshrrev_b64 v[0:1], s56, v[0:1]
	v_and_b32_e32 v0, s61, v0
	v_lshlrev_b32_e32 v1, 3, v0
	v_add_lshl_u32 v1, v1, v127, 2
	; wave barrier
	v_add_u32_e32 v56, 32, v1
	ds_read_b32 v55, v1 offset:32
	v_and_b32_e32 v1, 1, v0
	v_add_co_u32_e32 v2, vcc, -1, v1
	v_addc_co_u32_e64 v3, s[46:47], 0, -1, vcc
	v_cmp_ne_u32_e32 vcc, 0, v1
	v_lshlrev_b32_e32 v87, 30, v0
	v_xor_b32_e32 v1, vcc_hi, v3
	v_not_b32_e32 v3, v87
	v_xor_b32_e32 v2, vcc_lo, v2
	v_cmp_gt_i64_e32 vcc, 0, v[86:87]
	v_ashrrev_i32_e32 v3, 31, v3
	v_and_b32_e32 v2, exec_lo, v2
	v_xor_b32_e32 v57, vcc_hi, v3
	v_xor_b32_e32 v3, vcc_lo, v3
	v_lshlrev_b32_e32 v87, 29, v0
	v_and_b32_e32 v2, v2, v3
	v_not_b32_e32 v3, v87
	v_and_b32_e32 v1, exec_hi, v1
	v_cmp_gt_i64_e32 vcc, 0, v[86:87]
	v_ashrrev_i32_e32 v3, 31, v3
	v_and_b32_e32 v1, v1, v57
	v_xor_b32_e32 v57, vcc_hi, v3
	v_xor_b32_e32 v3, vcc_lo, v3
	v_lshlrev_b32_e32 v87, 28, v0
	v_and_b32_e32 v2, v2, v3
	v_not_b32_e32 v3, v87
	v_cmp_gt_i64_e32 vcc, 0, v[86:87]
	v_ashrrev_i32_e32 v3, 31, v3
	v_and_b32_e32 v1, v1, v57
	v_xor_b32_e32 v57, vcc_hi, v3
	v_xor_b32_e32 v3, vcc_lo, v3
	v_lshlrev_b32_e32 v87, 27, v0
	v_and_b32_e32 v2, v2, v3
	v_not_b32_e32 v3, v87
	;; [unrolled: 8-line block ×3, first 2 shown]
	v_cmp_gt_i64_e32 vcc, 0, v[86:87]
	v_ashrrev_i32_e32 v3, 31, v3
	v_and_b32_e32 v1, v1, v57
	v_xor_b32_e32 v57, vcc_hi, v3
	v_xor_b32_e32 v3, vcc_lo, v3
	v_lshlrev_b32_e32 v87, 25, v0
	v_and_b32_e32 v2, v2, v3
	v_cmp_gt_i64_e32 vcc, 0, v[86:87]
	v_not_b32_e32 v3, v87
	v_lshlrev_b32_e32 v87, 24, v0
	v_ashrrev_i32_e32 v3, 31, v3
	v_not_b32_e32 v0, v87
	v_and_b32_e32 v1, v1, v57
	v_xor_b32_e32 v57, vcc_hi, v3
	v_xor_b32_e32 v3, vcc_lo, v3
	v_cmp_gt_i64_e32 vcc, 0, v[86:87]
	v_ashrrev_i32_e32 v0, 31, v0
	v_and_b32_e32 v2, v2, v3
	v_xor_b32_e32 v3, vcc_hi, v0
	v_xor_b32_e32 v0, vcc_lo, v0
	v_and_b32_e32 v1, v1, v57
	v_and_b32_e32 v0, v2, v0
	;; [unrolled: 1-line block ×3, first 2 shown]
	v_mbcnt_lo_u32_b32 v2, v0, 0
	v_mbcnt_hi_u32_b32 v57, v1, v2
	v_cmp_eq_u32_e32 vcc, 0, v57
	v_cmp_ne_u64_e64 s[46:47], 0, v[0:1]
	s_and_b64 s[62:63], s[46:47], vcc
	; wave barrier
	s_and_saveexec_b64 s[46:47], s[62:63]
	s_cbranch_execz .LBB185_46
; %bb.45:                               ;   in Loop: Header=BB185_32 Depth=1
	v_bcnt_u32_b32 v0, v0, 0
	v_bcnt_u32_b32 v0, v1, v0
	s_waitcnt lgkmcnt(0)
	v_add_u32_e32 v0, v55, v0
	ds_write_b32 v56, v0
.LBB185_46:                             ;   in Loop: Header=BB185_32 Depth=1
	s_or_b64 exec, exec, s[46:47]
	v_cmp_ne_u64_e32 vcc, s[48:49], v[88:89]
	v_cndmask_b32_e32 v1, v125, v89, vcc
	v_cndmask_b32_e32 v0, 0, v88, vcc
	v_lshrrev_b64 v[0:1], s56, v[0:1]
	v_and_b32_e32 v0, s61, v0
	v_lshlrev_b32_e32 v1, 3, v0
	v_add_lshl_u32 v1, v1, v127, 2
	; wave barrier
	v_add_u32_e32 v59, 32, v1
	ds_read_b32 v58, v1 offset:32
	v_and_b32_e32 v1, 1, v0
	v_add_co_u32_e32 v2, vcc, -1, v1
	v_addc_co_u32_e64 v3, s[46:47], 0, -1, vcc
	v_cmp_ne_u32_e32 vcc, 0, v1
	v_lshlrev_b32_e32 v87, 30, v0
	v_xor_b32_e32 v1, vcc_hi, v3
	v_not_b32_e32 v3, v87
	v_xor_b32_e32 v2, vcc_lo, v2
	v_cmp_gt_i64_e32 vcc, 0, v[86:87]
	v_ashrrev_i32_e32 v3, 31, v3
	v_and_b32_e32 v2, exec_lo, v2
	v_xor_b32_e32 v60, vcc_hi, v3
	v_xor_b32_e32 v3, vcc_lo, v3
	v_lshlrev_b32_e32 v87, 29, v0
	v_and_b32_e32 v2, v2, v3
	v_not_b32_e32 v3, v87
	v_and_b32_e32 v1, exec_hi, v1
	v_cmp_gt_i64_e32 vcc, 0, v[86:87]
	v_ashrrev_i32_e32 v3, 31, v3
	v_and_b32_e32 v1, v1, v60
	v_xor_b32_e32 v60, vcc_hi, v3
	v_xor_b32_e32 v3, vcc_lo, v3
	v_lshlrev_b32_e32 v87, 28, v0
	v_and_b32_e32 v2, v2, v3
	v_not_b32_e32 v3, v87
	v_cmp_gt_i64_e32 vcc, 0, v[86:87]
	v_ashrrev_i32_e32 v3, 31, v3
	v_and_b32_e32 v1, v1, v60
	v_xor_b32_e32 v60, vcc_hi, v3
	v_xor_b32_e32 v3, vcc_lo, v3
	v_lshlrev_b32_e32 v87, 27, v0
	v_and_b32_e32 v2, v2, v3
	v_not_b32_e32 v3, v87
	;; [unrolled: 8-line block ×3, first 2 shown]
	v_cmp_gt_i64_e32 vcc, 0, v[86:87]
	v_ashrrev_i32_e32 v3, 31, v3
	v_and_b32_e32 v1, v1, v60
	v_xor_b32_e32 v60, vcc_hi, v3
	v_xor_b32_e32 v3, vcc_lo, v3
	v_lshlrev_b32_e32 v87, 25, v0
	v_and_b32_e32 v2, v2, v3
	v_cmp_gt_i64_e32 vcc, 0, v[86:87]
	v_not_b32_e32 v3, v87
	v_lshlrev_b32_e32 v87, 24, v0
	v_ashrrev_i32_e32 v3, 31, v3
	v_not_b32_e32 v0, v87
	v_and_b32_e32 v1, v1, v60
	v_xor_b32_e32 v60, vcc_hi, v3
	v_xor_b32_e32 v3, vcc_lo, v3
	v_cmp_gt_i64_e32 vcc, 0, v[86:87]
	v_ashrrev_i32_e32 v0, 31, v0
	v_and_b32_e32 v2, v2, v3
	v_xor_b32_e32 v3, vcc_hi, v0
	v_xor_b32_e32 v0, vcc_lo, v0
	v_and_b32_e32 v1, v1, v60
	v_and_b32_e32 v0, v2, v0
	;; [unrolled: 1-line block ×3, first 2 shown]
	v_mbcnt_lo_u32_b32 v2, v0, 0
	v_mbcnt_hi_u32_b32 v60, v1, v2
	v_cmp_eq_u32_e32 vcc, 0, v60
	v_cmp_ne_u64_e64 s[46:47], 0, v[0:1]
	s_and_b64 s[62:63], s[46:47], vcc
	; wave barrier
	s_and_saveexec_b64 s[46:47], s[62:63]
	s_cbranch_execz .LBB185_48
; %bb.47:                               ;   in Loop: Header=BB185_32 Depth=1
	v_bcnt_u32_b32 v0, v0, 0
	v_bcnt_u32_b32 v0, v1, v0
	s_waitcnt lgkmcnt(0)
	v_add_u32_e32 v0, v58, v0
	ds_write_b32 v59, v0
.LBB185_48:                             ;   in Loop: Header=BB185_32 Depth=1
	s_or_b64 exec, exec, s[46:47]
	; wave barrier
	s_waitcnt lgkmcnt(0)
	s_barrier
	ds_read2_b32 v[2:3], v112 offset0:8 offset1:9
	ds_read2_b32 v[0:1], v126 offset0:2 offset1:3
	s_waitcnt lgkmcnt(1)
	v_add_u32_e32 v61, v3, v2
	s_waitcnt lgkmcnt(0)
	v_add3_u32 v1, v61, v0, v1
	s_nop 1
	v_mov_b32_dpp v61, v1 row_shr:1 row_mask:0xf bank_mask:0xf
	v_cndmask_b32_e64 v61, v61, 0, s[22:23]
	v_add_u32_e32 v1, v61, v1
	s_nop 1
	v_mov_b32_dpp v61, v1 row_shr:2 row_mask:0xf bank_mask:0xf
	v_cndmask_b32_e64 v61, 0, v61, s[24:25]
	v_add_u32_e32 v1, v1, v61
	;; [unrolled: 4-line block ×4, first 2 shown]
	s_nop 1
	v_mov_b32_dpp v61, v1 row_bcast:15 row_mask:0xf bank_mask:0xf
	v_cndmask_b32_e64 v61, v61, 0, s[30:31]
	v_add_u32_e32 v1, v1, v61
	s_nop 1
	v_mov_b32_dpp v61, v1 row_bcast:31 row_mask:0xf bank_mask:0xf
	v_cndmask_b32_e64 v61, 0, v61, s[34:35]
	v_add_u32_e32 v1, v1, v61
	s_and_saveexec_b64 s[46:47], s[36:37]
	s_cbranch_execz .LBB185_50
; %bb.49:                               ;   in Loop: Header=BB185_32 Depth=1
	ds_write_b32 v129, v1
.LBB185_50:                             ;   in Loop: Header=BB185_32 Depth=1
	s_or_b64 exec, exec, s[46:47]
	s_waitcnt lgkmcnt(0)
	s_barrier
	s_and_saveexec_b64 s[46:47], s[16:17]
	s_cbranch_execz .LBB185_52
; %bb.51:                               ;   in Loop: Header=BB185_32 Depth=1
	ds_read_b32 v61, v69
	s_waitcnt lgkmcnt(0)
	s_nop 0
	v_mov_b32_dpp v62, v61 row_shr:1 row_mask:0xf bank_mask:0xf
	v_cndmask_b32_e64 v62, v62, 0, s[40:41]
	v_add_u32_e32 v61, v62, v61
	s_nop 1
	v_mov_b32_dpp v62, v61 row_shr:2 row_mask:0xf bank_mask:0xf
	v_cndmask_b32_e64 v62, 0, v62, s[42:43]
	v_add_u32_e32 v61, v61, v62
	;; [unrolled: 4-line block ×3, first 2 shown]
	ds_write_b32 v69, v61
.LBB185_52:                             ;   in Loop: Header=BB185_32 Depth=1
	s_or_b64 exec, exec, s[46:47]
	v_mov_b32_e32 v61, 0
	s_waitcnt lgkmcnt(0)
	s_barrier
	s_and_saveexec_b64 s[46:47], s[18:19]
	s_cbranch_execz .LBB185_54
; %bb.53:                               ;   in Loop: Header=BB185_32 Depth=1
	ds_read_b32 v61, v130
.LBB185_54:                             ;   in Loop: Header=BB185_32 Depth=1
	s_or_b64 exec, exec, s[46:47]
	s_waitcnt lgkmcnt(0)
	v_add_u32_e32 v1, v61, v1
	ds_bpermute_b32 v1, v128, v1
	s_cmp_gt_u32 s56, 55
	s_waitcnt lgkmcnt(0)
	v_cndmask_b32_e64 v1, v1, v61, s[38:39]
	v_cndmask_b32_e64 v1, v1, 0, s[20:21]
	v_add_u32_e32 v2, v1, v2
	v_add_u32_e32 v3, v2, v3
	;; [unrolled: 1-line block ×3, first 2 shown]
	ds_write2_b32 v112, v1, v2 offset0:8 offset1:9
	ds_write2_b32 v126, v3, v0 offset0:2 offset1:3
	s_waitcnt lgkmcnt(0)
	s_barrier
	ds_read_b32 v0, v4
	ds_read_b32 v1, v7
	;; [unrolled: 1-line block ×8, first 2 shown]
	s_waitcnt lgkmcnt(7)
	v_add_u32_e32 v138, v0, v5
	s_waitcnt lgkmcnt(6)
	v_add3_u32 v137, v8, v6, v1
	s_waitcnt lgkmcnt(5)
	v_add3_u32 v136, v11, v9, v2
	;; [unrolled: 2-line block ×7, first 2 shown]
	s_cbranch_scc0 .LBB185_31
; %bb.55:
                                        ; implicit-def: $vgpr14_vgpr15
                                        ; implicit-def: $vgpr10_vgpr11
                                        ; implicit-def: $vgpr6_vgpr7
                                        ; implicit-def: $vgpr2_vgpr3
                                        ; implicit-def: $vgpr64_vgpr65
                                        ; implicit-def: $vgpr60_vgpr61
                                        ; implicit-def: $vgpr56_vgpr57
                                        ; implicit-def: $vgpr52_vgpr53
                                        ; implicit-def: $sgpr56_sgpr57
                                        ; implicit-def: $sgpr60
.LBB185_56:
	v_lshlrev_b32_e32 v50, 3, v138
	v_lshlrev_b32_e32 v51, 3, v137
	;; [unrolled: 1-line block ×9, first 2 shown]
	s_barrier
	ds_write_b64 v50, v[102:103]
	ds_write_b64 v51, v[100:101]
	ds_write_b64 v52, v[98:99]
	ds_write_b64 v53, v[96:97]
	ds_write_b64 v54, v[94:95]
	ds_write_b64 v55, v[92:93]
	ds_write_b64 v56, v[90:91]
	ds_write_b64 v57, v[88:89]
	s_waitcnt lgkmcnt(0)
	s_barrier
	ds_read2_b64 v[0:3], v62 offset1:1
	ds_read2_b64 v[4:7], v62 offset0:2 offset1:3
	ds_read2_b64 v[8:11], v62 offset0:4 offset1:5
	;; [unrolled: 1-line block ×3, first 2 shown]
	s_waitcnt lgkmcnt(0)
	s_barrier
	ds_write_b64 v50, v[84:85]
	ds_write_b64 v51, v[82:83]
	;; [unrolled: 1-line block ×8, first 2 shown]
	v_ashrrev_i32_e32 v72, 31, v1
	v_not_b32_e32 v72, v72
	v_cmp_lt_i64_e32 vcc, -1, v[0:1]
	v_xor_b32_e32 v0, v72, v0
	v_ashrrev_i32_e32 v72, 31, v3
	v_bfrev_b32_e32 v16, 1
	v_not_b32_e32 v72, v72
	v_cndmask_b32_e64 v17, v16, -1, vcc
	v_cmp_lt_i64_e32 vcc, -1, v[2:3]
	v_xor_b32_e32 v2, v72, v2
	v_ashrrev_i32_e32 v72, 31, v5
	v_not_b32_e32 v72, v72
	v_xor_b32_e32 v1, v17, v1
	v_cndmask_b32_e64 v17, v16, -1, vcc
	v_cmp_lt_i64_e32 vcc, -1, v[4:5]
	v_xor_b32_e32 v4, v72, v4
	v_ashrrev_i32_e32 v72, 31, v7
	s_waitcnt lgkmcnt(0)
	s_barrier
	ds_read2_b64 v[50:53], v62 offset1:1
	ds_read2_b64 v[54:57], v62 offset0:2 offset1:3
	ds_read2_b64 v[58:61], v62 offset0:4 offset1:5
	;; [unrolled: 1-line block ×3, first 2 shown]
	v_xor_b32_e32 v3, v17, v3
	v_cndmask_b32_e64 v17, v16, -1, vcc
	v_cmp_lt_i64_e32 vcc, -1, v[6:7]
	v_not_b32_e32 v72, v72
	v_xor_b32_e32 v5, v17, v5
	v_cndmask_b32_e64 v17, v16, -1, vcc
	v_xor_b32_e32 v6, v72, v6
	v_cmp_lt_i64_e32 vcc, -1, v[8:9]
	v_ashrrev_i32_e32 v72, 31, v9
	v_xor_b32_e32 v7, v17, v7
	v_cndmask_b32_e64 v17, v16, -1, vcc
	v_not_b32_e32 v72, v72
	v_cmp_lt_i64_e32 vcc, -1, v[10:11]
	v_xor_b32_e32 v9, v17, v9
	v_xor_b32_e32 v8, v72, v8
	v_cndmask_b32_e64 v17, v16, -1, vcc
	v_ashrrev_i32_e32 v72, 31, v11
	v_cmp_lt_i64_e32 vcc, -1, v[12:13]
	v_not_b32_e32 v72, v72
	v_xor_b32_e32 v11, v17, v11
	v_cndmask_b32_e64 v17, v16, -1, vcc
	v_xor_b32_e32 v10, v72, v10
	v_ashrrev_i32_e32 v72, 31, v13
	v_xor_b32_e32 v13, v17, v13
	v_cmp_lt_i64_e32 vcc, -1, v[14:15]
	v_ashrrev_i32_e32 v17, 31, v15
	v_not_b32_e32 v72, v72
	v_cndmask_b32_e64 v16, v16, -1, vcc
	v_not_b32_e32 v17, v17
	v_xor_b32_e32 v12, v72, v12
	v_xor_b32_e32 v15, v16, v15
	;; [unrolled: 1-line block ×3, first 2 shown]
	s_branch .LBB185_92
.LBB185_57:
	v_mov_b32_e32 v69, 0
	v_lshlrev_b64 v[2:3], 3, v[68:69]
	v_mov_b32_e32 v4, s58
	v_add_co_u32_e32 v2, vcc, s53, v2
	v_addc_co_u32_e32 v3, vcc, v4, v3, vcc
	global_load_dwordx2 v[2:3], v[2:3], off
	v_mov_b32_e32 v4, v69
	v_mov_b32_e32 v5, v69
	;; [unrolled: 1-line block ×14, first 2 shown]
	s_or_b64 exec, exec, s[16:17]
	s_and_saveexec_b64 s[16:17], s[2:3]
	s_cbranch_execz .LBB185_22
.LBB185_58:
	v_mul_lo_u32 v4, v1, s52
	v_mov_b32_e32 v5, 0
	v_lshlrev_b64 v[4:5], 3, v[4:5]
	v_mov_b32_e32 v1, s58
	v_add_co_u32_e32 v4, vcc, s53, v4
	v_addc_co_u32_e32 v5, vcc, v1, v5, vcc
	global_load_dwordx2 v[4:5], v[4:5], off
	s_or_b64 exec, exec, s[16:17]
	s_and_saveexec_b64 s[16:17], s[4:5]
	s_cbranch_execz .LBB185_23
.LBB185_59:
	v_mul_lo_u32 v6, v34, s52
	v_mov_b32_e32 v7, 0
	v_lshlrev_b64 v[6:7], 3, v[6:7]
	v_mov_b32_e32 v1, s58
	v_add_co_u32_e32 v6, vcc, s53, v6
	v_addc_co_u32_e32 v7, vcc, v1, v7, vcc
	global_load_dwordx2 v[6:7], v[6:7], off
	s_or_b64 exec, exec, s[16:17]
	s_and_saveexec_b64 s[16:17], s[6:7]
	s_cbranch_execz .LBB185_24
.LBB185_60:
	v_mul_lo_u32 v8, v35, s52
	v_mov_b32_e32 v9, 0
	v_lshlrev_b64 v[8:9], 3, v[8:9]
	v_mov_b32_e32 v1, s58
	v_add_co_u32_e32 v8, vcc, s53, v8
	v_addc_co_u32_e32 v9, vcc, v1, v9, vcc
	global_load_dwordx2 v[8:9], v[8:9], off
	s_or_b64 exec, exec, s[16:17]
	s_and_saveexec_b64 s[16:17], s[8:9]
	s_cbranch_execz .LBB185_25
.LBB185_61:
	v_mul_lo_u32 v10, v36, s52
	v_mov_b32_e32 v11, 0
	v_lshlrev_b64 v[10:11], 3, v[10:11]
	v_mov_b32_e32 v1, s58
	v_add_co_u32_e32 v10, vcc, s53, v10
	v_addc_co_u32_e32 v11, vcc, v1, v11, vcc
	global_load_dwordx2 v[10:11], v[10:11], off
	s_or_b64 exec, exec, s[16:17]
	s_and_saveexec_b64 s[16:17], s[10:11]
	s_cbranch_execz .LBB185_26
.LBB185_62:
	v_mul_lo_u32 v12, v37, s52
	v_mov_b32_e32 v13, 0
	v_lshlrev_b64 v[12:13], 3, v[12:13]
	v_mov_b32_e32 v1, s58
	v_add_co_u32_e32 v12, vcc, s53, v12
	v_addc_co_u32_e32 v13, vcc, v1, v13, vcc
	global_load_dwordx2 v[12:13], v[12:13], off
	s_or_b64 exec, exec, s[16:17]
	s_and_saveexec_b64 s[16:17], s[12:13]
	s_cbranch_execz .LBB185_27
.LBB185_63:
	v_mul_lo_u32 v14, v38, s52
	v_mov_b32_e32 v15, 0
	v_lshlrev_b64 v[14:15], 3, v[14:15]
	v_mov_b32_e32 v1, s58
	v_add_co_u32_e32 v14, vcc, s53, v14
	v_addc_co_u32_e32 v15, vcc, v1, v15, vcc
	global_load_dwordx2 v[14:15], v[14:15], off
	s_or_b64 exec, exec, s[16:17]
	s_xor_b64 s[16:17], s[34:35], -1
	s_and_saveexec_b64 s[18:19], s[14:15]
	s_cbranch_execnz .LBB185_28
	s_branch .LBB185_29
.LBB185_64:
                                        ; implicit-def: $vgpr64_vgpr65
                                        ; implicit-def: $vgpr60_vgpr61
                                        ; implicit-def: $vgpr56_vgpr57
                                        ; implicit-def: $vgpr52_vgpr53
                                        ; implicit-def: $vgpr0_vgpr1_vgpr2_vgpr3_vgpr4_vgpr5_vgpr6_vgpr7_vgpr8_vgpr9_vgpr10_vgpr11_vgpr12_vgpr13_vgpr14_vgpr15
	s_cbranch_execz .LBB185_92
; %bb.65:
	v_bfrev_b32_e32 v72, -2
	v_cmp_gt_i64_e32 vcc, 0, v[30:31]
	v_cndmask_b32_e64 v0, v72, 0, vcc
	v_not_b32_e32 v2, v124
	v_cmp_gt_i64_e32 vcc, 0, v[32:33]
	v_xor_b32_e32 v1, v0, v31
	v_xor_b32_e32 v0, v2, v30
	v_cndmask_b32_e64 v2, v72, 0, vcc
	v_not_b32_e32 v4, v123
	v_cmp_gt_i64_e32 vcc, 0, v[26:27]
	v_xor_b32_e32 v3, v2, v33
	v_xor_b32_e32 v2, v4, v32
	;; [unrolled: 5-line block ×7, first 2 shown]
	v_cndmask_b32_e64 v14, v72, 0, vcc
	v_not_b32_e32 v16, v117
	s_waitcnt lgkmcnt(3)
	v_mbcnt_hi_u32_b32 v50, -1, v116
	v_and_b32_e32 v51, 0x3c0, v70
	v_xor_b32_e32 v15, v14, v21
	v_xor_b32_e32 v14, v16, v20
	v_add_lshl_u32 v16, v50, v51, 6
	v_and_b32_e32 v52, 0x1e00, v67
	ds_write2_b64 v16, v[0:1], v[2:3] offset1:1
	ds_write2_b64 v16, v[4:5], v[6:7] offset0:2 offset1:3
	ds_write2_b64 v16, v[8:9], v[10:11] offset0:4 offset1:5
	;; [unrolled: 1-line block ×3, first 2 shown]
	v_or_b32_e32 v0, v50, v52
	v_lshlrev_b32_e32 v28, 3, v0
	; wave barrier
	ds_read2st64_b64 v[0:3], v28 offset1:1
	ds_read2st64_b64 v[4:7], v28 offset0:2 offset1:3
	ds_read2st64_b64 v[8:11], v28 offset0:4 offset1:5
	;; [unrolled: 1-line block ×3, first 2 shown]
	; wave barrier
	ds_write2_b64 v16, v[46:47], v[48:49] offset1:1
	ds_write2_b64 v16, v[42:43], v[44:45] offset0:2 offset1:3
	ds_write2_b64 v16, v[38:39], v[40:41] offset0:4 offset1:5
	;; [unrolled: 1-line block ×3, first 2 shown]
	; wave barrier
	ds_read2st64_b64 v[16:19], v28 offset1:1
	ds_read2st64_b64 v[20:23], v28 offset0:2 offset1:3
	ds_read2st64_b64 v[24:27], v28 offset0:4 offset1:5
	;; [unrolled: 1-line block ×3, first 2 shown]
	s_waitcnt lgkmcnt(0)
	s_barrier
	s_load_dword s18, s[54:55], 0xc
	s_getpc_b64 s[16:17]
	s_add_u32 s16, s16, _ZN7rocprim17ROCPRIM_400000_NS16block_radix_sortIdLj512ELj8ElLj1ELj1ELj0ELNS0_26block_radix_rank_algorithmE1ELNS0_18block_padding_hintE2ELNS0_4arch9wavefront6targetE1EE19radix_bits_per_passE@rel32@lo+4
	s_addc_u32 s17, s17, _ZN7rocprim17ROCPRIM_400000_NS16block_radix_sortIdLj512ELj8ElLj1ELj1ELj0ELNS0_26block_radix_rank_algorithmE1ELNS0_18block_padding_hintE2ELNS0_4arch9wavefront6targetE1EE19radix_bits_per_passE@rel32@hi+12
	s_load_dword s56, s[16:17], 0x0
	s_mov_b32 s54, 0
	v_cmp_gt_u32_e64 s[30:31], 8, v70
	s_waitcnt lgkmcnt(0)
	s_lshr_b32 s16, s18, 16
	s_and_b32 s17, s18, 0xffff
	v_mad_u32_u24 v32, v115, s16, v114
	v_mad_u64_u32 v[32:33], s[16:17], v32, s17, v[70:71]
	v_lshrrev_b32_e32 v74, 6, v32
	v_and_b32_e32 v32, 15, v50
	v_cmp_eq_u32_e64 s[16:17], 0, v32
	v_cmp_lt_u32_e64 s[18:19], 1, v32
	v_cmp_lt_u32_e64 s[20:21], 3, v32
	;; [unrolled: 1-line block ×3, first 2 shown]
	v_and_b32_e32 v32, 16, v50
	v_cmp_eq_u32_e64 s[24:25], 0, v32
	v_min_u32_e32 v32, 0x1c0, v51
	v_or_b32_e32 v32, 63, v32
	v_cmp_eq_u32_e64 s[28:29], v32, v70
	v_add_u32_e32 v32, -1, v50
	v_and_b32_e32 v33, 64, v50
	v_cmp_lt_i32_e32 vcc, v32, v33
	v_cndmask_b32_e32 v32, v32, v50, vcc
	v_lshlrev_b32_e32 v75, 2, v32
	v_and_b32_e32 v32, 7, v50
	v_cmp_lt_u32_e64 s[34:35], 63, v70
	v_cmp_eq_u32_e64 s[38:39], 0, v70
	v_and_b32_e32 v70, 60, v113
	v_cmp_eq_u32_e64 s[40:41], 0, v32
	v_cmp_lt_u32_e64 s[42:43], 1, v32
	v_cmp_lt_u32_e64 s[44:45], 3, v32
	v_and_or_b32 v32, v50, 63, v52
	s_mov_b64 s[48:49], 0
	s_brev_b32 s55, 1
	v_add_u32_e32 v73, 32, v112
	v_cmp_lt_u32_e64 s[26:27], 31, v50
	s_mov_b32 s57, 64
	v_cmp_eq_u32_e64 s[36:37], 0, v50
	v_add_u32_e32 v76, -4, v70
	v_lshlrev_b32_e32 v77, 3, v32
	v_mov_b32_e32 v48, 0
	s_branch .LBB185_67
.LBB185_66:                             ;   in Loop: Header=BB185_67 Depth=1
	v_lshlrev_b32_e32 v16, 3, v84
	v_lshlrev_b32_e32 v17, 3, v83
	;; [unrolled: 1-line block ×8, first 2 shown]
	s_barrier
	ds_write_b64 v16, v[64:65]
	ds_write_b64 v17, v[62:63]
	;; [unrolled: 1-line block ×8, first 2 shown]
	s_waitcnt lgkmcnt(0)
	s_barrier
	ds_read2st64_b64 v[0:3], v77 offset1:1
	ds_read2st64_b64 v[4:7], v77 offset0:2 offset1:3
	ds_read2st64_b64 v[8:11], v77 offset0:4 offset1:5
	;; [unrolled: 1-line block ×3, first 2 shown]
	s_waitcnt lgkmcnt(0)
	s_barrier
	ds_write_b64 v16, v[46:47]
	ds_write_b64 v17, v[44:45]
	;; [unrolled: 1-line block ×8, first 2 shown]
	s_waitcnt lgkmcnt(0)
	s_barrier
	ds_read2st64_b64 v[16:19], v77 offset1:1
	ds_read2st64_b64 v[20:23], v77 offset0:2 offset1:3
	ds_read2st64_b64 v[24:27], v77 offset0:4 offset1:5
	;; [unrolled: 1-line block ×3, first 2 shown]
	s_add_u32 s48, s48, 8
	s_addc_u32 s49, s49, 0
	s_add_i32 s57, s57, -8
	s_waitcnt lgkmcnt(0)
	s_barrier
	s_cbranch_execz .LBB185_91
.LBB185_67:                             ; =>This Inner Loop Header: Depth=1
	v_pk_mov_b32 v[64:65], v[0:1], v[0:1] op_sel:[0,1]
	s_min_u32 s46, s56, s57
	v_cmp_ne_u64_e32 vcc, s[54:55], v[64:65]
	s_lshl_b32 s46, -1, s46
	v_cndmask_b32_e32 v1, v72, v65, vcc
	v_cndmask_b32_e32 v0, -1, v64, vcc
	s_not_b32 s59, s46
	v_lshrrev_b64 v[0:1], s48, v[0:1]
	v_and_b32_e32 v0, s59, v0
	v_lshl_add_u32 v1, v0, 3, v74
	v_pk_mov_b32 v[60:61], v[4:5], v[4:5] op_sel:[0,1]
	v_lshl_add_u32 v4, v1, 2, 32
	v_and_b32_e32 v1, 1, v0
	v_pk_mov_b32 v[62:63], v[2:3], v[2:3] op_sel:[0,1]
	v_add_co_u32_e32 v2, vcc, -1, v1
	v_addc_co_u32_e64 v3, s[46:47], 0, -1, vcc
	v_cmp_ne_u32_e32 vcc, 0, v1
	v_lshlrev_b32_e32 v49, 30, v0
	v_xor_b32_e32 v1, vcc_hi, v3
	v_not_b32_e32 v3, v49
	v_xor_b32_e32 v2, vcc_lo, v2
	v_cmp_gt_i64_e32 vcc, 0, v[48:49]
	v_ashrrev_i32_e32 v3, 31, v3
	v_and_b32_e32 v2, exec_lo, v2
	v_xor_b32_e32 v5, vcc_hi, v3
	v_xor_b32_e32 v3, vcc_lo, v3
	v_lshlrev_b32_e32 v49, 29, v0
	v_and_b32_e32 v2, v2, v3
	v_not_b32_e32 v3, v49
	v_and_b32_e32 v1, exec_hi, v1
	v_cmp_gt_i64_e32 vcc, 0, v[48:49]
	v_ashrrev_i32_e32 v3, 31, v3
	v_and_b32_e32 v1, v1, v5
	v_xor_b32_e32 v5, vcc_hi, v3
	v_xor_b32_e32 v3, vcc_lo, v3
	v_lshlrev_b32_e32 v49, 28, v0
	v_and_b32_e32 v2, v2, v3
	v_not_b32_e32 v3, v49
	v_cmp_gt_i64_e32 vcc, 0, v[48:49]
	v_ashrrev_i32_e32 v3, 31, v3
	v_and_b32_e32 v1, v1, v5
	v_xor_b32_e32 v5, vcc_hi, v3
	v_xor_b32_e32 v3, vcc_lo, v3
	v_lshlrev_b32_e32 v49, 27, v0
	v_and_b32_e32 v2, v2, v3
	v_not_b32_e32 v3, v49
	;; [unrolled: 8-line block ×3, first 2 shown]
	v_cmp_gt_i64_e32 vcc, 0, v[48:49]
	v_ashrrev_i32_e32 v3, 31, v3
	v_and_b32_e32 v1, v1, v5
	v_xor_b32_e32 v5, vcc_hi, v3
	v_xor_b32_e32 v3, vcc_lo, v3
	v_lshlrev_b32_e32 v49, 25, v0
	v_and_b32_e32 v2, v2, v3
	v_cmp_gt_i64_e32 vcc, 0, v[48:49]
	v_not_b32_e32 v3, v49
	v_lshlrev_b32_e32 v49, 24, v0
	v_ashrrev_i32_e32 v3, 31, v3
	v_not_b32_e32 v0, v49
	v_and_b32_e32 v1, v1, v5
	v_xor_b32_e32 v5, vcc_hi, v3
	v_xor_b32_e32 v3, vcc_lo, v3
	v_cmp_gt_i64_e32 vcc, 0, v[48:49]
	v_ashrrev_i32_e32 v0, 31, v0
	v_and_b32_e32 v2, v2, v3
	v_xor_b32_e32 v3, vcc_hi, v0
	v_xor_b32_e32 v0, vcc_lo, v0
	v_and_b32_e32 v1, v1, v5
	v_and_b32_e32 v0, v2, v0
	v_and_b32_e32 v1, v1, v3
	v_mbcnt_lo_u32_b32 v2, v0, 0
	v_mbcnt_hi_u32_b32 v5, v1, v2
	v_cmp_eq_u32_e32 vcc, 0, v5
	v_cmp_ne_u64_e64 s[46:47], 0, v[0:1]
	v_pk_mov_b32 v[50:51], v[14:15], v[14:15] op_sel:[0,1]
	v_pk_mov_b32 v[52:53], v[12:13], v[12:13] op_sel:[0,1]
	;; [unrolled: 1-line block ×13, first 2 shown]
	s_and_b64 s[60:61], s[46:47], vcc
	ds_write2_b32 v112, v48, v48 offset0:8 offset1:9
	ds_write2_b32 v73, v48, v48 offset0:2 offset1:3
	s_waitcnt lgkmcnt(0)
	s_barrier
	s_waitcnt lgkmcnt(0)
	; wave barrier
	s_and_saveexec_b64 s[46:47], s[60:61]
	s_cbranch_execz .LBB185_69
; %bb.68:                               ;   in Loop: Header=BB185_67 Depth=1
	v_bcnt_u32_b32 v0, v0, 0
	v_bcnt_u32_b32 v0, v1, v0
	ds_write_b32 v4, v0
.LBB185_69:                             ;   in Loop: Header=BB185_67 Depth=1
	s_or_b64 exec, exec, s[46:47]
	v_cmp_ne_u64_e32 vcc, s[54:55], v[62:63]
	v_cndmask_b32_e32 v1, v72, v63, vcc
	v_cndmask_b32_e32 v0, -1, v62, vcc
	v_lshrrev_b64 v[0:1], s48, v[0:1]
	v_and_b32_e32 v0, s59, v0
	v_lshlrev_b32_e32 v1, 3, v0
	v_add_lshl_u32 v1, v1, v74, 2
	; wave barrier
	v_add_u32_e32 v7, 32, v1
	ds_read_b32 v6, v1 offset:32
	v_and_b32_e32 v1, 1, v0
	v_add_co_u32_e32 v2, vcc, -1, v1
	v_addc_co_u32_e64 v3, s[46:47], 0, -1, vcc
	v_cmp_ne_u32_e32 vcc, 0, v1
	v_lshlrev_b32_e32 v49, 30, v0
	v_xor_b32_e32 v1, vcc_hi, v3
	v_not_b32_e32 v3, v49
	v_xor_b32_e32 v2, vcc_lo, v2
	v_cmp_gt_i64_e32 vcc, 0, v[48:49]
	v_ashrrev_i32_e32 v3, 31, v3
	v_and_b32_e32 v2, exec_lo, v2
	v_xor_b32_e32 v8, vcc_hi, v3
	v_xor_b32_e32 v3, vcc_lo, v3
	v_lshlrev_b32_e32 v49, 29, v0
	v_and_b32_e32 v2, v2, v3
	v_not_b32_e32 v3, v49
	v_and_b32_e32 v1, exec_hi, v1
	v_cmp_gt_i64_e32 vcc, 0, v[48:49]
	v_ashrrev_i32_e32 v3, 31, v3
	v_and_b32_e32 v1, v1, v8
	v_xor_b32_e32 v8, vcc_hi, v3
	v_xor_b32_e32 v3, vcc_lo, v3
	v_lshlrev_b32_e32 v49, 28, v0
	v_and_b32_e32 v2, v2, v3
	v_not_b32_e32 v3, v49
	v_cmp_gt_i64_e32 vcc, 0, v[48:49]
	v_ashrrev_i32_e32 v3, 31, v3
	v_and_b32_e32 v1, v1, v8
	v_xor_b32_e32 v8, vcc_hi, v3
	v_xor_b32_e32 v3, vcc_lo, v3
	v_lshlrev_b32_e32 v49, 27, v0
	v_and_b32_e32 v2, v2, v3
	v_not_b32_e32 v3, v49
	v_cmp_gt_i64_e32 vcc, 0, v[48:49]
	v_ashrrev_i32_e32 v3, 31, v3
	v_and_b32_e32 v1, v1, v8
	v_xor_b32_e32 v8, vcc_hi, v3
	v_xor_b32_e32 v3, vcc_lo, v3
	v_lshlrev_b32_e32 v49, 26, v0
	v_and_b32_e32 v2, v2, v3
	v_not_b32_e32 v3, v49
	v_cmp_gt_i64_e32 vcc, 0, v[48:49]
	v_ashrrev_i32_e32 v3, 31, v3
	v_and_b32_e32 v1, v1, v8
	v_xor_b32_e32 v8, vcc_hi, v3
	v_xor_b32_e32 v3, vcc_lo, v3
	v_lshlrev_b32_e32 v49, 25, v0
	v_and_b32_e32 v2, v2, v3
	v_cmp_gt_i64_e32 vcc, 0, v[48:49]
	v_not_b32_e32 v3, v49
	v_lshlrev_b32_e32 v49, 24, v0
	v_ashrrev_i32_e32 v3, 31, v3
	v_not_b32_e32 v0, v49
	v_and_b32_e32 v1, v1, v8
	v_xor_b32_e32 v8, vcc_hi, v3
	v_xor_b32_e32 v3, vcc_lo, v3
	v_cmp_gt_i64_e32 vcc, 0, v[48:49]
	v_ashrrev_i32_e32 v0, 31, v0
	v_and_b32_e32 v2, v2, v3
	v_xor_b32_e32 v3, vcc_hi, v0
	v_xor_b32_e32 v0, vcc_lo, v0
	v_and_b32_e32 v1, v1, v8
	v_and_b32_e32 v0, v2, v0
	;; [unrolled: 1-line block ×3, first 2 shown]
	v_mbcnt_lo_u32_b32 v2, v0, 0
	v_mbcnt_hi_u32_b32 v8, v1, v2
	v_cmp_eq_u32_e32 vcc, 0, v8
	v_cmp_ne_u64_e64 s[46:47], 0, v[0:1]
	s_and_b64 s[60:61], s[46:47], vcc
	; wave barrier
	s_and_saveexec_b64 s[46:47], s[60:61]
	s_cbranch_execz .LBB185_71
; %bb.70:                               ;   in Loop: Header=BB185_67 Depth=1
	v_bcnt_u32_b32 v0, v0, 0
	v_bcnt_u32_b32 v0, v1, v0
	s_waitcnt lgkmcnt(0)
	v_add_u32_e32 v0, v6, v0
	ds_write_b32 v7, v0
.LBB185_71:                             ;   in Loop: Header=BB185_67 Depth=1
	s_or_b64 exec, exec, s[46:47]
	v_cmp_ne_u64_e32 vcc, s[54:55], v[60:61]
	v_cndmask_b32_e32 v1, v72, v61, vcc
	v_cndmask_b32_e32 v0, -1, v60, vcc
	v_lshrrev_b64 v[0:1], s48, v[0:1]
	v_and_b32_e32 v0, s59, v0
	v_lshlrev_b32_e32 v1, 3, v0
	v_add_lshl_u32 v1, v1, v74, 2
	; wave barrier
	v_add_u32_e32 v10, 32, v1
	ds_read_b32 v9, v1 offset:32
	v_and_b32_e32 v1, 1, v0
	v_add_co_u32_e32 v2, vcc, -1, v1
	v_addc_co_u32_e64 v3, s[46:47], 0, -1, vcc
	v_cmp_ne_u32_e32 vcc, 0, v1
	v_lshlrev_b32_e32 v49, 30, v0
	v_xor_b32_e32 v1, vcc_hi, v3
	v_not_b32_e32 v3, v49
	v_xor_b32_e32 v2, vcc_lo, v2
	v_cmp_gt_i64_e32 vcc, 0, v[48:49]
	v_ashrrev_i32_e32 v3, 31, v3
	v_and_b32_e32 v2, exec_lo, v2
	v_xor_b32_e32 v11, vcc_hi, v3
	v_xor_b32_e32 v3, vcc_lo, v3
	v_lshlrev_b32_e32 v49, 29, v0
	v_and_b32_e32 v2, v2, v3
	v_not_b32_e32 v3, v49
	v_and_b32_e32 v1, exec_hi, v1
	v_cmp_gt_i64_e32 vcc, 0, v[48:49]
	v_ashrrev_i32_e32 v3, 31, v3
	v_and_b32_e32 v1, v1, v11
	v_xor_b32_e32 v11, vcc_hi, v3
	v_xor_b32_e32 v3, vcc_lo, v3
	v_lshlrev_b32_e32 v49, 28, v0
	v_and_b32_e32 v2, v2, v3
	v_not_b32_e32 v3, v49
	v_cmp_gt_i64_e32 vcc, 0, v[48:49]
	v_ashrrev_i32_e32 v3, 31, v3
	v_and_b32_e32 v1, v1, v11
	v_xor_b32_e32 v11, vcc_hi, v3
	v_xor_b32_e32 v3, vcc_lo, v3
	v_lshlrev_b32_e32 v49, 27, v0
	v_and_b32_e32 v2, v2, v3
	v_not_b32_e32 v3, v49
	;; [unrolled: 8-line block ×3, first 2 shown]
	v_cmp_gt_i64_e32 vcc, 0, v[48:49]
	v_ashrrev_i32_e32 v3, 31, v3
	v_and_b32_e32 v1, v1, v11
	v_xor_b32_e32 v11, vcc_hi, v3
	v_xor_b32_e32 v3, vcc_lo, v3
	v_lshlrev_b32_e32 v49, 25, v0
	v_and_b32_e32 v2, v2, v3
	v_cmp_gt_i64_e32 vcc, 0, v[48:49]
	v_not_b32_e32 v3, v49
	v_lshlrev_b32_e32 v49, 24, v0
	v_ashrrev_i32_e32 v3, 31, v3
	v_not_b32_e32 v0, v49
	v_and_b32_e32 v1, v1, v11
	v_xor_b32_e32 v11, vcc_hi, v3
	v_xor_b32_e32 v3, vcc_lo, v3
	v_cmp_gt_i64_e32 vcc, 0, v[48:49]
	v_ashrrev_i32_e32 v0, 31, v0
	v_and_b32_e32 v2, v2, v3
	v_xor_b32_e32 v3, vcc_hi, v0
	v_xor_b32_e32 v0, vcc_lo, v0
	v_and_b32_e32 v1, v1, v11
	v_and_b32_e32 v0, v2, v0
	v_and_b32_e32 v1, v1, v3
	v_mbcnt_lo_u32_b32 v2, v0, 0
	v_mbcnt_hi_u32_b32 v11, v1, v2
	v_cmp_eq_u32_e32 vcc, 0, v11
	v_cmp_ne_u64_e64 s[46:47], 0, v[0:1]
	s_and_b64 s[60:61], s[46:47], vcc
	; wave barrier
	s_and_saveexec_b64 s[46:47], s[60:61]
	s_cbranch_execz .LBB185_73
; %bb.72:                               ;   in Loop: Header=BB185_67 Depth=1
	v_bcnt_u32_b32 v0, v0, 0
	v_bcnt_u32_b32 v0, v1, v0
	s_waitcnt lgkmcnt(0)
	v_add_u32_e32 v0, v9, v0
	ds_write_b32 v10, v0
.LBB185_73:                             ;   in Loop: Header=BB185_67 Depth=1
	s_or_b64 exec, exec, s[46:47]
	v_cmp_ne_u64_e32 vcc, s[54:55], v[58:59]
	v_cndmask_b32_e32 v1, v72, v59, vcc
	v_cndmask_b32_e32 v0, -1, v58, vcc
	v_lshrrev_b64 v[0:1], s48, v[0:1]
	v_and_b32_e32 v0, s59, v0
	v_lshlrev_b32_e32 v1, 3, v0
	v_add_lshl_u32 v1, v1, v74, 2
	; wave barrier
	v_add_u32_e32 v13, 32, v1
	ds_read_b32 v12, v1 offset:32
	v_and_b32_e32 v1, 1, v0
	v_add_co_u32_e32 v2, vcc, -1, v1
	v_addc_co_u32_e64 v3, s[46:47], 0, -1, vcc
	v_cmp_ne_u32_e32 vcc, 0, v1
	v_lshlrev_b32_e32 v49, 30, v0
	v_xor_b32_e32 v1, vcc_hi, v3
	v_not_b32_e32 v3, v49
	v_xor_b32_e32 v2, vcc_lo, v2
	v_cmp_gt_i64_e32 vcc, 0, v[48:49]
	v_ashrrev_i32_e32 v3, 31, v3
	v_and_b32_e32 v2, exec_lo, v2
	v_xor_b32_e32 v14, vcc_hi, v3
	v_xor_b32_e32 v3, vcc_lo, v3
	v_lshlrev_b32_e32 v49, 29, v0
	v_and_b32_e32 v2, v2, v3
	v_not_b32_e32 v3, v49
	v_and_b32_e32 v1, exec_hi, v1
	v_cmp_gt_i64_e32 vcc, 0, v[48:49]
	v_ashrrev_i32_e32 v3, 31, v3
	v_and_b32_e32 v1, v1, v14
	v_xor_b32_e32 v14, vcc_hi, v3
	v_xor_b32_e32 v3, vcc_lo, v3
	v_lshlrev_b32_e32 v49, 28, v0
	v_and_b32_e32 v2, v2, v3
	v_not_b32_e32 v3, v49
	v_cmp_gt_i64_e32 vcc, 0, v[48:49]
	v_ashrrev_i32_e32 v3, 31, v3
	v_and_b32_e32 v1, v1, v14
	v_xor_b32_e32 v14, vcc_hi, v3
	v_xor_b32_e32 v3, vcc_lo, v3
	v_lshlrev_b32_e32 v49, 27, v0
	v_and_b32_e32 v2, v2, v3
	v_not_b32_e32 v3, v49
	;; [unrolled: 8-line block ×3, first 2 shown]
	v_cmp_gt_i64_e32 vcc, 0, v[48:49]
	v_ashrrev_i32_e32 v3, 31, v3
	v_and_b32_e32 v1, v1, v14
	v_xor_b32_e32 v14, vcc_hi, v3
	v_xor_b32_e32 v3, vcc_lo, v3
	v_lshlrev_b32_e32 v49, 25, v0
	v_and_b32_e32 v2, v2, v3
	v_cmp_gt_i64_e32 vcc, 0, v[48:49]
	v_not_b32_e32 v3, v49
	v_lshlrev_b32_e32 v49, 24, v0
	v_ashrrev_i32_e32 v3, 31, v3
	v_not_b32_e32 v0, v49
	v_and_b32_e32 v1, v1, v14
	v_xor_b32_e32 v14, vcc_hi, v3
	v_xor_b32_e32 v3, vcc_lo, v3
	v_cmp_gt_i64_e32 vcc, 0, v[48:49]
	v_ashrrev_i32_e32 v0, 31, v0
	v_and_b32_e32 v2, v2, v3
	v_xor_b32_e32 v3, vcc_hi, v0
	v_xor_b32_e32 v0, vcc_lo, v0
	v_and_b32_e32 v1, v1, v14
	v_and_b32_e32 v0, v2, v0
	;; [unrolled: 1-line block ×3, first 2 shown]
	v_mbcnt_lo_u32_b32 v2, v0, 0
	v_mbcnt_hi_u32_b32 v14, v1, v2
	v_cmp_eq_u32_e32 vcc, 0, v14
	v_cmp_ne_u64_e64 s[46:47], 0, v[0:1]
	s_and_b64 s[60:61], s[46:47], vcc
	; wave barrier
	s_and_saveexec_b64 s[46:47], s[60:61]
	s_cbranch_execz .LBB185_75
; %bb.74:                               ;   in Loop: Header=BB185_67 Depth=1
	v_bcnt_u32_b32 v0, v0, 0
	v_bcnt_u32_b32 v0, v1, v0
	s_waitcnt lgkmcnt(0)
	v_add_u32_e32 v0, v12, v0
	ds_write_b32 v13, v0
.LBB185_75:                             ;   in Loop: Header=BB185_67 Depth=1
	s_or_b64 exec, exec, s[46:47]
	v_cmp_ne_u64_e32 vcc, s[54:55], v[56:57]
	v_cndmask_b32_e32 v1, v72, v57, vcc
	v_cndmask_b32_e32 v0, -1, v56, vcc
	v_lshrrev_b64 v[0:1], s48, v[0:1]
	v_and_b32_e32 v0, s59, v0
	v_lshlrev_b32_e32 v1, 3, v0
	v_add_lshl_u32 v1, v1, v74, 2
	; wave barrier
	v_add_u32_e32 v16, 32, v1
	ds_read_b32 v15, v1 offset:32
	v_and_b32_e32 v1, 1, v0
	v_add_co_u32_e32 v2, vcc, -1, v1
	v_addc_co_u32_e64 v3, s[46:47], 0, -1, vcc
	v_cmp_ne_u32_e32 vcc, 0, v1
	v_lshlrev_b32_e32 v49, 30, v0
	v_xor_b32_e32 v1, vcc_hi, v3
	v_not_b32_e32 v3, v49
	v_xor_b32_e32 v2, vcc_lo, v2
	v_cmp_gt_i64_e32 vcc, 0, v[48:49]
	v_ashrrev_i32_e32 v3, 31, v3
	v_and_b32_e32 v2, exec_lo, v2
	v_xor_b32_e32 v17, vcc_hi, v3
	v_xor_b32_e32 v3, vcc_lo, v3
	v_lshlrev_b32_e32 v49, 29, v0
	v_and_b32_e32 v2, v2, v3
	v_not_b32_e32 v3, v49
	v_and_b32_e32 v1, exec_hi, v1
	v_cmp_gt_i64_e32 vcc, 0, v[48:49]
	v_ashrrev_i32_e32 v3, 31, v3
	v_and_b32_e32 v1, v1, v17
	v_xor_b32_e32 v17, vcc_hi, v3
	v_xor_b32_e32 v3, vcc_lo, v3
	v_lshlrev_b32_e32 v49, 28, v0
	v_and_b32_e32 v2, v2, v3
	v_not_b32_e32 v3, v49
	v_cmp_gt_i64_e32 vcc, 0, v[48:49]
	v_ashrrev_i32_e32 v3, 31, v3
	v_and_b32_e32 v1, v1, v17
	v_xor_b32_e32 v17, vcc_hi, v3
	v_xor_b32_e32 v3, vcc_lo, v3
	v_lshlrev_b32_e32 v49, 27, v0
	v_and_b32_e32 v2, v2, v3
	v_not_b32_e32 v3, v49
	;; [unrolled: 8-line block ×3, first 2 shown]
	v_cmp_gt_i64_e32 vcc, 0, v[48:49]
	v_ashrrev_i32_e32 v3, 31, v3
	v_and_b32_e32 v1, v1, v17
	v_xor_b32_e32 v17, vcc_hi, v3
	v_xor_b32_e32 v3, vcc_lo, v3
	v_lshlrev_b32_e32 v49, 25, v0
	v_and_b32_e32 v2, v2, v3
	v_cmp_gt_i64_e32 vcc, 0, v[48:49]
	v_not_b32_e32 v3, v49
	v_lshlrev_b32_e32 v49, 24, v0
	v_ashrrev_i32_e32 v3, 31, v3
	v_not_b32_e32 v0, v49
	v_and_b32_e32 v1, v1, v17
	v_xor_b32_e32 v17, vcc_hi, v3
	v_xor_b32_e32 v3, vcc_lo, v3
	v_cmp_gt_i64_e32 vcc, 0, v[48:49]
	v_ashrrev_i32_e32 v0, 31, v0
	v_and_b32_e32 v2, v2, v3
	v_xor_b32_e32 v3, vcc_hi, v0
	v_xor_b32_e32 v0, vcc_lo, v0
	v_and_b32_e32 v1, v1, v17
	v_and_b32_e32 v0, v2, v0
	;; [unrolled: 1-line block ×3, first 2 shown]
	v_mbcnt_lo_u32_b32 v2, v0, 0
	v_mbcnt_hi_u32_b32 v17, v1, v2
	v_cmp_eq_u32_e32 vcc, 0, v17
	v_cmp_ne_u64_e64 s[46:47], 0, v[0:1]
	s_and_b64 s[60:61], s[46:47], vcc
	; wave barrier
	s_and_saveexec_b64 s[46:47], s[60:61]
	s_cbranch_execz .LBB185_77
; %bb.76:                               ;   in Loop: Header=BB185_67 Depth=1
	v_bcnt_u32_b32 v0, v0, 0
	v_bcnt_u32_b32 v0, v1, v0
	s_waitcnt lgkmcnt(0)
	v_add_u32_e32 v0, v15, v0
	ds_write_b32 v16, v0
.LBB185_77:                             ;   in Loop: Header=BB185_67 Depth=1
	s_or_b64 exec, exec, s[46:47]
	v_cmp_ne_u64_e32 vcc, s[54:55], v[54:55]
	v_cndmask_b32_e32 v1, v72, v55, vcc
	v_cndmask_b32_e32 v0, -1, v54, vcc
	v_lshrrev_b64 v[0:1], s48, v[0:1]
	v_and_b32_e32 v0, s59, v0
	v_lshlrev_b32_e32 v1, 3, v0
	v_add_lshl_u32 v1, v1, v74, 2
	; wave barrier
	v_add_u32_e32 v19, 32, v1
	ds_read_b32 v18, v1 offset:32
	v_and_b32_e32 v1, 1, v0
	v_add_co_u32_e32 v2, vcc, -1, v1
	v_addc_co_u32_e64 v3, s[46:47], 0, -1, vcc
	v_cmp_ne_u32_e32 vcc, 0, v1
	v_lshlrev_b32_e32 v49, 30, v0
	v_xor_b32_e32 v1, vcc_hi, v3
	v_not_b32_e32 v3, v49
	v_xor_b32_e32 v2, vcc_lo, v2
	v_cmp_gt_i64_e32 vcc, 0, v[48:49]
	v_ashrrev_i32_e32 v3, 31, v3
	v_and_b32_e32 v2, exec_lo, v2
	v_xor_b32_e32 v20, vcc_hi, v3
	v_xor_b32_e32 v3, vcc_lo, v3
	v_lshlrev_b32_e32 v49, 29, v0
	v_and_b32_e32 v2, v2, v3
	v_not_b32_e32 v3, v49
	v_and_b32_e32 v1, exec_hi, v1
	v_cmp_gt_i64_e32 vcc, 0, v[48:49]
	v_ashrrev_i32_e32 v3, 31, v3
	v_and_b32_e32 v1, v1, v20
	v_xor_b32_e32 v20, vcc_hi, v3
	v_xor_b32_e32 v3, vcc_lo, v3
	v_lshlrev_b32_e32 v49, 28, v0
	v_and_b32_e32 v2, v2, v3
	v_not_b32_e32 v3, v49
	v_cmp_gt_i64_e32 vcc, 0, v[48:49]
	v_ashrrev_i32_e32 v3, 31, v3
	v_and_b32_e32 v1, v1, v20
	v_xor_b32_e32 v20, vcc_hi, v3
	v_xor_b32_e32 v3, vcc_lo, v3
	v_lshlrev_b32_e32 v49, 27, v0
	v_and_b32_e32 v2, v2, v3
	v_not_b32_e32 v3, v49
	;; [unrolled: 8-line block ×3, first 2 shown]
	v_cmp_gt_i64_e32 vcc, 0, v[48:49]
	v_ashrrev_i32_e32 v3, 31, v3
	v_and_b32_e32 v1, v1, v20
	v_xor_b32_e32 v20, vcc_hi, v3
	v_xor_b32_e32 v3, vcc_lo, v3
	v_lshlrev_b32_e32 v49, 25, v0
	v_and_b32_e32 v2, v2, v3
	v_cmp_gt_i64_e32 vcc, 0, v[48:49]
	v_not_b32_e32 v3, v49
	v_lshlrev_b32_e32 v49, 24, v0
	v_ashrrev_i32_e32 v3, 31, v3
	v_not_b32_e32 v0, v49
	v_and_b32_e32 v1, v1, v20
	v_xor_b32_e32 v20, vcc_hi, v3
	v_xor_b32_e32 v3, vcc_lo, v3
	v_cmp_gt_i64_e32 vcc, 0, v[48:49]
	v_ashrrev_i32_e32 v0, 31, v0
	v_and_b32_e32 v2, v2, v3
	v_xor_b32_e32 v3, vcc_hi, v0
	v_xor_b32_e32 v0, vcc_lo, v0
	v_and_b32_e32 v1, v1, v20
	v_and_b32_e32 v0, v2, v0
	v_and_b32_e32 v1, v1, v3
	v_mbcnt_lo_u32_b32 v2, v0, 0
	v_mbcnt_hi_u32_b32 v20, v1, v2
	v_cmp_eq_u32_e32 vcc, 0, v20
	v_cmp_ne_u64_e64 s[46:47], 0, v[0:1]
	s_and_b64 s[60:61], s[46:47], vcc
	; wave barrier
	s_and_saveexec_b64 s[46:47], s[60:61]
	s_cbranch_execz .LBB185_79
; %bb.78:                               ;   in Loop: Header=BB185_67 Depth=1
	v_bcnt_u32_b32 v0, v0, 0
	v_bcnt_u32_b32 v0, v1, v0
	s_waitcnt lgkmcnt(0)
	v_add_u32_e32 v0, v18, v0
	ds_write_b32 v19, v0
.LBB185_79:                             ;   in Loop: Header=BB185_67 Depth=1
	s_or_b64 exec, exec, s[46:47]
	v_cmp_ne_u64_e32 vcc, s[54:55], v[52:53]
	v_cndmask_b32_e32 v1, v72, v53, vcc
	v_cndmask_b32_e32 v0, -1, v52, vcc
	v_lshrrev_b64 v[0:1], s48, v[0:1]
	v_and_b32_e32 v0, s59, v0
	v_lshlrev_b32_e32 v1, 3, v0
	v_add_lshl_u32 v1, v1, v74, 2
	; wave barrier
	v_add_u32_e32 v22, 32, v1
	ds_read_b32 v21, v1 offset:32
	v_and_b32_e32 v1, 1, v0
	v_add_co_u32_e32 v2, vcc, -1, v1
	v_addc_co_u32_e64 v3, s[46:47], 0, -1, vcc
	v_cmp_ne_u32_e32 vcc, 0, v1
	v_lshlrev_b32_e32 v49, 30, v0
	v_xor_b32_e32 v1, vcc_hi, v3
	v_not_b32_e32 v3, v49
	v_xor_b32_e32 v2, vcc_lo, v2
	v_cmp_gt_i64_e32 vcc, 0, v[48:49]
	v_ashrrev_i32_e32 v3, 31, v3
	v_and_b32_e32 v2, exec_lo, v2
	v_xor_b32_e32 v23, vcc_hi, v3
	v_xor_b32_e32 v3, vcc_lo, v3
	v_lshlrev_b32_e32 v49, 29, v0
	v_and_b32_e32 v2, v2, v3
	v_not_b32_e32 v3, v49
	v_and_b32_e32 v1, exec_hi, v1
	v_cmp_gt_i64_e32 vcc, 0, v[48:49]
	v_ashrrev_i32_e32 v3, 31, v3
	v_and_b32_e32 v1, v1, v23
	v_xor_b32_e32 v23, vcc_hi, v3
	v_xor_b32_e32 v3, vcc_lo, v3
	v_lshlrev_b32_e32 v49, 28, v0
	v_and_b32_e32 v2, v2, v3
	v_not_b32_e32 v3, v49
	v_cmp_gt_i64_e32 vcc, 0, v[48:49]
	v_ashrrev_i32_e32 v3, 31, v3
	v_and_b32_e32 v1, v1, v23
	v_xor_b32_e32 v23, vcc_hi, v3
	v_xor_b32_e32 v3, vcc_lo, v3
	v_lshlrev_b32_e32 v49, 27, v0
	v_and_b32_e32 v2, v2, v3
	v_not_b32_e32 v3, v49
	;; [unrolled: 8-line block ×3, first 2 shown]
	v_cmp_gt_i64_e32 vcc, 0, v[48:49]
	v_ashrrev_i32_e32 v3, 31, v3
	v_and_b32_e32 v1, v1, v23
	v_xor_b32_e32 v23, vcc_hi, v3
	v_xor_b32_e32 v3, vcc_lo, v3
	v_lshlrev_b32_e32 v49, 25, v0
	v_and_b32_e32 v2, v2, v3
	v_cmp_gt_i64_e32 vcc, 0, v[48:49]
	v_not_b32_e32 v3, v49
	v_lshlrev_b32_e32 v49, 24, v0
	v_ashrrev_i32_e32 v3, 31, v3
	v_not_b32_e32 v0, v49
	v_and_b32_e32 v1, v1, v23
	v_xor_b32_e32 v23, vcc_hi, v3
	v_xor_b32_e32 v3, vcc_lo, v3
	v_cmp_gt_i64_e32 vcc, 0, v[48:49]
	v_ashrrev_i32_e32 v0, 31, v0
	v_and_b32_e32 v2, v2, v3
	v_xor_b32_e32 v3, vcc_hi, v0
	v_xor_b32_e32 v0, vcc_lo, v0
	v_and_b32_e32 v1, v1, v23
	v_and_b32_e32 v0, v2, v0
	;; [unrolled: 1-line block ×3, first 2 shown]
	v_mbcnt_lo_u32_b32 v2, v0, 0
	v_mbcnt_hi_u32_b32 v23, v1, v2
	v_cmp_eq_u32_e32 vcc, 0, v23
	v_cmp_ne_u64_e64 s[46:47], 0, v[0:1]
	s_and_b64 s[60:61], s[46:47], vcc
	; wave barrier
	s_and_saveexec_b64 s[46:47], s[60:61]
	s_cbranch_execz .LBB185_81
; %bb.80:                               ;   in Loop: Header=BB185_67 Depth=1
	v_bcnt_u32_b32 v0, v0, 0
	v_bcnt_u32_b32 v0, v1, v0
	s_waitcnt lgkmcnt(0)
	v_add_u32_e32 v0, v21, v0
	ds_write_b32 v22, v0
.LBB185_81:                             ;   in Loop: Header=BB185_67 Depth=1
	s_or_b64 exec, exec, s[46:47]
	v_cmp_ne_u64_e32 vcc, s[54:55], v[50:51]
	v_cndmask_b32_e32 v1, v72, v51, vcc
	v_cndmask_b32_e32 v0, -1, v50, vcc
	v_lshrrev_b64 v[0:1], s48, v[0:1]
	v_and_b32_e32 v0, s59, v0
	v_lshlrev_b32_e32 v1, 3, v0
	v_add_lshl_u32 v1, v1, v74, 2
	; wave barrier
	v_add_u32_e32 v25, 32, v1
	ds_read_b32 v24, v1 offset:32
	v_and_b32_e32 v1, 1, v0
	v_add_co_u32_e32 v2, vcc, -1, v1
	v_addc_co_u32_e64 v3, s[46:47], 0, -1, vcc
	v_cmp_ne_u32_e32 vcc, 0, v1
	v_lshlrev_b32_e32 v49, 30, v0
	v_xor_b32_e32 v1, vcc_hi, v3
	v_not_b32_e32 v3, v49
	v_xor_b32_e32 v2, vcc_lo, v2
	v_cmp_gt_i64_e32 vcc, 0, v[48:49]
	v_ashrrev_i32_e32 v3, 31, v3
	v_and_b32_e32 v2, exec_lo, v2
	v_xor_b32_e32 v26, vcc_hi, v3
	v_xor_b32_e32 v3, vcc_lo, v3
	v_lshlrev_b32_e32 v49, 29, v0
	v_and_b32_e32 v2, v2, v3
	v_not_b32_e32 v3, v49
	v_and_b32_e32 v1, exec_hi, v1
	v_cmp_gt_i64_e32 vcc, 0, v[48:49]
	v_ashrrev_i32_e32 v3, 31, v3
	v_and_b32_e32 v1, v1, v26
	v_xor_b32_e32 v26, vcc_hi, v3
	v_xor_b32_e32 v3, vcc_lo, v3
	v_lshlrev_b32_e32 v49, 28, v0
	v_and_b32_e32 v2, v2, v3
	v_not_b32_e32 v3, v49
	v_cmp_gt_i64_e32 vcc, 0, v[48:49]
	v_ashrrev_i32_e32 v3, 31, v3
	v_and_b32_e32 v1, v1, v26
	v_xor_b32_e32 v26, vcc_hi, v3
	v_xor_b32_e32 v3, vcc_lo, v3
	v_lshlrev_b32_e32 v49, 27, v0
	v_and_b32_e32 v2, v2, v3
	v_not_b32_e32 v3, v49
	;; [unrolled: 8-line block ×3, first 2 shown]
	v_cmp_gt_i64_e32 vcc, 0, v[48:49]
	v_ashrrev_i32_e32 v3, 31, v3
	v_and_b32_e32 v1, v1, v26
	v_xor_b32_e32 v26, vcc_hi, v3
	v_xor_b32_e32 v3, vcc_lo, v3
	v_lshlrev_b32_e32 v49, 25, v0
	v_and_b32_e32 v2, v2, v3
	v_cmp_gt_i64_e32 vcc, 0, v[48:49]
	v_not_b32_e32 v3, v49
	v_lshlrev_b32_e32 v49, 24, v0
	v_ashrrev_i32_e32 v3, 31, v3
	v_not_b32_e32 v0, v49
	v_and_b32_e32 v1, v1, v26
	v_xor_b32_e32 v26, vcc_hi, v3
	v_xor_b32_e32 v3, vcc_lo, v3
	v_cmp_gt_i64_e32 vcc, 0, v[48:49]
	v_ashrrev_i32_e32 v0, 31, v0
	v_and_b32_e32 v2, v2, v3
	v_xor_b32_e32 v3, vcc_hi, v0
	v_xor_b32_e32 v0, vcc_lo, v0
	v_and_b32_e32 v1, v1, v26
	v_and_b32_e32 v0, v2, v0
	;; [unrolled: 1-line block ×3, first 2 shown]
	v_mbcnt_lo_u32_b32 v2, v0, 0
	v_mbcnt_hi_u32_b32 v26, v1, v2
	v_cmp_eq_u32_e32 vcc, 0, v26
	v_cmp_ne_u64_e64 s[46:47], 0, v[0:1]
	s_and_b64 s[60:61], s[46:47], vcc
	; wave barrier
	s_and_saveexec_b64 s[46:47], s[60:61]
	s_cbranch_execz .LBB185_83
; %bb.82:                               ;   in Loop: Header=BB185_67 Depth=1
	v_bcnt_u32_b32 v0, v0, 0
	v_bcnt_u32_b32 v0, v1, v0
	s_waitcnt lgkmcnt(0)
	v_add_u32_e32 v0, v24, v0
	ds_write_b32 v25, v0
.LBB185_83:                             ;   in Loop: Header=BB185_67 Depth=1
	s_or_b64 exec, exec, s[46:47]
	; wave barrier
	s_waitcnt lgkmcnt(0)
	s_barrier
	ds_read2_b32 v[2:3], v112 offset0:8 offset1:9
	ds_read2_b32 v[0:1], v73 offset0:2 offset1:3
	s_waitcnt lgkmcnt(1)
	v_add_u32_e32 v27, v3, v2
	s_waitcnt lgkmcnt(0)
	v_add3_u32 v1, v27, v0, v1
	s_nop 1
	v_mov_b32_dpp v27, v1 row_shr:1 row_mask:0xf bank_mask:0xf
	v_cndmask_b32_e64 v27, v27, 0, s[16:17]
	v_add_u32_e32 v1, v27, v1
	s_nop 1
	v_mov_b32_dpp v27, v1 row_shr:2 row_mask:0xf bank_mask:0xf
	v_cndmask_b32_e64 v27, 0, v27, s[18:19]
	v_add_u32_e32 v1, v1, v27
	;; [unrolled: 4-line block ×4, first 2 shown]
	s_nop 1
	v_mov_b32_dpp v27, v1 row_bcast:15 row_mask:0xf bank_mask:0xf
	v_cndmask_b32_e64 v27, v27, 0, s[24:25]
	v_add_u32_e32 v1, v1, v27
	s_nop 1
	v_mov_b32_dpp v27, v1 row_bcast:31 row_mask:0xf bank_mask:0xf
	v_cndmask_b32_e64 v27, 0, v27, s[26:27]
	v_add_u32_e32 v1, v1, v27
	s_and_saveexec_b64 s[46:47], s[28:29]
	s_cbranch_execz .LBB185_85
; %bb.84:                               ;   in Loop: Header=BB185_67 Depth=1
	ds_write_b32 v70, v1
.LBB185_85:                             ;   in Loop: Header=BB185_67 Depth=1
	s_or_b64 exec, exec, s[46:47]
	s_waitcnt lgkmcnt(0)
	s_barrier
	s_and_saveexec_b64 s[46:47], s[30:31]
	s_cbranch_execz .LBB185_87
; %bb.86:                               ;   in Loop: Header=BB185_67 Depth=1
	ds_read_b32 v27, v69
	s_waitcnt lgkmcnt(0)
	s_nop 0
	v_mov_b32_dpp v28, v27 row_shr:1 row_mask:0xf bank_mask:0xf
	v_cndmask_b32_e64 v28, v28, 0, s[40:41]
	v_add_u32_e32 v27, v28, v27
	s_nop 1
	v_mov_b32_dpp v28, v27 row_shr:2 row_mask:0xf bank_mask:0xf
	v_cndmask_b32_e64 v28, 0, v28, s[42:43]
	v_add_u32_e32 v27, v27, v28
	;; [unrolled: 4-line block ×3, first 2 shown]
	ds_write_b32 v69, v27
.LBB185_87:                             ;   in Loop: Header=BB185_67 Depth=1
	s_or_b64 exec, exec, s[46:47]
	v_mov_b32_e32 v27, 0
	s_waitcnt lgkmcnt(0)
	s_barrier
	s_and_saveexec_b64 s[46:47], s[34:35]
	s_cbranch_execz .LBB185_89
; %bb.88:                               ;   in Loop: Header=BB185_67 Depth=1
	ds_read_b32 v27, v76
.LBB185_89:                             ;   in Loop: Header=BB185_67 Depth=1
	s_or_b64 exec, exec, s[46:47]
	s_waitcnt lgkmcnt(0)
	v_add_u32_e32 v1, v27, v1
	ds_bpermute_b32 v1, v75, v1
	s_cmp_gt_u32 s48, 55
	s_waitcnt lgkmcnt(0)
	v_cndmask_b32_e64 v1, v1, v27, s[36:37]
	v_cndmask_b32_e64 v1, v1, 0, s[38:39]
	v_add_u32_e32 v2, v1, v2
	v_add_u32_e32 v3, v2, v3
	;; [unrolled: 1-line block ×3, first 2 shown]
	ds_write2_b32 v112, v1, v2 offset0:8 offset1:9
	ds_write2_b32 v73, v3, v0 offset0:2 offset1:3
	s_waitcnt lgkmcnt(0)
	s_barrier
	ds_read_b32 v0, v4
	ds_read_b32 v1, v7
	;; [unrolled: 1-line block ×8, first 2 shown]
	s_waitcnt lgkmcnt(7)
	v_add_u32_e32 v84, v0, v5
	s_waitcnt lgkmcnt(6)
	v_add3_u32 v83, v8, v6, v1
	s_waitcnt lgkmcnt(5)
	v_add3_u32 v82, v11, v9, v2
	;; [unrolled: 2-line block ×7, first 2 shown]
	s_cbranch_scc0 .LBB185_66
; %bb.90:
                                        ; implicit-def: $vgpr14_vgpr15
                                        ; implicit-def: $vgpr10_vgpr11
                                        ; implicit-def: $vgpr6_vgpr7
                                        ; implicit-def: $vgpr2_vgpr3
                                        ; implicit-def: $vgpr30_vgpr31
                                        ; implicit-def: $vgpr26_vgpr27
                                        ; implicit-def: $vgpr22_vgpr23
                                        ; implicit-def: $vgpr18_vgpr19
                                        ; implicit-def: $sgpr48_sgpr49
                                        ; implicit-def: $sgpr57
.LBB185_91:
	v_lshlrev_b32_e32 v16, 3, v84
	v_lshlrev_b32_e32 v17, 3, v83
	;; [unrolled: 1-line block ×9, first 2 shown]
	s_barrier
	ds_write_b64 v16, v[64:65]
	ds_write_b64 v17, v[62:63]
	;; [unrolled: 1-line block ×8, first 2 shown]
	s_waitcnt lgkmcnt(0)
	s_barrier
	ds_read2_b64 v[0:3], v24 offset1:1
	ds_read2_b64 v[4:7], v24 offset0:2 offset1:3
	ds_read2_b64 v[8:11], v24 offset0:4 offset1:5
	;; [unrolled: 1-line block ×3, first 2 shown]
	s_waitcnt lgkmcnt(0)
	s_barrier
	ds_write_b64 v16, v[46:47]
	ds_write_b64 v17, v[44:45]
	;; [unrolled: 1-line block ×8, first 2 shown]
	v_ashrrev_i32_e32 v18, 31, v1
	v_not_b32_e32 v18, v18
	v_cmp_gt_i64_e32 vcc, 0, v[0:1]
	v_xor_b32_e32 v0, v18, v0
	v_ashrrev_i32_e32 v18, 31, v3
	v_bfrev_b32_e32 v16, -2
	v_not_b32_e32 v18, v18
	v_cndmask_b32_e64 v17, v16, 0, vcc
	v_cmp_gt_i64_e32 vcc, 0, v[2:3]
	v_xor_b32_e32 v2, v18, v2
	v_ashrrev_i32_e32 v18, 31, v5
	v_not_b32_e32 v18, v18
	v_xor_b32_e32 v1, v17, v1
	v_cndmask_b32_e64 v17, v16, 0, vcc
	v_cmp_gt_i64_e32 vcc, 0, v[4:5]
	v_xor_b32_e32 v4, v18, v4
	v_ashrrev_i32_e32 v18, 31, v7
	s_waitcnt lgkmcnt(0)
	s_barrier
	ds_read2_b64 v[50:53], v24 offset1:1
	ds_read2_b64 v[54:57], v24 offset0:2 offset1:3
	ds_read2_b64 v[58:61], v24 offset0:4 offset1:5
	;; [unrolled: 1-line block ×3, first 2 shown]
	v_xor_b32_e32 v3, v17, v3
	v_cndmask_b32_e64 v17, v16, 0, vcc
	v_cmp_gt_i64_e32 vcc, 0, v[6:7]
	v_not_b32_e32 v18, v18
	v_xor_b32_e32 v5, v17, v5
	v_cndmask_b32_e64 v17, v16, 0, vcc
	v_xor_b32_e32 v6, v18, v6
	v_cmp_gt_i64_e32 vcc, 0, v[8:9]
	v_ashrrev_i32_e32 v18, 31, v9
	v_xor_b32_e32 v7, v17, v7
	v_cndmask_b32_e64 v17, v16, 0, vcc
	v_not_b32_e32 v18, v18
	v_cmp_gt_i64_e32 vcc, 0, v[10:11]
	v_xor_b32_e32 v9, v17, v9
	v_xor_b32_e32 v8, v18, v8
	v_cndmask_b32_e64 v17, v16, 0, vcc
	v_ashrrev_i32_e32 v18, 31, v11
	v_cmp_gt_i64_e32 vcc, 0, v[12:13]
	v_not_b32_e32 v18, v18
	v_xor_b32_e32 v11, v17, v11
	v_cndmask_b32_e64 v17, v16, 0, vcc
	v_xor_b32_e32 v10, v18, v10
	v_ashrrev_i32_e32 v18, 31, v13
	v_xor_b32_e32 v13, v17, v13
	v_cmp_gt_i64_e32 vcc, 0, v[14:15]
	v_ashrrev_i32_e32 v17, 31, v15
	v_not_b32_e32 v18, v18
	v_cndmask_b32_e64 v16, v16, 0, vcc
	v_not_b32_e32 v17, v17
	v_xor_b32_e32 v12, v18, v12
	v_xor_b32_e32 v15, v16, v15
	;; [unrolled: 1-line block ×3, first 2 shown]
.LBB185_92:
	s_waitcnt lgkmcnt(0)
	s_barrier
	ds_write2_b64 v111, v[0:1], v[2:3] offset1:1
	ds_write2_b64 v111, v[4:5], v[6:7] offset0:2 offset1:3
	ds_write2_b64 v111, v[8:9], v[10:11] offset0:4 offset1:5
	;; [unrolled: 1-line block ×3, first 2 shown]
	s_waitcnt lgkmcnt(0)
	s_barrier
	ds_read_b64 v[14:15], v104 offset:4096
	ds_read_b64 v[12:13], v105 offset:8192
	;; [unrolled: 1-line block ×7, first 2 shown]
	v_mov_b32_e32 v67, 0
	v_lshlrev_b64 v[2:3], 3, v[66:67]
	v_mov_b32_e32 v16, s51
	v_add_co_u32_e32 v2, vcc, s33, v2
	v_addc_co_u32_e32 v3, vcc, v16, v3, vcc
	s_and_saveexec_b64 s[16:17], s[0:1]
	s_cbranch_execnz .LBB185_111
; %bb.93:
	s_or_b64 exec, exec, s[16:17]
	s_and_saveexec_b64 s[16:17], s[2:3]
	s_cbranch_execnz .LBB185_112
.LBB185_94:
	s_or_b64 exec, exec, s[16:17]
	s_and_saveexec_b64 s[16:17], s[4:5]
	s_cbranch_execnz .LBB185_113
.LBB185_95:
	s_or_b64 exec, exec, s[16:17]
	s_and_saveexec_b64 s[16:17], s[6:7]
	s_cbranch_execnz .LBB185_114
.LBB185_96:
	s_or_b64 exec, exec, s[16:17]
	s_and_saveexec_b64 s[16:17], s[8:9]
	s_cbranch_execnz .LBB185_115
.LBB185_97:
	s_or_b64 exec, exec, s[16:17]
	s_and_saveexec_b64 s[16:17], s[10:11]
	s_cbranch_execnz .LBB185_116
.LBB185_98:
	s_or_b64 exec, exec, s[16:17]
	s_and_saveexec_b64 s[16:17], s[12:13]
	s_cbranch_execnz .LBB185_117
.LBB185_99:
	s_or_b64 exec, exec, s[16:17]
	s_and_saveexec_b64 s[16:17], s[14:15]
	s_cbranch_execz .LBB185_101
.LBB185_100:
	s_mul_i32 s18, s50, 0xe00
	s_mov_b32 s19, 0
	s_lshl_b64 s[18:19], s[18:19], 3
	s_waitcnt lgkmcnt(1)
	v_mov_b32_e32 v4, s19
	v_add_co_u32_e32 v2, vcc, s18, v2
	v_addc_co_u32_e32 v3, vcc, v3, v4, vcc
	s_waitcnt lgkmcnt(0)
	global_store_dwordx2 v[2:3], v[0:1], off
.LBB185_101:
	s_or_b64 exec, exec, s[16:17]
	s_waitcnt lgkmcnt(0)
	s_barrier
	ds_write2_b64 v111, v[50:51], v[52:53] offset1:1
	ds_write2_b64 v111, v[54:55], v[56:57] offset0:2 offset1:3
	ds_write2_b64 v111, v[58:59], v[60:61] offset0:4 offset1:5
	ds_write2_b64 v111, v[62:63], v[64:65] offset0:6 offset1:7
	s_waitcnt lgkmcnt(0)
	s_barrier
	ds_read_b64 v[14:15], v104 offset:4096
	ds_read_b64 v[12:13], v105 offset:8192
	;; [unrolled: 1-line block ×7, first 2 shown]
	v_mov_b32_e32 v69, 0
	v_lshlrev_b64 v[2:3], 3, v[68:69]
	v_mov_b32_e32 v16, s58
	v_add_co_u32_e32 v2, vcc, s53, v2
	v_addc_co_u32_e32 v3, vcc, v16, v3, vcc
	s_and_saveexec_b64 s[16:17], s[0:1]
	s_cbranch_execnz .LBB185_118
; %bb.102:
	s_or_b64 exec, exec, s[16:17]
	s_and_saveexec_b64 s[0:1], s[2:3]
	s_cbranch_execnz .LBB185_119
.LBB185_103:
	s_or_b64 exec, exec, s[0:1]
	s_and_saveexec_b64 s[0:1], s[4:5]
	s_cbranch_execnz .LBB185_120
.LBB185_104:
	s_or_b64 exec, exec, s[0:1]
	s_and_saveexec_b64 s[0:1], s[6:7]
	s_cbranch_execnz .LBB185_121
.LBB185_105:
	s_or_b64 exec, exec, s[0:1]
	s_and_saveexec_b64 s[0:1], s[8:9]
	s_cbranch_execnz .LBB185_122
.LBB185_106:
	s_or_b64 exec, exec, s[0:1]
	s_and_saveexec_b64 s[0:1], s[10:11]
	s_cbranch_execnz .LBB185_123
.LBB185_107:
	s_or_b64 exec, exec, s[0:1]
	s_and_saveexec_b64 s[0:1], s[12:13]
	s_cbranch_execnz .LBB185_124
.LBB185_108:
	s_or_b64 exec, exec, s[0:1]
	s_and_saveexec_b64 s[0:1], s[14:15]
	s_cbranch_execz .LBB185_110
.LBB185_109:
	s_mul_i32 s0, s52, 0xe00
	s_mov_b32 s1, 0
	s_lshl_b64 s[0:1], s[0:1], 3
	s_waitcnt lgkmcnt(1)
	v_mov_b32_e32 v4, s1
	v_add_co_u32_e32 v2, vcc, s0, v2
	v_addc_co_u32_e32 v3, vcc, v3, v4, vcc
	s_waitcnt lgkmcnt(0)
	global_store_dwordx2 v[2:3], v[0:1], off
.LBB185_110:
	s_endpgm
.LBB185_111:
	ds_read_b64 v[16:17], v71
	s_waitcnt lgkmcnt(0)
	global_store_dwordx2 v[2:3], v[16:17], off
	s_or_b64 exec, exec, s[16:17]
	s_and_saveexec_b64 s[16:17], s[2:3]
	s_cbranch_execz .LBB185_94
.LBB185_112:
	s_lshl_b32 s18, s50, 9
	s_mov_b32 s19, 0
	s_lshl_b64 s[18:19], s[18:19], 3
	v_mov_b32_e32 v17, s19
	v_add_co_u32_e32 v16, vcc, s18, v2
	v_addc_co_u32_e32 v17, vcc, v3, v17, vcc
	s_waitcnt lgkmcnt(6)
	global_store_dwordx2 v[16:17], v[14:15], off
	s_or_b64 exec, exec, s[16:17]
	s_and_saveexec_b64 s[16:17], s[4:5]
	s_cbranch_execz .LBB185_95
.LBB185_113:
	s_lshl_b32 s18, s50, 10
	s_mov_b32 s19, 0
	s_lshl_b64 s[18:19], s[18:19], 3
	s_waitcnt lgkmcnt(6)
	v_mov_b32_e32 v15, s19
	v_add_co_u32_e32 v14, vcc, s18, v2
	v_addc_co_u32_e32 v15, vcc, v3, v15, vcc
	s_waitcnt lgkmcnt(5)
	global_store_dwordx2 v[14:15], v[12:13], off
	s_or_b64 exec, exec, s[16:17]
	s_and_saveexec_b64 s[16:17], s[6:7]
	s_cbranch_execz .LBB185_96
.LBB185_114:
	s_mul_i32 s18, s50, 0x600
	s_mov_b32 s19, 0
	s_lshl_b64 s[18:19], s[18:19], 3
	s_waitcnt lgkmcnt(5)
	v_mov_b32_e32 v13, s19
	v_add_co_u32_e32 v12, vcc, s18, v2
	v_addc_co_u32_e32 v13, vcc, v3, v13, vcc
	s_waitcnt lgkmcnt(4)
	global_store_dwordx2 v[12:13], v[10:11], off
	s_or_b64 exec, exec, s[16:17]
	s_and_saveexec_b64 s[16:17], s[8:9]
	s_cbranch_execz .LBB185_97
.LBB185_115:
	s_lshl_b32 s18, s50, 11
	s_mov_b32 s19, 0
	s_lshl_b64 s[18:19], s[18:19], 3
	s_waitcnt lgkmcnt(4)
	v_mov_b32_e32 v11, s19
	v_add_co_u32_e32 v10, vcc, s18, v2
	v_addc_co_u32_e32 v11, vcc, v3, v11, vcc
	s_waitcnt lgkmcnt(3)
	global_store_dwordx2 v[10:11], v[8:9], off
	s_or_b64 exec, exec, s[16:17]
	s_and_saveexec_b64 s[16:17], s[10:11]
	s_cbranch_execz .LBB185_98
.LBB185_116:
	s_mul_i32 s18, s50, 0xa00
	s_mov_b32 s19, 0
	s_lshl_b64 s[18:19], s[18:19], 3
	s_waitcnt lgkmcnt(3)
	v_mov_b32_e32 v9, s19
	v_add_co_u32_e32 v8, vcc, s18, v2
	v_addc_co_u32_e32 v9, vcc, v3, v9, vcc
	s_waitcnt lgkmcnt(2)
	global_store_dwordx2 v[8:9], v[6:7], off
	s_or_b64 exec, exec, s[16:17]
	s_and_saveexec_b64 s[16:17], s[12:13]
	s_cbranch_execz .LBB185_99
.LBB185_117:
	s_mul_i32 s18, s50, 0xc00
	s_mov_b32 s19, 0
	s_lshl_b64 s[18:19], s[18:19], 3
	s_waitcnt lgkmcnt(2)
	v_mov_b32_e32 v7, s19
	v_add_co_u32_e32 v6, vcc, s18, v2
	v_addc_co_u32_e32 v7, vcc, v3, v7, vcc
	s_waitcnt lgkmcnt(1)
	global_store_dwordx2 v[6:7], v[4:5], off
	s_or_b64 exec, exec, s[16:17]
	s_and_saveexec_b64 s[16:17], s[14:15]
	s_cbranch_execnz .LBB185_100
	s_branch .LBB185_101
.LBB185_118:
	ds_read_b64 v[16:17], v71
	s_waitcnt lgkmcnt(0)
	global_store_dwordx2 v[2:3], v[16:17], off
	s_or_b64 exec, exec, s[16:17]
	s_and_saveexec_b64 s[0:1], s[2:3]
	s_cbranch_execz .LBB185_103
.LBB185_119:
	s_lshl_b32 s2, s52, 9
	s_mov_b32 s3, 0
	s_lshl_b64 s[2:3], s[2:3], 3
	v_mov_b32_e32 v17, s3
	v_add_co_u32_e32 v16, vcc, s2, v2
	v_addc_co_u32_e32 v17, vcc, v3, v17, vcc
	s_waitcnt lgkmcnt(6)
	global_store_dwordx2 v[16:17], v[14:15], off
	s_or_b64 exec, exec, s[0:1]
	s_and_saveexec_b64 s[0:1], s[4:5]
	s_cbranch_execz .LBB185_104
.LBB185_120:
	s_lshl_b32 s2, s52, 10
	s_mov_b32 s3, 0
	s_lshl_b64 s[2:3], s[2:3], 3
	s_waitcnt lgkmcnt(6)
	v_mov_b32_e32 v15, s3
	v_add_co_u32_e32 v14, vcc, s2, v2
	v_addc_co_u32_e32 v15, vcc, v3, v15, vcc
	s_waitcnt lgkmcnt(5)
	global_store_dwordx2 v[14:15], v[12:13], off
	s_or_b64 exec, exec, s[0:1]
	s_and_saveexec_b64 s[0:1], s[6:7]
	s_cbranch_execz .LBB185_105
.LBB185_121:
	s_mul_i32 s2, s52, 0x600
	s_mov_b32 s3, 0
	s_lshl_b64 s[2:3], s[2:3], 3
	s_waitcnt lgkmcnt(5)
	v_mov_b32_e32 v13, s3
	v_add_co_u32_e32 v12, vcc, s2, v2
	v_addc_co_u32_e32 v13, vcc, v3, v13, vcc
	s_waitcnt lgkmcnt(4)
	global_store_dwordx2 v[12:13], v[10:11], off
	s_or_b64 exec, exec, s[0:1]
	s_and_saveexec_b64 s[0:1], s[8:9]
	s_cbranch_execz .LBB185_106
.LBB185_122:
	s_lshl_b32 s2, s52, 11
	s_mov_b32 s3, 0
	s_lshl_b64 s[2:3], s[2:3], 3
	s_waitcnt lgkmcnt(4)
	v_mov_b32_e32 v11, s3
	v_add_co_u32_e32 v10, vcc, s2, v2
	v_addc_co_u32_e32 v11, vcc, v3, v11, vcc
	s_waitcnt lgkmcnt(3)
	global_store_dwordx2 v[10:11], v[8:9], off
	s_or_b64 exec, exec, s[0:1]
	s_and_saveexec_b64 s[0:1], s[10:11]
	s_cbranch_execz .LBB185_107
.LBB185_123:
	s_mul_i32 s2, s52, 0xa00
	s_mov_b32 s3, 0
	s_lshl_b64 s[2:3], s[2:3], 3
	s_waitcnt lgkmcnt(3)
	v_mov_b32_e32 v9, s3
	v_add_co_u32_e32 v8, vcc, s2, v2
	v_addc_co_u32_e32 v9, vcc, v3, v9, vcc
	s_waitcnt lgkmcnt(2)
	global_store_dwordx2 v[8:9], v[6:7], off
	s_or_b64 exec, exec, s[0:1]
	s_and_saveexec_b64 s[0:1], s[12:13]
	s_cbranch_execz .LBB185_108
.LBB185_124:
	s_mul_i32 s2, s52, 0xc00
	s_mov_b32 s3, 0
	s_lshl_b64 s[2:3], s[2:3], 3
	s_waitcnt lgkmcnt(2)
	v_mov_b32_e32 v7, s3
	v_add_co_u32_e32 v6, vcc, s2, v2
	v_addc_co_u32_e32 v7, vcc, v3, v7, vcc
	s_waitcnt lgkmcnt(1)
	global_store_dwordx2 v[6:7], v[4:5], off
	s_or_b64 exec, exec, s[0:1]
	s_and_saveexec_b64 s[0:1], s[14:15]
	s_cbranch_execnz .LBB185_109
	s_branch .LBB185_110
	.section	.rodata,"a",@progbits
	.p2align	6, 0x0
	.amdhsa_kernel _ZN2at6native18radixSortKVInPlaceILi2ELin1ELi512ELi8EdljEEvNS_4cuda6detail10TensorInfoIT3_T5_EES6_S6_S6_NS4_IT4_S6_EES6_b
		.amdhsa_group_segment_fixed_size 33792
		.amdhsa_private_segment_fixed_size 0
		.amdhsa_kernarg_size 712
		.amdhsa_user_sgpr_count 6
		.amdhsa_user_sgpr_private_segment_buffer 1
		.amdhsa_user_sgpr_dispatch_ptr 0
		.amdhsa_user_sgpr_queue_ptr 0
		.amdhsa_user_sgpr_kernarg_segment_ptr 1
		.amdhsa_user_sgpr_dispatch_id 0
		.amdhsa_user_sgpr_flat_scratch_init 0
		.amdhsa_user_sgpr_kernarg_preload_length 0
		.amdhsa_user_sgpr_kernarg_preload_offset 0
		.amdhsa_user_sgpr_private_segment_size 0
		.amdhsa_uses_dynamic_stack 0
		.amdhsa_system_sgpr_private_segment_wavefront_offset 0
		.amdhsa_system_sgpr_workgroup_id_x 1
		.amdhsa_system_sgpr_workgroup_id_y 1
		.amdhsa_system_sgpr_workgroup_id_z 1
		.amdhsa_system_sgpr_workgroup_info 0
		.amdhsa_system_vgpr_workitem_id 2
		.amdhsa_next_free_vgpr 139
		.amdhsa_next_free_sgpr 64
		.amdhsa_accum_offset 140
		.amdhsa_reserve_vcc 1
		.amdhsa_reserve_flat_scratch 0
		.amdhsa_float_round_mode_32 0
		.amdhsa_float_round_mode_16_64 0
		.amdhsa_float_denorm_mode_32 3
		.amdhsa_float_denorm_mode_16_64 3
		.amdhsa_dx10_clamp 1
		.amdhsa_ieee_mode 1
		.amdhsa_fp16_overflow 0
		.amdhsa_tg_split 0
		.amdhsa_exception_fp_ieee_invalid_op 0
		.amdhsa_exception_fp_denorm_src 0
		.amdhsa_exception_fp_ieee_div_zero 0
		.amdhsa_exception_fp_ieee_overflow 0
		.amdhsa_exception_fp_ieee_underflow 0
		.amdhsa_exception_fp_ieee_inexact 0
		.amdhsa_exception_int_div_zero 0
	.end_amdhsa_kernel
	.section	.text._ZN2at6native18radixSortKVInPlaceILi2ELin1ELi512ELi8EdljEEvNS_4cuda6detail10TensorInfoIT3_T5_EES6_S6_S6_NS4_IT4_S6_EES6_b,"axG",@progbits,_ZN2at6native18radixSortKVInPlaceILi2ELin1ELi512ELi8EdljEEvNS_4cuda6detail10TensorInfoIT3_T5_EES6_S6_S6_NS4_IT4_S6_EES6_b,comdat
.Lfunc_end185:
	.size	_ZN2at6native18radixSortKVInPlaceILi2ELin1ELi512ELi8EdljEEvNS_4cuda6detail10TensorInfoIT3_T5_EES6_S6_S6_NS4_IT4_S6_EES6_b, .Lfunc_end185-_ZN2at6native18radixSortKVInPlaceILi2ELin1ELi512ELi8EdljEEvNS_4cuda6detail10TensorInfoIT3_T5_EES6_S6_S6_NS4_IT4_S6_EES6_b
                                        ; -- End function
	.section	.AMDGPU.csdata,"",@progbits
; Kernel info:
; codeLenInByte = 13984
; NumSgprs: 68
; NumVgprs: 139
; NumAgprs: 0
; TotalNumVgprs: 139
; ScratchSize: 0
; MemoryBound: 0
; FloatMode: 240
; IeeeMode: 1
; LDSByteSize: 33792 bytes/workgroup (compile time only)
; SGPRBlocks: 8
; VGPRBlocks: 17
; NumSGPRsForWavesPerEU: 68
; NumVGPRsForWavesPerEU: 139
; AccumOffset: 140
; Occupancy: 2
; WaveLimiterHint : 1
; COMPUTE_PGM_RSRC2:SCRATCH_EN: 0
; COMPUTE_PGM_RSRC2:USER_SGPR: 6
; COMPUTE_PGM_RSRC2:TRAP_HANDLER: 0
; COMPUTE_PGM_RSRC2:TGID_X_EN: 1
; COMPUTE_PGM_RSRC2:TGID_Y_EN: 1
; COMPUTE_PGM_RSRC2:TGID_Z_EN: 1
; COMPUTE_PGM_RSRC2:TIDIG_COMP_CNT: 2
; COMPUTE_PGM_RSRC3_GFX90A:ACCUM_OFFSET: 34
; COMPUTE_PGM_RSRC3_GFX90A:TG_SPLIT: 0
	.section	.text._ZN2at6native18radixSortKVInPlaceILi2ELin1ELi256ELi8EdljEEvNS_4cuda6detail10TensorInfoIT3_T5_EES6_S6_S6_NS4_IT4_S6_EES6_b,"axG",@progbits,_ZN2at6native18radixSortKVInPlaceILi2ELin1ELi256ELi8EdljEEvNS_4cuda6detail10TensorInfoIT3_T5_EES6_S6_S6_NS4_IT4_S6_EES6_b,comdat
	.protected	_ZN2at6native18radixSortKVInPlaceILi2ELin1ELi256ELi8EdljEEvNS_4cuda6detail10TensorInfoIT3_T5_EES6_S6_S6_NS4_IT4_S6_EES6_b ; -- Begin function _ZN2at6native18radixSortKVInPlaceILi2ELin1ELi256ELi8EdljEEvNS_4cuda6detail10TensorInfoIT3_T5_EES6_S6_S6_NS4_IT4_S6_EES6_b
	.globl	_ZN2at6native18radixSortKVInPlaceILi2ELin1ELi256ELi8EdljEEvNS_4cuda6detail10TensorInfoIT3_T5_EES6_S6_S6_NS4_IT4_S6_EES6_b
	.p2align	8
	.type	_ZN2at6native18radixSortKVInPlaceILi2ELin1ELi256ELi8EdljEEvNS_4cuda6detail10TensorInfoIT3_T5_EES6_S6_S6_NS4_IT4_S6_EES6_b,@function
_ZN2at6native18radixSortKVInPlaceILi2ELin1ELi256ELi8EdljEEvNS_4cuda6detail10TensorInfoIT3_T5_EES6_S6_S6_NS4_IT4_S6_EES6_b: ; @_ZN2at6native18radixSortKVInPlaceILi2ELin1ELi256ELi8EdljEEvNS_4cuda6detail10TensorInfoIT3_T5_EES6_S6_S6_NS4_IT4_S6_EES6_b
; %bb.0:
	s_load_dwordx2 s[0:1], s[4:5], 0x1c8
	s_load_dwordx4 s[44:47], s[4:5], 0xd8
	s_add_u32 s50, s4, 0x1c8
	s_addc_u32 s51, s5, 0
	s_waitcnt lgkmcnt(0)
	s_mul_i32 s1, s1, s8
	s_add_i32 s1, s1, s7
	s_mul_i32 s8, s1, s0
	s_add_i32 s8, s8, s6
	s_cmp_ge_u32 s8, s44
	s_cbranch_scc1 .LBB186_110
; %bb.1:
	s_load_dword s9, s[4:5], 0xc
	s_load_dwordx2 s[0:1], s[4:5], 0x6c
	s_load_dword s6, s[4:5], 0x1b8
	s_add_u32 s22, s4, 0xe8
	s_load_dwordx2 s[2:3], s[4:5], 0x0
	s_waitcnt lgkmcnt(0)
	v_cvt_f32_u32_e32 v1, s9
	s_addc_u32 s23, s5, 0
	s_sub_i32 s7, 0, s9
	s_mov_b32 s21, 0
	v_rcp_iflag_f32_e32 v1, v1
	s_mov_b32 s20, s8
	v_mul_f32_e32 v1, 0x4f7ffffe, v1
	v_cvt_u32_f32_e32 v1, v1
	v_readfirstlane_b32 s10, v1
	s_mul_i32 s7, s7, s10
	s_mul_hi_u32 s7, s10, s7
	s_add_i32 s10, s10, s7
	s_mul_hi_u32 s10, s8, s10
	s_cmp_lt_i32 s6, 2
	s_cbranch_scc1 .LBB186_4
; %bb.2:
	s_add_i32 s20, s6, -1
	s_add_i32 s11, s6, 1
	s_lshl_b64 s[6:7], s[20:21], 2
	s_add_u32 s6, s6, s22
	s_addc_u32 s7, s7, s23
	s_add_u32 s6, s6, 8
	s_addc_u32 s7, s7, 0
	s_mov_b32 s20, s8
.LBB186_3:                              ; =>This Inner Loop Header: Depth=1
	s_load_dword s12, s[6:7], 0x0
	s_load_dword s14, s[6:7], 0x64
	s_mov_b32 s13, s20
	s_waitcnt lgkmcnt(0)
	v_cvt_f32_u32_e32 v1, s12
	s_sub_i32 s15, 0, s12
	v_rcp_iflag_f32_e32 v1, v1
	v_mul_f32_e32 v1, 0x4f7ffffe, v1
	v_cvt_u32_f32_e32 v1, v1
	v_readfirstlane_b32 s16, v1
	s_mul_i32 s15, s15, s16
	s_mul_hi_u32 s15, s16, s15
	s_add_i32 s16, s16, s15
	s_mul_hi_u32 s15, s20, s16
	s_mul_i32 s16, s15, s12
	s_sub_i32 s16, s20, s16
	s_add_i32 s17, s15, 1
	s_sub_i32 s18, s16, s12
	s_cmp_ge_u32 s16, s12
	s_cselect_b32 s15, s17, s15
	s_cselect_b32 s16, s18, s16
	s_add_i32 s17, s15, 1
	s_cmp_ge_u32 s16, s12
	s_cselect_b32 s20, s17, s15
	s_mul_i32 s12, s20, s12
	s_sub_i32 s12, s13, s12
	s_mul_i32 s12, s14, s12
	s_add_i32 s11, s11, -1
	s_add_i32 s21, s12, s21
	s_add_u32 s6, s6, -4
	s_addc_u32 s7, s7, -1
	s_cmp_gt_u32 s11, 2
	s_cbranch_scc1 .LBB186_3
.LBB186_4:
	s_mul_i32 s6, s10, s9
	s_sub_i32 s6, s8, s6
	s_add_i32 s7, s10, 1
	s_sub_i32 s11, s6, s9
	s_cmp_ge_u32 s6, s9
	s_cselect_b32 s7, s7, s10
	s_cselect_b32 s6, s11, s6
	s_add_i32 s10, s7, 1
	s_cmp_ge_u32 s6, s9
	s_cselect_b32 s6, s10, s7
	s_load_dwordx2 s[48:49], s[4:5], 0x1c0
	s_mul_i32 s7, s6, s9
	s_sub_i32 s4, s8, s7
	s_mul_i32 s4, s4, s1
	s_mul_i32 s0, s6, s0
	s_add_i32 s0, s0, s4
	s_waitcnt lgkmcnt(0)
	s_bitcmp1_b32 s49, 0
	s_cselect_b64 s[34:35], -1, 0
	s_and_b64 s[6:7], s[34:35], exec
	s_mov_b32 s1, 0
	s_mov_b32 s4, -1
	s_cselect_b32 s5, -1, 0x7fffffff
	s_lshl_b64 s[0:1], s[0:1], 3
	s_add_u32 s33, s2, s0
	v_and_b32_e32 v70, 0x3ff, v0
	s_mov_b32 s6, s4
	s_mov_b32 s7, s5
	;; [unrolled: 1-line block ×14, first 2 shown]
	v_pk_mov_b32 v[2:3], s[4:5], s[4:5] op_sel:[0,1]
	s_addc_u32 s47, s3, s1
	v_cmp_gt_u32_e64 s[0:1], s45, v70
	v_pk_mov_b32 v[4:5], s[6:7], s[6:7] op_sel:[0,1]
	v_pk_mov_b32 v[6:7], s[8:9], s[8:9] op_sel:[0,1]
	v_pk_mov_b32 v[8:9], s[10:11], s[10:11] op_sel:[0,1]
	v_pk_mov_b32 v[10:11], s[12:13], s[12:13] op_sel:[0,1]
	v_pk_mov_b32 v[12:13], s[14:15], s[14:15] op_sel:[0,1]
	v_pk_mov_b32 v[14:15], s[16:17], s[16:17] op_sel:[0,1]
	v_pk_mov_b32 v[16:17], s[18:19], s[18:19] op_sel:[0,1]
	v_pk_mov_b32 v[18:19], s[4:5], s[4:5] op_sel:[0,1]
	v_mul_lo_u32 v66, v70, s46
	s_and_saveexec_b64 s[2:3], s[0:1]
	s_cbranch_execz .LBB186_6
; %bb.5:
	v_mov_b32_e32 v67, 0
	v_lshlrev_b64 v[2:3], 3, v[66:67]
	v_mov_b32_e32 v1, s47
	v_add_co_u32_e32 v2, vcc, s33, v2
	v_addc_co_u32_e32 v3, vcc, v1, v3, vcc
	global_load_dwordx2 v[18:19], v[2:3], off
	v_pk_mov_b32 v[2:3], s[4:5], s[4:5] op_sel:[0,1]
	v_pk_mov_b32 v[4:5], s[6:7], s[6:7] op_sel:[0,1]
	;; [unrolled: 1-line block ×8, first 2 shown]
.LBB186_6:
	s_or_b64 exec, exec, s[2:3]
	v_add_u32_e32 v1, 0x100, v70
	v_cmp_gt_u32_e64 s[2:3], s45, v1
	s_and_saveexec_b64 s[4:5], s[2:3]
	s_cbranch_execz .LBB186_8
; %bb.7:
	v_mul_lo_u32 v2, v1, s46
	v_mov_b32_e32 v3, 0
	v_lshlrev_b64 v[2:3], 3, v[2:3]
	v_mov_b32_e32 v4, s47
	v_add_co_u32_e32 v2, vcc, s33, v2
	v_addc_co_u32_e32 v3, vcc, v4, v3, vcc
	global_load_dwordx2 v[4:5], v[2:3], off
.LBB186_8:
	s_or_b64 exec, exec, s[4:5]
	v_add_u32_e32 v34, 0x200, v70
	v_cmp_gt_u32_e64 s[4:5], s45, v34
	s_and_saveexec_b64 s[6:7], s[4:5]
	s_cbranch_execz .LBB186_10
; %bb.9:
	v_mul_lo_u32 v2, v34, s46
	v_mov_b32_e32 v3, 0
	v_lshlrev_b64 v[2:3], 3, v[2:3]
	v_mov_b32_e32 v6, s47
	v_add_co_u32_e32 v2, vcc, s33, v2
	v_addc_co_u32_e32 v3, vcc, v6, v3, vcc
	global_load_dwordx2 v[6:7], v[2:3], off
.LBB186_10:
	;; [unrolled: 14-line block ×3, first 2 shown]
	s_or_b64 exec, exec, s[8:9]
	v_or_b32_e32 v36, 0x400, v70
	v_cmp_gt_u32_e64 s[8:9], s45, v36
	s_and_saveexec_b64 s[10:11], s[8:9]
	s_cbranch_execz .LBB186_14
; %bb.13:
	v_mul_lo_u32 v2, v36, s46
	v_mov_b32_e32 v3, 0
	v_lshlrev_b64 v[2:3], 3, v[2:3]
	v_mov_b32_e32 v10, s47
	v_add_co_u32_e32 v2, vcc, s33, v2
	v_addc_co_u32_e32 v3, vcc, v10, v3, vcc
	global_load_dwordx2 v[10:11], v[2:3], off
.LBB186_14:
	s_or_b64 exec, exec, s[10:11]
	v_add_u32_e32 v37, 0x500, v70
	v_cmp_gt_u32_e64 s[10:11], s45, v37
	s_and_saveexec_b64 s[12:13], s[10:11]
	s_cbranch_execz .LBB186_16
; %bb.15:
	v_mul_lo_u32 v2, v37, s46
	v_mov_b32_e32 v3, 0
	v_lshlrev_b64 v[2:3], 3, v[2:3]
	v_mov_b32_e32 v12, s47
	v_add_co_u32_e32 v2, vcc, s33, v2
	v_addc_co_u32_e32 v3, vcc, v12, v3, vcc
	global_load_dwordx2 v[12:13], v[2:3], off
.LBB186_16:
	s_or_b64 exec, exec, s[12:13]
	s_load_dwordx2 s[18:19], s[22:23], 0x0
	v_add_u32_e32 v38, 0x600, v70
	v_cmp_gt_u32_e64 s[12:13], s45, v38
	s_and_saveexec_b64 s[14:15], s[12:13]
	s_cbranch_execz .LBB186_18
; %bb.17:
	v_mul_lo_u32 v2, v38, s46
	v_mov_b32_e32 v3, 0
	v_lshlrev_b64 v[2:3], 3, v[2:3]
	v_mov_b32_e32 v14, s47
	v_add_co_u32_e32 v2, vcc, s33, v2
	v_addc_co_u32_e32 v3, vcc, v14, v3, vcc
	global_load_dwordx2 v[14:15], v[2:3], off
.LBB186_18:
	s_or_b64 exec, exec, s[14:15]
	s_load_dword s22, s[22:23], 0x6c
	v_add_u32_e32 v39, 0x700, v70
	v_cmp_gt_u32_e64 s[14:15], s45, v39
	s_and_saveexec_b64 s[16:17], s[14:15]
	s_cbranch_execz .LBB186_20
; %bb.19:
	v_mul_lo_u32 v2, v39, s46
	v_mov_b32_e32 v3, 0
	v_lshlrev_b64 v[2:3], 3, v[2:3]
	v_mov_b32_e32 v16, s47
	v_add_co_u32_e32 v2, vcc, s33, v2
	v_addc_co_u32_e32 v3, vcc, v16, v3, vcc
	global_load_dwordx2 v[16:17], v[2:3], off
.LBB186_20:
	s_or_b64 exec, exec, s[16:17]
	v_lshrrev_b32_e32 v2, 5, v70
	v_add_lshl_u32 v71, v2, v70, 3
	v_lshrrev_b32_e32 v2, 5, v1
	v_add_lshl_u32 v104, v2, v70, 3
	v_lshrrev_b32_e32 v2, 5, v34
	v_add_lshl_u32 v105, v2, v70, 3
	v_lshrrev_b32_e32 v2, 5, v35
	v_add_lshl_u32 v106, v2, v70, 3
	v_lshrrev_b32_e32 v2, 5, v36
	v_add_lshl_u32 v107, v2, v70, 3
	v_lshrrev_b32_e32 v2, 5, v37
	v_add_lshl_u32 v108, v2, v70, 3
	v_lshrrev_b32_e32 v2, 5, v38
	v_add_lshl_u32 v109, v2, v70, 3
	v_lshrrev_b32_e32 v2, 5, v39
	v_add_lshl_u32 v110, v2, v70, 3
	v_lshlrev_b32_e32 v67, 3, v70
	v_lshrrev_b32_e32 v2, 2, v70
	v_add_lshl_u32 v111, v2, v67, 3
	s_waitcnt vmcnt(0)
	ds_write_b64 v71, v[18:19]
	ds_write_b64 v104, v[4:5] offset:2048
	ds_write_b64 v105, v[6:7] offset:4096
	;; [unrolled: 1-line block ×7, first 2 shown]
	s_waitcnt lgkmcnt(0)
	s_barrier
	ds_read2_b64 v[30:33], v111 offset1:1
	ds_read2_b64 v[26:29], v111 offset0:2 offset1:3
	ds_read2_b64 v[22:25], v111 offset0:4 offset1:5
	;; [unrolled: 1-line block ×3, first 2 shown]
	s_mul_i32 s16, s22, s20
	s_add_i32 s16, s16, s21
	s_mov_b32 s17, 0
	s_lshl_b64 s[20:21], s[16:17], 3
	s_add_u32 s49, s18, s20
	s_mov_b32 s16, s17
	s_addc_u32 s56, s19, s21
	s_mov_b32 s18, s17
	s_mov_b32 s19, s17
	;; [unrolled: 1-line block ×14, first 2 shown]
	v_pk_mov_b32 v[2:3], s[16:17], s[16:17] op_sel:[0,1]
	v_pk_mov_b32 v[4:5], s[18:19], s[18:19] op_sel:[0,1]
	;; [unrolled: 1-line block ×8, first 2 shown]
	v_pk_mov_b32 v[2:3], 0, 0
	v_mul_lo_u32 v68, v70, s48
	s_waitcnt lgkmcnt(0)
	s_barrier
	s_and_saveexec_b64 s[16:17], s[0:1]
	s_cbranch_execnz .LBB186_57
; %bb.21:
	s_or_b64 exec, exec, s[16:17]
	s_and_saveexec_b64 s[16:17], s[2:3]
	s_cbranch_execnz .LBB186_58
.LBB186_22:
	s_or_b64 exec, exec, s[16:17]
	s_and_saveexec_b64 s[16:17], s[4:5]
	s_cbranch_execnz .LBB186_59
.LBB186_23:
	s_or_b64 exec, exec, s[16:17]
	s_and_saveexec_b64 s[16:17], s[6:7]
	s_cbranch_execnz .LBB186_60
.LBB186_24:
	s_or_b64 exec, exec, s[16:17]
	s_and_saveexec_b64 s[16:17], s[8:9]
	s_cbranch_execnz .LBB186_61
.LBB186_25:
	s_or_b64 exec, exec, s[16:17]
	s_and_saveexec_b64 s[16:17], s[10:11]
	s_cbranch_execnz .LBB186_62
.LBB186_26:
	s_or_b64 exec, exec, s[16:17]
	s_and_saveexec_b64 s[16:17], s[12:13]
	s_cbranch_execnz .LBB186_63
.LBB186_27:
	s_or_b64 exec, exec, s[16:17]
	s_xor_b64 s[16:17], s[34:35], -1
	s_and_saveexec_b64 s[18:19], s[14:15]
	s_cbranch_execz .LBB186_29
.LBB186_28:
	v_mul_lo_u32 v16, v39, s48
	v_mov_b32_e32 v17, 0
	v_lshlrev_b64 v[16:17], 3, v[16:17]
	v_mov_b32_e32 v1, s56
	v_add_co_u32_e32 v16, vcc, s49, v16
	v_addc_co_u32_e32 v17, vcc, v1, v17, vcc
	global_load_dwordx2 v[16:17], v[16:17], off
.LBB186_29:
	s_or_b64 exec, exec, s[18:19]
	s_waitcnt vmcnt(0)
	ds_write_b64 v71, v[2:3]
	ds_write_b64 v104, v[4:5] offset:2048
	ds_write_b64 v105, v[6:7] offset:4096
	;; [unrolled: 1-line block ×7, first 2 shown]
	s_waitcnt lgkmcnt(0)
	s_barrier
	ds_read2_b64 v[46:49], v111 offset1:1
	ds_read2_b64 v[42:45], v111 offset0:2 offset1:3
	ds_read2_b64 v[38:41], v111 offset0:4 offset1:5
	;; [unrolled: 1-line block ×3, first 2 shown]
	s_and_b64 vcc, exec, s[16:17]
	v_bfe_u32 v114, v0, 10, 10
	v_bfe_u32 v115, v0, 20, 10
	v_ashrrev_i32_e32 v124, 31, v31
	v_ashrrev_i32_e32 v123, 31, v33
	;; [unrolled: 1-line block ×8, first 2 shown]
	v_mbcnt_lo_u32_b32 v116, -1, 0
	v_lshlrev_b32_e32 v69, 2, v70
	v_lshlrev_b32_e32 v112, 4, v70
	v_cmp_gt_u32_e64 s[16:17], 4, v70
	v_cmp_lt_u32_e64 s[18:19], 63, v70
	v_cmp_eq_u32_e64 s[20:21], 0, v70
	v_lshrrev_b32_e32 v113, 4, v70
	s_waitcnt lgkmcnt(0)
	s_barrier
	s_cbranch_vccz .LBB186_64
; %bb.30:
	v_bfrev_b32_e32 v125, 1
	v_cmp_lt_i64_e32 vcc, -1, v[30:31]
	v_cndmask_b32_e32 v0, -1, v125, vcc
	v_cmp_lt_i64_e32 vcc, -1, v[32:33]
	v_cndmask_b32_e32 v2, -1, v125, vcc
	;; [unrolled: 2-line block ×7, first 2 shown]
	v_cmp_lt_i64_e32 vcc, -1, v[20:21]
	v_mbcnt_hi_u32_b32 v72, -1, v116
	v_and_b32_e32 v73, 0x3c0, v70
	v_xor_b32_e32 v1, v0, v31
	v_xor_b32_e32 v0, v124, v30
	;; [unrolled: 1-line block ×4, first 2 shown]
	v_cndmask_b32_e32 v14, -1, v125, vcc
	v_add_lshl_u32 v16, v72, v73, 6
	v_and_b32_e32 v74, 0x1e00, v67
	v_xor_b32_e32 v5, v4, v27
	v_xor_b32_e32 v4, v122, v26
	;; [unrolled: 1-line block ×12, first 2 shown]
	ds_write2_b64 v16, v[0:1], v[2:3] offset1:1
	ds_write2_b64 v16, v[4:5], v[6:7] offset0:2 offset1:3
	ds_write2_b64 v16, v[8:9], v[10:11] offset0:4 offset1:5
	;; [unrolled: 1-line block ×3, first 2 shown]
	v_or_b32_e32 v0, v72, v74
	v_lshlrev_b32_e32 v17, 3, v0
	; wave barrier
	ds_read2st64_b64 v[0:3], v17 offset1:1
	ds_read2st64_b64 v[4:7], v17 offset0:2 offset1:3
	ds_read2st64_b64 v[8:11], v17 offset0:4 offset1:5
	;; [unrolled: 1-line block ×3, first 2 shown]
	; wave barrier
	ds_write2_b64 v16, v[46:47], v[48:49] offset1:1
	ds_write2_b64 v16, v[42:43], v[44:45] offset0:2 offset1:3
	ds_write2_b64 v16, v[38:39], v[40:41] offset0:4 offset1:5
	;; [unrolled: 1-line block ×3, first 2 shown]
	; wave barrier
	ds_read2st64_b64 v[50:53], v17 offset1:1
	ds_read2st64_b64 v[54:57], v17 offset0:2 offset1:3
	ds_read2st64_b64 v[58:61], v17 offset0:4 offset1:5
	;; [unrolled: 1-line block ×3, first 2 shown]
	s_waitcnt lgkmcnt(0)
	s_barrier
	s_load_dword s24, s[50:51], 0xc
	s_getpc_b64 s[22:23]
	s_add_u32 s22, s22, _ZN7rocprim17ROCPRIM_400000_NS16block_radix_sortIdLj256ELj8ElLj1ELj1ELj0ELNS0_26block_radix_rank_algorithmE1ELNS0_18block_padding_hintE2ELNS0_4arch9wavefront6targetE1EE19radix_bits_per_passE@rel32@lo+4
	s_addc_u32 s23, s23, _ZN7rocprim17ROCPRIM_400000_NS16block_radix_sortIdLj256ELj8ElLj1ELj1ELj0ELNS0_26block_radix_rank_algorithmE1ELNS0_18block_padding_hintE2ELNS0_4arch9wavefront6targetE1EE19radix_bits_per_passE@rel32@hi+12
	s_load_dword s57, s[22:23], 0x0
	s_mov_b32 s52, -1
	v_and_b32_e32 v129, 60, v113
	s_waitcnt lgkmcnt(0)
	s_lshr_b32 s22, s24, 16
	s_and_b32 s23, s24, 0xffff
	v_mad_u32_u24 v16, v115, s22, v114
	v_mad_u64_u32 v[16:17], s[22:23], v16, s23, v[70:71]
	v_lshrrev_b32_e32 v127, 6, v16
	v_and_b32_e32 v16, 15, v72
	v_cmp_eq_u32_e64 s[22:23], 0, v16
	v_cmp_lt_u32_e64 s[24:25], 1, v16
	v_cmp_lt_u32_e64 s[26:27], 3, v16
	;; [unrolled: 1-line block ×3, first 2 shown]
	v_and_b32_e32 v16, 16, v72
	v_cmp_eq_u32_e64 s[30:31], 0, v16
	v_min_u32_e32 v16, 0xc0, v73
	v_or_b32_e32 v16, 63, v16
	v_cmp_eq_u32_e64 s[36:37], v16, v70
	v_add_u32_e32 v16, -1, v72
	v_and_b32_e32 v17, 64, v72
	v_cmp_lt_i32_e32 vcc, v16, v17
	v_cndmask_b32_e32 v16, v16, v72, vcc
	v_lshlrev_b32_e32 v128, 2, v16
	v_and_b32_e32 v16, 3, v72
	v_cmp_eq_u32_e64 s[40:41], 0, v16
	v_cmp_lt_u32_e64 s[42:43], 1, v16
	v_and_or_b32 v16, v72, 63, v74
	s_brev_b32 s53, -2
	v_add_u32_e32 v126, 16, v112
	v_cmp_lt_u32_e64 s[34:35], 31, v72
	s_mov_b32 s58, 64
	v_cmp_eq_u32_e64 s[38:39], 0, v72
	v_add_u32_e32 v130, -4, v129
	v_lshlrev_b32_e32 v131, 3, v16
	s_mov_b64 s[54:55], 0
	v_mov_b32_e32 v86, 0
	s_branch .LBB186_32
.LBB186_31:                             ;   in Loop: Header=BB186_32 Depth=1
	v_lshlrev_b32_e32 v50, 3, v138
	v_lshlrev_b32_e32 v51, 3, v137
	;; [unrolled: 1-line block ×8, first 2 shown]
	s_barrier
	ds_write_b64 v50, v[102:103]
	ds_write_b64 v51, v[100:101]
	;; [unrolled: 1-line block ×8, first 2 shown]
	s_waitcnt lgkmcnt(0)
	s_barrier
	ds_read2st64_b64 v[0:3], v131 offset1:1
	ds_read2st64_b64 v[4:7], v131 offset0:2 offset1:3
	ds_read2st64_b64 v[8:11], v131 offset0:4 offset1:5
	;; [unrolled: 1-line block ×3, first 2 shown]
	s_waitcnt lgkmcnt(0)
	s_barrier
	ds_write_b64 v50, v[84:85]
	ds_write_b64 v51, v[82:83]
	;; [unrolled: 1-line block ×8, first 2 shown]
	s_waitcnt lgkmcnt(0)
	s_barrier
	ds_read2st64_b64 v[50:53], v131 offset1:1
	ds_read2st64_b64 v[54:57], v131 offset0:2 offset1:3
	ds_read2st64_b64 v[58:61], v131 offset0:4 offset1:5
	;; [unrolled: 1-line block ×3, first 2 shown]
	s_add_u32 s54, s54, 8
	s_addc_u32 s55, s55, 0
	s_add_i32 s58, s58, -8
	s_waitcnt lgkmcnt(0)
	s_barrier
	s_cbranch_execz .LBB186_56
.LBB186_32:                             ; =>This Inner Loop Header: Depth=1
	v_pk_mov_b32 v[102:103], v[0:1], v[0:1] op_sel:[0,1]
	s_min_u32 s44, s57, s58
	v_cmp_ne_u64_e32 vcc, s[52:53], v[102:103]
	s_lshl_b32 s44, -1, s44
	v_cndmask_b32_e32 v1, v125, v103, vcc
	v_cndmask_b32_e32 v0, 0, v102, vcc
	s_not_b32 s59, s44
	v_lshrrev_b64 v[0:1], s54, v[0:1]
	v_and_b32_e32 v0, s59, v0
	v_lshl_add_u32 v1, v0, 2, v127
	v_pk_mov_b32 v[98:99], v[4:5], v[4:5] op_sel:[0,1]
	v_lshl_add_u32 v4, v1, 2, 16
	v_and_b32_e32 v1, 1, v0
	v_pk_mov_b32 v[100:101], v[2:3], v[2:3] op_sel:[0,1]
	v_add_co_u32_e32 v2, vcc, -1, v1
	v_addc_co_u32_e64 v3, s[44:45], 0, -1, vcc
	v_cmp_ne_u32_e32 vcc, 0, v1
	v_lshlrev_b32_e32 v87, 30, v0
	v_xor_b32_e32 v1, vcc_hi, v3
	v_not_b32_e32 v3, v87
	v_xor_b32_e32 v2, vcc_lo, v2
	v_cmp_gt_i64_e32 vcc, 0, v[86:87]
	v_ashrrev_i32_e32 v3, 31, v3
	v_and_b32_e32 v2, exec_lo, v2
	v_xor_b32_e32 v5, vcc_hi, v3
	v_xor_b32_e32 v3, vcc_lo, v3
	v_lshlrev_b32_e32 v87, 29, v0
	v_and_b32_e32 v2, v2, v3
	v_not_b32_e32 v3, v87
	v_and_b32_e32 v1, exec_hi, v1
	v_cmp_gt_i64_e32 vcc, 0, v[86:87]
	v_ashrrev_i32_e32 v3, 31, v3
	v_and_b32_e32 v1, v1, v5
	v_xor_b32_e32 v5, vcc_hi, v3
	v_xor_b32_e32 v3, vcc_lo, v3
	v_lshlrev_b32_e32 v87, 28, v0
	v_and_b32_e32 v2, v2, v3
	v_not_b32_e32 v3, v87
	v_cmp_gt_i64_e32 vcc, 0, v[86:87]
	v_ashrrev_i32_e32 v3, 31, v3
	v_and_b32_e32 v1, v1, v5
	v_xor_b32_e32 v5, vcc_hi, v3
	v_xor_b32_e32 v3, vcc_lo, v3
	v_lshlrev_b32_e32 v87, 27, v0
	v_and_b32_e32 v2, v2, v3
	v_not_b32_e32 v3, v87
	;; [unrolled: 8-line block ×3, first 2 shown]
	v_cmp_gt_i64_e32 vcc, 0, v[86:87]
	v_ashrrev_i32_e32 v3, 31, v3
	v_and_b32_e32 v1, v1, v5
	v_xor_b32_e32 v5, vcc_hi, v3
	v_xor_b32_e32 v3, vcc_lo, v3
	v_lshlrev_b32_e32 v87, 25, v0
	v_and_b32_e32 v2, v2, v3
	v_cmp_gt_i64_e32 vcc, 0, v[86:87]
	v_not_b32_e32 v3, v87
	v_lshlrev_b32_e32 v87, 24, v0
	v_ashrrev_i32_e32 v3, 31, v3
	v_not_b32_e32 v0, v87
	v_and_b32_e32 v1, v1, v5
	v_xor_b32_e32 v5, vcc_hi, v3
	v_xor_b32_e32 v3, vcc_lo, v3
	v_cmp_gt_i64_e32 vcc, 0, v[86:87]
	v_ashrrev_i32_e32 v0, 31, v0
	v_and_b32_e32 v2, v2, v3
	v_xor_b32_e32 v3, vcc_hi, v0
	v_xor_b32_e32 v0, vcc_lo, v0
	v_and_b32_e32 v1, v1, v5
	v_and_b32_e32 v0, v2, v0
	;; [unrolled: 1-line block ×3, first 2 shown]
	v_mbcnt_lo_u32_b32 v2, v0, 0
	v_mbcnt_hi_u32_b32 v5, v1, v2
	v_cmp_eq_u32_e32 vcc, 0, v5
	v_cmp_ne_u64_e64 s[44:45], 0, v[0:1]
	v_pk_mov_b32 v[88:89], v[14:15], v[14:15] op_sel:[0,1]
	v_pk_mov_b32 v[90:91], v[12:13], v[12:13] op_sel:[0,1]
	;; [unrolled: 1-line block ×13, first 2 shown]
	s_and_b64 s[60:61], s[44:45], vcc
	ds_write2_b32 v112, v86, v86 offset0:4 offset1:5
	ds_write2_b32 v126, v86, v86 offset0:2 offset1:3
	s_waitcnt lgkmcnt(0)
	s_barrier
	s_waitcnt lgkmcnt(0)
	; wave barrier
	s_and_saveexec_b64 s[44:45], s[60:61]
	s_cbranch_execz .LBB186_34
; %bb.33:                               ;   in Loop: Header=BB186_32 Depth=1
	v_bcnt_u32_b32 v0, v0, 0
	v_bcnt_u32_b32 v0, v1, v0
	ds_write_b32 v4, v0
.LBB186_34:                             ;   in Loop: Header=BB186_32 Depth=1
	s_or_b64 exec, exec, s[44:45]
	v_cmp_ne_u64_e32 vcc, s[52:53], v[100:101]
	v_cndmask_b32_e32 v1, v125, v101, vcc
	v_cndmask_b32_e32 v0, 0, v100, vcc
	v_lshrrev_b64 v[0:1], s54, v[0:1]
	v_and_b32_e32 v0, s59, v0
	v_lshlrev_b32_e32 v1, 2, v0
	v_add_lshl_u32 v1, v1, v127, 2
	; wave barrier
	v_add_u32_e32 v7, 16, v1
	ds_read_b32 v6, v1 offset:16
	v_and_b32_e32 v1, 1, v0
	v_add_co_u32_e32 v2, vcc, -1, v1
	v_addc_co_u32_e64 v3, s[44:45], 0, -1, vcc
	v_cmp_ne_u32_e32 vcc, 0, v1
	v_lshlrev_b32_e32 v87, 30, v0
	v_xor_b32_e32 v1, vcc_hi, v3
	v_not_b32_e32 v3, v87
	v_xor_b32_e32 v2, vcc_lo, v2
	v_cmp_gt_i64_e32 vcc, 0, v[86:87]
	v_ashrrev_i32_e32 v3, 31, v3
	v_and_b32_e32 v2, exec_lo, v2
	v_xor_b32_e32 v8, vcc_hi, v3
	v_xor_b32_e32 v3, vcc_lo, v3
	v_lshlrev_b32_e32 v87, 29, v0
	v_and_b32_e32 v2, v2, v3
	v_not_b32_e32 v3, v87
	v_and_b32_e32 v1, exec_hi, v1
	v_cmp_gt_i64_e32 vcc, 0, v[86:87]
	v_ashrrev_i32_e32 v3, 31, v3
	v_and_b32_e32 v1, v1, v8
	v_xor_b32_e32 v8, vcc_hi, v3
	v_xor_b32_e32 v3, vcc_lo, v3
	v_lshlrev_b32_e32 v87, 28, v0
	v_and_b32_e32 v2, v2, v3
	v_not_b32_e32 v3, v87
	v_cmp_gt_i64_e32 vcc, 0, v[86:87]
	v_ashrrev_i32_e32 v3, 31, v3
	v_and_b32_e32 v1, v1, v8
	v_xor_b32_e32 v8, vcc_hi, v3
	v_xor_b32_e32 v3, vcc_lo, v3
	v_lshlrev_b32_e32 v87, 27, v0
	v_and_b32_e32 v2, v2, v3
	v_not_b32_e32 v3, v87
	;; [unrolled: 8-line block ×3, first 2 shown]
	v_cmp_gt_i64_e32 vcc, 0, v[86:87]
	v_ashrrev_i32_e32 v3, 31, v3
	v_and_b32_e32 v1, v1, v8
	v_xor_b32_e32 v8, vcc_hi, v3
	v_xor_b32_e32 v3, vcc_lo, v3
	v_lshlrev_b32_e32 v87, 25, v0
	v_and_b32_e32 v2, v2, v3
	v_cmp_gt_i64_e32 vcc, 0, v[86:87]
	v_not_b32_e32 v3, v87
	v_lshlrev_b32_e32 v87, 24, v0
	v_ashrrev_i32_e32 v3, 31, v3
	v_not_b32_e32 v0, v87
	v_and_b32_e32 v1, v1, v8
	v_xor_b32_e32 v8, vcc_hi, v3
	v_xor_b32_e32 v3, vcc_lo, v3
	v_cmp_gt_i64_e32 vcc, 0, v[86:87]
	v_ashrrev_i32_e32 v0, 31, v0
	v_and_b32_e32 v2, v2, v3
	v_xor_b32_e32 v3, vcc_hi, v0
	v_xor_b32_e32 v0, vcc_lo, v0
	v_and_b32_e32 v1, v1, v8
	v_and_b32_e32 v0, v2, v0
	v_and_b32_e32 v1, v1, v3
	v_mbcnt_lo_u32_b32 v2, v0, 0
	v_mbcnt_hi_u32_b32 v8, v1, v2
	v_cmp_eq_u32_e32 vcc, 0, v8
	v_cmp_ne_u64_e64 s[44:45], 0, v[0:1]
	s_and_b64 s[60:61], s[44:45], vcc
	; wave barrier
	s_and_saveexec_b64 s[44:45], s[60:61]
	s_cbranch_execz .LBB186_36
; %bb.35:                               ;   in Loop: Header=BB186_32 Depth=1
	v_bcnt_u32_b32 v0, v0, 0
	v_bcnt_u32_b32 v0, v1, v0
	s_waitcnt lgkmcnt(0)
	v_add_u32_e32 v0, v6, v0
	ds_write_b32 v7, v0
.LBB186_36:                             ;   in Loop: Header=BB186_32 Depth=1
	s_or_b64 exec, exec, s[44:45]
	v_cmp_ne_u64_e32 vcc, s[52:53], v[98:99]
	v_cndmask_b32_e32 v1, v125, v99, vcc
	v_cndmask_b32_e32 v0, 0, v98, vcc
	v_lshrrev_b64 v[0:1], s54, v[0:1]
	v_and_b32_e32 v0, s59, v0
	v_lshlrev_b32_e32 v1, 2, v0
	v_add_lshl_u32 v1, v1, v127, 2
	; wave barrier
	v_add_u32_e32 v10, 16, v1
	ds_read_b32 v9, v1 offset:16
	v_and_b32_e32 v1, 1, v0
	v_add_co_u32_e32 v2, vcc, -1, v1
	v_addc_co_u32_e64 v3, s[44:45], 0, -1, vcc
	v_cmp_ne_u32_e32 vcc, 0, v1
	v_lshlrev_b32_e32 v87, 30, v0
	v_xor_b32_e32 v1, vcc_hi, v3
	v_not_b32_e32 v3, v87
	v_xor_b32_e32 v2, vcc_lo, v2
	v_cmp_gt_i64_e32 vcc, 0, v[86:87]
	v_ashrrev_i32_e32 v3, 31, v3
	v_and_b32_e32 v2, exec_lo, v2
	v_xor_b32_e32 v11, vcc_hi, v3
	v_xor_b32_e32 v3, vcc_lo, v3
	v_lshlrev_b32_e32 v87, 29, v0
	v_and_b32_e32 v2, v2, v3
	v_not_b32_e32 v3, v87
	v_and_b32_e32 v1, exec_hi, v1
	v_cmp_gt_i64_e32 vcc, 0, v[86:87]
	v_ashrrev_i32_e32 v3, 31, v3
	v_and_b32_e32 v1, v1, v11
	v_xor_b32_e32 v11, vcc_hi, v3
	v_xor_b32_e32 v3, vcc_lo, v3
	v_lshlrev_b32_e32 v87, 28, v0
	v_and_b32_e32 v2, v2, v3
	v_not_b32_e32 v3, v87
	v_cmp_gt_i64_e32 vcc, 0, v[86:87]
	v_ashrrev_i32_e32 v3, 31, v3
	v_and_b32_e32 v1, v1, v11
	v_xor_b32_e32 v11, vcc_hi, v3
	v_xor_b32_e32 v3, vcc_lo, v3
	v_lshlrev_b32_e32 v87, 27, v0
	v_and_b32_e32 v2, v2, v3
	v_not_b32_e32 v3, v87
	;; [unrolled: 8-line block ×3, first 2 shown]
	v_cmp_gt_i64_e32 vcc, 0, v[86:87]
	v_ashrrev_i32_e32 v3, 31, v3
	v_and_b32_e32 v1, v1, v11
	v_xor_b32_e32 v11, vcc_hi, v3
	v_xor_b32_e32 v3, vcc_lo, v3
	v_lshlrev_b32_e32 v87, 25, v0
	v_and_b32_e32 v2, v2, v3
	v_cmp_gt_i64_e32 vcc, 0, v[86:87]
	v_not_b32_e32 v3, v87
	v_lshlrev_b32_e32 v87, 24, v0
	v_ashrrev_i32_e32 v3, 31, v3
	v_not_b32_e32 v0, v87
	v_and_b32_e32 v1, v1, v11
	v_xor_b32_e32 v11, vcc_hi, v3
	v_xor_b32_e32 v3, vcc_lo, v3
	v_cmp_gt_i64_e32 vcc, 0, v[86:87]
	v_ashrrev_i32_e32 v0, 31, v0
	v_and_b32_e32 v2, v2, v3
	v_xor_b32_e32 v3, vcc_hi, v0
	v_xor_b32_e32 v0, vcc_lo, v0
	v_and_b32_e32 v1, v1, v11
	v_and_b32_e32 v0, v2, v0
	;; [unrolled: 1-line block ×3, first 2 shown]
	v_mbcnt_lo_u32_b32 v2, v0, 0
	v_mbcnt_hi_u32_b32 v11, v1, v2
	v_cmp_eq_u32_e32 vcc, 0, v11
	v_cmp_ne_u64_e64 s[44:45], 0, v[0:1]
	s_and_b64 s[60:61], s[44:45], vcc
	; wave barrier
	s_and_saveexec_b64 s[44:45], s[60:61]
	s_cbranch_execz .LBB186_38
; %bb.37:                               ;   in Loop: Header=BB186_32 Depth=1
	v_bcnt_u32_b32 v0, v0, 0
	v_bcnt_u32_b32 v0, v1, v0
	s_waitcnt lgkmcnt(0)
	v_add_u32_e32 v0, v9, v0
	ds_write_b32 v10, v0
.LBB186_38:                             ;   in Loop: Header=BB186_32 Depth=1
	s_or_b64 exec, exec, s[44:45]
	v_cmp_ne_u64_e32 vcc, s[52:53], v[96:97]
	v_cndmask_b32_e32 v1, v125, v97, vcc
	v_cndmask_b32_e32 v0, 0, v96, vcc
	v_lshrrev_b64 v[0:1], s54, v[0:1]
	v_and_b32_e32 v0, s59, v0
	v_lshlrev_b32_e32 v1, 2, v0
	v_add_lshl_u32 v1, v1, v127, 2
	; wave barrier
	v_add_u32_e32 v13, 16, v1
	ds_read_b32 v12, v1 offset:16
	v_and_b32_e32 v1, 1, v0
	v_add_co_u32_e32 v2, vcc, -1, v1
	v_addc_co_u32_e64 v3, s[44:45], 0, -1, vcc
	v_cmp_ne_u32_e32 vcc, 0, v1
	v_lshlrev_b32_e32 v87, 30, v0
	v_xor_b32_e32 v1, vcc_hi, v3
	v_not_b32_e32 v3, v87
	v_xor_b32_e32 v2, vcc_lo, v2
	v_cmp_gt_i64_e32 vcc, 0, v[86:87]
	v_ashrrev_i32_e32 v3, 31, v3
	v_and_b32_e32 v2, exec_lo, v2
	v_xor_b32_e32 v14, vcc_hi, v3
	v_xor_b32_e32 v3, vcc_lo, v3
	v_lshlrev_b32_e32 v87, 29, v0
	v_and_b32_e32 v2, v2, v3
	v_not_b32_e32 v3, v87
	v_and_b32_e32 v1, exec_hi, v1
	v_cmp_gt_i64_e32 vcc, 0, v[86:87]
	v_ashrrev_i32_e32 v3, 31, v3
	v_and_b32_e32 v1, v1, v14
	v_xor_b32_e32 v14, vcc_hi, v3
	v_xor_b32_e32 v3, vcc_lo, v3
	v_lshlrev_b32_e32 v87, 28, v0
	v_and_b32_e32 v2, v2, v3
	v_not_b32_e32 v3, v87
	v_cmp_gt_i64_e32 vcc, 0, v[86:87]
	v_ashrrev_i32_e32 v3, 31, v3
	v_and_b32_e32 v1, v1, v14
	v_xor_b32_e32 v14, vcc_hi, v3
	v_xor_b32_e32 v3, vcc_lo, v3
	v_lshlrev_b32_e32 v87, 27, v0
	v_and_b32_e32 v2, v2, v3
	v_not_b32_e32 v3, v87
	v_cmp_gt_i64_e32 vcc, 0, v[86:87]
	v_ashrrev_i32_e32 v3, 31, v3
	v_and_b32_e32 v1, v1, v14
	v_xor_b32_e32 v14, vcc_hi, v3
	v_xor_b32_e32 v3, vcc_lo, v3
	v_lshlrev_b32_e32 v87, 26, v0
	v_and_b32_e32 v2, v2, v3
	v_not_b32_e32 v3, v87
	v_cmp_gt_i64_e32 vcc, 0, v[86:87]
	v_ashrrev_i32_e32 v3, 31, v3
	v_and_b32_e32 v1, v1, v14
	v_xor_b32_e32 v14, vcc_hi, v3
	v_xor_b32_e32 v3, vcc_lo, v3
	v_lshlrev_b32_e32 v87, 25, v0
	v_and_b32_e32 v2, v2, v3
	v_cmp_gt_i64_e32 vcc, 0, v[86:87]
	v_not_b32_e32 v3, v87
	v_lshlrev_b32_e32 v87, 24, v0
	v_ashrrev_i32_e32 v3, 31, v3
	v_not_b32_e32 v0, v87
	v_and_b32_e32 v1, v1, v14
	v_xor_b32_e32 v14, vcc_hi, v3
	v_xor_b32_e32 v3, vcc_lo, v3
	v_cmp_gt_i64_e32 vcc, 0, v[86:87]
	v_ashrrev_i32_e32 v0, 31, v0
	v_and_b32_e32 v2, v2, v3
	v_xor_b32_e32 v3, vcc_hi, v0
	v_xor_b32_e32 v0, vcc_lo, v0
	v_and_b32_e32 v1, v1, v14
	v_and_b32_e32 v0, v2, v0
	;; [unrolled: 1-line block ×3, first 2 shown]
	v_mbcnt_lo_u32_b32 v2, v0, 0
	v_mbcnt_hi_u32_b32 v14, v1, v2
	v_cmp_eq_u32_e32 vcc, 0, v14
	v_cmp_ne_u64_e64 s[44:45], 0, v[0:1]
	s_and_b64 s[60:61], s[44:45], vcc
	; wave barrier
	s_and_saveexec_b64 s[44:45], s[60:61]
	s_cbranch_execz .LBB186_40
; %bb.39:                               ;   in Loop: Header=BB186_32 Depth=1
	v_bcnt_u32_b32 v0, v0, 0
	v_bcnt_u32_b32 v0, v1, v0
	s_waitcnt lgkmcnt(0)
	v_add_u32_e32 v0, v12, v0
	ds_write_b32 v13, v0
.LBB186_40:                             ;   in Loop: Header=BB186_32 Depth=1
	s_or_b64 exec, exec, s[44:45]
	v_cmp_ne_u64_e32 vcc, s[52:53], v[94:95]
	v_cndmask_b32_e32 v1, v125, v95, vcc
	v_cndmask_b32_e32 v0, 0, v94, vcc
	v_lshrrev_b64 v[0:1], s54, v[0:1]
	v_and_b32_e32 v0, s59, v0
	v_lshlrev_b32_e32 v1, 2, v0
	v_add_lshl_u32 v1, v1, v127, 2
	; wave barrier
	v_add_u32_e32 v50, 16, v1
	ds_read_b32 v15, v1 offset:16
	v_and_b32_e32 v1, 1, v0
	v_add_co_u32_e32 v2, vcc, -1, v1
	v_addc_co_u32_e64 v3, s[44:45], 0, -1, vcc
	v_cmp_ne_u32_e32 vcc, 0, v1
	v_lshlrev_b32_e32 v87, 30, v0
	v_xor_b32_e32 v1, vcc_hi, v3
	v_not_b32_e32 v3, v87
	v_xor_b32_e32 v2, vcc_lo, v2
	v_cmp_gt_i64_e32 vcc, 0, v[86:87]
	v_ashrrev_i32_e32 v3, 31, v3
	v_and_b32_e32 v2, exec_lo, v2
	v_xor_b32_e32 v51, vcc_hi, v3
	v_xor_b32_e32 v3, vcc_lo, v3
	v_lshlrev_b32_e32 v87, 29, v0
	v_and_b32_e32 v2, v2, v3
	v_not_b32_e32 v3, v87
	v_and_b32_e32 v1, exec_hi, v1
	v_cmp_gt_i64_e32 vcc, 0, v[86:87]
	v_ashrrev_i32_e32 v3, 31, v3
	v_and_b32_e32 v1, v1, v51
	v_xor_b32_e32 v51, vcc_hi, v3
	v_xor_b32_e32 v3, vcc_lo, v3
	v_lshlrev_b32_e32 v87, 28, v0
	v_and_b32_e32 v2, v2, v3
	v_not_b32_e32 v3, v87
	v_cmp_gt_i64_e32 vcc, 0, v[86:87]
	v_ashrrev_i32_e32 v3, 31, v3
	v_and_b32_e32 v1, v1, v51
	v_xor_b32_e32 v51, vcc_hi, v3
	v_xor_b32_e32 v3, vcc_lo, v3
	v_lshlrev_b32_e32 v87, 27, v0
	v_and_b32_e32 v2, v2, v3
	v_not_b32_e32 v3, v87
	;; [unrolled: 8-line block ×3, first 2 shown]
	v_cmp_gt_i64_e32 vcc, 0, v[86:87]
	v_ashrrev_i32_e32 v3, 31, v3
	v_and_b32_e32 v1, v1, v51
	v_xor_b32_e32 v51, vcc_hi, v3
	v_xor_b32_e32 v3, vcc_lo, v3
	v_lshlrev_b32_e32 v87, 25, v0
	v_and_b32_e32 v2, v2, v3
	v_cmp_gt_i64_e32 vcc, 0, v[86:87]
	v_not_b32_e32 v3, v87
	v_lshlrev_b32_e32 v87, 24, v0
	v_ashrrev_i32_e32 v3, 31, v3
	v_not_b32_e32 v0, v87
	v_and_b32_e32 v1, v1, v51
	v_xor_b32_e32 v51, vcc_hi, v3
	v_xor_b32_e32 v3, vcc_lo, v3
	v_cmp_gt_i64_e32 vcc, 0, v[86:87]
	v_ashrrev_i32_e32 v0, 31, v0
	v_and_b32_e32 v2, v2, v3
	v_xor_b32_e32 v3, vcc_hi, v0
	v_xor_b32_e32 v0, vcc_lo, v0
	v_and_b32_e32 v1, v1, v51
	v_and_b32_e32 v0, v2, v0
	;; [unrolled: 1-line block ×3, first 2 shown]
	v_mbcnt_lo_u32_b32 v2, v0, 0
	v_mbcnt_hi_u32_b32 v51, v1, v2
	v_cmp_eq_u32_e32 vcc, 0, v51
	v_cmp_ne_u64_e64 s[44:45], 0, v[0:1]
	s_and_b64 s[60:61], s[44:45], vcc
	; wave barrier
	s_and_saveexec_b64 s[44:45], s[60:61]
	s_cbranch_execz .LBB186_42
; %bb.41:                               ;   in Loop: Header=BB186_32 Depth=1
	v_bcnt_u32_b32 v0, v0, 0
	v_bcnt_u32_b32 v0, v1, v0
	s_waitcnt lgkmcnt(0)
	v_add_u32_e32 v0, v15, v0
	ds_write_b32 v50, v0
.LBB186_42:                             ;   in Loop: Header=BB186_32 Depth=1
	s_or_b64 exec, exec, s[44:45]
	v_cmp_ne_u64_e32 vcc, s[52:53], v[92:93]
	v_cndmask_b32_e32 v1, v125, v93, vcc
	v_cndmask_b32_e32 v0, 0, v92, vcc
	v_lshrrev_b64 v[0:1], s54, v[0:1]
	v_and_b32_e32 v0, s59, v0
	v_lshlrev_b32_e32 v1, 2, v0
	v_add_lshl_u32 v1, v1, v127, 2
	; wave barrier
	v_add_u32_e32 v53, 16, v1
	ds_read_b32 v52, v1 offset:16
	v_and_b32_e32 v1, 1, v0
	v_add_co_u32_e32 v2, vcc, -1, v1
	v_addc_co_u32_e64 v3, s[44:45], 0, -1, vcc
	v_cmp_ne_u32_e32 vcc, 0, v1
	v_lshlrev_b32_e32 v87, 30, v0
	v_xor_b32_e32 v1, vcc_hi, v3
	v_not_b32_e32 v3, v87
	v_xor_b32_e32 v2, vcc_lo, v2
	v_cmp_gt_i64_e32 vcc, 0, v[86:87]
	v_ashrrev_i32_e32 v3, 31, v3
	v_and_b32_e32 v2, exec_lo, v2
	v_xor_b32_e32 v54, vcc_hi, v3
	v_xor_b32_e32 v3, vcc_lo, v3
	v_lshlrev_b32_e32 v87, 29, v0
	v_and_b32_e32 v2, v2, v3
	v_not_b32_e32 v3, v87
	v_and_b32_e32 v1, exec_hi, v1
	v_cmp_gt_i64_e32 vcc, 0, v[86:87]
	v_ashrrev_i32_e32 v3, 31, v3
	v_and_b32_e32 v1, v1, v54
	v_xor_b32_e32 v54, vcc_hi, v3
	v_xor_b32_e32 v3, vcc_lo, v3
	v_lshlrev_b32_e32 v87, 28, v0
	v_and_b32_e32 v2, v2, v3
	v_not_b32_e32 v3, v87
	v_cmp_gt_i64_e32 vcc, 0, v[86:87]
	v_ashrrev_i32_e32 v3, 31, v3
	v_and_b32_e32 v1, v1, v54
	v_xor_b32_e32 v54, vcc_hi, v3
	v_xor_b32_e32 v3, vcc_lo, v3
	v_lshlrev_b32_e32 v87, 27, v0
	v_and_b32_e32 v2, v2, v3
	v_not_b32_e32 v3, v87
	;; [unrolled: 8-line block ×3, first 2 shown]
	v_cmp_gt_i64_e32 vcc, 0, v[86:87]
	v_ashrrev_i32_e32 v3, 31, v3
	v_and_b32_e32 v1, v1, v54
	v_xor_b32_e32 v54, vcc_hi, v3
	v_xor_b32_e32 v3, vcc_lo, v3
	v_lshlrev_b32_e32 v87, 25, v0
	v_and_b32_e32 v2, v2, v3
	v_cmp_gt_i64_e32 vcc, 0, v[86:87]
	v_not_b32_e32 v3, v87
	v_lshlrev_b32_e32 v87, 24, v0
	v_ashrrev_i32_e32 v3, 31, v3
	v_not_b32_e32 v0, v87
	v_and_b32_e32 v1, v1, v54
	v_xor_b32_e32 v54, vcc_hi, v3
	v_xor_b32_e32 v3, vcc_lo, v3
	v_cmp_gt_i64_e32 vcc, 0, v[86:87]
	v_ashrrev_i32_e32 v0, 31, v0
	v_and_b32_e32 v2, v2, v3
	v_xor_b32_e32 v3, vcc_hi, v0
	v_xor_b32_e32 v0, vcc_lo, v0
	v_and_b32_e32 v1, v1, v54
	v_and_b32_e32 v0, v2, v0
	;; [unrolled: 1-line block ×3, first 2 shown]
	v_mbcnt_lo_u32_b32 v2, v0, 0
	v_mbcnt_hi_u32_b32 v54, v1, v2
	v_cmp_eq_u32_e32 vcc, 0, v54
	v_cmp_ne_u64_e64 s[44:45], 0, v[0:1]
	s_and_b64 s[60:61], s[44:45], vcc
	; wave barrier
	s_and_saveexec_b64 s[44:45], s[60:61]
	s_cbranch_execz .LBB186_44
; %bb.43:                               ;   in Loop: Header=BB186_32 Depth=1
	v_bcnt_u32_b32 v0, v0, 0
	v_bcnt_u32_b32 v0, v1, v0
	s_waitcnt lgkmcnt(0)
	v_add_u32_e32 v0, v52, v0
	ds_write_b32 v53, v0
.LBB186_44:                             ;   in Loop: Header=BB186_32 Depth=1
	s_or_b64 exec, exec, s[44:45]
	v_cmp_ne_u64_e32 vcc, s[52:53], v[90:91]
	v_cndmask_b32_e32 v1, v125, v91, vcc
	v_cndmask_b32_e32 v0, 0, v90, vcc
	v_lshrrev_b64 v[0:1], s54, v[0:1]
	v_and_b32_e32 v0, s59, v0
	v_lshlrev_b32_e32 v1, 2, v0
	v_add_lshl_u32 v1, v1, v127, 2
	; wave barrier
	v_add_u32_e32 v56, 16, v1
	ds_read_b32 v55, v1 offset:16
	v_and_b32_e32 v1, 1, v0
	v_add_co_u32_e32 v2, vcc, -1, v1
	v_addc_co_u32_e64 v3, s[44:45], 0, -1, vcc
	v_cmp_ne_u32_e32 vcc, 0, v1
	v_lshlrev_b32_e32 v87, 30, v0
	v_xor_b32_e32 v1, vcc_hi, v3
	v_not_b32_e32 v3, v87
	v_xor_b32_e32 v2, vcc_lo, v2
	v_cmp_gt_i64_e32 vcc, 0, v[86:87]
	v_ashrrev_i32_e32 v3, 31, v3
	v_and_b32_e32 v2, exec_lo, v2
	v_xor_b32_e32 v57, vcc_hi, v3
	v_xor_b32_e32 v3, vcc_lo, v3
	v_lshlrev_b32_e32 v87, 29, v0
	v_and_b32_e32 v2, v2, v3
	v_not_b32_e32 v3, v87
	v_and_b32_e32 v1, exec_hi, v1
	v_cmp_gt_i64_e32 vcc, 0, v[86:87]
	v_ashrrev_i32_e32 v3, 31, v3
	v_and_b32_e32 v1, v1, v57
	v_xor_b32_e32 v57, vcc_hi, v3
	v_xor_b32_e32 v3, vcc_lo, v3
	v_lshlrev_b32_e32 v87, 28, v0
	v_and_b32_e32 v2, v2, v3
	v_not_b32_e32 v3, v87
	v_cmp_gt_i64_e32 vcc, 0, v[86:87]
	v_ashrrev_i32_e32 v3, 31, v3
	v_and_b32_e32 v1, v1, v57
	v_xor_b32_e32 v57, vcc_hi, v3
	v_xor_b32_e32 v3, vcc_lo, v3
	v_lshlrev_b32_e32 v87, 27, v0
	v_and_b32_e32 v2, v2, v3
	v_not_b32_e32 v3, v87
	;; [unrolled: 8-line block ×3, first 2 shown]
	v_cmp_gt_i64_e32 vcc, 0, v[86:87]
	v_ashrrev_i32_e32 v3, 31, v3
	v_and_b32_e32 v1, v1, v57
	v_xor_b32_e32 v57, vcc_hi, v3
	v_xor_b32_e32 v3, vcc_lo, v3
	v_lshlrev_b32_e32 v87, 25, v0
	v_and_b32_e32 v2, v2, v3
	v_cmp_gt_i64_e32 vcc, 0, v[86:87]
	v_not_b32_e32 v3, v87
	v_lshlrev_b32_e32 v87, 24, v0
	v_ashrrev_i32_e32 v3, 31, v3
	v_not_b32_e32 v0, v87
	v_and_b32_e32 v1, v1, v57
	v_xor_b32_e32 v57, vcc_hi, v3
	v_xor_b32_e32 v3, vcc_lo, v3
	v_cmp_gt_i64_e32 vcc, 0, v[86:87]
	v_ashrrev_i32_e32 v0, 31, v0
	v_and_b32_e32 v2, v2, v3
	v_xor_b32_e32 v3, vcc_hi, v0
	v_xor_b32_e32 v0, vcc_lo, v0
	v_and_b32_e32 v1, v1, v57
	v_and_b32_e32 v0, v2, v0
	;; [unrolled: 1-line block ×3, first 2 shown]
	v_mbcnt_lo_u32_b32 v2, v0, 0
	v_mbcnt_hi_u32_b32 v57, v1, v2
	v_cmp_eq_u32_e32 vcc, 0, v57
	v_cmp_ne_u64_e64 s[44:45], 0, v[0:1]
	s_and_b64 s[60:61], s[44:45], vcc
	; wave barrier
	s_and_saveexec_b64 s[44:45], s[60:61]
	s_cbranch_execz .LBB186_46
; %bb.45:                               ;   in Loop: Header=BB186_32 Depth=1
	v_bcnt_u32_b32 v0, v0, 0
	v_bcnt_u32_b32 v0, v1, v0
	s_waitcnt lgkmcnt(0)
	v_add_u32_e32 v0, v55, v0
	ds_write_b32 v56, v0
.LBB186_46:                             ;   in Loop: Header=BB186_32 Depth=1
	s_or_b64 exec, exec, s[44:45]
	v_cmp_ne_u64_e32 vcc, s[52:53], v[88:89]
	v_cndmask_b32_e32 v1, v125, v89, vcc
	v_cndmask_b32_e32 v0, 0, v88, vcc
	v_lshrrev_b64 v[0:1], s54, v[0:1]
	v_and_b32_e32 v0, s59, v0
	v_lshlrev_b32_e32 v1, 2, v0
	v_add_lshl_u32 v1, v1, v127, 2
	; wave barrier
	v_add_u32_e32 v59, 16, v1
	ds_read_b32 v58, v1 offset:16
	v_and_b32_e32 v1, 1, v0
	v_add_co_u32_e32 v2, vcc, -1, v1
	v_addc_co_u32_e64 v3, s[44:45], 0, -1, vcc
	v_cmp_ne_u32_e32 vcc, 0, v1
	v_lshlrev_b32_e32 v87, 30, v0
	v_xor_b32_e32 v1, vcc_hi, v3
	v_not_b32_e32 v3, v87
	v_xor_b32_e32 v2, vcc_lo, v2
	v_cmp_gt_i64_e32 vcc, 0, v[86:87]
	v_ashrrev_i32_e32 v3, 31, v3
	v_and_b32_e32 v2, exec_lo, v2
	v_xor_b32_e32 v60, vcc_hi, v3
	v_xor_b32_e32 v3, vcc_lo, v3
	v_lshlrev_b32_e32 v87, 29, v0
	v_and_b32_e32 v2, v2, v3
	v_not_b32_e32 v3, v87
	v_and_b32_e32 v1, exec_hi, v1
	v_cmp_gt_i64_e32 vcc, 0, v[86:87]
	v_ashrrev_i32_e32 v3, 31, v3
	v_and_b32_e32 v1, v1, v60
	v_xor_b32_e32 v60, vcc_hi, v3
	v_xor_b32_e32 v3, vcc_lo, v3
	v_lshlrev_b32_e32 v87, 28, v0
	v_and_b32_e32 v2, v2, v3
	v_not_b32_e32 v3, v87
	v_cmp_gt_i64_e32 vcc, 0, v[86:87]
	v_ashrrev_i32_e32 v3, 31, v3
	v_and_b32_e32 v1, v1, v60
	v_xor_b32_e32 v60, vcc_hi, v3
	v_xor_b32_e32 v3, vcc_lo, v3
	v_lshlrev_b32_e32 v87, 27, v0
	v_and_b32_e32 v2, v2, v3
	v_not_b32_e32 v3, v87
	;; [unrolled: 8-line block ×3, first 2 shown]
	v_cmp_gt_i64_e32 vcc, 0, v[86:87]
	v_ashrrev_i32_e32 v3, 31, v3
	v_and_b32_e32 v1, v1, v60
	v_xor_b32_e32 v60, vcc_hi, v3
	v_xor_b32_e32 v3, vcc_lo, v3
	v_lshlrev_b32_e32 v87, 25, v0
	v_and_b32_e32 v2, v2, v3
	v_cmp_gt_i64_e32 vcc, 0, v[86:87]
	v_not_b32_e32 v3, v87
	v_lshlrev_b32_e32 v87, 24, v0
	v_ashrrev_i32_e32 v3, 31, v3
	v_not_b32_e32 v0, v87
	v_and_b32_e32 v1, v1, v60
	v_xor_b32_e32 v60, vcc_hi, v3
	v_xor_b32_e32 v3, vcc_lo, v3
	v_cmp_gt_i64_e32 vcc, 0, v[86:87]
	v_ashrrev_i32_e32 v0, 31, v0
	v_and_b32_e32 v2, v2, v3
	v_xor_b32_e32 v3, vcc_hi, v0
	v_xor_b32_e32 v0, vcc_lo, v0
	v_and_b32_e32 v1, v1, v60
	v_and_b32_e32 v0, v2, v0
	;; [unrolled: 1-line block ×3, first 2 shown]
	v_mbcnt_lo_u32_b32 v2, v0, 0
	v_mbcnt_hi_u32_b32 v60, v1, v2
	v_cmp_eq_u32_e32 vcc, 0, v60
	v_cmp_ne_u64_e64 s[44:45], 0, v[0:1]
	s_and_b64 s[60:61], s[44:45], vcc
	; wave barrier
	s_and_saveexec_b64 s[44:45], s[60:61]
	s_cbranch_execz .LBB186_48
; %bb.47:                               ;   in Loop: Header=BB186_32 Depth=1
	v_bcnt_u32_b32 v0, v0, 0
	v_bcnt_u32_b32 v0, v1, v0
	s_waitcnt lgkmcnt(0)
	v_add_u32_e32 v0, v58, v0
	ds_write_b32 v59, v0
.LBB186_48:                             ;   in Loop: Header=BB186_32 Depth=1
	s_or_b64 exec, exec, s[44:45]
	; wave barrier
	s_waitcnt lgkmcnt(0)
	s_barrier
	ds_read2_b32 v[2:3], v112 offset0:4 offset1:5
	ds_read2_b32 v[0:1], v126 offset0:2 offset1:3
	s_waitcnt lgkmcnt(1)
	v_add_u32_e32 v61, v3, v2
	s_waitcnt lgkmcnt(0)
	v_add3_u32 v1, v61, v0, v1
	s_nop 1
	v_mov_b32_dpp v61, v1 row_shr:1 row_mask:0xf bank_mask:0xf
	v_cndmask_b32_e64 v61, v61, 0, s[22:23]
	v_add_u32_e32 v1, v61, v1
	s_nop 1
	v_mov_b32_dpp v61, v1 row_shr:2 row_mask:0xf bank_mask:0xf
	v_cndmask_b32_e64 v61, 0, v61, s[24:25]
	v_add_u32_e32 v1, v1, v61
	;; [unrolled: 4-line block ×4, first 2 shown]
	s_nop 1
	v_mov_b32_dpp v61, v1 row_bcast:15 row_mask:0xf bank_mask:0xf
	v_cndmask_b32_e64 v61, v61, 0, s[30:31]
	v_add_u32_e32 v1, v1, v61
	s_nop 1
	v_mov_b32_dpp v61, v1 row_bcast:31 row_mask:0xf bank_mask:0xf
	v_cndmask_b32_e64 v61, 0, v61, s[34:35]
	v_add_u32_e32 v1, v1, v61
	s_and_saveexec_b64 s[44:45], s[36:37]
	s_cbranch_execz .LBB186_50
; %bb.49:                               ;   in Loop: Header=BB186_32 Depth=1
	ds_write_b32 v129, v1
.LBB186_50:                             ;   in Loop: Header=BB186_32 Depth=1
	s_or_b64 exec, exec, s[44:45]
	s_waitcnt lgkmcnt(0)
	s_barrier
	s_and_saveexec_b64 s[44:45], s[16:17]
	s_cbranch_execz .LBB186_52
; %bb.51:                               ;   in Loop: Header=BB186_32 Depth=1
	ds_read_b32 v61, v69
	s_waitcnt lgkmcnt(0)
	s_nop 0
	v_mov_b32_dpp v62, v61 row_shr:1 row_mask:0xf bank_mask:0xf
	v_cndmask_b32_e64 v62, v62, 0, s[40:41]
	v_add_u32_e32 v61, v62, v61
	s_nop 1
	v_mov_b32_dpp v62, v61 row_shr:2 row_mask:0xf bank_mask:0xf
	v_cndmask_b32_e64 v62, 0, v62, s[42:43]
	v_add_u32_e32 v61, v61, v62
	ds_write_b32 v69, v61
.LBB186_52:                             ;   in Loop: Header=BB186_32 Depth=1
	s_or_b64 exec, exec, s[44:45]
	v_mov_b32_e32 v61, 0
	s_waitcnt lgkmcnt(0)
	s_barrier
	s_and_saveexec_b64 s[44:45], s[18:19]
	s_cbranch_execz .LBB186_54
; %bb.53:                               ;   in Loop: Header=BB186_32 Depth=1
	ds_read_b32 v61, v130
.LBB186_54:                             ;   in Loop: Header=BB186_32 Depth=1
	s_or_b64 exec, exec, s[44:45]
	s_waitcnt lgkmcnt(0)
	v_add_u32_e32 v1, v61, v1
	ds_bpermute_b32 v1, v128, v1
	s_cmp_gt_u32 s54, 55
	s_waitcnt lgkmcnt(0)
	v_cndmask_b32_e64 v1, v1, v61, s[38:39]
	v_cndmask_b32_e64 v1, v1, 0, s[20:21]
	v_add_u32_e32 v2, v1, v2
	v_add_u32_e32 v3, v2, v3
	;; [unrolled: 1-line block ×3, first 2 shown]
	ds_write2_b32 v112, v1, v2 offset0:4 offset1:5
	ds_write2_b32 v126, v3, v0 offset0:2 offset1:3
	s_waitcnt lgkmcnt(0)
	s_barrier
	ds_read_b32 v0, v4
	ds_read_b32 v1, v7
	;; [unrolled: 1-line block ×8, first 2 shown]
	s_waitcnt lgkmcnt(7)
	v_add_u32_e32 v138, v0, v5
	s_waitcnt lgkmcnt(6)
	v_add3_u32 v137, v8, v6, v1
	s_waitcnt lgkmcnt(5)
	v_add3_u32 v136, v11, v9, v2
	s_waitcnt lgkmcnt(4)
	v_add3_u32 v135, v14, v12, v3
	s_waitcnt lgkmcnt(3)
	v_add3_u32 v134, v51, v15, v4
	s_waitcnt lgkmcnt(2)
	v_add3_u32 v132, v54, v52, v7
	s_waitcnt lgkmcnt(1)
	v_add3_u32 v87, v57, v55, v10
	s_waitcnt lgkmcnt(0)
	v_add3_u32 v133, v60, v58, v13
	s_cbranch_scc0 .LBB186_31
; %bb.55:
                                        ; implicit-def: $vgpr14_vgpr15
                                        ; implicit-def: $vgpr10_vgpr11
                                        ; implicit-def: $vgpr6_vgpr7
                                        ; implicit-def: $vgpr2_vgpr3
                                        ; implicit-def: $vgpr64_vgpr65
                                        ; implicit-def: $vgpr60_vgpr61
                                        ; implicit-def: $vgpr56_vgpr57
                                        ; implicit-def: $vgpr52_vgpr53
                                        ; implicit-def: $sgpr54_sgpr55
                                        ; implicit-def: $sgpr58
.LBB186_56:
	v_lshlrev_b32_e32 v50, 3, v138
	v_lshlrev_b32_e32 v51, 3, v137
	;; [unrolled: 1-line block ×9, first 2 shown]
	s_barrier
	ds_write_b64 v50, v[102:103]
	ds_write_b64 v51, v[100:101]
	;; [unrolled: 1-line block ×8, first 2 shown]
	s_waitcnt lgkmcnt(0)
	s_barrier
	ds_read2_b64 v[0:3], v62 offset1:1
	ds_read2_b64 v[4:7], v62 offset0:2 offset1:3
	ds_read2_b64 v[8:11], v62 offset0:4 offset1:5
	;; [unrolled: 1-line block ×3, first 2 shown]
	s_waitcnt lgkmcnt(0)
	s_barrier
	ds_write_b64 v50, v[84:85]
	ds_write_b64 v51, v[82:83]
	;; [unrolled: 1-line block ×8, first 2 shown]
	v_ashrrev_i32_e32 v72, 31, v1
	v_not_b32_e32 v72, v72
	v_cmp_lt_i64_e32 vcc, -1, v[0:1]
	v_xor_b32_e32 v0, v72, v0
	v_ashrrev_i32_e32 v72, 31, v3
	v_bfrev_b32_e32 v16, 1
	v_not_b32_e32 v72, v72
	v_cndmask_b32_e64 v17, v16, -1, vcc
	v_cmp_lt_i64_e32 vcc, -1, v[2:3]
	v_xor_b32_e32 v2, v72, v2
	v_ashrrev_i32_e32 v72, 31, v5
	v_not_b32_e32 v72, v72
	v_xor_b32_e32 v1, v17, v1
	v_cndmask_b32_e64 v17, v16, -1, vcc
	v_cmp_lt_i64_e32 vcc, -1, v[4:5]
	v_xor_b32_e32 v4, v72, v4
	v_ashrrev_i32_e32 v72, 31, v7
	s_waitcnt lgkmcnt(0)
	s_barrier
	ds_read2_b64 v[50:53], v62 offset1:1
	ds_read2_b64 v[54:57], v62 offset0:2 offset1:3
	ds_read2_b64 v[58:61], v62 offset0:4 offset1:5
	;; [unrolled: 1-line block ×3, first 2 shown]
	v_xor_b32_e32 v3, v17, v3
	v_cndmask_b32_e64 v17, v16, -1, vcc
	v_cmp_lt_i64_e32 vcc, -1, v[6:7]
	v_not_b32_e32 v72, v72
	v_xor_b32_e32 v5, v17, v5
	v_cndmask_b32_e64 v17, v16, -1, vcc
	v_xor_b32_e32 v6, v72, v6
	v_cmp_lt_i64_e32 vcc, -1, v[8:9]
	v_ashrrev_i32_e32 v72, 31, v9
	v_xor_b32_e32 v7, v17, v7
	v_cndmask_b32_e64 v17, v16, -1, vcc
	v_not_b32_e32 v72, v72
	v_cmp_lt_i64_e32 vcc, -1, v[10:11]
	v_xor_b32_e32 v9, v17, v9
	v_xor_b32_e32 v8, v72, v8
	v_cndmask_b32_e64 v17, v16, -1, vcc
	v_ashrrev_i32_e32 v72, 31, v11
	v_cmp_lt_i64_e32 vcc, -1, v[12:13]
	v_not_b32_e32 v72, v72
	v_xor_b32_e32 v11, v17, v11
	v_cndmask_b32_e64 v17, v16, -1, vcc
	v_xor_b32_e32 v10, v72, v10
	v_ashrrev_i32_e32 v72, 31, v13
	v_xor_b32_e32 v13, v17, v13
	v_cmp_lt_i64_e32 vcc, -1, v[14:15]
	v_ashrrev_i32_e32 v17, 31, v15
	v_not_b32_e32 v72, v72
	v_cndmask_b32_e64 v16, v16, -1, vcc
	v_not_b32_e32 v17, v17
	v_xor_b32_e32 v12, v72, v12
	v_xor_b32_e32 v15, v16, v15
	v_xor_b32_e32 v14, v17, v14
	s_branch .LBB186_92
.LBB186_57:
	v_mov_b32_e32 v69, 0
	v_lshlrev_b64 v[2:3], 3, v[68:69]
	v_mov_b32_e32 v4, s56
	v_add_co_u32_e32 v2, vcc, s49, v2
	v_addc_co_u32_e32 v3, vcc, v4, v3, vcc
	global_load_dwordx2 v[2:3], v[2:3], off
	v_mov_b32_e32 v4, v69
	v_mov_b32_e32 v5, v69
	;; [unrolled: 1-line block ×14, first 2 shown]
	s_or_b64 exec, exec, s[16:17]
	s_and_saveexec_b64 s[16:17], s[2:3]
	s_cbranch_execz .LBB186_22
.LBB186_58:
	v_mul_lo_u32 v4, v1, s48
	v_mov_b32_e32 v5, 0
	v_lshlrev_b64 v[4:5], 3, v[4:5]
	v_mov_b32_e32 v1, s56
	v_add_co_u32_e32 v4, vcc, s49, v4
	v_addc_co_u32_e32 v5, vcc, v1, v5, vcc
	global_load_dwordx2 v[4:5], v[4:5], off
	s_or_b64 exec, exec, s[16:17]
	s_and_saveexec_b64 s[16:17], s[4:5]
	s_cbranch_execz .LBB186_23
.LBB186_59:
	v_mul_lo_u32 v6, v34, s48
	v_mov_b32_e32 v7, 0
	v_lshlrev_b64 v[6:7], 3, v[6:7]
	v_mov_b32_e32 v1, s56
	v_add_co_u32_e32 v6, vcc, s49, v6
	v_addc_co_u32_e32 v7, vcc, v1, v7, vcc
	global_load_dwordx2 v[6:7], v[6:7], off
	s_or_b64 exec, exec, s[16:17]
	s_and_saveexec_b64 s[16:17], s[6:7]
	s_cbranch_execz .LBB186_24
.LBB186_60:
	v_mul_lo_u32 v8, v35, s48
	v_mov_b32_e32 v9, 0
	v_lshlrev_b64 v[8:9], 3, v[8:9]
	v_mov_b32_e32 v1, s56
	v_add_co_u32_e32 v8, vcc, s49, v8
	v_addc_co_u32_e32 v9, vcc, v1, v9, vcc
	global_load_dwordx2 v[8:9], v[8:9], off
	s_or_b64 exec, exec, s[16:17]
	s_and_saveexec_b64 s[16:17], s[8:9]
	s_cbranch_execz .LBB186_25
.LBB186_61:
	v_mul_lo_u32 v10, v36, s48
	v_mov_b32_e32 v11, 0
	v_lshlrev_b64 v[10:11], 3, v[10:11]
	v_mov_b32_e32 v1, s56
	v_add_co_u32_e32 v10, vcc, s49, v10
	v_addc_co_u32_e32 v11, vcc, v1, v11, vcc
	global_load_dwordx2 v[10:11], v[10:11], off
	s_or_b64 exec, exec, s[16:17]
	s_and_saveexec_b64 s[16:17], s[10:11]
	s_cbranch_execz .LBB186_26
.LBB186_62:
	v_mul_lo_u32 v12, v37, s48
	v_mov_b32_e32 v13, 0
	v_lshlrev_b64 v[12:13], 3, v[12:13]
	v_mov_b32_e32 v1, s56
	v_add_co_u32_e32 v12, vcc, s49, v12
	v_addc_co_u32_e32 v13, vcc, v1, v13, vcc
	global_load_dwordx2 v[12:13], v[12:13], off
	s_or_b64 exec, exec, s[16:17]
	s_and_saveexec_b64 s[16:17], s[12:13]
	s_cbranch_execz .LBB186_27
.LBB186_63:
	v_mul_lo_u32 v14, v38, s48
	v_mov_b32_e32 v15, 0
	v_lshlrev_b64 v[14:15], 3, v[14:15]
	v_mov_b32_e32 v1, s56
	v_add_co_u32_e32 v14, vcc, s49, v14
	v_addc_co_u32_e32 v15, vcc, v1, v15, vcc
	global_load_dwordx2 v[14:15], v[14:15], off
	s_or_b64 exec, exec, s[16:17]
	s_xor_b64 s[16:17], s[34:35], -1
	s_and_saveexec_b64 s[18:19], s[14:15]
	s_cbranch_execnz .LBB186_28
	s_branch .LBB186_29
.LBB186_64:
                                        ; implicit-def: $vgpr64_vgpr65
                                        ; implicit-def: $vgpr60_vgpr61
                                        ; implicit-def: $vgpr56_vgpr57
                                        ; implicit-def: $vgpr52_vgpr53
                                        ; implicit-def: $vgpr0_vgpr1_vgpr2_vgpr3_vgpr4_vgpr5_vgpr6_vgpr7_vgpr8_vgpr9_vgpr10_vgpr11_vgpr12_vgpr13_vgpr14_vgpr15
	s_cbranch_execz .LBB186_92
; %bb.65:
	v_bfrev_b32_e32 v72, -2
	v_cmp_gt_i64_e32 vcc, 0, v[30:31]
	v_cndmask_b32_e64 v0, v72, 0, vcc
	v_not_b32_e32 v2, v124
	v_cmp_gt_i64_e32 vcc, 0, v[32:33]
	v_xor_b32_e32 v1, v0, v31
	v_xor_b32_e32 v0, v2, v30
	v_cndmask_b32_e64 v2, v72, 0, vcc
	v_not_b32_e32 v4, v123
	v_cmp_gt_i64_e32 vcc, 0, v[26:27]
	v_xor_b32_e32 v3, v2, v33
	v_xor_b32_e32 v2, v4, v32
	v_cndmask_b32_e64 v4, v72, 0, vcc
	v_not_b32_e32 v6, v122
	v_cmp_gt_i64_e32 vcc, 0, v[28:29]
	v_xor_b32_e32 v5, v4, v27
	v_xor_b32_e32 v4, v6, v26
	v_cndmask_b32_e64 v6, v72, 0, vcc
	v_not_b32_e32 v8, v121
	v_cmp_gt_i64_e32 vcc, 0, v[22:23]
	v_xor_b32_e32 v7, v6, v29
	v_xor_b32_e32 v6, v8, v28
	v_cndmask_b32_e64 v8, v72, 0, vcc
	v_not_b32_e32 v10, v120
	v_cmp_gt_i64_e32 vcc, 0, v[24:25]
	v_xor_b32_e32 v9, v8, v23
	v_xor_b32_e32 v8, v10, v22
	v_cndmask_b32_e64 v10, v72, 0, vcc
	v_not_b32_e32 v12, v119
	v_cmp_gt_i64_e32 vcc, 0, v[18:19]
	v_xor_b32_e32 v11, v10, v25
	v_xor_b32_e32 v10, v12, v24
	v_cndmask_b32_e64 v12, v72, 0, vcc
	v_not_b32_e32 v14, v118
	v_cmp_gt_i64_e32 vcc, 0, v[20:21]
	v_xor_b32_e32 v13, v12, v19
	v_xor_b32_e32 v12, v14, v18
	v_cndmask_b32_e64 v14, v72, 0, vcc
	v_not_b32_e32 v16, v117
	s_waitcnt lgkmcnt(3)
	v_mbcnt_hi_u32_b32 v50, -1, v116
	v_and_b32_e32 v51, 0x3c0, v70
	v_xor_b32_e32 v15, v14, v21
	v_xor_b32_e32 v14, v16, v20
	v_add_lshl_u32 v16, v50, v51, 6
	v_and_b32_e32 v52, 0x1e00, v67
	ds_write2_b64 v16, v[0:1], v[2:3] offset1:1
	ds_write2_b64 v16, v[4:5], v[6:7] offset0:2 offset1:3
	ds_write2_b64 v16, v[8:9], v[10:11] offset0:4 offset1:5
	;; [unrolled: 1-line block ×3, first 2 shown]
	v_or_b32_e32 v0, v50, v52
	v_lshlrev_b32_e32 v28, 3, v0
	; wave barrier
	ds_read2st64_b64 v[0:3], v28 offset1:1
	ds_read2st64_b64 v[4:7], v28 offset0:2 offset1:3
	ds_read2st64_b64 v[8:11], v28 offset0:4 offset1:5
	;; [unrolled: 1-line block ×3, first 2 shown]
	; wave barrier
	ds_write2_b64 v16, v[46:47], v[48:49] offset1:1
	ds_write2_b64 v16, v[42:43], v[44:45] offset0:2 offset1:3
	ds_write2_b64 v16, v[38:39], v[40:41] offset0:4 offset1:5
	;; [unrolled: 1-line block ×3, first 2 shown]
	; wave barrier
	ds_read2st64_b64 v[16:19], v28 offset1:1
	ds_read2st64_b64 v[20:23], v28 offset0:2 offset1:3
	ds_read2st64_b64 v[24:27], v28 offset0:4 offset1:5
	;; [unrolled: 1-line block ×3, first 2 shown]
	s_waitcnt lgkmcnt(0)
	s_barrier
	s_load_dword s18, s[50:51], 0xc
	s_getpc_b64 s[16:17]
	s_add_u32 s16, s16, _ZN7rocprim17ROCPRIM_400000_NS16block_radix_sortIdLj256ELj8ElLj1ELj1ELj0ELNS0_26block_radix_rank_algorithmE1ELNS0_18block_padding_hintE2ELNS0_4arch9wavefront6targetE1EE19radix_bits_per_passE@rel32@lo+4
	s_addc_u32 s17, s17, _ZN7rocprim17ROCPRIM_400000_NS16block_radix_sortIdLj256ELj8ElLj1ELj1ELj0ELNS0_26block_radix_rank_algorithmE1ELNS0_18block_padding_hintE2ELNS0_4arch9wavefront6targetE1EE19radix_bits_per_passE@rel32@hi+12
	s_load_dword s54, s[16:17], 0x0
	s_mov_b32 s50, 0
	v_cmp_gt_u32_e64 s[30:31], 4, v70
	s_waitcnt lgkmcnt(0)
	s_lshr_b32 s16, s18, 16
	s_and_b32 s17, s18, 0xffff
	v_mad_u32_u24 v32, v115, s16, v114
	v_mad_u64_u32 v[32:33], s[16:17], v32, s17, v[70:71]
	v_lshrrev_b32_e32 v74, 6, v32
	v_and_b32_e32 v32, 15, v50
	v_cmp_eq_u32_e64 s[16:17], 0, v32
	v_cmp_lt_u32_e64 s[18:19], 1, v32
	v_cmp_lt_u32_e64 s[20:21], 3, v32
	;; [unrolled: 1-line block ×3, first 2 shown]
	v_and_b32_e32 v32, 16, v50
	v_cmp_eq_u32_e64 s[24:25], 0, v32
	v_min_u32_e32 v32, 0xc0, v51
	v_or_b32_e32 v32, 63, v32
	v_cmp_eq_u32_e64 s[28:29], v32, v70
	v_add_u32_e32 v32, -1, v50
	v_and_b32_e32 v33, 64, v50
	v_cmp_lt_i32_e32 vcc, v32, v33
	v_cndmask_b32_e32 v32, v32, v50, vcc
	v_lshlrev_b32_e32 v75, 2, v32
	v_and_b32_e32 v32, 3, v50
	v_cmp_lt_u32_e64 s[34:35], 63, v70
	v_cmp_eq_u32_e64 s[38:39], 0, v70
	v_and_b32_e32 v70, 60, v113
	v_cmp_eq_u32_e64 s[40:41], 0, v32
	v_cmp_lt_u32_e64 s[42:43], 1, v32
	v_and_or_b32 v32, v50, 63, v52
	s_mov_b64 s[52:53], 0
	s_brev_b32 s51, 1
	v_add_u32_e32 v73, 16, v112
	v_cmp_lt_u32_e64 s[26:27], 31, v50
	s_mov_b32 s55, 64
	v_cmp_eq_u32_e64 s[36:37], 0, v50
	v_add_u32_e32 v76, -4, v70
	v_lshlrev_b32_e32 v77, 3, v32
	v_mov_b32_e32 v48, 0
	s_branch .LBB186_67
.LBB186_66:                             ;   in Loop: Header=BB186_67 Depth=1
	v_lshlrev_b32_e32 v16, 3, v84
	v_lshlrev_b32_e32 v17, 3, v83
	;; [unrolled: 1-line block ×8, first 2 shown]
	s_barrier
	ds_write_b64 v16, v[64:65]
	ds_write_b64 v17, v[62:63]
	;; [unrolled: 1-line block ×8, first 2 shown]
	s_waitcnt lgkmcnt(0)
	s_barrier
	ds_read2st64_b64 v[0:3], v77 offset1:1
	ds_read2st64_b64 v[4:7], v77 offset0:2 offset1:3
	ds_read2st64_b64 v[8:11], v77 offset0:4 offset1:5
	;; [unrolled: 1-line block ×3, first 2 shown]
	s_waitcnt lgkmcnt(0)
	s_barrier
	ds_write_b64 v16, v[46:47]
	ds_write_b64 v17, v[44:45]
	;; [unrolled: 1-line block ×8, first 2 shown]
	s_waitcnt lgkmcnt(0)
	s_barrier
	ds_read2st64_b64 v[16:19], v77 offset1:1
	ds_read2st64_b64 v[20:23], v77 offset0:2 offset1:3
	ds_read2st64_b64 v[24:27], v77 offset0:4 offset1:5
	;; [unrolled: 1-line block ×3, first 2 shown]
	s_add_u32 s52, s52, 8
	s_addc_u32 s53, s53, 0
	s_add_i32 s55, s55, -8
	s_waitcnt lgkmcnt(0)
	s_barrier
	s_cbranch_execz .LBB186_91
.LBB186_67:                             ; =>This Inner Loop Header: Depth=1
	v_pk_mov_b32 v[64:65], v[0:1], v[0:1] op_sel:[0,1]
	s_min_u32 s44, s54, s55
	v_cmp_ne_u64_e32 vcc, s[50:51], v[64:65]
	s_lshl_b32 s44, -1, s44
	v_cndmask_b32_e32 v1, v72, v65, vcc
	v_cndmask_b32_e32 v0, -1, v64, vcc
	s_not_b32 s57, s44
	v_lshrrev_b64 v[0:1], s52, v[0:1]
	v_and_b32_e32 v0, s57, v0
	v_lshl_add_u32 v1, v0, 2, v74
	v_pk_mov_b32 v[60:61], v[4:5], v[4:5] op_sel:[0,1]
	v_lshl_add_u32 v4, v1, 2, 16
	v_and_b32_e32 v1, 1, v0
	v_pk_mov_b32 v[62:63], v[2:3], v[2:3] op_sel:[0,1]
	v_add_co_u32_e32 v2, vcc, -1, v1
	v_addc_co_u32_e64 v3, s[44:45], 0, -1, vcc
	v_cmp_ne_u32_e32 vcc, 0, v1
	v_lshlrev_b32_e32 v49, 30, v0
	v_xor_b32_e32 v1, vcc_hi, v3
	v_not_b32_e32 v3, v49
	v_xor_b32_e32 v2, vcc_lo, v2
	v_cmp_gt_i64_e32 vcc, 0, v[48:49]
	v_ashrrev_i32_e32 v3, 31, v3
	v_and_b32_e32 v2, exec_lo, v2
	v_xor_b32_e32 v5, vcc_hi, v3
	v_xor_b32_e32 v3, vcc_lo, v3
	v_lshlrev_b32_e32 v49, 29, v0
	v_and_b32_e32 v2, v2, v3
	v_not_b32_e32 v3, v49
	v_and_b32_e32 v1, exec_hi, v1
	v_cmp_gt_i64_e32 vcc, 0, v[48:49]
	v_ashrrev_i32_e32 v3, 31, v3
	v_and_b32_e32 v1, v1, v5
	v_xor_b32_e32 v5, vcc_hi, v3
	v_xor_b32_e32 v3, vcc_lo, v3
	v_lshlrev_b32_e32 v49, 28, v0
	v_and_b32_e32 v2, v2, v3
	v_not_b32_e32 v3, v49
	v_cmp_gt_i64_e32 vcc, 0, v[48:49]
	v_ashrrev_i32_e32 v3, 31, v3
	v_and_b32_e32 v1, v1, v5
	v_xor_b32_e32 v5, vcc_hi, v3
	v_xor_b32_e32 v3, vcc_lo, v3
	v_lshlrev_b32_e32 v49, 27, v0
	v_and_b32_e32 v2, v2, v3
	v_not_b32_e32 v3, v49
	;; [unrolled: 8-line block ×3, first 2 shown]
	v_cmp_gt_i64_e32 vcc, 0, v[48:49]
	v_ashrrev_i32_e32 v3, 31, v3
	v_and_b32_e32 v1, v1, v5
	v_xor_b32_e32 v5, vcc_hi, v3
	v_xor_b32_e32 v3, vcc_lo, v3
	v_lshlrev_b32_e32 v49, 25, v0
	v_and_b32_e32 v2, v2, v3
	v_cmp_gt_i64_e32 vcc, 0, v[48:49]
	v_not_b32_e32 v3, v49
	v_lshlrev_b32_e32 v49, 24, v0
	v_ashrrev_i32_e32 v3, 31, v3
	v_not_b32_e32 v0, v49
	v_and_b32_e32 v1, v1, v5
	v_xor_b32_e32 v5, vcc_hi, v3
	v_xor_b32_e32 v3, vcc_lo, v3
	v_cmp_gt_i64_e32 vcc, 0, v[48:49]
	v_ashrrev_i32_e32 v0, 31, v0
	v_and_b32_e32 v2, v2, v3
	v_xor_b32_e32 v3, vcc_hi, v0
	v_xor_b32_e32 v0, vcc_lo, v0
	v_and_b32_e32 v1, v1, v5
	v_and_b32_e32 v0, v2, v0
	;; [unrolled: 1-line block ×3, first 2 shown]
	v_mbcnt_lo_u32_b32 v2, v0, 0
	v_mbcnt_hi_u32_b32 v5, v1, v2
	v_cmp_eq_u32_e32 vcc, 0, v5
	v_cmp_ne_u64_e64 s[44:45], 0, v[0:1]
	v_pk_mov_b32 v[50:51], v[14:15], v[14:15] op_sel:[0,1]
	v_pk_mov_b32 v[52:53], v[12:13], v[12:13] op_sel:[0,1]
	;; [unrolled: 1-line block ×13, first 2 shown]
	s_and_b64 s[58:59], s[44:45], vcc
	ds_write2_b32 v112, v48, v48 offset0:4 offset1:5
	ds_write2_b32 v73, v48, v48 offset0:2 offset1:3
	s_waitcnt lgkmcnt(0)
	s_barrier
	s_waitcnt lgkmcnt(0)
	; wave barrier
	s_and_saveexec_b64 s[44:45], s[58:59]
	s_cbranch_execz .LBB186_69
; %bb.68:                               ;   in Loop: Header=BB186_67 Depth=1
	v_bcnt_u32_b32 v0, v0, 0
	v_bcnt_u32_b32 v0, v1, v0
	ds_write_b32 v4, v0
.LBB186_69:                             ;   in Loop: Header=BB186_67 Depth=1
	s_or_b64 exec, exec, s[44:45]
	v_cmp_ne_u64_e32 vcc, s[50:51], v[62:63]
	v_cndmask_b32_e32 v1, v72, v63, vcc
	v_cndmask_b32_e32 v0, -1, v62, vcc
	v_lshrrev_b64 v[0:1], s52, v[0:1]
	v_and_b32_e32 v0, s57, v0
	v_lshlrev_b32_e32 v1, 2, v0
	v_add_lshl_u32 v1, v1, v74, 2
	; wave barrier
	v_add_u32_e32 v7, 16, v1
	ds_read_b32 v6, v1 offset:16
	v_and_b32_e32 v1, 1, v0
	v_add_co_u32_e32 v2, vcc, -1, v1
	v_addc_co_u32_e64 v3, s[44:45], 0, -1, vcc
	v_cmp_ne_u32_e32 vcc, 0, v1
	v_lshlrev_b32_e32 v49, 30, v0
	v_xor_b32_e32 v1, vcc_hi, v3
	v_not_b32_e32 v3, v49
	v_xor_b32_e32 v2, vcc_lo, v2
	v_cmp_gt_i64_e32 vcc, 0, v[48:49]
	v_ashrrev_i32_e32 v3, 31, v3
	v_and_b32_e32 v2, exec_lo, v2
	v_xor_b32_e32 v8, vcc_hi, v3
	v_xor_b32_e32 v3, vcc_lo, v3
	v_lshlrev_b32_e32 v49, 29, v0
	v_and_b32_e32 v2, v2, v3
	v_not_b32_e32 v3, v49
	v_and_b32_e32 v1, exec_hi, v1
	v_cmp_gt_i64_e32 vcc, 0, v[48:49]
	v_ashrrev_i32_e32 v3, 31, v3
	v_and_b32_e32 v1, v1, v8
	v_xor_b32_e32 v8, vcc_hi, v3
	v_xor_b32_e32 v3, vcc_lo, v3
	v_lshlrev_b32_e32 v49, 28, v0
	v_and_b32_e32 v2, v2, v3
	v_not_b32_e32 v3, v49
	v_cmp_gt_i64_e32 vcc, 0, v[48:49]
	v_ashrrev_i32_e32 v3, 31, v3
	v_and_b32_e32 v1, v1, v8
	v_xor_b32_e32 v8, vcc_hi, v3
	v_xor_b32_e32 v3, vcc_lo, v3
	v_lshlrev_b32_e32 v49, 27, v0
	v_and_b32_e32 v2, v2, v3
	v_not_b32_e32 v3, v49
	;; [unrolled: 8-line block ×3, first 2 shown]
	v_cmp_gt_i64_e32 vcc, 0, v[48:49]
	v_ashrrev_i32_e32 v3, 31, v3
	v_and_b32_e32 v1, v1, v8
	v_xor_b32_e32 v8, vcc_hi, v3
	v_xor_b32_e32 v3, vcc_lo, v3
	v_lshlrev_b32_e32 v49, 25, v0
	v_and_b32_e32 v2, v2, v3
	v_cmp_gt_i64_e32 vcc, 0, v[48:49]
	v_not_b32_e32 v3, v49
	v_lshlrev_b32_e32 v49, 24, v0
	v_ashrrev_i32_e32 v3, 31, v3
	v_not_b32_e32 v0, v49
	v_and_b32_e32 v1, v1, v8
	v_xor_b32_e32 v8, vcc_hi, v3
	v_xor_b32_e32 v3, vcc_lo, v3
	v_cmp_gt_i64_e32 vcc, 0, v[48:49]
	v_ashrrev_i32_e32 v0, 31, v0
	v_and_b32_e32 v2, v2, v3
	v_xor_b32_e32 v3, vcc_hi, v0
	v_xor_b32_e32 v0, vcc_lo, v0
	v_and_b32_e32 v1, v1, v8
	v_and_b32_e32 v0, v2, v0
	;; [unrolled: 1-line block ×3, first 2 shown]
	v_mbcnt_lo_u32_b32 v2, v0, 0
	v_mbcnt_hi_u32_b32 v8, v1, v2
	v_cmp_eq_u32_e32 vcc, 0, v8
	v_cmp_ne_u64_e64 s[44:45], 0, v[0:1]
	s_and_b64 s[58:59], s[44:45], vcc
	; wave barrier
	s_and_saveexec_b64 s[44:45], s[58:59]
	s_cbranch_execz .LBB186_71
; %bb.70:                               ;   in Loop: Header=BB186_67 Depth=1
	v_bcnt_u32_b32 v0, v0, 0
	v_bcnt_u32_b32 v0, v1, v0
	s_waitcnt lgkmcnt(0)
	v_add_u32_e32 v0, v6, v0
	ds_write_b32 v7, v0
.LBB186_71:                             ;   in Loop: Header=BB186_67 Depth=1
	s_or_b64 exec, exec, s[44:45]
	v_cmp_ne_u64_e32 vcc, s[50:51], v[60:61]
	v_cndmask_b32_e32 v1, v72, v61, vcc
	v_cndmask_b32_e32 v0, -1, v60, vcc
	v_lshrrev_b64 v[0:1], s52, v[0:1]
	v_and_b32_e32 v0, s57, v0
	v_lshlrev_b32_e32 v1, 2, v0
	v_add_lshl_u32 v1, v1, v74, 2
	; wave barrier
	v_add_u32_e32 v10, 16, v1
	ds_read_b32 v9, v1 offset:16
	v_and_b32_e32 v1, 1, v0
	v_add_co_u32_e32 v2, vcc, -1, v1
	v_addc_co_u32_e64 v3, s[44:45], 0, -1, vcc
	v_cmp_ne_u32_e32 vcc, 0, v1
	v_lshlrev_b32_e32 v49, 30, v0
	v_xor_b32_e32 v1, vcc_hi, v3
	v_not_b32_e32 v3, v49
	v_xor_b32_e32 v2, vcc_lo, v2
	v_cmp_gt_i64_e32 vcc, 0, v[48:49]
	v_ashrrev_i32_e32 v3, 31, v3
	v_and_b32_e32 v2, exec_lo, v2
	v_xor_b32_e32 v11, vcc_hi, v3
	v_xor_b32_e32 v3, vcc_lo, v3
	v_lshlrev_b32_e32 v49, 29, v0
	v_and_b32_e32 v2, v2, v3
	v_not_b32_e32 v3, v49
	v_and_b32_e32 v1, exec_hi, v1
	v_cmp_gt_i64_e32 vcc, 0, v[48:49]
	v_ashrrev_i32_e32 v3, 31, v3
	v_and_b32_e32 v1, v1, v11
	v_xor_b32_e32 v11, vcc_hi, v3
	v_xor_b32_e32 v3, vcc_lo, v3
	v_lshlrev_b32_e32 v49, 28, v0
	v_and_b32_e32 v2, v2, v3
	v_not_b32_e32 v3, v49
	v_cmp_gt_i64_e32 vcc, 0, v[48:49]
	v_ashrrev_i32_e32 v3, 31, v3
	v_and_b32_e32 v1, v1, v11
	v_xor_b32_e32 v11, vcc_hi, v3
	v_xor_b32_e32 v3, vcc_lo, v3
	v_lshlrev_b32_e32 v49, 27, v0
	v_and_b32_e32 v2, v2, v3
	v_not_b32_e32 v3, v49
	;; [unrolled: 8-line block ×3, first 2 shown]
	v_cmp_gt_i64_e32 vcc, 0, v[48:49]
	v_ashrrev_i32_e32 v3, 31, v3
	v_and_b32_e32 v1, v1, v11
	v_xor_b32_e32 v11, vcc_hi, v3
	v_xor_b32_e32 v3, vcc_lo, v3
	v_lshlrev_b32_e32 v49, 25, v0
	v_and_b32_e32 v2, v2, v3
	v_cmp_gt_i64_e32 vcc, 0, v[48:49]
	v_not_b32_e32 v3, v49
	v_lshlrev_b32_e32 v49, 24, v0
	v_ashrrev_i32_e32 v3, 31, v3
	v_not_b32_e32 v0, v49
	v_and_b32_e32 v1, v1, v11
	v_xor_b32_e32 v11, vcc_hi, v3
	v_xor_b32_e32 v3, vcc_lo, v3
	v_cmp_gt_i64_e32 vcc, 0, v[48:49]
	v_ashrrev_i32_e32 v0, 31, v0
	v_and_b32_e32 v2, v2, v3
	v_xor_b32_e32 v3, vcc_hi, v0
	v_xor_b32_e32 v0, vcc_lo, v0
	v_and_b32_e32 v1, v1, v11
	v_and_b32_e32 v0, v2, v0
	;; [unrolled: 1-line block ×3, first 2 shown]
	v_mbcnt_lo_u32_b32 v2, v0, 0
	v_mbcnt_hi_u32_b32 v11, v1, v2
	v_cmp_eq_u32_e32 vcc, 0, v11
	v_cmp_ne_u64_e64 s[44:45], 0, v[0:1]
	s_and_b64 s[58:59], s[44:45], vcc
	; wave barrier
	s_and_saveexec_b64 s[44:45], s[58:59]
	s_cbranch_execz .LBB186_73
; %bb.72:                               ;   in Loop: Header=BB186_67 Depth=1
	v_bcnt_u32_b32 v0, v0, 0
	v_bcnt_u32_b32 v0, v1, v0
	s_waitcnt lgkmcnt(0)
	v_add_u32_e32 v0, v9, v0
	ds_write_b32 v10, v0
.LBB186_73:                             ;   in Loop: Header=BB186_67 Depth=1
	s_or_b64 exec, exec, s[44:45]
	v_cmp_ne_u64_e32 vcc, s[50:51], v[58:59]
	v_cndmask_b32_e32 v1, v72, v59, vcc
	v_cndmask_b32_e32 v0, -1, v58, vcc
	v_lshrrev_b64 v[0:1], s52, v[0:1]
	v_and_b32_e32 v0, s57, v0
	v_lshlrev_b32_e32 v1, 2, v0
	v_add_lshl_u32 v1, v1, v74, 2
	; wave barrier
	v_add_u32_e32 v13, 16, v1
	ds_read_b32 v12, v1 offset:16
	v_and_b32_e32 v1, 1, v0
	v_add_co_u32_e32 v2, vcc, -1, v1
	v_addc_co_u32_e64 v3, s[44:45], 0, -1, vcc
	v_cmp_ne_u32_e32 vcc, 0, v1
	v_lshlrev_b32_e32 v49, 30, v0
	v_xor_b32_e32 v1, vcc_hi, v3
	v_not_b32_e32 v3, v49
	v_xor_b32_e32 v2, vcc_lo, v2
	v_cmp_gt_i64_e32 vcc, 0, v[48:49]
	v_ashrrev_i32_e32 v3, 31, v3
	v_and_b32_e32 v2, exec_lo, v2
	v_xor_b32_e32 v14, vcc_hi, v3
	v_xor_b32_e32 v3, vcc_lo, v3
	v_lshlrev_b32_e32 v49, 29, v0
	v_and_b32_e32 v2, v2, v3
	v_not_b32_e32 v3, v49
	v_and_b32_e32 v1, exec_hi, v1
	v_cmp_gt_i64_e32 vcc, 0, v[48:49]
	v_ashrrev_i32_e32 v3, 31, v3
	v_and_b32_e32 v1, v1, v14
	v_xor_b32_e32 v14, vcc_hi, v3
	v_xor_b32_e32 v3, vcc_lo, v3
	v_lshlrev_b32_e32 v49, 28, v0
	v_and_b32_e32 v2, v2, v3
	v_not_b32_e32 v3, v49
	v_cmp_gt_i64_e32 vcc, 0, v[48:49]
	v_ashrrev_i32_e32 v3, 31, v3
	v_and_b32_e32 v1, v1, v14
	v_xor_b32_e32 v14, vcc_hi, v3
	v_xor_b32_e32 v3, vcc_lo, v3
	v_lshlrev_b32_e32 v49, 27, v0
	v_and_b32_e32 v2, v2, v3
	v_not_b32_e32 v3, v49
	;; [unrolled: 8-line block ×3, first 2 shown]
	v_cmp_gt_i64_e32 vcc, 0, v[48:49]
	v_ashrrev_i32_e32 v3, 31, v3
	v_and_b32_e32 v1, v1, v14
	v_xor_b32_e32 v14, vcc_hi, v3
	v_xor_b32_e32 v3, vcc_lo, v3
	v_lshlrev_b32_e32 v49, 25, v0
	v_and_b32_e32 v2, v2, v3
	v_cmp_gt_i64_e32 vcc, 0, v[48:49]
	v_not_b32_e32 v3, v49
	v_lshlrev_b32_e32 v49, 24, v0
	v_ashrrev_i32_e32 v3, 31, v3
	v_not_b32_e32 v0, v49
	v_and_b32_e32 v1, v1, v14
	v_xor_b32_e32 v14, vcc_hi, v3
	v_xor_b32_e32 v3, vcc_lo, v3
	v_cmp_gt_i64_e32 vcc, 0, v[48:49]
	v_ashrrev_i32_e32 v0, 31, v0
	v_and_b32_e32 v2, v2, v3
	v_xor_b32_e32 v3, vcc_hi, v0
	v_xor_b32_e32 v0, vcc_lo, v0
	v_and_b32_e32 v1, v1, v14
	v_and_b32_e32 v0, v2, v0
	;; [unrolled: 1-line block ×3, first 2 shown]
	v_mbcnt_lo_u32_b32 v2, v0, 0
	v_mbcnt_hi_u32_b32 v14, v1, v2
	v_cmp_eq_u32_e32 vcc, 0, v14
	v_cmp_ne_u64_e64 s[44:45], 0, v[0:1]
	s_and_b64 s[58:59], s[44:45], vcc
	; wave barrier
	s_and_saveexec_b64 s[44:45], s[58:59]
	s_cbranch_execz .LBB186_75
; %bb.74:                               ;   in Loop: Header=BB186_67 Depth=1
	v_bcnt_u32_b32 v0, v0, 0
	v_bcnt_u32_b32 v0, v1, v0
	s_waitcnt lgkmcnt(0)
	v_add_u32_e32 v0, v12, v0
	ds_write_b32 v13, v0
.LBB186_75:                             ;   in Loop: Header=BB186_67 Depth=1
	s_or_b64 exec, exec, s[44:45]
	v_cmp_ne_u64_e32 vcc, s[50:51], v[56:57]
	v_cndmask_b32_e32 v1, v72, v57, vcc
	v_cndmask_b32_e32 v0, -1, v56, vcc
	v_lshrrev_b64 v[0:1], s52, v[0:1]
	v_and_b32_e32 v0, s57, v0
	v_lshlrev_b32_e32 v1, 2, v0
	v_add_lshl_u32 v1, v1, v74, 2
	; wave barrier
	v_add_u32_e32 v16, 16, v1
	ds_read_b32 v15, v1 offset:16
	v_and_b32_e32 v1, 1, v0
	v_add_co_u32_e32 v2, vcc, -1, v1
	v_addc_co_u32_e64 v3, s[44:45], 0, -1, vcc
	v_cmp_ne_u32_e32 vcc, 0, v1
	v_lshlrev_b32_e32 v49, 30, v0
	v_xor_b32_e32 v1, vcc_hi, v3
	v_not_b32_e32 v3, v49
	v_xor_b32_e32 v2, vcc_lo, v2
	v_cmp_gt_i64_e32 vcc, 0, v[48:49]
	v_ashrrev_i32_e32 v3, 31, v3
	v_and_b32_e32 v2, exec_lo, v2
	v_xor_b32_e32 v17, vcc_hi, v3
	v_xor_b32_e32 v3, vcc_lo, v3
	v_lshlrev_b32_e32 v49, 29, v0
	v_and_b32_e32 v2, v2, v3
	v_not_b32_e32 v3, v49
	v_and_b32_e32 v1, exec_hi, v1
	v_cmp_gt_i64_e32 vcc, 0, v[48:49]
	v_ashrrev_i32_e32 v3, 31, v3
	v_and_b32_e32 v1, v1, v17
	v_xor_b32_e32 v17, vcc_hi, v3
	v_xor_b32_e32 v3, vcc_lo, v3
	v_lshlrev_b32_e32 v49, 28, v0
	v_and_b32_e32 v2, v2, v3
	v_not_b32_e32 v3, v49
	v_cmp_gt_i64_e32 vcc, 0, v[48:49]
	v_ashrrev_i32_e32 v3, 31, v3
	v_and_b32_e32 v1, v1, v17
	v_xor_b32_e32 v17, vcc_hi, v3
	v_xor_b32_e32 v3, vcc_lo, v3
	v_lshlrev_b32_e32 v49, 27, v0
	v_and_b32_e32 v2, v2, v3
	v_not_b32_e32 v3, v49
	v_cmp_gt_i64_e32 vcc, 0, v[48:49]
	v_ashrrev_i32_e32 v3, 31, v3
	v_and_b32_e32 v1, v1, v17
	v_xor_b32_e32 v17, vcc_hi, v3
	v_xor_b32_e32 v3, vcc_lo, v3
	v_lshlrev_b32_e32 v49, 26, v0
	v_and_b32_e32 v2, v2, v3
	v_not_b32_e32 v3, v49
	v_cmp_gt_i64_e32 vcc, 0, v[48:49]
	v_ashrrev_i32_e32 v3, 31, v3
	v_and_b32_e32 v1, v1, v17
	v_xor_b32_e32 v17, vcc_hi, v3
	v_xor_b32_e32 v3, vcc_lo, v3
	v_lshlrev_b32_e32 v49, 25, v0
	v_and_b32_e32 v2, v2, v3
	v_cmp_gt_i64_e32 vcc, 0, v[48:49]
	v_not_b32_e32 v3, v49
	v_lshlrev_b32_e32 v49, 24, v0
	v_ashrrev_i32_e32 v3, 31, v3
	v_not_b32_e32 v0, v49
	v_and_b32_e32 v1, v1, v17
	v_xor_b32_e32 v17, vcc_hi, v3
	v_xor_b32_e32 v3, vcc_lo, v3
	v_cmp_gt_i64_e32 vcc, 0, v[48:49]
	v_ashrrev_i32_e32 v0, 31, v0
	v_and_b32_e32 v2, v2, v3
	v_xor_b32_e32 v3, vcc_hi, v0
	v_xor_b32_e32 v0, vcc_lo, v0
	v_and_b32_e32 v1, v1, v17
	v_and_b32_e32 v0, v2, v0
	;; [unrolled: 1-line block ×3, first 2 shown]
	v_mbcnt_lo_u32_b32 v2, v0, 0
	v_mbcnt_hi_u32_b32 v17, v1, v2
	v_cmp_eq_u32_e32 vcc, 0, v17
	v_cmp_ne_u64_e64 s[44:45], 0, v[0:1]
	s_and_b64 s[58:59], s[44:45], vcc
	; wave barrier
	s_and_saveexec_b64 s[44:45], s[58:59]
	s_cbranch_execz .LBB186_77
; %bb.76:                               ;   in Loop: Header=BB186_67 Depth=1
	v_bcnt_u32_b32 v0, v0, 0
	v_bcnt_u32_b32 v0, v1, v0
	s_waitcnt lgkmcnt(0)
	v_add_u32_e32 v0, v15, v0
	ds_write_b32 v16, v0
.LBB186_77:                             ;   in Loop: Header=BB186_67 Depth=1
	s_or_b64 exec, exec, s[44:45]
	v_cmp_ne_u64_e32 vcc, s[50:51], v[54:55]
	v_cndmask_b32_e32 v1, v72, v55, vcc
	v_cndmask_b32_e32 v0, -1, v54, vcc
	v_lshrrev_b64 v[0:1], s52, v[0:1]
	v_and_b32_e32 v0, s57, v0
	v_lshlrev_b32_e32 v1, 2, v0
	v_add_lshl_u32 v1, v1, v74, 2
	; wave barrier
	v_add_u32_e32 v19, 16, v1
	ds_read_b32 v18, v1 offset:16
	v_and_b32_e32 v1, 1, v0
	v_add_co_u32_e32 v2, vcc, -1, v1
	v_addc_co_u32_e64 v3, s[44:45], 0, -1, vcc
	v_cmp_ne_u32_e32 vcc, 0, v1
	v_lshlrev_b32_e32 v49, 30, v0
	v_xor_b32_e32 v1, vcc_hi, v3
	v_not_b32_e32 v3, v49
	v_xor_b32_e32 v2, vcc_lo, v2
	v_cmp_gt_i64_e32 vcc, 0, v[48:49]
	v_ashrrev_i32_e32 v3, 31, v3
	v_and_b32_e32 v2, exec_lo, v2
	v_xor_b32_e32 v20, vcc_hi, v3
	v_xor_b32_e32 v3, vcc_lo, v3
	v_lshlrev_b32_e32 v49, 29, v0
	v_and_b32_e32 v2, v2, v3
	v_not_b32_e32 v3, v49
	v_and_b32_e32 v1, exec_hi, v1
	v_cmp_gt_i64_e32 vcc, 0, v[48:49]
	v_ashrrev_i32_e32 v3, 31, v3
	v_and_b32_e32 v1, v1, v20
	v_xor_b32_e32 v20, vcc_hi, v3
	v_xor_b32_e32 v3, vcc_lo, v3
	v_lshlrev_b32_e32 v49, 28, v0
	v_and_b32_e32 v2, v2, v3
	v_not_b32_e32 v3, v49
	v_cmp_gt_i64_e32 vcc, 0, v[48:49]
	v_ashrrev_i32_e32 v3, 31, v3
	v_and_b32_e32 v1, v1, v20
	v_xor_b32_e32 v20, vcc_hi, v3
	v_xor_b32_e32 v3, vcc_lo, v3
	v_lshlrev_b32_e32 v49, 27, v0
	v_and_b32_e32 v2, v2, v3
	v_not_b32_e32 v3, v49
	;; [unrolled: 8-line block ×3, first 2 shown]
	v_cmp_gt_i64_e32 vcc, 0, v[48:49]
	v_ashrrev_i32_e32 v3, 31, v3
	v_and_b32_e32 v1, v1, v20
	v_xor_b32_e32 v20, vcc_hi, v3
	v_xor_b32_e32 v3, vcc_lo, v3
	v_lshlrev_b32_e32 v49, 25, v0
	v_and_b32_e32 v2, v2, v3
	v_cmp_gt_i64_e32 vcc, 0, v[48:49]
	v_not_b32_e32 v3, v49
	v_lshlrev_b32_e32 v49, 24, v0
	v_ashrrev_i32_e32 v3, 31, v3
	v_not_b32_e32 v0, v49
	v_and_b32_e32 v1, v1, v20
	v_xor_b32_e32 v20, vcc_hi, v3
	v_xor_b32_e32 v3, vcc_lo, v3
	v_cmp_gt_i64_e32 vcc, 0, v[48:49]
	v_ashrrev_i32_e32 v0, 31, v0
	v_and_b32_e32 v2, v2, v3
	v_xor_b32_e32 v3, vcc_hi, v0
	v_xor_b32_e32 v0, vcc_lo, v0
	v_and_b32_e32 v1, v1, v20
	v_and_b32_e32 v0, v2, v0
	;; [unrolled: 1-line block ×3, first 2 shown]
	v_mbcnt_lo_u32_b32 v2, v0, 0
	v_mbcnt_hi_u32_b32 v20, v1, v2
	v_cmp_eq_u32_e32 vcc, 0, v20
	v_cmp_ne_u64_e64 s[44:45], 0, v[0:1]
	s_and_b64 s[58:59], s[44:45], vcc
	; wave barrier
	s_and_saveexec_b64 s[44:45], s[58:59]
	s_cbranch_execz .LBB186_79
; %bb.78:                               ;   in Loop: Header=BB186_67 Depth=1
	v_bcnt_u32_b32 v0, v0, 0
	v_bcnt_u32_b32 v0, v1, v0
	s_waitcnt lgkmcnt(0)
	v_add_u32_e32 v0, v18, v0
	ds_write_b32 v19, v0
.LBB186_79:                             ;   in Loop: Header=BB186_67 Depth=1
	s_or_b64 exec, exec, s[44:45]
	v_cmp_ne_u64_e32 vcc, s[50:51], v[52:53]
	v_cndmask_b32_e32 v1, v72, v53, vcc
	v_cndmask_b32_e32 v0, -1, v52, vcc
	v_lshrrev_b64 v[0:1], s52, v[0:1]
	v_and_b32_e32 v0, s57, v0
	v_lshlrev_b32_e32 v1, 2, v0
	v_add_lshl_u32 v1, v1, v74, 2
	; wave barrier
	v_add_u32_e32 v22, 16, v1
	ds_read_b32 v21, v1 offset:16
	v_and_b32_e32 v1, 1, v0
	v_add_co_u32_e32 v2, vcc, -1, v1
	v_addc_co_u32_e64 v3, s[44:45], 0, -1, vcc
	v_cmp_ne_u32_e32 vcc, 0, v1
	v_lshlrev_b32_e32 v49, 30, v0
	v_xor_b32_e32 v1, vcc_hi, v3
	v_not_b32_e32 v3, v49
	v_xor_b32_e32 v2, vcc_lo, v2
	v_cmp_gt_i64_e32 vcc, 0, v[48:49]
	v_ashrrev_i32_e32 v3, 31, v3
	v_and_b32_e32 v2, exec_lo, v2
	v_xor_b32_e32 v23, vcc_hi, v3
	v_xor_b32_e32 v3, vcc_lo, v3
	v_lshlrev_b32_e32 v49, 29, v0
	v_and_b32_e32 v2, v2, v3
	v_not_b32_e32 v3, v49
	v_and_b32_e32 v1, exec_hi, v1
	v_cmp_gt_i64_e32 vcc, 0, v[48:49]
	v_ashrrev_i32_e32 v3, 31, v3
	v_and_b32_e32 v1, v1, v23
	v_xor_b32_e32 v23, vcc_hi, v3
	v_xor_b32_e32 v3, vcc_lo, v3
	v_lshlrev_b32_e32 v49, 28, v0
	v_and_b32_e32 v2, v2, v3
	v_not_b32_e32 v3, v49
	v_cmp_gt_i64_e32 vcc, 0, v[48:49]
	v_ashrrev_i32_e32 v3, 31, v3
	v_and_b32_e32 v1, v1, v23
	v_xor_b32_e32 v23, vcc_hi, v3
	v_xor_b32_e32 v3, vcc_lo, v3
	v_lshlrev_b32_e32 v49, 27, v0
	v_and_b32_e32 v2, v2, v3
	v_not_b32_e32 v3, v49
	;; [unrolled: 8-line block ×3, first 2 shown]
	v_cmp_gt_i64_e32 vcc, 0, v[48:49]
	v_ashrrev_i32_e32 v3, 31, v3
	v_and_b32_e32 v1, v1, v23
	v_xor_b32_e32 v23, vcc_hi, v3
	v_xor_b32_e32 v3, vcc_lo, v3
	v_lshlrev_b32_e32 v49, 25, v0
	v_and_b32_e32 v2, v2, v3
	v_cmp_gt_i64_e32 vcc, 0, v[48:49]
	v_not_b32_e32 v3, v49
	v_lshlrev_b32_e32 v49, 24, v0
	v_ashrrev_i32_e32 v3, 31, v3
	v_not_b32_e32 v0, v49
	v_and_b32_e32 v1, v1, v23
	v_xor_b32_e32 v23, vcc_hi, v3
	v_xor_b32_e32 v3, vcc_lo, v3
	v_cmp_gt_i64_e32 vcc, 0, v[48:49]
	v_ashrrev_i32_e32 v0, 31, v0
	v_and_b32_e32 v2, v2, v3
	v_xor_b32_e32 v3, vcc_hi, v0
	v_xor_b32_e32 v0, vcc_lo, v0
	v_and_b32_e32 v1, v1, v23
	v_and_b32_e32 v0, v2, v0
	;; [unrolled: 1-line block ×3, first 2 shown]
	v_mbcnt_lo_u32_b32 v2, v0, 0
	v_mbcnt_hi_u32_b32 v23, v1, v2
	v_cmp_eq_u32_e32 vcc, 0, v23
	v_cmp_ne_u64_e64 s[44:45], 0, v[0:1]
	s_and_b64 s[58:59], s[44:45], vcc
	; wave barrier
	s_and_saveexec_b64 s[44:45], s[58:59]
	s_cbranch_execz .LBB186_81
; %bb.80:                               ;   in Loop: Header=BB186_67 Depth=1
	v_bcnt_u32_b32 v0, v0, 0
	v_bcnt_u32_b32 v0, v1, v0
	s_waitcnt lgkmcnt(0)
	v_add_u32_e32 v0, v21, v0
	ds_write_b32 v22, v0
.LBB186_81:                             ;   in Loop: Header=BB186_67 Depth=1
	s_or_b64 exec, exec, s[44:45]
	v_cmp_ne_u64_e32 vcc, s[50:51], v[50:51]
	v_cndmask_b32_e32 v1, v72, v51, vcc
	v_cndmask_b32_e32 v0, -1, v50, vcc
	v_lshrrev_b64 v[0:1], s52, v[0:1]
	v_and_b32_e32 v0, s57, v0
	v_lshlrev_b32_e32 v1, 2, v0
	v_add_lshl_u32 v1, v1, v74, 2
	; wave barrier
	v_add_u32_e32 v25, 16, v1
	ds_read_b32 v24, v1 offset:16
	v_and_b32_e32 v1, 1, v0
	v_add_co_u32_e32 v2, vcc, -1, v1
	v_addc_co_u32_e64 v3, s[44:45], 0, -1, vcc
	v_cmp_ne_u32_e32 vcc, 0, v1
	v_lshlrev_b32_e32 v49, 30, v0
	v_xor_b32_e32 v1, vcc_hi, v3
	v_not_b32_e32 v3, v49
	v_xor_b32_e32 v2, vcc_lo, v2
	v_cmp_gt_i64_e32 vcc, 0, v[48:49]
	v_ashrrev_i32_e32 v3, 31, v3
	v_and_b32_e32 v2, exec_lo, v2
	v_xor_b32_e32 v26, vcc_hi, v3
	v_xor_b32_e32 v3, vcc_lo, v3
	v_lshlrev_b32_e32 v49, 29, v0
	v_and_b32_e32 v2, v2, v3
	v_not_b32_e32 v3, v49
	v_and_b32_e32 v1, exec_hi, v1
	v_cmp_gt_i64_e32 vcc, 0, v[48:49]
	v_ashrrev_i32_e32 v3, 31, v3
	v_and_b32_e32 v1, v1, v26
	v_xor_b32_e32 v26, vcc_hi, v3
	v_xor_b32_e32 v3, vcc_lo, v3
	v_lshlrev_b32_e32 v49, 28, v0
	v_and_b32_e32 v2, v2, v3
	v_not_b32_e32 v3, v49
	v_cmp_gt_i64_e32 vcc, 0, v[48:49]
	v_ashrrev_i32_e32 v3, 31, v3
	v_and_b32_e32 v1, v1, v26
	v_xor_b32_e32 v26, vcc_hi, v3
	v_xor_b32_e32 v3, vcc_lo, v3
	v_lshlrev_b32_e32 v49, 27, v0
	v_and_b32_e32 v2, v2, v3
	v_not_b32_e32 v3, v49
	;; [unrolled: 8-line block ×3, first 2 shown]
	v_cmp_gt_i64_e32 vcc, 0, v[48:49]
	v_ashrrev_i32_e32 v3, 31, v3
	v_and_b32_e32 v1, v1, v26
	v_xor_b32_e32 v26, vcc_hi, v3
	v_xor_b32_e32 v3, vcc_lo, v3
	v_lshlrev_b32_e32 v49, 25, v0
	v_and_b32_e32 v2, v2, v3
	v_cmp_gt_i64_e32 vcc, 0, v[48:49]
	v_not_b32_e32 v3, v49
	v_lshlrev_b32_e32 v49, 24, v0
	v_ashrrev_i32_e32 v3, 31, v3
	v_not_b32_e32 v0, v49
	v_and_b32_e32 v1, v1, v26
	v_xor_b32_e32 v26, vcc_hi, v3
	v_xor_b32_e32 v3, vcc_lo, v3
	v_cmp_gt_i64_e32 vcc, 0, v[48:49]
	v_ashrrev_i32_e32 v0, 31, v0
	v_and_b32_e32 v2, v2, v3
	v_xor_b32_e32 v3, vcc_hi, v0
	v_xor_b32_e32 v0, vcc_lo, v0
	v_and_b32_e32 v1, v1, v26
	v_and_b32_e32 v0, v2, v0
	;; [unrolled: 1-line block ×3, first 2 shown]
	v_mbcnt_lo_u32_b32 v2, v0, 0
	v_mbcnt_hi_u32_b32 v26, v1, v2
	v_cmp_eq_u32_e32 vcc, 0, v26
	v_cmp_ne_u64_e64 s[44:45], 0, v[0:1]
	s_and_b64 s[58:59], s[44:45], vcc
	; wave barrier
	s_and_saveexec_b64 s[44:45], s[58:59]
	s_cbranch_execz .LBB186_83
; %bb.82:                               ;   in Loop: Header=BB186_67 Depth=1
	v_bcnt_u32_b32 v0, v0, 0
	v_bcnt_u32_b32 v0, v1, v0
	s_waitcnt lgkmcnt(0)
	v_add_u32_e32 v0, v24, v0
	ds_write_b32 v25, v0
.LBB186_83:                             ;   in Loop: Header=BB186_67 Depth=1
	s_or_b64 exec, exec, s[44:45]
	; wave barrier
	s_waitcnt lgkmcnt(0)
	s_barrier
	ds_read2_b32 v[2:3], v112 offset0:4 offset1:5
	ds_read2_b32 v[0:1], v73 offset0:2 offset1:3
	s_waitcnt lgkmcnt(1)
	v_add_u32_e32 v27, v3, v2
	s_waitcnt lgkmcnt(0)
	v_add3_u32 v1, v27, v0, v1
	s_nop 1
	v_mov_b32_dpp v27, v1 row_shr:1 row_mask:0xf bank_mask:0xf
	v_cndmask_b32_e64 v27, v27, 0, s[16:17]
	v_add_u32_e32 v1, v27, v1
	s_nop 1
	v_mov_b32_dpp v27, v1 row_shr:2 row_mask:0xf bank_mask:0xf
	v_cndmask_b32_e64 v27, 0, v27, s[18:19]
	v_add_u32_e32 v1, v1, v27
	;; [unrolled: 4-line block ×4, first 2 shown]
	s_nop 1
	v_mov_b32_dpp v27, v1 row_bcast:15 row_mask:0xf bank_mask:0xf
	v_cndmask_b32_e64 v27, v27, 0, s[24:25]
	v_add_u32_e32 v1, v1, v27
	s_nop 1
	v_mov_b32_dpp v27, v1 row_bcast:31 row_mask:0xf bank_mask:0xf
	v_cndmask_b32_e64 v27, 0, v27, s[26:27]
	v_add_u32_e32 v1, v1, v27
	s_and_saveexec_b64 s[44:45], s[28:29]
	s_cbranch_execz .LBB186_85
; %bb.84:                               ;   in Loop: Header=BB186_67 Depth=1
	ds_write_b32 v70, v1
.LBB186_85:                             ;   in Loop: Header=BB186_67 Depth=1
	s_or_b64 exec, exec, s[44:45]
	s_waitcnt lgkmcnt(0)
	s_barrier
	s_and_saveexec_b64 s[44:45], s[30:31]
	s_cbranch_execz .LBB186_87
; %bb.86:                               ;   in Loop: Header=BB186_67 Depth=1
	ds_read_b32 v27, v69
	s_waitcnt lgkmcnt(0)
	s_nop 0
	v_mov_b32_dpp v28, v27 row_shr:1 row_mask:0xf bank_mask:0xf
	v_cndmask_b32_e64 v28, v28, 0, s[40:41]
	v_add_u32_e32 v27, v28, v27
	s_nop 1
	v_mov_b32_dpp v28, v27 row_shr:2 row_mask:0xf bank_mask:0xf
	v_cndmask_b32_e64 v28, 0, v28, s[42:43]
	v_add_u32_e32 v27, v27, v28
	ds_write_b32 v69, v27
.LBB186_87:                             ;   in Loop: Header=BB186_67 Depth=1
	s_or_b64 exec, exec, s[44:45]
	v_mov_b32_e32 v27, 0
	s_waitcnt lgkmcnt(0)
	s_barrier
	s_and_saveexec_b64 s[44:45], s[34:35]
	s_cbranch_execz .LBB186_89
; %bb.88:                               ;   in Loop: Header=BB186_67 Depth=1
	ds_read_b32 v27, v76
.LBB186_89:                             ;   in Loop: Header=BB186_67 Depth=1
	s_or_b64 exec, exec, s[44:45]
	s_waitcnt lgkmcnt(0)
	v_add_u32_e32 v1, v27, v1
	ds_bpermute_b32 v1, v75, v1
	s_cmp_gt_u32 s52, 55
	s_waitcnt lgkmcnt(0)
	v_cndmask_b32_e64 v1, v1, v27, s[36:37]
	v_cndmask_b32_e64 v1, v1, 0, s[38:39]
	v_add_u32_e32 v2, v1, v2
	v_add_u32_e32 v3, v2, v3
	;; [unrolled: 1-line block ×3, first 2 shown]
	ds_write2_b32 v112, v1, v2 offset0:4 offset1:5
	ds_write2_b32 v73, v3, v0 offset0:2 offset1:3
	s_waitcnt lgkmcnt(0)
	s_barrier
	ds_read_b32 v0, v4
	ds_read_b32 v1, v7
	;; [unrolled: 1-line block ×8, first 2 shown]
	s_waitcnt lgkmcnt(7)
	v_add_u32_e32 v84, v0, v5
	s_waitcnt lgkmcnt(6)
	v_add3_u32 v83, v8, v6, v1
	s_waitcnt lgkmcnt(5)
	v_add3_u32 v82, v11, v9, v2
	;; [unrolled: 2-line block ×7, first 2 shown]
	s_cbranch_scc0 .LBB186_66
; %bb.90:
                                        ; implicit-def: $vgpr14_vgpr15
                                        ; implicit-def: $vgpr10_vgpr11
                                        ; implicit-def: $vgpr6_vgpr7
                                        ; implicit-def: $vgpr2_vgpr3
                                        ; implicit-def: $vgpr30_vgpr31
                                        ; implicit-def: $vgpr26_vgpr27
                                        ; implicit-def: $vgpr22_vgpr23
                                        ; implicit-def: $vgpr18_vgpr19
                                        ; implicit-def: $sgpr52_sgpr53
                                        ; implicit-def: $sgpr55
.LBB186_91:
	v_lshlrev_b32_e32 v16, 3, v84
	v_lshlrev_b32_e32 v17, 3, v83
	;; [unrolled: 1-line block ×9, first 2 shown]
	s_barrier
	ds_write_b64 v16, v[64:65]
	ds_write_b64 v17, v[62:63]
	;; [unrolled: 1-line block ×8, first 2 shown]
	s_waitcnt lgkmcnt(0)
	s_barrier
	ds_read2_b64 v[0:3], v24 offset1:1
	ds_read2_b64 v[4:7], v24 offset0:2 offset1:3
	ds_read2_b64 v[8:11], v24 offset0:4 offset1:5
	;; [unrolled: 1-line block ×3, first 2 shown]
	s_waitcnt lgkmcnt(0)
	s_barrier
	ds_write_b64 v16, v[46:47]
	ds_write_b64 v17, v[44:45]
	;; [unrolled: 1-line block ×8, first 2 shown]
	v_ashrrev_i32_e32 v18, 31, v1
	v_not_b32_e32 v18, v18
	v_cmp_gt_i64_e32 vcc, 0, v[0:1]
	v_xor_b32_e32 v0, v18, v0
	v_ashrrev_i32_e32 v18, 31, v3
	v_bfrev_b32_e32 v16, -2
	v_not_b32_e32 v18, v18
	v_cndmask_b32_e64 v17, v16, 0, vcc
	v_cmp_gt_i64_e32 vcc, 0, v[2:3]
	v_xor_b32_e32 v2, v18, v2
	v_ashrrev_i32_e32 v18, 31, v5
	v_not_b32_e32 v18, v18
	v_xor_b32_e32 v1, v17, v1
	v_cndmask_b32_e64 v17, v16, 0, vcc
	v_cmp_gt_i64_e32 vcc, 0, v[4:5]
	v_xor_b32_e32 v4, v18, v4
	v_ashrrev_i32_e32 v18, 31, v7
	s_waitcnt lgkmcnt(0)
	s_barrier
	ds_read2_b64 v[50:53], v24 offset1:1
	ds_read2_b64 v[54:57], v24 offset0:2 offset1:3
	ds_read2_b64 v[58:61], v24 offset0:4 offset1:5
	;; [unrolled: 1-line block ×3, first 2 shown]
	v_xor_b32_e32 v3, v17, v3
	v_cndmask_b32_e64 v17, v16, 0, vcc
	v_cmp_gt_i64_e32 vcc, 0, v[6:7]
	v_not_b32_e32 v18, v18
	v_xor_b32_e32 v5, v17, v5
	v_cndmask_b32_e64 v17, v16, 0, vcc
	v_xor_b32_e32 v6, v18, v6
	v_cmp_gt_i64_e32 vcc, 0, v[8:9]
	v_ashrrev_i32_e32 v18, 31, v9
	v_xor_b32_e32 v7, v17, v7
	v_cndmask_b32_e64 v17, v16, 0, vcc
	v_not_b32_e32 v18, v18
	v_cmp_gt_i64_e32 vcc, 0, v[10:11]
	v_xor_b32_e32 v9, v17, v9
	v_xor_b32_e32 v8, v18, v8
	v_cndmask_b32_e64 v17, v16, 0, vcc
	v_ashrrev_i32_e32 v18, 31, v11
	v_cmp_gt_i64_e32 vcc, 0, v[12:13]
	v_not_b32_e32 v18, v18
	v_xor_b32_e32 v11, v17, v11
	v_cndmask_b32_e64 v17, v16, 0, vcc
	v_xor_b32_e32 v10, v18, v10
	v_ashrrev_i32_e32 v18, 31, v13
	v_xor_b32_e32 v13, v17, v13
	v_cmp_gt_i64_e32 vcc, 0, v[14:15]
	v_ashrrev_i32_e32 v17, 31, v15
	v_not_b32_e32 v18, v18
	v_cndmask_b32_e64 v16, v16, 0, vcc
	v_not_b32_e32 v17, v17
	v_xor_b32_e32 v12, v18, v12
	v_xor_b32_e32 v15, v16, v15
	;; [unrolled: 1-line block ×3, first 2 shown]
.LBB186_92:
	s_waitcnt lgkmcnt(0)
	s_barrier
	ds_write2_b64 v111, v[0:1], v[2:3] offset1:1
	ds_write2_b64 v111, v[4:5], v[6:7] offset0:2 offset1:3
	ds_write2_b64 v111, v[8:9], v[10:11] offset0:4 offset1:5
	;; [unrolled: 1-line block ×3, first 2 shown]
	s_waitcnt lgkmcnt(0)
	s_barrier
	ds_read_b64 v[14:15], v104 offset:2048
	ds_read_b64 v[12:13], v105 offset:4096
	;; [unrolled: 1-line block ×7, first 2 shown]
	v_mov_b32_e32 v67, 0
	v_lshlrev_b64 v[2:3], 3, v[66:67]
	v_mov_b32_e32 v16, s47
	v_add_co_u32_e32 v2, vcc, s33, v2
	v_addc_co_u32_e32 v3, vcc, v16, v3, vcc
	s_and_saveexec_b64 s[16:17], s[0:1]
	s_cbranch_execnz .LBB186_111
; %bb.93:
	s_or_b64 exec, exec, s[16:17]
	s_and_saveexec_b64 s[16:17], s[2:3]
	s_cbranch_execnz .LBB186_112
.LBB186_94:
	s_or_b64 exec, exec, s[16:17]
	s_and_saveexec_b64 s[16:17], s[4:5]
	s_cbranch_execnz .LBB186_113
.LBB186_95:
	s_or_b64 exec, exec, s[16:17]
	s_and_saveexec_b64 s[16:17], s[6:7]
	s_cbranch_execnz .LBB186_114
.LBB186_96:
	s_or_b64 exec, exec, s[16:17]
	s_and_saveexec_b64 s[16:17], s[8:9]
	s_cbranch_execnz .LBB186_115
.LBB186_97:
	s_or_b64 exec, exec, s[16:17]
	s_and_saveexec_b64 s[16:17], s[10:11]
	s_cbranch_execnz .LBB186_116
.LBB186_98:
	s_or_b64 exec, exec, s[16:17]
	s_and_saveexec_b64 s[16:17], s[12:13]
	s_cbranch_execnz .LBB186_117
.LBB186_99:
	s_or_b64 exec, exec, s[16:17]
	s_and_saveexec_b64 s[16:17], s[14:15]
	s_cbranch_execz .LBB186_101
.LBB186_100:
	s_mul_i32 s18, s46, 0x700
	s_mov_b32 s19, 0
	s_lshl_b64 s[18:19], s[18:19], 3
	s_waitcnt lgkmcnt(1)
	v_mov_b32_e32 v4, s19
	v_add_co_u32_e32 v2, vcc, s18, v2
	v_addc_co_u32_e32 v3, vcc, v3, v4, vcc
	s_waitcnt lgkmcnt(0)
	global_store_dwordx2 v[2:3], v[0:1], off
.LBB186_101:
	s_or_b64 exec, exec, s[16:17]
	s_waitcnt lgkmcnt(0)
	s_barrier
	ds_write2_b64 v111, v[50:51], v[52:53] offset1:1
	ds_write2_b64 v111, v[54:55], v[56:57] offset0:2 offset1:3
	ds_write2_b64 v111, v[58:59], v[60:61] offset0:4 offset1:5
	;; [unrolled: 1-line block ×3, first 2 shown]
	s_waitcnt lgkmcnt(0)
	s_barrier
	ds_read_b64 v[14:15], v104 offset:2048
	ds_read_b64 v[12:13], v105 offset:4096
	;; [unrolled: 1-line block ×7, first 2 shown]
	v_mov_b32_e32 v69, 0
	v_lshlrev_b64 v[2:3], 3, v[68:69]
	v_mov_b32_e32 v16, s56
	v_add_co_u32_e32 v2, vcc, s49, v2
	v_addc_co_u32_e32 v3, vcc, v16, v3, vcc
	s_and_saveexec_b64 s[16:17], s[0:1]
	s_cbranch_execnz .LBB186_118
; %bb.102:
	s_or_b64 exec, exec, s[16:17]
	s_and_saveexec_b64 s[0:1], s[2:3]
	s_cbranch_execnz .LBB186_119
.LBB186_103:
	s_or_b64 exec, exec, s[0:1]
	s_and_saveexec_b64 s[0:1], s[4:5]
	s_cbranch_execnz .LBB186_120
.LBB186_104:
	s_or_b64 exec, exec, s[0:1]
	s_and_saveexec_b64 s[0:1], s[6:7]
	s_cbranch_execnz .LBB186_121
.LBB186_105:
	s_or_b64 exec, exec, s[0:1]
	s_and_saveexec_b64 s[0:1], s[8:9]
	s_cbranch_execnz .LBB186_122
.LBB186_106:
	s_or_b64 exec, exec, s[0:1]
	s_and_saveexec_b64 s[0:1], s[10:11]
	s_cbranch_execnz .LBB186_123
.LBB186_107:
	s_or_b64 exec, exec, s[0:1]
	s_and_saveexec_b64 s[0:1], s[12:13]
	s_cbranch_execnz .LBB186_124
.LBB186_108:
	s_or_b64 exec, exec, s[0:1]
	s_and_saveexec_b64 s[0:1], s[14:15]
	s_cbranch_execz .LBB186_110
.LBB186_109:
	s_mul_i32 s0, s48, 0x700
	s_mov_b32 s1, 0
	s_lshl_b64 s[0:1], s[0:1], 3
	s_waitcnt lgkmcnt(1)
	v_mov_b32_e32 v4, s1
	v_add_co_u32_e32 v2, vcc, s0, v2
	v_addc_co_u32_e32 v3, vcc, v3, v4, vcc
	s_waitcnt lgkmcnt(0)
	global_store_dwordx2 v[2:3], v[0:1], off
.LBB186_110:
	s_endpgm
.LBB186_111:
	ds_read_b64 v[16:17], v71
	s_waitcnt lgkmcnt(0)
	global_store_dwordx2 v[2:3], v[16:17], off
	s_or_b64 exec, exec, s[16:17]
	s_and_saveexec_b64 s[16:17], s[2:3]
	s_cbranch_execz .LBB186_94
.LBB186_112:
	s_lshl_b32 s18, s46, 8
	s_mov_b32 s19, 0
	s_lshl_b64 s[18:19], s[18:19], 3
	v_mov_b32_e32 v17, s19
	v_add_co_u32_e32 v16, vcc, s18, v2
	v_addc_co_u32_e32 v17, vcc, v3, v17, vcc
	s_waitcnt lgkmcnt(6)
	global_store_dwordx2 v[16:17], v[14:15], off
	s_or_b64 exec, exec, s[16:17]
	s_and_saveexec_b64 s[16:17], s[4:5]
	s_cbranch_execz .LBB186_95
.LBB186_113:
	s_lshl_b32 s18, s46, 9
	s_mov_b32 s19, 0
	s_lshl_b64 s[18:19], s[18:19], 3
	s_waitcnt lgkmcnt(6)
	v_mov_b32_e32 v15, s19
	v_add_co_u32_e32 v14, vcc, s18, v2
	v_addc_co_u32_e32 v15, vcc, v3, v15, vcc
	s_waitcnt lgkmcnt(5)
	global_store_dwordx2 v[14:15], v[12:13], off
	s_or_b64 exec, exec, s[16:17]
	s_and_saveexec_b64 s[16:17], s[6:7]
	s_cbranch_execz .LBB186_96
.LBB186_114:
	s_mul_i32 s18, s46, 0x300
	s_mov_b32 s19, 0
	s_lshl_b64 s[18:19], s[18:19], 3
	s_waitcnt lgkmcnt(5)
	v_mov_b32_e32 v13, s19
	v_add_co_u32_e32 v12, vcc, s18, v2
	v_addc_co_u32_e32 v13, vcc, v3, v13, vcc
	s_waitcnt lgkmcnt(4)
	global_store_dwordx2 v[12:13], v[10:11], off
	s_or_b64 exec, exec, s[16:17]
	s_and_saveexec_b64 s[16:17], s[8:9]
	s_cbranch_execz .LBB186_97
.LBB186_115:
	s_lshl_b32 s18, s46, 10
	s_mov_b32 s19, 0
	s_lshl_b64 s[18:19], s[18:19], 3
	s_waitcnt lgkmcnt(4)
	v_mov_b32_e32 v11, s19
	v_add_co_u32_e32 v10, vcc, s18, v2
	v_addc_co_u32_e32 v11, vcc, v3, v11, vcc
	s_waitcnt lgkmcnt(3)
	global_store_dwordx2 v[10:11], v[8:9], off
	s_or_b64 exec, exec, s[16:17]
	s_and_saveexec_b64 s[16:17], s[10:11]
	s_cbranch_execz .LBB186_98
.LBB186_116:
	s_mul_i32 s18, s46, 0x500
	s_mov_b32 s19, 0
	s_lshl_b64 s[18:19], s[18:19], 3
	s_waitcnt lgkmcnt(3)
	v_mov_b32_e32 v9, s19
	v_add_co_u32_e32 v8, vcc, s18, v2
	v_addc_co_u32_e32 v9, vcc, v3, v9, vcc
	s_waitcnt lgkmcnt(2)
	global_store_dwordx2 v[8:9], v[6:7], off
	s_or_b64 exec, exec, s[16:17]
	s_and_saveexec_b64 s[16:17], s[12:13]
	s_cbranch_execz .LBB186_99
.LBB186_117:
	s_mul_i32 s18, s46, 0x600
	s_mov_b32 s19, 0
	s_lshl_b64 s[18:19], s[18:19], 3
	s_waitcnt lgkmcnt(2)
	v_mov_b32_e32 v7, s19
	v_add_co_u32_e32 v6, vcc, s18, v2
	v_addc_co_u32_e32 v7, vcc, v3, v7, vcc
	s_waitcnt lgkmcnt(1)
	global_store_dwordx2 v[6:7], v[4:5], off
	s_or_b64 exec, exec, s[16:17]
	s_and_saveexec_b64 s[16:17], s[14:15]
	s_cbranch_execnz .LBB186_100
	s_branch .LBB186_101
.LBB186_118:
	ds_read_b64 v[16:17], v71
	s_waitcnt lgkmcnt(0)
	global_store_dwordx2 v[2:3], v[16:17], off
	s_or_b64 exec, exec, s[16:17]
	s_and_saveexec_b64 s[0:1], s[2:3]
	s_cbranch_execz .LBB186_103
.LBB186_119:
	s_lshl_b32 s2, s48, 8
	s_mov_b32 s3, 0
	s_lshl_b64 s[2:3], s[2:3], 3
	v_mov_b32_e32 v17, s3
	v_add_co_u32_e32 v16, vcc, s2, v2
	v_addc_co_u32_e32 v17, vcc, v3, v17, vcc
	s_waitcnt lgkmcnt(6)
	global_store_dwordx2 v[16:17], v[14:15], off
	s_or_b64 exec, exec, s[0:1]
	s_and_saveexec_b64 s[0:1], s[4:5]
	s_cbranch_execz .LBB186_104
.LBB186_120:
	s_lshl_b32 s2, s48, 9
	s_mov_b32 s3, 0
	s_lshl_b64 s[2:3], s[2:3], 3
	s_waitcnt lgkmcnt(6)
	v_mov_b32_e32 v15, s3
	v_add_co_u32_e32 v14, vcc, s2, v2
	v_addc_co_u32_e32 v15, vcc, v3, v15, vcc
	s_waitcnt lgkmcnt(5)
	global_store_dwordx2 v[14:15], v[12:13], off
	s_or_b64 exec, exec, s[0:1]
	s_and_saveexec_b64 s[0:1], s[6:7]
	s_cbranch_execz .LBB186_105
.LBB186_121:
	s_mul_i32 s2, s48, 0x300
	s_mov_b32 s3, 0
	s_lshl_b64 s[2:3], s[2:3], 3
	s_waitcnt lgkmcnt(5)
	v_mov_b32_e32 v13, s3
	v_add_co_u32_e32 v12, vcc, s2, v2
	v_addc_co_u32_e32 v13, vcc, v3, v13, vcc
	s_waitcnt lgkmcnt(4)
	global_store_dwordx2 v[12:13], v[10:11], off
	s_or_b64 exec, exec, s[0:1]
	s_and_saveexec_b64 s[0:1], s[8:9]
	s_cbranch_execz .LBB186_106
.LBB186_122:
	s_lshl_b32 s2, s48, 10
	s_mov_b32 s3, 0
	s_lshl_b64 s[2:3], s[2:3], 3
	s_waitcnt lgkmcnt(4)
	v_mov_b32_e32 v11, s3
	v_add_co_u32_e32 v10, vcc, s2, v2
	v_addc_co_u32_e32 v11, vcc, v3, v11, vcc
	s_waitcnt lgkmcnt(3)
	global_store_dwordx2 v[10:11], v[8:9], off
	s_or_b64 exec, exec, s[0:1]
	s_and_saveexec_b64 s[0:1], s[10:11]
	s_cbranch_execz .LBB186_107
.LBB186_123:
	s_mul_i32 s2, s48, 0x500
	s_mov_b32 s3, 0
	s_lshl_b64 s[2:3], s[2:3], 3
	s_waitcnt lgkmcnt(3)
	v_mov_b32_e32 v9, s3
	v_add_co_u32_e32 v8, vcc, s2, v2
	v_addc_co_u32_e32 v9, vcc, v3, v9, vcc
	s_waitcnt lgkmcnt(2)
	global_store_dwordx2 v[8:9], v[6:7], off
	s_or_b64 exec, exec, s[0:1]
	s_and_saveexec_b64 s[0:1], s[12:13]
	s_cbranch_execz .LBB186_108
.LBB186_124:
	s_mul_i32 s2, s48, 0x600
	s_mov_b32 s3, 0
	s_lshl_b64 s[2:3], s[2:3], 3
	s_waitcnt lgkmcnt(2)
	v_mov_b32_e32 v7, s3
	v_add_co_u32_e32 v6, vcc, s2, v2
	v_addc_co_u32_e32 v7, vcc, v3, v7, vcc
	s_waitcnt lgkmcnt(1)
	global_store_dwordx2 v[6:7], v[4:5], off
	s_or_b64 exec, exec, s[0:1]
	s_and_saveexec_b64 s[0:1], s[14:15]
	s_cbranch_execnz .LBB186_109
	s_branch .LBB186_110
	.section	.rodata,"a",@progbits
	.p2align	6, 0x0
	.amdhsa_kernel _ZN2at6native18radixSortKVInPlaceILi2ELin1ELi256ELi8EdljEEvNS_4cuda6detail10TensorInfoIT3_T5_EES6_S6_S6_NS4_IT4_S6_EES6_b
		.amdhsa_group_segment_fixed_size 16896
		.amdhsa_private_segment_fixed_size 0
		.amdhsa_kernarg_size 712
		.amdhsa_user_sgpr_count 6
		.amdhsa_user_sgpr_private_segment_buffer 1
		.amdhsa_user_sgpr_dispatch_ptr 0
		.amdhsa_user_sgpr_queue_ptr 0
		.amdhsa_user_sgpr_kernarg_segment_ptr 1
		.amdhsa_user_sgpr_dispatch_id 0
		.amdhsa_user_sgpr_flat_scratch_init 0
		.amdhsa_user_sgpr_kernarg_preload_length 0
		.amdhsa_user_sgpr_kernarg_preload_offset 0
		.amdhsa_user_sgpr_private_segment_size 0
		.amdhsa_uses_dynamic_stack 0
		.amdhsa_system_sgpr_private_segment_wavefront_offset 0
		.amdhsa_system_sgpr_workgroup_id_x 1
		.amdhsa_system_sgpr_workgroup_id_y 1
		.amdhsa_system_sgpr_workgroup_id_z 1
		.amdhsa_system_sgpr_workgroup_info 0
		.amdhsa_system_vgpr_workitem_id 2
		.amdhsa_next_free_vgpr 139
		.amdhsa_next_free_sgpr 62
		.amdhsa_accum_offset 140
		.amdhsa_reserve_vcc 1
		.amdhsa_reserve_flat_scratch 0
		.amdhsa_float_round_mode_32 0
		.amdhsa_float_round_mode_16_64 0
		.amdhsa_float_denorm_mode_32 3
		.amdhsa_float_denorm_mode_16_64 3
		.amdhsa_dx10_clamp 1
		.amdhsa_ieee_mode 1
		.amdhsa_fp16_overflow 0
		.amdhsa_tg_split 0
		.amdhsa_exception_fp_ieee_invalid_op 0
		.amdhsa_exception_fp_denorm_src 0
		.amdhsa_exception_fp_ieee_div_zero 0
		.amdhsa_exception_fp_ieee_overflow 0
		.amdhsa_exception_fp_ieee_underflow 0
		.amdhsa_exception_fp_ieee_inexact 0
		.amdhsa_exception_int_div_zero 0
	.end_amdhsa_kernel
	.section	.text._ZN2at6native18radixSortKVInPlaceILi2ELin1ELi256ELi8EdljEEvNS_4cuda6detail10TensorInfoIT3_T5_EES6_S6_S6_NS4_IT4_S6_EES6_b,"axG",@progbits,_ZN2at6native18radixSortKVInPlaceILi2ELin1ELi256ELi8EdljEEvNS_4cuda6detail10TensorInfoIT3_T5_EES6_S6_S6_NS4_IT4_S6_EES6_b,comdat
.Lfunc_end186:
	.size	_ZN2at6native18radixSortKVInPlaceILi2ELin1ELi256ELi8EdljEEvNS_4cuda6detail10TensorInfoIT3_T5_EES6_S6_S6_NS4_IT4_S6_EES6_b, .Lfunc_end186-_ZN2at6native18radixSortKVInPlaceILi2ELin1ELi256ELi8EdljEEvNS_4cuda6detail10TensorInfoIT3_T5_EES6_S6_S6_NS4_IT4_S6_EES6_b
                                        ; -- End function
	.section	.AMDGPU.csdata,"",@progbits
; Kernel info:
; codeLenInByte = 13920
; NumSgprs: 66
; NumVgprs: 139
; NumAgprs: 0
; TotalNumVgprs: 139
; ScratchSize: 0
; MemoryBound: 0
; FloatMode: 240
; IeeeMode: 1
; LDSByteSize: 16896 bytes/workgroup (compile time only)
; SGPRBlocks: 8
; VGPRBlocks: 17
; NumSGPRsForWavesPerEU: 66
; NumVGPRsForWavesPerEU: 139
; AccumOffset: 140
; Occupancy: 3
; WaveLimiterHint : 1
; COMPUTE_PGM_RSRC2:SCRATCH_EN: 0
; COMPUTE_PGM_RSRC2:USER_SGPR: 6
; COMPUTE_PGM_RSRC2:TRAP_HANDLER: 0
; COMPUTE_PGM_RSRC2:TGID_X_EN: 1
; COMPUTE_PGM_RSRC2:TGID_Y_EN: 1
; COMPUTE_PGM_RSRC2:TGID_Z_EN: 1
; COMPUTE_PGM_RSRC2:TIDIG_COMP_CNT: 2
; COMPUTE_PGM_RSRC3_GFX90A:ACCUM_OFFSET: 34
; COMPUTE_PGM_RSRC3_GFX90A:TG_SPLIT: 0
	.section	.text._ZN2at6native18radixSortKVInPlaceILi2ELin1ELi128ELi8EdljEEvNS_4cuda6detail10TensorInfoIT3_T5_EES6_S6_S6_NS4_IT4_S6_EES6_b,"axG",@progbits,_ZN2at6native18radixSortKVInPlaceILi2ELin1ELi128ELi8EdljEEvNS_4cuda6detail10TensorInfoIT3_T5_EES6_S6_S6_NS4_IT4_S6_EES6_b,comdat
	.protected	_ZN2at6native18radixSortKVInPlaceILi2ELin1ELi128ELi8EdljEEvNS_4cuda6detail10TensorInfoIT3_T5_EES6_S6_S6_NS4_IT4_S6_EES6_b ; -- Begin function _ZN2at6native18radixSortKVInPlaceILi2ELin1ELi128ELi8EdljEEvNS_4cuda6detail10TensorInfoIT3_T5_EES6_S6_S6_NS4_IT4_S6_EES6_b
	.globl	_ZN2at6native18radixSortKVInPlaceILi2ELin1ELi128ELi8EdljEEvNS_4cuda6detail10TensorInfoIT3_T5_EES6_S6_S6_NS4_IT4_S6_EES6_b
	.p2align	8
	.type	_ZN2at6native18radixSortKVInPlaceILi2ELin1ELi128ELi8EdljEEvNS_4cuda6detail10TensorInfoIT3_T5_EES6_S6_S6_NS4_IT4_S6_EES6_b,@function
_ZN2at6native18radixSortKVInPlaceILi2ELin1ELi128ELi8EdljEEvNS_4cuda6detail10TensorInfoIT3_T5_EES6_S6_S6_NS4_IT4_S6_EES6_b: ; @_ZN2at6native18radixSortKVInPlaceILi2ELin1ELi128ELi8EdljEEvNS_4cuda6detail10TensorInfoIT3_T5_EES6_S6_S6_NS4_IT4_S6_EES6_b
; %bb.0:
	s_load_dwordx2 s[0:1], s[4:5], 0x1c8
	s_load_dwordx4 s[44:47], s[4:5], 0xd8
	s_add_u32 s50, s4, 0x1c8
	s_addc_u32 s51, s5, 0
	s_waitcnt lgkmcnt(0)
	s_mul_i32 s1, s1, s8
	s_add_i32 s1, s1, s7
	s_mul_i32 s8, s1, s0
	s_add_i32 s8, s8, s6
	s_cmp_ge_u32 s8, s44
	s_cbranch_scc1 .LBB187_110
; %bb.1:
	s_load_dword s9, s[4:5], 0xc
	s_load_dwordx2 s[0:1], s[4:5], 0x6c
	s_load_dword s6, s[4:5], 0x1b8
	s_add_u32 s22, s4, 0xe8
	s_load_dwordx2 s[2:3], s[4:5], 0x0
	s_waitcnt lgkmcnt(0)
	v_cvt_f32_u32_e32 v1, s9
	s_addc_u32 s23, s5, 0
	s_sub_i32 s7, 0, s9
	s_mov_b32 s21, 0
	v_rcp_iflag_f32_e32 v1, v1
	s_mov_b32 s20, s8
	v_mul_f32_e32 v1, 0x4f7ffffe, v1
	v_cvt_u32_f32_e32 v1, v1
	v_readfirstlane_b32 s10, v1
	s_mul_i32 s7, s7, s10
	s_mul_hi_u32 s7, s10, s7
	s_add_i32 s10, s10, s7
	s_mul_hi_u32 s10, s8, s10
	s_cmp_lt_i32 s6, 2
	s_cbranch_scc1 .LBB187_4
; %bb.2:
	s_add_i32 s20, s6, -1
	s_add_i32 s11, s6, 1
	s_lshl_b64 s[6:7], s[20:21], 2
	s_add_u32 s6, s6, s22
	s_addc_u32 s7, s7, s23
	s_add_u32 s6, s6, 8
	s_addc_u32 s7, s7, 0
	s_mov_b32 s20, s8
.LBB187_3:                              ; =>This Inner Loop Header: Depth=1
	s_load_dword s12, s[6:7], 0x0
	s_load_dword s14, s[6:7], 0x64
	s_mov_b32 s13, s20
	s_waitcnt lgkmcnt(0)
	v_cvt_f32_u32_e32 v1, s12
	s_sub_i32 s15, 0, s12
	v_rcp_iflag_f32_e32 v1, v1
	v_mul_f32_e32 v1, 0x4f7ffffe, v1
	v_cvt_u32_f32_e32 v1, v1
	v_readfirstlane_b32 s16, v1
	s_mul_i32 s15, s15, s16
	s_mul_hi_u32 s15, s16, s15
	s_add_i32 s16, s16, s15
	s_mul_hi_u32 s15, s20, s16
	s_mul_i32 s16, s15, s12
	s_sub_i32 s16, s20, s16
	s_add_i32 s17, s15, 1
	s_sub_i32 s18, s16, s12
	s_cmp_ge_u32 s16, s12
	s_cselect_b32 s15, s17, s15
	s_cselect_b32 s16, s18, s16
	s_add_i32 s17, s15, 1
	s_cmp_ge_u32 s16, s12
	s_cselect_b32 s20, s17, s15
	s_mul_i32 s12, s20, s12
	s_sub_i32 s12, s13, s12
	s_mul_i32 s12, s14, s12
	s_add_i32 s11, s11, -1
	s_add_i32 s21, s12, s21
	s_add_u32 s6, s6, -4
	s_addc_u32 s7, s7, -1
	s_cmp_gt_u32 s11, 2
	s_cbranch_scc1 .LBB187_3
.LBB187_4:
	s_mul_i32 s6, s10, s9
	s_sub_i32 s6, s8, s6
	s_add_i32 s7, s10, 1
	s_sub_i32 s11, s6, s9
	s_cmp_ge_u32 s6, s9
	s_cselect_b32 s7, s7, s10
	s_cselect_b32 s6, s11, s6
	s_add_i32 s10, s7, 1
	s_cmp_ge_u32 s6, s9
	s_cselect_b32 s6, s10, s7
	s_load_dwordx2 s[48:49], s[4:5], 0x1c0
	s_mul_i32 s7, s6, s9
	s_sub_i32 s4, s8, s7
	s_mul_i32 s4, s4, s1
	s_mul_i32 s0, s6, s0
	s_add_i32 s0, s0, s4
	s_waitcnt lgkmcnt(0)
	s_bitcmp1_b32 s49, 0
	s_cselect_b64 s[34:35], -1, 0
	s_and_b64 s[6:7], s[34:35], exec
	s_mov_b32 s1, 0
	s_mov_b32 s4, -1
	s_cselect_b32 s5, -1, 0x7fffffff
	s_lshl_b64 s[0:1], s[0:1], 3
	s_add_u32 s33, s2, s0
	v_and_b32_e32 v70, 0x3ff, v0
	s_mov_b32 s6, s4
	s_mov_b32 s7, s5
	;; [unrolled: 1-line block ×14, first 2 shown]
	v_pk_mov_b32 v[2:3], s[4:5], s[4:5] op_sel:[0,1]
	s_addc_u32 s47, s3, s1
	v_cmp_gt_u32_e64 s[0:1], s45, v70
	v_pk_mov_b32 v[4:5], s[6:7], s[6:7] op_sel:[0,1]
	v_pk_mov_b32 v[6:7], s[8:9], s[8:9] op_sel:[0,1]
	;; [unrolled: 1-line block ×8, first 2 shown]
	v_mul_lo_u32 v66, v70, s46
	s_and_saveexec_b64 s[2:3], s[0:1]
	s_cbranch_execz .LBB187_6
; %bb.5:
	v_mov_b32_e32 v67, 0
	v_lshlrev_b64 v[2:3], 3, v[66:67]
	v_mov_b32_e32 v1, s47
	v_add_co_u32_e32 v2, vcc, s33, v2
	v_addc_co_u32_e32 v3, vcc, v1, v3, vcc
	global_load_dwordx2 v[18:19], v[2:3], off
	v_pk_mov_b32 v[2:3], s[4:5], s[4:5] op_sel:[0,1]
	v_pk_mov_b32 v[4:5], s[6:7], s[6:7] op_sel:[0,1]
	;; [unrolled: 1-line block ×8, first 2 shown]
.LBB187_6:
	s_or_b64 exec, exec, s[2:3]
	v_add_u32_e32 v1, 0x80, v70
	v_cmp_gt_u32_e64 s[2:3], s45, v1
	s_and_saveexec_b64 s[4:5], s[2:3]
	s_cbranch_execz .LBB187_8
; %bb.7:
	v_mul_lo_u32 v2, v1, s46
	v_mov_b32_e32 v3, 0
	v_lshlrev_b64 v[2:3], 3, v[2:3]
	v_mov_b32_e32 v4, s47
	v_add_co_u32_e32 v2, vcc, s33, v2
	v_addc_co_u32_e32 v3, vcc, v4, v3, vcc
	global_load_dwordx2 v[4:5], v[2:3], off
.LBB187_8:
	s_or_b64 exec, exec, s[4:5]
	v_add_u32_e32 v34, 0x100, v70
	v_cmp_gt_u32_e64 s[4:5], s45, v34
	s_and_saveexec_b64 s[6:7], s[4:5]
	s_cbranch_execz .LBB187_10
; %bb.9:
	v_mul_lo_u32 v2, v34, s46
	v_mov_b32_e32 v3, 0
	v_lshlrev_b64 v[2:3], 3, v[2:3]
	v_mov_b32_e32 v6, s47
	v_add_co_u32_e32 v2, vcc, s33, v2
	v_addc_co_u32_e32 v3, vcc, v6, v3, vcc
	global_load_dwordx2 v[6:7], v[2:3], off
.LBB187_10:
	;; [unrolled: 14-line block ×5, first 2 shown]
	s_or_b64 exec, exec, s[12:13]
	s_load_dwordx2 s[18:19], s[22:23], 0x0
	v_add_u32_e32 v38, 0x300, v70
	v_cmp_gt_u32_e64 s[12:13], s45, v38
	s_and_saveexec_b64 s[14:15], s[12:13]
	s_cbranch_execz .LBB187_18
; %bb.17:
	v_mul_lo_u32 v2, v38, s46
	v_mov_b32_e32 v3, 0
	v_lshlrev_b64 v[2:3], 3, v[2:3]
	v_mov_b32_e32 v14, s47
	v_add_co_u32_e32 v2, vcc, s33, v2
	v_addc_co_u32_e32 v3, vcc, v14, v3, vcc
	global_load_dwordx2 v[14:15], v[2:3], off
.LBB187_18:
	s_or_b64 exec, exec, s[14:15]
	s_load_dword s22, s[22:23], 0x6c
	v_add_u32_e32 v39, 0x380, v70
	v_cmp_gt_u32_e64 s[14:15], s45, v39
	s_and_saveexec_b64 s[16:17], s[14:15]
	s_cbranch_execz .LBB187_20
; %bb.19:
	v_mul_lo_u32 v2, v39, s46
	v_mov_b32_e32 v3, 0
	v_lshlrev_b64 v[2:3], 3, v[2:3]
	v_mov_b32_e32 v16, s47
	v_add_co_u32_e32 v2, vcc, s33, v2
	v_addc_co_u32_e32 v3, vcc, v16, v3, vcc
	global_load_dwordx2 v[16:17], v[2:3], off
.LBB187_20:
	s_or_b64 exec, exec, s[16:17]
	v_lshrrev_b32_e32 v2, 5, v70
	v_add_lshl_u32 v71, v2, v70, 3
	v_lshrrev_b32_e32 v2, 5, v1
	v_add_lshl_u32 v104, v2, v70, 3
	;; [unrolled: 2-line block ×8, first 2 shown]
	v_lshlrev_b32_e32 v67, 3, v70
	v_lshrrev_b32_e32 v2, 2, v70
	v_add_lshl_u32 v111, v2, v67, 3
	s_waitcnt vmcnt(0)
	ds_write_b64 v71, v[18:19]
	ds_write_b64 v104, v[4:5] offset:1024
	ds_write_b64 v105, v[6:7] offset:2048
	;; [unrolled: 1-line block ×7, first 2 shown]
	s_waitcnt lgkmcnt(0)
	s_barrier
	ds_read2_b64 v[30:33], v111 offset1:1
	ds_read2_b64 v[26:29], v111 offset0:2 offset1:3
	ds_read2_b64 v[22:25], v111 offset0:4 offset1:5
	;; [unrolled: 1-line block ×3, first 2 shown]
	s_mul_i32 s16, s22, s20
	s_add_i32 s16, s16, s21
	s_mov_b32 s17, 0
	s_lshl_b64 s[20:21], s[16:17], 3
	s_add_u32 s49, s18, s20
	s_mov_b32 s16, s17
	s_addc_u32 s54, s19, s21
	s_mov_b32 s18, s17
	s_mov_b32 s19, s17
	;; [unrolled: 1-line block ×14, first 2 shown]
	v_pk_mov_b32 v[2:3], s[16:17], s[16:17] op_sel:[0,1]
	v_pk_mov_b32 v[4:5], s[18:19], s[18:19] op_sel:[0,1]
	;; [unrolled: 1-line block ×8, first 2 shown]
	v_pk_mov_b32 v[2:3], 0, 0
	v_mul_lo_u32 v68, v70, s48
	s_waitcnt lgkmcnt(0)
	s_barrier
	s_and_saveexec_b64 s[16:17], s[0:1]
	s_cbranch_execnz .LBB187_57
; %bb.21:
	s_or_b64 exec, exec, s[16:17]
	s_and_saveexec_b64 s[16:17], s[2:3]
	s_cbranch_execnz .LBB187_58
.LBB187_22:
	s_or_b64 exec, exec, s[16:17]
	s_and_saveexec_b64 s[16:17], s[4:5]
	s_cbranch_execnz .LBB187_59
.LBB187_23:
	s_or_b64 exec, exec, s[16:17]
	s_and_saveexec_b64 s[16:17], s[6:7]
	s_cbranch_execnz .LBB187_60
.LBB187_24:
	s_or_b64 exec, exec, s[16:17]
	s_and_saveexec_b64 s[16:17], s[8:9]
	s_cbranch_execnz .LBB187_61
.LBB187_25:
	s_or_b64 exec, exec, s[16:17]
	s_and_saveexec_b64 s[16:17], s[10:11]
	s_cbranch_execnz .LBB187_62
.LBB187_26:
	s_or_b64 exec, exec, s[16:17]
	s_and_saveexec_b64 s[16:17], s[12:13]
	s_cbranch_execnz .LBB187_63
.LBB187_27:
	s_or_b64 exec, exec, s[16:17]
	s_xor_b64 s[16:17], s[34:35], -1
	s_and_saveexec_b64 s[18:19], s[14:15]
	s_cbranch_execz .LBB187_29
.LBB187_28:
	v_mul_lo_u32 v16, v39, s48
	v_mov_b32_e32 v17, 0
	v_lshlrev_b64 v[16:17], 3, v[16:17]
	v_mov_b32_e32 v1, s54
	v_add_co_u32_e32 v16, vcc, s49, v16
	v_addc_co_u32_e32 v17, vcc, v1, v17, vcc
	global_load_dwordx2 v[16:17], v[16:17], off
.LBB187_29:
	s_or_b64 exec, exec, s[18:19]
	s_waitcnt vmcnt(0)
	ds_write_b64 v71, v[2:3]
	ds_write_b64 v104, v[4:5] offset:1024
	ds_write_b64 v105, v[6:7] offset:2048
	;; [unrolled: 1-line block ×7, first 2 shown]
	s_waitcnt lgkmcnt(0)
	s_barrier
	ds_read2_b64 v[46:49], v111 offset1:1
	ds_read2_b64 v[42:45], v111 offset0:2 offset1:3
	ds_read2_b64 v[38:41], v111 offset0:4 offset1:5
	;; [unrolled: 1-line block ×3, first 2 shown]
	s_and_b64 vcc, exec, s[16:17]
	v_bfe_u32 v114, v0, 10, 10
	v_bfe_u32 v115, v0, 20, 10
	v_ashrrev_i32_e32 v124, 31, v31
	v_ashrrev_i32_e32 v123, 31, v33
	;; [unrolled: 1-line block ×8, first 2 shown]
	v_mbcnt_lo_u32_b32 v116, -1, 0
	v_lshlrev_b32_e32 v69, 2, v70
	v_lshlrev_b32_e32 v112, 4, v70
	v_cmp_gt_u32_e64 s[16:17], 2, v70
	v_cmp_lt_u32_e64 s[18:19], 63, v70
	v_cmp_eq_u32_e64 s[20:21], 0, v70
	v_lshrrev_b32_e32 v113, 4, v70
	s_waitcnt lgkmcnt(0)
	s_barrier
	s_cbranch_vccz .LBB187_64
; %bb.30:
	v_bfrev_b32_e32 v125, 1
	v_cmp_lt_i64_e32 vcc, -1, v[30:31]
	v_cndmask_b32_e32 v0, -1, v125, vcc
	v_cmp_lt_i64_e32 vcc, -1, v[32:33]
	v_cndmask_b32_e32 v2, -1, v125, vcc
	v_cmp_lt_i64_e32 vcc, -1, v[26:27]
	v_cndmask_b32_e32 v4, -1, v125, vcc
	v_cmp_lt_i64_e32 vcc, -1, v[28:29]
	v_cndmask_b32_e32 v6, -1, v125, vcc
	v_cmp_lt_i64_e32 vcc, -1, v[22:23]
	v_cndmask_b32_e32 v8, -1, v125, vcc
	v_cmp_lt_i64_e32 vcc, -1, v[24:25]
	v_cndmask_b32_e32 v10, -1, v125, vcc
	v_cmp_lt_i64_e32 vcc, -1, v[18:19]
	v_cndmask_b32_e32 v12, -1, v125, vcc
	v_cmp_lt_i64_e32 vcc, -1, v[20:21]
	v_mbcnt_hi_u32_b32 v72, -1, v116
	v_and_b32_e32 v73, 0x3c0, v70
	v_xor_b32_e32 v1, v0, v31
	v_xor_b32_e32 v0, v124, v30
	;; [unrolled: 1-line block ×4, first 2 shown]
	v_cndmask_b32_e32 v14, -1, v125, vcc
	v_add_lshl_u32 v16, v72, v73, 6
	v_and_b32_e32 v74, 0x1e00, v67
	v_xor_b32_e32 v5, v4, v27
	v_xor_b32_e32 v4, v122, v26
	;; [unrolled: 1-line block ×12, first 2 shown]
	ds_write2_b64 v16, v[0:1], v[2:3] offset1:1
	ds_write2_b64 v16, v[4:5], v[6:7] offset0:2 offset1:3
	ds_write2_b64 v16, v[8:9], v[10:11] offset0:4 offset1:5
	ds_write2_b64 v16, v[12:13], v[14:15] offset0:6 offset1:7
	v_or_b32_e32 v0, v72, v74
	v_lshlrev_b32_e32 v17, 3, v0
	; wave barrier
	ds_read2st64_b64 v[0:3], v17 offset1:1
	ds_read2st64_b64 v[4:7], v17 offset0:2 offset1:3
	ds_read2st64_b64 v[8:11], v17 offset0:4 offset1:5
	;; [unrolled: 1-line block ×3, first 2 shown]
	; wave barrier
	ds_write2_b64 v16, v[46:47], v[48:49] offset1:1
	ds_write2_b64 v16, v[42:43], v[44:45] offset0:2 offset1:3
	ds_write2_b64 v16, v[38:39], v[40:41] offset0:4 offset1:5
	ds_write2_b64 v16, v[34:35], v[36:37] offset0:6 offset1:7
	; wave barrier
	ds_read2st64_b64 v[50:53], v17 offset1:1
	ds_read2st64_b64 v[54:57], v17 offset0:2 offset1:3
	ds_read2st64_b64 v[58:61], v17 offset0:4 offset1:5
	;; [unrolled: 1-line block ×3, first 2 shown]
	s_waitcnt lgkmcnt(0)
	s_barrier
	s_load_dword s24, s[50:51], 0xc
	s_getpc_b64 s[22:23]
	s_add_u32 s22, s22, _ZN7rocprim17ROCPRIM_400000_NS16block_radix_sortIdLj128ELj8ElLj1ELj1ELj0ELNS0_26block_radix_rank_algorithmE1ELNS0_18block_padding_hintE2ELNS0_4arch9wavefront6targetE1EE19radix_bits_per_passE@rel32@lo+4
	s_addc_u32 s23, s23, _ZN7rocprim17ROCPRIM_400000_NS16block_radix_sortIdLj128ELj8ElLj1ELj1ELj0ELNS0_26block_radix_rank_algorithmE1ELNS0_18block_padding_hintE2ELNS0_4arch9wavefront6targetE1EE19radix_bits_per_passE@rel32@hi+12
	s_load_dword s55, s[22:23], 0x0
	s_mov_b32 s44, -1
	v_and_b32_e32 v129, 60, v113
	s_waitcnt lgkmcnt(0)
	s_lshr_b32 s22, s24, 16
	s_and_b32 s23, s24, 0xffff
	v_mad_u32_u24 v16, v115, s22, v114
	v_mad_u64_u32 v[16:17], s[22:23], v16, s23, v[70:71]
	v_lshrrev_b32_e32 v127, 6, v16
	v_and_b32_e32 v16, 15, v72
	v_cmp_eq_u32_e64 s[22:23], 0, v16
	v_cmp_lt_u32_e64 s[24:25], 1, v16
	v_cmp_lt_u32_e64 s[26:27], 3, v16
	v_cmp_lt_u32_e64 s[28:29], 7, v16
	v_and_b32_e32 v16, 16, v72
	v_cmp_eq_u32_e64 s[30:31], 0, v16
	v_min_u32_e32 v16, 64, v73
	v_or_b32_e32 v16, 63, v16
	v_cmp_eq_u32_e64 s[36:37], v16, v70
	v_add_u32_e32 v16, -1, v72
	v_and_b32_e32 v17, 64, v72
	v_cmp_lt_i32_e32 vcc, v16, v17
	v_cndmask_b32_e32 v16, v16, v72, vcc
	v_lshlrev_b32_e32 v128, 2, v16
	v_and_b32_e32 v16, 1, v72
	v_cmp_eq_u32_e64 s[40:41], 0, v16
	v_and_or_b32 v16, v72, 63, v74
	s_brev_b32 s45, -2
	v_or_b32_e32 v126, 8, v112
	v_cmp_lt_u32_e64 s[34:35], 31, v72
	s_mov_b32 s56, 64
	v_cmp_eq_u32_e64 s[38:39], 0, v72
	v_add_u32_e32 v130, -4, v129
	v_lshlrev_b32_e32 v131, 3, v16
	s_mov_b64 s[52:53], 0
	v_mov_b32_e32 v86, 0
	s_branch .LBB187_32
.LBB187_31:                             ;   in Loop: Header=BB187_32 Depth=1
	v_lshlrev_b32_e32 v50, 3, v138
	v_lshlrev_b32_e32 v51, 3, v137
	;; [unrolled: 1-line block ×8, first 2 shown]
	s_barrier
	ds_write_b64 v50, v[102:103]
	ds_write_b64 v51, v[100:101]
	;; [unrolled: 1-line block ×8, first 2 shown]
	s_waitcnt lgkmcnt(0)
	s_barrier
	ds_read2st64_b64 v[0:3], v131 offset1:1
	ds_read2st64_b64 v[4:7], v131 offset0:2 offset1:3
	ds_read2st64_b64 v[8:11], v131 offset0:4 offset1:5
	;; [unrolled: 1-line block ×3, first 2 shown]
	s_waitcnt lgkmcnt(0)
	s_barrier
	ds_write_b64 v50, v[84:85]
	ds_write_b64 v51, v[82:83]
	;; [unrolled: 1-line block ×8, first 2 shown]
	s_waitcnt lgkmcnt(0)
	s_barrier
	ds_read2st64_b64 v[50:53], v131 offset1:1
	ds_read2st64_b64 v[54:57], v131 offset0:2 offset1:3
	ds_read2st64_b64 v[58:61], v131 offset0:4 offset1:5
	;; [unrolled: 1-line block ×3, first 2 shown]
	s_add_u32 s52, s52, 8
	s_addc_u32 s53, s53, 0
	s_add_i32 s56, s56, -8
	s_waitcnt lgkmcnt(0)
	s_barrier
	s_cbranch_execz .LBB187_56
.LBB187_32:                             ; =>This Inner Loop Header: Depth=1
	v_pk_mov_b32 v[102:103], v[0:1], v[0:1] op_sel:[0,1]
	s_min_u32 s42, s55, s56
	v_cmp_ne_u64_e32 vcc, s[44:45], v[102:103]
	s_lshl_b32 s42, -1, s42
	v_cndmask_b32_e32 v1, v125, v103, vcc
	v_cndmask_b32_e32 v0, 0, v102, vcc
	s_not_b32 s57, s42
	v_lshrrev_b64 v[0:1], s52, v[0:1]
	v_and_b32_e32 v0, s57, v0
	v_lshl_add_u32 v1, v0, 1, v127
	v_pk_mov_b32 v[98:99], v[4:5], v[4:5] op_sel:[0,1]
	v_lshl_add_u32 v4, v1, 2, 8
	v_and_b32_e32 v1, 1, v0
	v_pk_mov_b32 v[100:101], v[2:3], v[2:3] op_sel:[0,1]
	v_add_co_u32_e32 v2, vcc, -1, v1
	v_addc_co_u32_e64 v3, s[42:43], 0, -1, vcc
	v_cmp_ne_u32_e32 vcc, 0, v1
	v_lshlrev_b32_e32 v87, 30, v0
	v_xor_b32_e32 v1, vcc_hi, v3
	v_not_b32_e32 v3, v87
	v_xor_b32_e32 v2, vcc_lo, v2
	v_cmp_gt_i64_e32 vcc, 0, v[86:87]
	v_ashrrev_i32_e32 v3, 31, v3
	v_and_b32_e32 v2, exec_lo, v2
	v_xor_b32_e32 v5, vcc_hi, v3
	v_xor_b32_e32 v3, vcc_lo, v3
	v_lshlrev_b32_e32 v87, 29, v0
	v_and_b32_e32 v2, v2, v3
	v_not_b32_e32 v3, v87
	v_and_b32_e32 v1, exec_hi, v1
	v_cmp_gt_i64_e32 vcc, 0, v[86:87]
	v_ashrrev_i32_e32 v3, 31, v3
	v_and_b32_e32 v1, v1, v5
	v_xor_b32_e32 v5, vcc_hi, v3
	v_xor_b32_e32 v3, vcc_lo, v3
	v_lshlrev_b32_e32 v87, 28, v0
	v_and_b32_e32 v2, v2, v3
	v_not_b32_e32 v3, v87
	v_cmp_gt_i64_e32 vcc, 0, v[86:87]
	v_ashrrev_i32_e32 v3, 31, v3
	v_and_b32_e32 v1, v1, v5
	v_xor_b32_e32 v5, vcc_hi, v3
	v_xor_b32_e32 v3, vcc_lo, v3
	v_lshlrev_b32_e32 v87, 27, v0
	v_and_b32_e32 v2, v2, v3
	v_not_b32_e32 v3, v87
	;; [unrolled: 8-line block ×3, first 2 shown]
	v_cmp_gt_i64_e32 vcc, 0, v[86:87]
	v_ashrrev_i32_e32 v3, 31, v3
	v_and_b32_e32 v1, v1, v5
	v_xor_b32_e32 v5, vcc_hi, v3
	v_xor_b32_e32 v3, vcc_lo, v3
	v_lshlrev_b32_e32 v87, 25, v0
	v_and_b32_e32 v2, v2, v3
	v_cmp_gt_i64_e32 vcc, 0, v[86:87]
	v_not_b32_e32 v3, v87
	v_lshlrev_b32_e32 v87, 24, v0
	v_ashrrev_i32_e32 v3, 31, v3
	v_not_b32_e32 v0, v87
	v_and_b32_e32 v1, v1, v5
	v_xor_b32_e32 v5, vcc_hi, v3
	v_xor_b32_e32 v3, vcc_lo, v3
	v_cmp_gt_i64_e32 vcc, 0, v[86:87]
	v_ashrrev_i32_e32 v0, 31, v0
	v_and_b32_e32 v2, v2, v3
	v_xor_b32_e32 v3, vcc_hi, v0
	v_xor_b32_e32 v0, vcc_lo, v0
	v_and_b32_e32 v1, v1, v5
	v_and_b32_e32 v0, v2, v0
	;; [unrolled: 1-line block ×3, first 2 shown]
	v_mbcnt_lo_u32_b32 v2, v0, 0
	v_mbcnt_hi_u32_b32 v5, v1, v2
	v_cmp_eq_u32_e32 vcc, 0, v5
	v_cmp_ne_u64_e64 s[42:43], 0, v[0:1]
	v_pk_mov_b32 v[88:89], v[14:15], v[14:15] op_sel:[0,1]
	v_pk_mov_b32 v[90:91], v[12:13], v[12:13] op_sel:[0,1]
	;; [unrolled: 1-line block ×13, first 2 shown]
	s_and_b64 s[58:59], s[42:43], vcc
	ds_write2_b32 v112, v86, v86 offset0:2 offset1:3
	ds_write2_b32 v126, v86, v86 offset0:2 offset1:3
	s_waitcnt lgkmcnt(0)
	s_barrier
	s_waitcnt lgkmcnt(0)
	; wave barrier
	s_and_saveexec_b64 s[42:43], s[58:59]
	s_cbranch_execz .LBB187_34
; %bb.33:                               ;   in Loop: Header=BB187_32 Depth=1
	v_bcnt_u32_b32 v0, v0, 0
	v_bcnt_u32_b32 v0, v1, v0
	ds_write_b32 v4, v0
.LBB187_34:                             ;   in Loop: Header=BB187_32 Depth=1
	s_or_b64 exec, exec, s[42:43]
	v_cmp_ne_u64_e32 vcc, s[44:45], v[100:101]
	v_cndmask_b32_e32 v1, v125, v101, vcc
	v_cndmask_b32_e32 v0, 0, v100, vcc
	v_lshrrev_b64 v[0:1], s52, v[0:1]
	v_and_b32_e32 v0, s57, v0
	v_lshlrev_b32_e32 v1, 1, v0
	v_add_lshl_u32 v1, v1, v127, 2
	; wave barrier
	v_add_u32_e32 v7, 8, v1
	ds_read_b32 v6, v1 offset:8
	v_and_b32_e32 v1, 1, v0
	v_add_co_u32_e32 v2, vcc, -1, v1
	v_addc_co_u32_e64 v3, s[42:43], 0, -1, vcc
	v_cmp_ne_u32_e32 vcc, 0, v1
	v_lshlrev_b32_e32 v87, 30, v0
	v_xor_b32_e32 v1, vcc_hi, v3
	v_not_b32_e32 v3, v87
	v_xor_b32_e32 v2, vcc_lo, v2
	v_cmp_gt_i64_e32 vcc, 0, v[86:87]
	v_ashrrev_i32_e32 v3, 31, v3
	v_and_b32_e32 v2, exec_lo, v2
	v_xor_b32_e32 v8, vcc_hi, v3
	v_xor_b32_e32 v3, vcc_lo, v3
	v_lshlrev_b32_e32 v87, 29, v0
	v_and_b32_e32 v2, v2, v3
	v_not_b32_e32 v3, v87
	v_and_b32_e32 v1, exec_hi, v1
	v_cmp_gt_i64_e32 vcc, 0, v[86:87]
	v_ashrrev_i32_e32 v3, 31, v3
	v_and_b32_e32 v1, v1, v8
	v_xor_b32_e32 v8, vcc_hi, v3
	v_xor_b32_e32 v3, vcc_lo, v3
	v_lshlrev_b32_e32 v87, 28, v0
	v_and_b32_e32 v2, v2, v3
	v_not_b32_e32 v3, v87
	v_cmp_gt_i64_e32 vcc, 0, v[86:87]
	v_ashrrev_i32_e32 v3, 31, v3
	v_and_b32_e32 v1, v1, v8
	v_xor_b32_e32 v8, vcc_hi, v3
	v_xor_b32_e32 v3, vcc_lo, v3
	v_lshlrev_b32_e32 v87, 27, v0
	v_and_b32_e32 v2, v2, v3
	v_not_b32_e32 v3, v87
	;; [unrolled: 8-line block ×3, first 2 shown]
	v_cmp_gt_i64_e32 vcc, 0, v[86:87]
	v_ashrrev_i32_e32 v3, 31, v3
	v_and_b32_e32 v1, v1, v8
	v_xor_b32_e32 v8, vcc_hi, v3
	v_xor_b32_e32 v3, vcc_lo, v3
	v_lshlrev_b32_e32 v87, 25, v0
	v_and_b32_e32 v2, v2, v3
	v_cmp_gt_i64_e32 vcc, 0, v[86:87]
	v_not_b32_e32 v3, v87
	v_lshlrev_b32_e32 v87, 24, v0
	v_ashrrev_i32_e32 v3, 31, v3
	v_not_b32_e32 v0, v87
	v_and_b32_e32 v1, v1, v8
	v_xor_b32_e32 v8, vcc_hi, v3
	v_xor_b32_e32 v3, vcc_lo, v3
	v_cmp_gt_i64_e32 vcc, 0, v[86:87]
	v_ashrrev_i32_e32 v0, 31, v0
	v_and_b32_e32 v2, v2, v3
	v_xor_b32_e32 v3, vcc_hi, v0
	v_xor_b32_e32 v0, vcc_lo, v0
	v_and_b32_e32 v1, v1, v8
	v_and_b32_e32 v0, v2, v0
	;; [unrolled: 1-line block ×3, first 2 shown]
	v_mbcnt_lo_u32_b32 v2, v0, 0
	v_mbcnt_hi_u32_b32 v8, v1, v2
	v_cmp_eq_u32_e32 vcc, 0, v8
	v_cmp_ne_u64_e64 s[42:43], 0, v[0:1]
	s_and_b64 s[58:59], s[42:43], vcc
	; wave barrier
	s_and_saveexec_b64 s[42:43], s[58:59]
	s_cbranch_execz .LBB187_36
; %bb.35:                               ;   in Loop: Header=BB187_32 Depth=1
	v_bcnt_u32_b32 v0, v0, 0
	v_bcnt_u32_b32 v0, v1, v0
	s_waitcnt lgkmcnt(0)
	v_add_u32_e32 v0, v6, v0
	ds_write_b32 v7, v0
.LBB187_36:                             ;   in Loop: Header=BB187_32 Depth=1
	s_or_b64 exec, exec, s[42:43]
	v_cmp_ne_u64_e32 vcc, s[44:45], v[98:99]
	v_cndmask_b32_e32 v1, v125, v99, vcc
	v_cndmask_b32_e32 v0, 0, v98, vcc
	v_lshrrev_b64 v[0:1], s52, v[0:1]
	v_and_b32_e32 v0, s57, v0
	v_lshlrev_b32_e32 v1, 1, v0
	v_add_lshl_u32 v1, v1, v127, 2
	; wave barrier
	v_add_u32_e32 v10, 8, v1
	ds_read_b32 v9, v1 offset:8
	v_and_b32_e32 v1, 1, v0
	v_add_co_u32_e32 v2, vcc, -1, v1
	v_addc_co_u32_e64 v3, s[42:43], 0, -1, vcc
	v_cmp_ne_u32_e32 vcc, 0, v1
	v_lshlrev_b32_e32 v87, 30, v0
	v_xor_b32_e32 v1, vcc_hi, v3
	v_not_b32_e32 v3, v87
	v_xor_b32_e32 v2, vcc_lo, v2
	v_cmp_gt_i64_e32 vcc, 0, v[86:87]
	v_ashrrev_i32_e32 v3, 31, v3
	v_and_b32_e32 v2, exec_lo, v2
	v_xor_b32_e32 v11, vcc_hi, v3
	v_xor_b32_e32 v3, vcc_lo, v3
	v_lshlrev_b32_e32 v87, 29, v0
	v_and_b32_e32 v2, v2, v3
	v_not_b32_e32 v3, v87
	v_and_b32_e32 v1, exec_hi, v1
	v_cmp_gt_i64_e32 vcc, 0, v[86:87]
	v_ashrrev_i32_e32 v3, 31, v3
	v_and_b32_e32 v1, v1, v11
	v_xor_b32_e32 v11, vcc_hi, v3
	v_xor_b32_e32 v3, vcc_lo, v3
	v_lshlrev_b32_e32 v87, 28, v0
	v_and_b32_e32 v2, v2, v3
	v_not_b32_e32 v3, v87
	v_cmp_gt_i64_e32 vcc, 0, v[86:87]
	v_ashrrev_i32_e32 v3, 31, v3
	v_and_b32_e32 v1, v1, v11
	v_xor_b32_e32 v11, vcc_hi, v3
	v_xor_b32_e32 v3, vcc_lo, v3
	v_lshlrev_b32_e32 v87, 27, v0
	v_and_b32_e32 v2, v2, v3
	v_not_b32_e32 v3, v87
	;; [unrolled: 8-line block ×3, first 2 shown]
	v_cmp_gt_i64_e32 vcc, 0, v[86:87]
	v_ashrrev_i32_e32 v3, 31, v3
	v_and_b32_e32 v1, v1, v11
	v_xor_b32_e32 v11, vcc_hi, v3
	v_xor_b32_e32 v3, vcc_lo, v3
	v_lshlrev_b32_e32 v87, 25, v0
	v_and_b32_e32 v2, v2, v3
	v_cmp_gt_i64_e32 vcc, 0, v[86:87]
	v_not_b32_e32 v3, v87
	v_lshlrev_b32_e32 v87, 24, v0
	v_ashrrev_i32_e32 v3, 31, v3
	v_not_b32_e32 v0, v87
	v_and_b32_e32 v1, v1, v11
	v_xor_b32_e32 v11, vcc_hi, v3
	v_xor_b32_e32 v3, vcc_lo, v3
	v_cmp_gt_i64_e32 vcc, 0, v[86:87]
	v_ashrrev_i32_e32 v0, 31, v0
	v_and_b32_e32 v2, v2, v3
	v_xor_b32_e32 v3, vcc_hi, v0
	v_xor_b32_e32 v0, vcc_lo, v0
	v_and_b32_e32 v1, v1, v11
	v_and_b32_e32 v0, v2, v0
	;; [unrolled: 1-line block ×3, first 2 shown]
	v_mbcnt_lo_u32_b32 v2, v0, 0
	v_mbcnt_hi_u32_b32 v11, v1, v2
	v_cmp_eq_u32_e32 vcc, 0, v11
	v_cmp_ne_u64_e64 s[42:43], 0, v[0:1]
	s_and_b64 s[58:59], s[42:43], vcc
	; wave barrier
	s_and_saveexec_b64 s[42:43], s[58:59]
	s_cbranch_execz .LBB187_38
; %bb.37:                               ;   in Loop: Header=BB187_32 Depth=1
	v_bcnt_u32_b32 v0, v0, 0
	v_bcnt_u32_b32 v0, v1, v0
	s_waitcnt lgkmcnt(0)
	v_add_u32_e32 v0, v9, v0
	ds_write_b32 v10, v0
.LBB187_38:                             ;   in Loop: Header=BB187_32 Depth=1
	s_or_b64 exec, exec, s[42:43]
	v_cmp_ne_u64_e32 vcc, s[44:45], v[96:97]
	v_cndmask_b32_e32 v1, v125, v97, vcc
	v_cndmask_b32_e32 v0, 0, v96, vcc
	v_lshrrev_b64 v[0:1], s52, v[0:1]
	v_and_b32_e32 v0, s57, v0
	v_lshlrev_b32_e32 v1, 1, v0
	v_add_lshl_u32 v1, v1, v127, 2
	; wave barrier
	v_add_u32_e32 v13, 8, v1
	ds_read_b32 v12, v1 offset:8
	v_and_b32_e32 v1, 1, v0
	v_add_co_u32_e32 v2, vcc, -1, v1
	v_addc_co_u32_e64 v3, s[42:43], 0, -1, vcc
	v_cmp_ne_u32_e32 vcc, 0, v1
	v_lshlrev_b32_e32 v87, 30, v0
	v_xor_b32_e32 v1, vcc_hi, v3
	v_not_b32_e32 v3, v87
	v_xor_b32_e32 v2, vcc_lo, v2
	v_cmp_gt_i64_e32 vcc, 0, v[86:87]
	v_ashrrev_i32_e32 v3, 31, v3
	v_and_b32_e32 v2, exec_lo, v2
	v_xor_b32_e32 v14, vcc_hi, v3
	v_xor_b32_e32 v3, vcc_lo, v3
	v_lshlrev_b32_e32 v87, 29, v0
	v_and_b32_e32 v2, v2, v3
	v_not_b32_e32 v3, v87
	v_and_b32_e32 v1, exec_hi, v1
	v_cmp_gt_i64_e32 vcc, 0, v[86:87]
	v_ashrrev_i32_e32 v3, 31, v3
	v_and_b32_e32 v1, v1, v14
	v_xor_b32_e32 v14, vcc_hi, v3
	v_xor_b32_e32 v3, vcc_lo, v3
	v_lshlrev_b32_e32 v87, 28, v0
	v_and_b32_e32 v2, v2, v3
	v_not_b32_e32 v3, v87
	v_cmp_gt_i64_e32 vcc, 0, v[86:87]
	v_ashrrev_i32_e32 v3, 31, v3
	v_and_b32_e32 v1, v1, v14
	v_xor_b32_e32 v14, vcc_hi, v3
	v_xor_b32_e32 v3, vcc_lo, v3
	v_lshlrev_b32_e32 v87, 27, v0
	v_and_b32_e32 v2, v2, v3
	v_not_b32_e32 v3, v87
	;; [unrolled: 8-line block ×3, first 2 shown]
	v_cmp_gt_i64_e32 vcc, 0, v[86:87]
	v_ashrrev_i32_e32 v3, 31, v3
	v_and_b32_e32 v1, v1, v14
	v_xor_b32_e32 v14, vcc_hi, v3
	v_xor_b32_e32 v3, vcc_lo, v3
	v_lshlrev_b32_e32 v87, 25, v0
	v_and_b32_e32 v2, v2, v3
	v_cmp_gt_i64_e32 vcc, 0, v[86:87]
	v_not_b32_e32 v3, v87
	v_lshlrev_b32_e32 v87, 24, v0
	v_ashrrev_i32_e32 v3, 31, v3
	v_not_b32_e32 v0, v87
	v_and_b32_e32 v1, v1, v14
	v_xor_b32_e32 v14, vcc_hi, v3
	v_xor_b32_e32 v3, vcc_lo, v3
	v_cmp_gt_i64_e32 vcc, 0, v[86:87]
	v_ashrrev_i32_e32 v0, 31, v0
	v_and_b32_e32 v2, v2, v3
	v_xor_b32_e32 v3, vcc_hi, v0
	v_xor_b32_e32 v0, vcc_lo, v0
	v_and_b32_e32 v1, v1, v14
	v_and_b32_e32 v0, v2, v0
	;; [unrolled: 1-line block ×3, first 2 shown]
	v_mbcnt_lo_u32_b32 v2, v0, 0
	v_mbcnt_hi_u32_b32 v14, v1, v2
	v_cmp_eq_u32_e32 vcc, 0, v14
	v_cmp_ne_u64_e64 s[42:43], 0, v[0:1]
	s_and_b64 s[58:59], s[42:43], vcc
	; wave barrier
	s_and_saveexec_b64 s[42:43], s[58:59]
	s_cbranch_execz .LBB187_40
; %bb.39:                               ;   in Loop: Header=BB187_32 Depth=1
	v_bcnt_u32_b32 v0, v0, 0
	v_bcnt_u32_b32 v0, v1, v0
	s_waitcnt lgkmcnt(0)
	v_add_u32_e32 v0, v12, v0
	ds_write_b32 v13, v0
.LBB187_40:                             ;   in Loop: Header=BB187_32 Depth=1
	s_or_b64 exec, exec, s[42:43]
	v_cmp_ne_u64_e32 vcc, s[44:45], v[94:95]
	v_cndmask_b32_e32 v1, v125, v95, vcc
	v_cndmask_b32_e32 v0, 0, v94, vcc
	v_lshrrev_b64 v[0:1], s52, v[0:1]
	v_and_b32_e32 v0, s57, v0
	v_lshlrev_b32_e32 v1, 1, v0
	v_add_lshl_u32 v1, v1, v127, 2
	; wave barrier
	v_add_u32_e32 v50, 8, v1
	ds_read_b32 v15, v1 offset:8
	v_and_b32_e32 v1, 1, v0
	v_add_co_u32_e32 v2, vcc, -1, v1
	v_addc_co_u32_e64 v3, s[42:43], 0, -1, vcc
	v_cmp_ne_u32_e32 vcc, 0, v1
	v_lshlrev_b32_e32 v87, 30, v0
	v_xor_b32_e32 v1, vcc_hi, v3
	v_not_b32_e32 v3, v87
	v_xor_b32_e32 v2, vcc_lo, v2
	v_cmp_gt_i64_e32 vcc, 0, v[86:87]
	v_ashrrev_i32_e32 v3, 31, v3
	v_and_b32_e32 v2, exec_lo, v2
	v_xor_b32_e32 v51, vcc_hi, v3
	v_xor_b32_e32 v3, vcc_lo, v3
	v_lshlrev_b32_e32 v87, 29, v0
	v_and_b32_e32 v2, v2, v3
	v_not_b32_e32 v3, v87
	v_and_b32_e32 v1, exec_hi, v1
	v_cmp_gt_i64_e32 vcc, 0, v[86:87]
	v_ashrrev_i32_e32 v3, 31, v3
	v_and_b32_e32 v1, v1, v51
	v_xor_b32_e32 v51, vcc_hi, v3
	v_xor_b32_e32 v3, vcc_lo, v3
	v_lshlrev_b32_e32 v87, 28, v0
	v_and_b32_e32 v2, v2, v3
	v_not_b32_e32 v3, v87
	v_cmp_gt_i64_e32 vcc, 0, v[86:87]
	v_ashrrev_i32_e32 v3, 31, v3
	v_and_b32_e32 v1, v1, v51
	v_xor_b32_e32 v51, vcc_hi, v3
	v_xor_b32_e32 v3, vcc_lo, v3
	v_lshlrev_b32_e32 v87, 27, v0
	v_and_b32_e32 v2, v2, v3
	v_not_b32_e32 v3, v87
	;; [unrolled: 8-line block ×3, first 2 shown]
	v_cmp_gt_i64_e32 vcc, 0, v[86:87]
	v_ashrrev_i32_e32 v3, 31, v3
	v_and_b32_e32 v1, v1, v51
	v_xor_b32_e32 v51, vcc_hi, v3
	v_xor_b32_e32 v3, vcc_lo, v3
	v_lshlrev_b32_e32 v87, 25, v0
	v_and_b32_e32 v2, v2, v3
	v_cmp_gt_i64_e32 vcc, 0, v[86:87]
	v_not_b32_e32 v3, v87
	v_lshlrev_b32_e32 v87, 24, v0
	v_ashrrev_i32_e32 v3, 31, v3
	v_not_b32_e32 v0, v87
	v_and_b32_e32 v1, v1, v51
	v_xor_b32_e32 v51, vcc_hi, v3
	v_xor_b32_e32 v3, vcc_lo, v3
	v_cmp_gt_i64_e32 vcc, 0, v[86:87]
	v_ashrrev_i32_e32 v0, 31, v0
	v_and_b32_e32 v2, v2, v3
	v_xor_b32_e32 v3, vcc_hi, v0
	v_xor_b32_e32 v0, vcc_lo, v0
	v_and_b32_e32 v1, v1, v51
	v_and_b32_e32 v0, v2, v0
	;; [unrolled: 1-line block ×3, first 2 shown]
	v_mbcnt_lo_u32_b32 v2, v0, 0
	v_mbcnt_hi_u32_b32 v51, v1, v2
	v_cmp_eq_u32_e32 vcc, 0, v51
	v_cmp_ne_u64_e64 s[42:43], 0, v[0:1]
	s_and_b64 s[58:59], s[42:43], vcc
	; wave barrier
	s_and_saveexec_b64 s[42:43], s[58:59]
	s_cbranch_execz .LBB187_42
; %bb.41:                               ;   in Loop: Header=BB187_32 Depth=1
	v_bcnt_u32_b32 v0, v0, 0
	v_bcnt_u32_b32 v0, v1, v0
	s_waitcnt lgkmcnt(0)
	v_add_u32_e32 v0, v15, v0
	ds_write_b32 v50, v0
.LBB187_42:                             ;   in Loop: Header=BB187_32 Depth=1
	s_or_b64 exec, exec, s[42:43]
	v_cmp_ne_u64_e32 vcc, s[44:45], v[92:93]
	v_cndmask_b32_e32 v1, v125, v93, vcc
	v_cndmask_b32_e32 v0, 0, v92, vcc
	v_lshrrev_b64 v[0:1], s52, v[0:1]
	v_and_b32_e32 v0, s57, v0
	v_lshlrev_b32_e32 v1, 1, v0
	v_add_lshl_u32 v1, v1, v127, 2
	; wave barrier
	v_add_u32_e32 v53, 8, v1
	ds_read_b32 v52, v1 offset:8
	v_and_b32_e32 v1, 1, v0
	v_add_co_u32_e32 v2, vcc, -1, v1
	v_addc_co_u32_e64 v3, s[42:43], 0, -1, vcc
	v_cmp_ne_u32_e32 vcc, 0, v1
	v_lshlrev_b32_e32 v87, 30, v0
	v_xor_b32_e32 v1, vcc_hi, v3
	v_not_b32_e32 v3, v87
	v_xor_b32_e32 v2, vcc_lo, v2
	v_cmp_gt_i64_e32 vcc, 0, v[86:87]
	v_ashrrev_i32_e32 v3, 31, v3
	v_and_b32_e32 v2, exec_lo, v2
	v_xor_b32_e32 v54, vcc_hi, v3
	v_xor_b32_e32 v3, vcc_lo, v3
	v_lshlrev_b32_e32 v87, 29, v0
	v_and_b32_e32 v2, v2, v3
	v_not_b32_e32 v3, v87
	v_and_b32_e32 v1, exec_hi, v1
	v_cmp_gt_i64_e32 vcc, 0, v[86:87]
	v_ashrrev_i32_e32 v3, 31, v3
	v_and_b32_e32 v1, v1, v54
	v_xor_b32_e32 v54, vcc_hi, v3
	v_xor_b32_e32 v3, vcc_lo, v3
	v_lshlrev_b32_e32 v87, 28, v0
	v_and_b32_e32 v2, v2, v3
	v_not_b32_e32 v3, v87
	v_cmp_gt_i64_e32 vcc, 0, v[86:87]
	v_ashrrev_i32_e32 v3, 31, v3
	v_and_b32_e32 v1, v1, v54
	v_xor_b32_e32 v54, vcc_hi, v3
	v_xor_b32_e32 v3, vcc_lo, v3
	v_lshlrev_b32_e32 v87, 27, v0
	v_and_b32_e32 v2, v2, v3
	v_not_b32_e32 v3, v87
	v_cmp_gt_i64_e32 vcc, 0, v[86:87]
	v_ashrrev_i32_e32 v3, 31, v3
	v_and_b32_e32 v1, v1, v54
	v_xor_b32_e32 v54, vcc_hi, v3
	v_xor_b32_e32 v3, vcc_lo, v3
	v_lshlrev_b32_e32 v87, 26, v0
	v_and_b32_e32 v2, v2, v3
	v_not_b32_e32 v3, v87
	v_cmp_gt_i64_e32 vcc, 0, v[86:87]
	v_ashrrev_i32_e32 v3, 31, v3
	v_and_b32_e32 v1, v1, v54
	v_xor_b32_e32 v54, vcc_hi, v3
	v_xor_b32_e32 v3, vcc_lo, v3
	v_lshlrev_b32_e32 v87, 25, v0
	v_and_b32_e32 v2, v2, v3
	v_cmp_gt_i64_e32 vcc, 0, v[86:87]
	v_not_b32_e32 v3, v87
	v_lshlrev_b32_e32 v87, 24, v0
	v_ashrrev_i32_e32 v3, 31, v3
	v_not_b32_e32 v0, v87
	v_and_b32_e32 v1, v1, v54
	v_xor_b32_e32 v54, vcc_hi, v3
	v_xor_b32_e32 v3, vcc_lo, v3
	v_cmp_gt_i64_e32 vcc, 0, v[86:87]
	v_ashrrev_i32_e32 v0, 31, v0
	v_and_b32_e32 v2, v2, v3
	v_xor_b32_e32 v3, vcc_hi, v0
	v_xor_b32_e32 v0, vcc_lo, v0
	v_and_b32_e32 v1, v1, v54
	v_and_b32_e32 v0, v2, v0
	;; [unrolled: 1-line block ×3, first 2 shown]
	v_mbcnt_lo_u32_b32 v2, v0, 0
	v_mbcnt_hi_u32_b32 v54, v1, v2
	v_cmp_eq_u32_e32 vcc, 0, v54
	v_cmp_ne_u64_e64 s[42:43], 0, v[0:1]
	s_and_b64 s[58:59], s[42:43], vcc
	; wave barrier
	s_and_saveexec_b64 s[42:43], s[58:59]
	s_cbranch_execz .LBB187_44
; %bb.43:                               ;   in Loop: Header=BB187_32 Depth=1
	v_bcnt_u32_b32 v0, v0, 0
	v_bcnt_u32_b32 v0, v1, v0
	s_waitcnt lgkmcnt(0)
	v_add_u32_e32 v0, v52, v0
	ds_write_b32 v53, v0
.LBB187_44:                             ;   in Loop: Header=BB187_32 Depth=1
	s_or_b64 exec, exec, s[42:43]
	v_cmp_ne_u64_e32 vcc, s[44:45], v[90:91]
	v_cndmask_b32_e32 v1, v125, v91, vcc
	v_cndmask_b32_e32 v0, 0, v90, vcc
	v_lshrrev_b64 v[0:1], s52, v[0:1]
	v_and_b32_e32 v0, s57, v0
	v_lshlrev_b32_e32 v1, 1, v0
	v_add_lshl_u32 v1, v1, v127, 2
	; wave barrier
	v_add_u32_e32 v56, 8, v1
	ds_read_b32 v55, v1 offset:8
	v_and_b32_e32 v1, 1, v0
	v_add_co_u32_e32 v2, vcc, -1, v1
	v_addc_co_u32_e64 v3, s[42:43], 0, -1, vcc
	v_cmp_ne_u32_e32 vcc, 0, v1
	v_lshlrev_b32_e32 v87, 30, v0
	v_xor_b32_e32 v1, vcc_hi, v3
	v_not_b32_e32 v3, v87
	v_xor_b32_e32 v2, vcc_lo, v2
	v_cmp_gt_i64_e32 vcc, 0, v[86:87]
	v_ashrrev_i32_e32 v3, 31, v3
	v_and_b32_e32 v2, exec_lo, v2
	v_xor_b32_e32 v57, vcc_hi, v3
	v_xor_b32_e32 v3, vcc_lo, v3
	v_lshlrev_b32_e32 v87, 29, v0
	v_and_b32_e32 v2, v2, v3
	v_not_b32_e32 v3, v87
	v_and_b32_e32 v1, exec_hi, v1
	v_cmp_gt_i64_e32 vcc, 0, v[86:87]
	v_ashrrev_i32_e32 v3, 31, v3
	v_and_b32_e32 v1, v1, v57
	v_xor_b32_e32 v57, vcc_hi, v3
	v_xor_b32_e32 v3, vcc_lo, v3
	v_lshlrev_b32_e32 v87, 28, v0
	v_and_b32_e32 v2, v2, v3
	v_not_b32_e32 v3, v87
	v_cmp_gt_i64_e32 vcc, 0, v[86:87]
	v_ashrrev_i32_e32 v3, 31, v3
	v_and_b32_e32 v1, v1, v57
	v_xor_b32_e32 v57, vcc_hi, v3
	v_xor_b32_e32 v3, vcc_lo, v3
	v_lshlrev_b32_e32 v87, 27, v0
	v_and_b32_e32 v2, v2, v3
	v_not_b32_e32 v3, v87
	;; [unrolled: 8-line block ×3, first 2 shown]
	v_cmp_gt_i64_e32 vcc, 0, v[86:87]
	v_ashrrev_i32_e32 v3, 31, v3
	v_and_b32_e32 v1, v1, v57
	v_xor_b32_e32 v57, vcc_hi, v3
	v_xor_b32_e32 v3, vcc_lo, v3
	v_lshlrev_b32_e32 v87, 25, v0
	v_and_b32_e32 v2, v2, v3
	v_cmp_gt_i64_e32 vcc, 0, v[86:87]
	v_not_b32_e32 v3, v87
	v_lshlrev_b32_e32 v87, 24, v0
	v_ashrrev_i32_e32 v3, 31, v3
	v_not_b32_e32 v0, v87
	v_and_b32_e32 v1, v1, v57
	v_xor_b32_e32 v57, vcc_hi, v3
	v_xor_b32_e32 v3, vcc_lo, v3
	v_cmp_gt_i64_e32 vcc, 0, v[86:87]
	v_ashrrev_i32_e32 v0, 31, v0
	v_and_b32_e32 v2, v2, v3
	v_xor_b32_e32 v3, vcc_hi, v0
	v_xor_b32_e32 v0, vcc_lo, v0
	v_and_b32_e32 v1, v1, v57
	v_and_b32_e32 v0, v2, v0
	;; [unrolled: 1-line block ×3, first 2 shown]
	v_mbcnt_lo_u32_b32 v2, v0, 0
	v_mbcnt_hi_u32_b32 v57, v1, v2
	v_cmp_eq_u32_e32 vcc, 0, v57
	v_cmp_ne_u64_e64 s[42:43], 0, v[0:1]
	s_and_b64 s[58:59], s[42:43], vcc
	; wave barrier
	s_and_saveexec_b64 s[42:43], s[58:59]
	s_cbranch_execz .LBB187_46
; %bb.45:                               ;   in Loop: Header=BB187_32 Depth=1
	v_bcnt_u32_b32 v0, v0, 0
	v_bcnt_u32_b32 v0, v1, v0
	s_waitcnt lgkmcnt(0)
	v_add_u32_e32 v0, v55, v0
	ds_write_b32 v56, v0
.LBB187_46:                             ;   in Loop: Header=BB187_32 Depth=1
	s_or_b64 exec, exec, s[42:43]
	v_cmp_ne_u64_e32 vcc, s[44:45], v[88:89]
	v_cndmask_b32_e32 v1, v125, v89, vcc
	v_cndmask_b32_e32 v0, 0, v88, vcc
	v_lshrrev_b64 v[0:1], s52, v[0:1]
	v_and_b32_e32 v0, s57, v0
	v_lshlrev_b32_e32 v1, 1, v0
	v_add_lshl_u32 v1, v1, v127, 2
	; wave barrier
	v_add_u32_e32 v59, 8, v1
	ds_read_b32 v58, v1 offset:8
	v_and_b32_e32 v1, 1, v0
	v_add_co_u32_e32 v2, vcc, -1, v1
	v_addc_co_u32_e64 v3, s[42:43], 0, -1, vcc
	v_cmp_ne_u32_e32 vcc, 0, v1
	v_lshlrev_b32_e32 v87, 30, v0
	v_xor_b32_e32 v1, vcc_hi, v3
	v_not_b32_e32 v3, v87
	v_xor_b32_e32 v2, vcc_lo, v2
	v_cmp_gt_i64_e32 vcc, 0, v[86:87]
	v_ashrrev_i32_e32 v3, 31, v3
	v_and_b32_e32 v2, exec_lo, v2
	v_xor_b32_e32 v60, vcc_hi, v3
	v_xor_b32_e32 v3, vcc_lo, v3
	v_lshlrev_b32_e32 v87, 29, v0
	v_and_b32_e32 v2, v2, v3
	v_not_b32_e32 v3, v87
	v_and_b32_e32 v1, exec_hi, v1
	v_cmp_gt_i64_e32 vcc, 0, v[86:87]
	v_ashrrev_i32_e32 v3, 31, v3
	v_and_b32_e32 v1, v1, v60
	v_xor_b32_e32 v60, vcc_hi, v3
	v_xor_b32_e32 v3, vcc_lo, v3
	v_lshlrev_b32_e32 v87, 28, v0
	v_and_b32_e32 v2, v2, v3
	v_not_b32_e32 v3, v87
	v_cmp_gt_i64_e32 vcc, 0, v[86:87]
	v_ashrrev_i32_e32 v3, 31, v3
	v_and_b32_e32 v1, v1, v60
	v_xor_b32_e32 v60, vcc_hi, v3
	v_xor_b32_e32 v3, vcc_lo, v3
	v_lshlrev_b32_e32 v87, 27, v0
	v_and_b32_e32 v2, v2, v3
	v_not_b32_e32 v3, v87
	;; [unrolled: 8-line block ×3, first 2 shown]
	v_cmp_gt_i64_e32 vcc, 0, v[86:87]
	v_ashrrev_i32_e32 v3, 31, v3
	v_and_b32_e32 v1, v1, v60
	v_xor_b32_e32 v60, vcc_hi, v3
	v_xor_b32_e32 v3, vcc_lo, v3
	v_lshlrev_b32_e32 v87, 25, v0
	v_and_b32_e32 v2, v2, v3
	v_cmp_gt_i64_e32 vcc, 0, v[86:87]
	v_not_b32_e32 v3, v87
	v_lshlrev_b32_e32 v87, 24, v0
	v_ashrrev_i32_e32 v3, 31, v3
	v_not_b32_e32 v0, v87
	v_and_b32_e32 v1, v1, v60
	v_xor_b32_e32 v60, vcc_hi, v3
	v_xor_b32_e32 v3, vcc_lo, v3
	v_cmp_gt_i64_e32 vcc, 0, v[86:87]
	v_ashrrev_i32_e32 v0, 31, v0
	v_and_b32_e32 v2, v2, v3
	v_xor_b32_e32 v3, vcc_hi, v0
	v_xor_b32_e32 v0, vcc_lo, v0
	v_and_b32_e32 v1, v1, v60
	v_and_b32_e32 v0, v2, v0
	;; [unrolled: 1-line block ×3, first 2 shown]
	v_mbcnt_lo_u32_b32 v2, v0, 0
	v_mbcnt_hi_u32_b32 v60, v1, v2
	v_cmp_eq_u32_e32 vcc, 0, v60
	v_cmp_ne_u64_e64 s[42:43], 0, v[0:1]
	s_and_b64 s[58:59], s[42:43], vcc
	; wave barrier
	s_and_saveexec_b64 s[42:43], s[58:59]
	s_cbranch_execz .LBB187_48
; %bb.47:                               ;   in Loop: Header=BB187_32 Depth=1
	v_bcnt_u32_b32 v0, v0, 0
	v_bcnt_u32_b32 v0, v1, v0
	s_waitcnt lgkmcnt(0)
	v_add_u32_e32 v0, v58, v0
	ds_write_b32 v59, v0
.LBB187_48:                             ;   in Loop: Header=BB187_32 Depth=1
	s_or_b64 exec, exec, s[42:43]
	; wave barrier
	s_waitcnt lgkmcnt(0)
	s_barrier
	ds_read2_b32 v[2:3], v112 offset0:2 offset1:3
	ds_read2_b32 v[0:1], v126 offset0:2 offset1:3
	s_waitcnt lgkmcnt(1)
	v_add_u32_e32 v61, v3, v2
	s_waitcnt lgkmcnt(0)
	v_add3_u32 v1, v61, v0, v1
	s_nop 1
	v_mov_b32_dpp v61, v1 row_shr:1 row_mask:0xf bank_mask:0xf
	v_cndmask_b32_e64 v61, v61, 0, s[22:23]
	v_add_u32_e32 v1, v61, v1
	s_nop 1
	v_mov_b32_dpp v61, v1 row_shr:2 row_mask:0xf bank_mask:0xf
	v_cndmask_b32_e64 v61, 0, v61, s[24:25]
	v_add_u32_e32 v1, v1, v61
	;; [unrolled: 4-line block ×4, first 2 shown]
	s_nop 1
	v_mov_b32_dpp v61, v1 row_bcast:15 row_mask:0xf bank_mask:0xf
	v_cndmask_b32_e64 v61, v61, 0, s[30:31]
	v_add_u32_e32 v1, v1, v61
	s_nop 1
	v_mov_b32_dpp v61, v1 row_bcast:31 row_mask:0xf bank_mask:0xf
	v_cndmask_b32_e64 v61, 0, v61, s[34:35]
	v_add_u32_e32 v1, v1, v61
	s_and_saveexec_b64 s[42:43], s[36:37]
	s_cbranch_execz .LBB187_50
; %bb.49:                               ;   in Loop: Header=BB187_32 Depth=1
	ds_write_b32 v129, v1
.LBB187_50:                             ;   in Loop: Header=BB187_32 Depth=1
	s_or_b64 exec, exec, s[42:43]
	s_waitcnt lgkmcnt(0)
	s_barrier
	s_and_saveexec_b64 s[42:43], s[16:17]
	s_cbranch_execz .LBB187_52
; %bb.51:                               ;   in Loop: Header=BB187_32 Depth=1
	ds_read_b32 v61, v69
	s_waitcnt lgkmcnt(0)
	s_nop 0
	v_mov_b32_dpp v62, v61 row_shr:1 row_mask:0xf bank_mask:0xf
	v_cndmask_b32_e64 v62, v62, 0, s[40:41]
	v_add_u32_e32 v61, v62, v61
	ds_write_b32 v69, v61
.LBB187_52:                             ;   in Loop: Header=BB187_32 Depth=1
	s_or_b64 exec, exec, s[42:43]
	v_mov_b32_e32 v61, 0
	s_waitcnt lgkmcnt(0)
	s_barrier
	s_and_saveexec_b64 s[42:43], s[18:19]
	s_cbranch_execz .LBB187_54
; %bb.53:                               ;   in Loop: Header=BB187_32 Depth=1
	ds_read_b32 v61, v130
.LBB187_54:                             ;   in Loop: Header=BB187_32 Depth=1
	s_or_b64 exec, exec, s[42:43]
	s_waitcnt lgkmcnt(0)
	v_add_u32_e32 v1, v61, v1
	ds_bpermute_b32 v1, v128, v1
	s_cmp_gt_u32 s52, 55
	s_waitcnt lgkmcnt(0)
	v_cndmask_b32_e64 v1, v1, v61, s[38:39]
	v_cndmask_b32_e64 v1, v1, 0, s[20:21]
	v_add_u32_e32 v2, v1, v2
	v_add_u32_e32 v3, v2, v3
	;; [unrolled: 1-line block ×3, first 2 shown]
	ds_write2_b32 v112, v1, v2 offset0:2 offset1:3
	ds_write2_b32 v126, v3, v0 offset0:2 offset1:3
	s_waitcnt lgkmcnt(0)
	s_barrier
	ds_read_b32 v0, v4
	ds_read_b32 v1, v7
	;; [unrolled: 1-line block ×8, first 2 shown]
	s_waitcnt lgkmcnt(7)
	v_add_u32_e32 v138, v0, v5
	s_waitcnt lgkmcnt(6)
	v_add3_u32 v137, v8, v6, v1
	s_waitcnt lgkmcnt(5)
	v_add3_u32 v136, v11, v9, v2
	s_waitcnt lgkmcnt(4)
	v_add3_u32 v135, v14, v12, v3
	s_waitcnt lgkmcnt(3)
	v_add3_u32 v134, v51, v15, v4
	s_waitcnt lgkmcnt(2)
	v_add3_u32 v132, v54, v52, v7
	s_waitcnt lgkmcnt(1)
	v_add3_u32 v87, v57, v55, v10
	s_waitcnt lgkmcnt(0)
	v_add3_u32 v133, v60, v58, v13
	s_cbranch_scc0 .LBB187_31
; %bb.55:
                                        ; implicit-def: $vgpr14_vgpr15
                                        ; implicit-def: $vgpr10_vgpr11
                                        ; implicit-def: $vgpr6_vgpr7
                                        ; implicit-def: $vgpr2_vgpr3
                                        ; implicit-def: $vgpr64_vgpr65
                                        ; implicit-def: $vgpr60_vgpr61
                                        ; implicit-def: $vgpr56_vgpr57
                                        ; implicit-def: $vgpr52_vgpr53
                                        ; implicit-def: $sgpr52_sgpr53
                                        ; implicit-def: $sgpr56
.LBB187_56:
	v_lshlrev_b32_e32 v50, 3, v138
	v_lshlrev_b32_e32 v51, 3, v137
	;; [unrolled: 1-line block ×9, first 2 shown]
	s_barrier
	ds_write_b64 v50, v[102:103]
	ds_write_b64 v51, v[100:101]
	;; [unrolled: 1-line block ×8, first 2 shown]
	s_waitcnt lgkmcnt(0)
	s_barrier
	ds_read2_b64 v[0:3], v62 offset1:1
	ds_read2_b64 v[4:7], v62 offset0:2 offset1:3
	ds_read2_b64 v[8:11], v62 offset0:4 offset1:5
	;; [unrolled: 1-line block ×3, first 2 shown]
	s_waitcnt lgkmcnt(0)
	s_barrier
	ds_write_b64 v50, v[84:85]
	ds_write_b64 v51, v[82:83]
	;; [unrolled: 1-line block ×8, first 2 shown]
	v_ashrrev_i32_e32 v72, 31, v1
	v_not_b32_e32 v72, v72
	v_cmp_lt_i64_e32 vcc, -1, v[0:1]
	v_xor_b32_e32 v0, v72, v0
	v_ashrrev_i32_e32 v72, 31, v3
	v_bfrev_b32_e32 v16, 1
	v_not_b32_e32 v72, v72
	v_cndmask_b32_e64 v17, v16, -1, vcc
	v_cmp_lt_i64_e32 vcc, -1, v[2:3]
	v_xor_b32_e32 v2, v72, v2
	v_ashrrev_i32_e32 v72, 31, v5
	v_not_b32_e32 v72, v72
	v_xor_b32_e32 v1, v17, v1
	v_cndmask_b32_e64 v17, v16, -1, vcc
	v_cmp_lt_i64_e32 vcc, -1, v[4:5]
	v_xor_b32_e32 v4, v72, v4
	v_ashrrev_i32_e32 v72, 31, v7
	s_waitcnt lgkmcnt(0)
	s_barrier
	ds_read2_b64 v[50:53], v62 offset1:1
	ds_read2_b64 v[54:57], v62 offset0:2 offset1:3
	ds_read2_b64 v[58:61], v62 offset0:4 offset1:5
	;; [unrolled: 1-line block ×3, first 2 shown]
	v_xor_b32_e32 v3, v17, v3
	v_cndmask_b32_e64 v17, v16, -1, vcc
	v_cmp_lt_i64_e32 vcc, -1, v[6:7]
	v_not_b32_e32 v72, v72
	v_xor_b32_e32 v5, v17, v5
	v_cndmask_b32_e64 v17, v16, -1, vcc
	v_xor_b32_e32 v6, v72, v6
	v_cmp_lt_i64_e32 vcc, -1, v[8:9]
	v_ashrrev_i32_e32 v72, 31, v9
	v_xor_b32_e32 v7, v17, v7
	v_cndmask_b32_e64 v17, v16, -1, vcc
	v_not_b32_e32 v72, v72
	v_cmp_lt_i64_e32 vcc, -1, v[10:11]
	v_xor_b32_e32 v9, v17, v9
	v_xor_b32_e32 v8, v72, v8
	v_cndmask_b32_e64 v17, v16, -1, vcc
	v_ashrrev_i32_e32 v72, 31, v11
	v_cmp_lt_i64_e32 vcc, -1, v[12:13]
	v_not_b32_e32 v72, v72
	v_xor_b32_e32 v11, v17, v11
	v_cndmask_b32_e64 v17, v16, -1, vcc
	v_xor_b32_e32 v10, v72, v10
	v_ashrrev_i32_e32 v72, 31, v13
	v_xor_b32_e32 v13, v17, v13
	v_cmp_lt_i64_e32 vcc, -1, v[14:15]
	v_ashrrev_i32_e32 v17, 31, v15
	v_not_b32_e32 v72, v72
	v_cndmask_b32_e64 v16, v16, -1, vcc
	v_not_b32_e32 v17, v17
	v_xor_b32_e32 v12, v72, v12
	v_xor_b32_e32 v15, v16, v15
	;; [unrolled: 1-line block ×3, first 2 shown]
	s_branch .LBB187_92
.LBB187_57:
	v_mov_b32_e32 v69, 0
	v_lshlrev_b64 v[2:3], 3, v[68:69]
	v_mov_b32_e32 v4, s54
	v_add_co_u32_e32 v2, vcc, s49, v2
	v_addc_co_u32_e32 v3, vcc, v4, v3, vcc
	global_load_dwordx2 v[2:3], v[2:3], off
	v_mov_b32_e32 v4, v69
	v_mov_b32_e32 v5, v69
	;; [unrolled: 1-line block ×14, first 2 shown]
	s_or_b64 exec, exec, s[16:17]
	s_and_saveexec_b64 s[16:17], s[2:3]
	s_cbranch_execz .LBB187_22
.LBB187_58:
	v_mul_lo_u32 v4, v1, s48
	v_mov_b32_e32 v5, 0
	v_lshlrev_b64 v[4:5], 3, v[4:5]
	v_mov_b32_e32 v1, s54
	v_add_co_u32_e32 v4, vcc, s49, v4
	v_addc_co_u32_e32 v5, vcc, v1, v5, vcc
	global_load_dwordx2 v[4:5], v[4:5], off
	s_or_b64 exec, exec, s[16:17]
	s_and_saveexec_b64 s[16:17], s[4:5]
	s_cbranch_execz .LBB187_23
.LBB187_59:
	v_mul_lo_u32 v6, v34, s48
	v_mov_b32_e32 v7, 0
	v_lshlrev_b64 v[6:7], 3, v[6:7]
	v_mov_b32_e32 v1, s54
	v_add_co_u32_e32 v6, vcc, s49, v6
	v_addc_co_u32_e32 v7, vcc, v1, v7, vcc
	global_load_dwordx2 v[6:7], v[6:7], off
	s_or_b64 exec, exec, s[16:17]
	s_and_saveexec_b64 s[16:17], s[6:7]
	s_cbranch_execz .LBB187_24
.LBB187_60:
	v_mul_lo_u32 v8, v35, s48
	v_mov_b32_e32 v9, 0
	v_lshlrev_b64 v[8:9], 3, v[8:9]
	v_mov_b32_e32 v1, s54
	v_add_co_u32_e32 v8, vcc, s49, v8
	v_addc_co_u32_e32 v9, vcc, v1, v9, vcc
	global_load_dwordx2 v[8:9], v[8:9], off
	s_or_b64 exec, exec, s[16:17]
	s_and_saveexec_b64 s[16:17], s[8:9]
	s_cbranch_execz .LBB187_25
.LBB187_61:
	v_mul_lo_u32 v10, v36, s48
	v_mov_b32_e32 v11, 0
	v_lshlrev_b64 v[10:11], 3, v[10:11]
	v_mov_b32_e32 v1, s54
	v_add_co_u32_e32 v10, vcc, s49, v10
	v_addc_co_u32_e32 v11, vcc, v1, v11, vcc
	global_load_dwordx2 v[10:11], v[10:11], off
	s_or_b64 exec, exec, s[16:17]
	s_and_saveexec_b64 s[16:17], s[10:11]
	s_cbranch_execz .LBB187_26
.LBB187_62:
	v_mul_lo_u32 v12, v37, s48
	v_mov_b32_e32 v13, 0
	v_lshlrev_b64 v[12:13], 3, v[12:13]
	v_mov_b32_e32 v1, s54
	v_add_co_u32_e32 v12, vcc, s49, v12
	v_addc_co_u32_e32 v13, vcc, v1, v13, vcc
	global_load_dwordx2 v[12:13], v[12:13], off
	s_or_b64 exec, exec, s[16:17]
	s_and_saveexec_b64 s[16:17], s[12:13]
	s_cbranch_execz .LBB187_27
.LBB187_63:
	v_mul_lo_u32 v14, v38, s48
	v_mov_b32_e32 v15, 0
	v_lshlrev_b64 v[14:15], 3, v[14:15]
	v_mov_b32_e32 v1, s54
	v_add_co_u32_e32 v14, vcc, s49, v14
	v_addc_co_u32_e32 v15, vcc, v1, v15, vcc
	global_load_dwordx2 v[14:15], v[14:15], off
	s_or_b64 exec, exec, s[16:17]
	s_xor_b64 s[16:17], s[34:35], -1
	s_and_saveexec_b64 s[18:19], s[14:15]
	s_cbranch_execnz .LBB187_28
	s_branch .LBB187_29
.LBB187_64:
                                        ; implicit-def: $vgpr64_vgpr65
                                        ; implicit-def: $vgpr60_vgpr61
                                        ; implicit-def: $vgpr56_vgpr57
                                        ; implicit-def: $vgpr52_vgpr53
                                        ; implicit-def: $vgpr0_vgpr1_vgpr2_vgpr3_vgpr4_vgpr5_vgpr6_vgpr7_vgpr8_vgpr9_vgpr10_vgpr11_vgpr12_vgpr13_vgpr14_vgpr15
	s_cbranch_execz .LBB187_92
; %bb.65:
	v_bfrev_b32_e32 v72, -2
	v_cmp_gt_i64_e32 vcc, 0, v[30:31]
	v_cndmask_b32_e64 v0, v72, 0, vcc
	v_not_b32_e32 v2, v124
	v_cmp_gt_i64_e32 vcc, 0, v[32:33]
	v_xor_b32_e32 v1, v0, v31
	v_xor_b32_e32 v0, v2, v30
	v_cndmask_b32_e64 v2, v72, 0, vcc
	v_not_b32_e32 v4, v123
	v_cmp_gt_i64_e32 vcc, 0, v[26:27]
	v_xor_b32_e32 v3, v2, v33
	v_xor_b32_e32 v2, v4, v32
	;; [unrolled: 5-line block ×7, first 2 shown]
	v_cndmask_b32_e64 v14, v72, 0, vcc
	v_not_b32_e32 v16, v117
	s_waitcnt lgkmcnt(3)
	v_mbcnt_hi_u32_b32 v50, -1, v116
	v_and_b32_e32 v51, 0x3c0, v70
	v_xor_b32_e32 v15, v14, v21
	v_xor_b32_e32 v14, v16, v20
	v_add_lshl_u32 v16, v50, v51, 6
	v_and_b32_e32 v52, 0x1e00, v67
	ds_write2_b64 v16, v[0:1], v[2:3] offset1:1
	ds_write2_b64 v16, v[4:5], v[6:7] offset0:2 offset1:3
	ds_write2_b64 v16, v[8:9], v[10:11] offset0:4 offset1:5
	;; [unrolled: 1-line block ×3, first 2 shown]
	v_or_b32_e32 v0, v50, v52
	v_lshlrev_b32_e32 v28, 3, v0
	; wave barrier
	ds_read2st64_b64 v[0:3], v28 offset1:1
	ds_read2st64_b64 v[4:7], v28 offset0:2 offset1:3
	ds_read2st64_b64 v[8:11], v28 offset0:4 offset1:5
	;; [unrolled: 1-line block ×3, first 2 shown]
	; wave barrier
	ds_write2_b64 v16, v[46:47], v[48:49] offset1:1
	ds_write2_b64 v16, v[42:43], v[44:45] offset0:2 offset1:3
	ds_write2_b64 v16, v[38:39], v[40:41] offset0:4 offset1:5
	;; [unrolled: 1-line block ×3, first 2 shown]
	; wave barrier
	ds_read2st64_b64 v[16:19], v28 offset1:1
	ds_read2st64_b64 v[20:23], v28 offset0:2 offset1:3
	ds_read2st64_b64 v[24:27], v28 offset0:4 offset1:5
	;; [unrolled: 1-line block ×3, first 2 shown]
	s_waitcnt lgkmcnt(0)
	s_barrier
	s_load_dword s18, s[50:51], 0xc
	s_getpc_b64 s[16:17]
	s_add_u32 s16, s16, _ZN7rocprim17ROCPRIM_400000_NS16block_radix_sortIdLj128ELj8ElLj1ELj1ELj0ELNS0_26block_radix_rank_algorithmE1ELNS0_18block_padding_hintE2ELNS0_4arch9wavefront6targetE1EE19radix_bits_per_passE@rel32@lo+4
	s_addc_u32 s17, s17, _ZN7rocprim17ROCPRIM_400000_NS16block_radix_sortIdLj128ELj8ElLj1ELj1ELj0ELNS0_26block_radix_rank_algorithmE1ELNS0_18block_padding_hintE2ELNS0_4arch9wavefront6targetE1EE19radix_bits_per_passE@rel32@hi+12
	s_load_dword s52, s[16:17], 0x0
	s_mov_b32 s50, 0
	v_cmp_gt_u32_e64 s[30:31], 2, v70
	s_waitcnt lgkmcnt(0)
	s_lshr_b32 s16, s18, 16
	s_and_b32 s17, s18, 0xffff
	v_mad_u32_u24 v32, v115, s16, v114
	v_mad_u64_u32 v[32:33], s[16:17], v32, s17, v[70:71]
	v_lshrrev_b32_e32 v74, 6, v32
	v_and_b32_e32 v32, 15, v50
	v_cmp_eq_u32_e64 s[16:17], 0, v32
	v_cmp_lt_u32_e64 s[18:19], 1, v32
	v_cmp_lt_u32_e64 s[20:21], 3, v32
	;; [unrolled: 1-line block ×3, first 2 shown]
	v_and_b32_e32 v32, 16, v50
	v_cmp_eq_u32_e64 s[24:25], 0, v32
	v_min_u32_e32 v32, 64, v51
	v_or_b32_e32 v32, 63, v32
	v_cmp_eq_u32_e64 s[28:29], v32, v70
	v_add_u32_e32 v32, -1, v50
	v_and_b32_e32 v33, 64, v50
	v_cmp_lt_i32_e32 vcc, v32, v33
	v_cndmask_b32_e32 v32, v32, v50, vcc
	v_lshlrev_b32_e32 v75, 2, v32
	v_and_b32_e32 v32, 1, v50
	v_cmp_lt_u32_e64 s[34:35], 63, v70
	v_cmp_eq_u32_e64 s[38:39], 0, v70
	v_and_b32_e32 v70, 60, v113
	v_cmp_eq_u32_e64 s[40:41], 0, v32
	v_and_or_b32 v32, v50, 63, v52
	s_mov_b64 s[44:45], 0
	s_brev_b32 s51, 1
	v_or_b32_e32 v73, 8, v112
	v_cmp_lt_u32_e64 s[26:27], 31, v50
	s_mov_b32 s53, 64
	v_cmp_eq_u32_e64 s[36:37], 0, v50
	v_add_u32_e32 v76, -4, v70
	v_lshlrev_b32_e32 v77, 3, v32
	v_mov_b32_e32 v48, 0
	s_branch .LBB187_67
.LBB187_66:                             ;   in Loop: Header=BB187_67 Depth=1
	v_lshlrev_b32_e32 v16, 3, v84
	v_lshlrev_b32_e32 v17, 3, v83
	;; [unrolled: 1-line block ×8, first 2 shown]
	s_barrier
	ds_write_b64 v16, v[64:65]
	ds_write_b64 v17, v[62:63]
	ds_write_b64 v18, v[60:61]
	ds_write_b64 v19, v[58:59]
	ds_write_b64 v20, v[56:57]
	ds_write_b64 v21, v[54:55]
	ds_write_b64 v22, v[52:53]
	ds_write_b64 v23, v[50:51]
	s_waitcnt lgkmcnt(0)
	s_barrier
	ds_read2st64_b64 v[0:3], v77 offset1:1
	ds_read2st64_b64 v[4:7], v77 offset0:2 offset1:3
	ds_read2st64_b64 v[8:11], v77 offset0:4 offset1:5
	;; [unrolled: 1-line block ×3, first 2 shown]
	s_waitcnt lgkmcnt(0)
	s_barrier
	ds_write_b64 v16, v[46:47]
	ds_write_b64 v17, v[44:45]
	;; [unrolled: 1-line block ×8, first 2 shown]
	s_waitcnt lgkmcnt(0)
	s_barrier
	ds_read2st64_b64 v[16:19], v77 offset1:1
	ds_read2st64_b64 v[20:23], v77 offset0:2 offset1:3
	ds_read2st64_b64 v[24:27], v77 offset0:4 offset1:5
	;; [unrolled: 1-line block ×3, first 2 shown]
	s_add_u32 s44, s44, 8
	s_addc_u32 s45, s45, 0
	s_add_i32 s53, s53, -8
	s_waitcnt lgkmcnt(0)
	s_barrier
	s_cbranch_execz .LBB187_91
.LBB187_67:                             ; =>This Inner Loop Header: Depth=1
	v_pk_mov_b32 v[64:65], v[0:1], v[0:1] op_sel:[0,1]
	s_min_u32 s42, s52, s53
	v_cmp_ne_u64_e32 vcc, s[50:51], v[64:65]
	s_lshl_b32 s42, -1, s42
	v_cndmask_b32_e32 v1, v72, v65, vcc
	v_cndmask_b32_e32 v0, -1, v64, vcc
	s_not_b32 s55, s42
	v_lshrrev_b64 v[0:1], s44, v[0:1]
	v_and_b32_e32 v0, s55, v0
	v_lshl_add_u32 v1, v0, 1, v74
	v_pk_mov_b32 v[60:61], v[4:5], v[4:5] op_sel:[0,1]
	v_lshl_add_u32 v4, v1, 2, 8
	v_and_b32_e32 v1, 1, v0
	v_pk_mov_b32 v[62:63], v[2:3], v[2:3] op_sel:[0,1]
	v_add_co_u32_e32 v2, vcc, -1, v1
	v_addc_co_u32_e64 v3, s[42:43], 0, -1, vcc
	v_cmp_ne_u32_e32 vcc, 0, v1
	v_lshlrev_b32_e32 v49, 30, v0
	v_xor_b32_e32 v1, vcc_hi, v3
	v_not_b32_e32 v3, v49
	v_xor_b32_e32 v2, vcc_lo, v2
	v_cmp_gt_i64_e32 vcc, 0, v[48:49]
	v_ashrrev_i32_e32 v3, 31, v3
	v_and_b32_e32 v2, exec_lo, v2
	v_xor_b32_e32 v5, vcc_hi, v3
	v_xor_b32_e32 v3, vcc_lo, v3
	v_lshlrev_b32_e32 v49, 29, v0
	v_and_b32_e32 v2, v2, v3
	v_not_b32_e32 v3, v49
	v_and_b32_e32 v1, exec_hi, v1
	v_cmp_gt_i64_e32 vcc, 0, v[48:49]
	v_ashrrev_i32_e32 v3, 31, v3
	v_and_b32_e32 v1, v1, v5
	v_xor_b32_e32 v5, vcc_hi, v3
	v_xor_b32_e32 v3, vcc_lo, v3
	v_lshlrev_b32_e32 v49, 28, v0
	v_and_b32_e32 v2, v2, v3
	v_not_b32_e32 v3, v49
	v_cmp_gt_i64_e32 vcc, 0, v[48:49]
	v_ashrrev_i32_e32 v3, 31, v3
	v_and_b32_e32 v1, v1, v5
	v_xor_b32_e32 v5, vcc_hi, v3
	v_xor_b32_e32 v3, vcc_lo, v3
	v_lshlrev_b32_e32 v49, 27, v0
	v_and_b32_e32 v2, v2, v3
	v_not_b32_e32 v3, v49
	;; [unrolled: 8-line block ×3, first 2 shown]
	v_cmp_gt_i64_e32 vcc, 0, v[48:49]
	v_ashrrev_i32_e32 v3, 31, v3
	v_and_b32_e32 v1, v1, v5
	v_xor_b32_e32 v5, vcc_hi, v3
	v_xor_b32_e32 v3, vcc_lo, v3
	v_lshlrev_b32_e32 v49, 25, v0
	v_and_b32_e32 v2, v2, v3
	v_cmp_gt_i64_e32 vcc, 0, v[48:49]
	v_not_b32_e32 v3, v49
	v_lshlrev_b32_e32 v49, 24, v0
	v_ashrrev_i32_e32 v3, 31, v3
	v_not_b32_e32 v0, v49
	v_and_b32_e32 v1, v1, v5
	v_xor_b32_e32 v5, vcc_hi, v3
	v_xor_b32_e32 v3, vcc_lo, v3
	v_cmp_gt_i64_e32 vcc, 0, v[48:49]
	v_ashrrev_i32_e32 v0, 31, v0
	v_and_b32_e32 v2, v2, v3
	v_xor_b32_e32 v3, vcc_hi, v0
	v_xor_b32_e32 v0, vcc_lo, v0
	v_and_b32_e32 v1, v1, v5
	v_and_b32_e32 v0, v2, v0
	;; [unrolled: 1-line block ×3, first 2 shown]
	v_mbcnt_lo_u32_b32 v2, v0, 0
	v_mbcnt_hi_u32_b32 v5, v1, v2
	v_cmp_eq_u32_e32 vcc, 0, v5
	v_cmp_ne_u64_e64 s[42:43], 0, v[0:1]
	v_pk_mov_b32 v[50:51], v[14:15], v[14:15] op_sel:[0,1]
	v_pk_mov_b32 v[52:53], v[12:13], v[12:13] op_sel:[0,1]
	;; [unrolled: 1-line block ×13, first 2 shown]
	s_and_b64 s[56:57], s[42:43], vcc
	ds_write2_b32 v112, v48, v48 offset0:2 offset1:3
	ds_write2_b32 v73, v48, v48 offset0:2 offset1:3
	s_waitcnt lgkmcnt(0)
	s_barrier
	s_waitcnt lgkmcnt(0)
	; wave barrier
	s_and_saveexec_b64 s[42:43], s[56:57]
	s_cbranch_execz .LBB187_69
; %bb.68:                               ;   in Loop: Header=BB187_67 Depth=1
	v_bcnt_u32_b32 v0, v0, 0
	v_bcnt_u32_b32 v0, v1, v0
	ds_write_b32 v4, v0
.LBB187_69:                             ;   in Loop: Header=BB187_67 Depth=1
	s_or_b64 exec, exec, s[42:43]
	v_cmp_ne_u64_e32 vcc, s[50:51], v[62:63]
	v_cndmask_b32_e32 v1, v72, v63, vcc
	v_cndmask_b32_e32 v0, -1, v62, vcc
	v_lshrrev_b64 v[0:1], s44, v[0:1]
	v_and_b32_e32 v0, s55, v0
	v_lshlrev_b32_e32 v1, 1, v0
	v_add_lshl_u32 v1, v1, v74, 2
	; wave barrier
	v_add_u32_e32 v7, 8, v1
	ds_read_b32 v6, v1 offset:8
	v_and_b32_e32 v1, 1, v0
	v_add_co_u32_e32 v2, vcc, -1, v1
	v_addc_co_u32_e64 v3, s[42:43], 0, -1, vcc
	v_cmp_ne_u32_e32 vcc, 0, v1
	v_lshlrev_b32_e32 v49, 30, v0
	v_xor_b32_e32 v1, vcc_hi, v3
	v_not_b32_e32 v3, v49
	v_xor_b32_e32 v2, vcc_lo, v2
	v_cmp_gt_i64_e32 vcc, 0, v[48:49]
	v_ashrrev_i32_e32 v3, 31, v3
	v_and_b32_e32 v2, exec_lo, v2
	v_xor_b32_e32 v8, vcc_hi, v3
	v_xor_b32_e32 v3, vcc_lo, v3
	v_lshlrev_b32_e32 v49, 29, v0
	v_and_b32_e32 v2, v2, v3
	v_not_b32_e32 v3, v49
	v_and_b32_e32 v1, exec_hi, v1
	v_cmp_gt_i64_e32 vcc, 0, v[48:49]
	v_ashrrev_i32_e32 v3, 31, v3
	v_and_b32_e32 v1, v1, v8
	v_xor_b32_e32 v8, vcc_hi, v3
	v_xor_b32_e32 v3, vcc_lo, v3
	v_lshlrev_b32_e32 v49, 28, v0
	v_and_b32_e32 v2, v2, v3
	v_not_b32_e32 v3, v49
	v_cmp_gt_i64_e32 vcc, 0, v[48:49]
	v_ashrrev_i32_e32 v3, 31, v3
	v_and_b32_e32 v1, v1, v8
	v_xor_b32_e32 v8, vcc_hi, v3
	v_xor_b32_e32 v3, vcc_lo, v3
	v_lshlrev_b32_e32 v49, 27, v0
	v_and_b32_e32 v2, v2, v3
	v_not_b32_e32 v3, v49
	;; [unrolled: 8-line block ×3, first 2 shown]
	v_cmp_gt_i64_e32 vcc, 0, v[48:49]
	v_ashrrev_i32_e32 v3, 31, v3
	v_and_b32_e32 v1, v1, v8
	v_xor_b32_e32 v8, vcc_hi, v3
	v_xor_b32_e32 v3, vcc_lo, v3
	v_lshlrev_b32_e32 v49, 25, v0
	v_and_b32_e32 v2, v2, v3
	v_cmp_gt_i64_e32 vcc, 0, v[48:49]
	v_not_b32_e32 v3, v49
	v_lshlrev_b32_e32 v49, 24, v0
	v_ashrrev_i32_e32 v3, 31, v3
	v_not_b32_e32 v0, v49
	v_and_b32_e32 v1, v1, v8
	v_xor_b32_e32 v8, vcc_hi, v3
	v_xor_b32_e32 v3, vcc_lo, v3
	v_cmp_gt_i64_e32 vcc, 0, v[48:49]
	v_ashrrev_i32_e32 v0, 31, v0
	v_and_b32_e32 v2, v2, v3
	v_xor_b32_e32 v3, vcc_hi, v0
	v_xor_b32_e32 v0, vcc_lo, v0
	v_and_b32_e32 v1, v1, v8
	v_and_b32_e32 v0, v2, v0
	;; [unrolled: 1-line block ×3, first 2 shown]
	v_mbcnt_lo_u32_b32 v2, v0, 0
	v_mbcnt_hi_u32_b32 v8, v1, v2
	v_cmp_eq_u32_e32 vcc, 0, v8
	v_cmp_ne_u64_e64 s[42:43], 0, v[0:1]
	s_and_b64 s[56:57], s[42:43], vcc
	; wave barrier
	s_and_saveexec_b64 s[42:43], s[56:57]
	s_cbranch_execz .LBB187_71
; %bb.70:                               ;   in Loop: Header=BB187_67 Depth=1
	v_bcnt_u32_b32 v0, v0, 0
	v_bcnt_u32_b32 v0, v1, v0
	s_waitcnt lgkmcnt(0)
	v_add_u32_e32 v0, v6, v0
	ds_write_b32 v7, v0
.LBB187_71:                             ;   in Loop: Header=BB187_67 Depth=1
	s_or_b64 exec, exec, s[42:43]
	v_cmp_ne_u64_e32 vcc, s[50:51], v[60:61]
	v_cndmask_b32_e32 v1, v72, v61, vcc
	v_cndmask_b32_e32 v0, -1, v60, vcc
	v_lshrrev_b64 v[0:1], s44, v[0:1]
	v_and_b32_e32 v0, s55, v0
	v_lshlrev_b32_e32 v1, 1, v0
	v_add_lshl_u32 v1, v1, v74, 2
	; wave barrier
	v_add_u32_e32 v10, 8, v1
	ds_read_b32 v9, v1 offset:8
	v_and_b32_e32 v1, 1, v0
	v_add_co_u32_e32 v2, vcc, -1, v1
	v_addc_co_u32_e64 v3, s[42:43], 0, -1, vcc
	v_cmp_ne_u32_e32 vcc, 0, v1
	v_lshlrev_b32_e32 v49, 30, v0
	v_xor_b32_e32 v1, vcc_hi, v3
	v_not_b32_e32 v3, v49
	v_xor_b32_e32 v2, vcc_lo, v2
	v_cmp_gt_i64_e32 vcc, 0, v[48:49]
	v_ashrrev_i32_e32 v3, 31, v3
	v_and_b32_e32 v2, exec_lo, v2
	v_xor_b32_e32 v11, vcc_hi, v3
	v_xor_b32_e32 v3, vcc_lo, v3
	v_lshlrev_b32_e32 v49, 29, v0
	v_and_b32_e32 v2, v2, v3
	v_not_b32_e32 v3, v49
	v_and_b32_e32 v1, exec_hi, v1
	v_cmp_gt_i64_e32 vcc, 0, v[48:49]
	v_ashrrev_i32_e32 v3, 31, v3
	v_and_b32_e32 v1, v1, v11
	v_xor_b32_e32 v11, vcc_hi, v3
	v_xor_b32_e32 v3, vcc_lo, v3
	v_lshlrev_b32_e32 v49, 28, v0
	v_and_b32_e32 v2, v2, v3
	v_not_b32_e32 v3, v49
	v_cmp_gt_i64_e32 vcc, 0, v[48:49]
	v_ashrrev_i32_e32 v3, 31, v3
	v_and_b32_e32 v1, v1, v11
	v_xor_b32_e32 v11, vcc_hi, v3
	v_xor_b32_e32 v3, vcc_lo, v3
	v_lshlrev_b32_e32 v49, 27, v0
	v_and_b32_e32 v2, v2, v3
	v_not_b32_e32 v3, v49
	;; [unrolled: 8-line block ×3, first 2 shown]
	v_cmp_gt_i64_e32 vcc, 0, v[48:49]
	v_ashrrev_i32_e32 v3, 31, v3
	v_and_b32_e32 v1, v1, v11
	v_xor_b32_e32 v11, vcc_hi, v3
	v_xor_b32_e32 v3, vcc_lo, v3
	v_lshlrev_b32_e32 v49, 25, v0
	v_and_b32_e32 v2, v2, v3
	v_cmp_gt_i64_e32 vcc, 0, v[48:49]
	v_not_b32_e32 v3, v49
	v_lshlrev_b32_e32 v49, 24, v0
	v_ashrrev_i32_e32 v3, 31, v3
	v_not_b32_e32 v0, v49
	v_and_b32_e32 v1, v1, v11
	v_xor_b32_e32 v11, vcc_hi, v3
	v_xor_b32_e32 v3, vcc_lo, v3
	v_cmp_gt_i64_e32 vcc, 0, v[48:49]
	v_ashrrev_i32_e32 v0, 31, v0
	v_and_b32_e32 v2, v2, v3
	v_xor_b32_e32 v3, vcc_hi, v0
	v_xor_b32_e32 v0, vcc_lo, v0
	v_and_b32_e32 v1, v1, v11
	v_and_b32_e32 v0, v2, v0
	;; [unrolled: 1-line block ×3, first 2 shown]
	v_mbcnt_lo_u32_b32 v2, v0, 0
	v_mbcnt_hi_u32_b32 v11, v1, v2
	v_cmp_eq_u32_e32 vcc, 0, v11
	v_cmp_ne_u64_e64 s[42:43], 0, v[0:1]
	s_and_b64 s[56:57], s[42:43], vcc
	; wave barrier
	s_and_saveexec_b64 s[42:43], s[56:57]
	s_cbranch_execz .LBB187_73
; %bb.72:                               ;   in Loop: Header=BB187_67 Depth=1
	v_bcnt_u32_b32 v0, v0, 0
	v_bcnt_u32_b32 v0, v1, v0
	s_waitcnt lgkmcnt(0)
	v_add_u32_e32 v0, v9, v0
	ds_write_b32 v10, v0
.LBB187_73:                             ;   in Loop: Header=BB187_67 Depth=1
	s_or_b64 exec, exec, s[42:43]
	v_cmp_ne_u64_e32 vcc, s[50:51], v[58:59]
	v_cndmask_b32_e32 v1, v72, v59, vcc
	v_cndmask_b32_e32 v0, -1, v58, vcc
	v_lshrrev_b64 v[0:1], s44, v[0:1]
	v_and_b32_e32 v0, s55, v0
	v_lshlrev_b32_e32 v1, 1, v0
	v_add_lshl_u32 v1, v1, v74, 2
	; wave barrier
	v_add_u32_e32 v13, 8, v1
	ds_read_b32 v12, v1 offset:8
	v_and_b32_e32 v1, 1, v0
	v_add_co_u32_e32 v2, vcc, -1, v1
	v_addc_co_u32_e64 v3, s[42:43], 0, -1, vcc
	v_cmp_ne_u32_e32 vcc, 0, v1
	v_lshlrev_b32_e32 v49, 30, v0
	v_xor_b32_e32 v1, vcc_hi, v3
	v_not_b32_e32 v3, v49
	v_xor_b32_e32 v2, vcc_lo, v2
	v_cmp_gt_i64_e32 vcc, 0, v[48:49]
	v_ashrrev_i32_e32 v3, 31, v3
	v_and_b32_e32 v2, exec_lo, v2
	v_xor_b32_e32 v14, vcc_hi, v3
	v_xor_b32_e32 v3, vcc_lo, v3
	v_lshlrev_b32_e32 v49, 29, v0
	v_and_b32_e32 v2, v2, v3
	v_not_b32_e32 v3, v49
	v_and_b32_e32 v1, exec_hi, v1
	v_cmp_gt_i64_e32 vcc, 0, v[48:49]
	v_ashrrev_i32_e32 v3, 31, v3
	v_and_b32_e32 v1, v1, v14
	v_xor_b32_e32 v14, vcc_hi, v3
	v_xor_b32_e32 v3, vcc_lo, v3
	v_lshlrev_b32_e32 v49, 28, v0
	v_and_b32_e32 v2, v2, v3
	v_not_b32_e32 v3, v49
	v_cmp_gt_i64_e32 vcc, 0, v[48:49]
	v_ashrrev_i32_e32 v3, 31, v3
	v_and_b32_e32 v1, v1, v14
	v_xor_b32_e32 v14, vcc_hi, v3
	v_xor_b32_e32 v3, vcc_lo, v3
	v_lshlrev_b32_e32 v49, 27, v0
	v_and_b32_e32 v2, v2, v3
	v_not_b32_e32 v3, v49
	v_cmp_gt_i64_e32 vcc, 0, v[48:49]
	v_ashrrev_i32_e32 v3, 31, v3
	v_and_b32_e32 v1, v1, v14
	v_xor_b32_e32 v14, vcc_hi, v3
	v_xor_b32_e32 v3, vcc_lo, v3
	v_lshlrev_b32_e32 v49, 26, v0
	v_and_b32_e32 v2, v2, v3
	v_not_b32_e32 v3, v49
	v_cmp_gt_i64_e32 vcc, 0, v[48:49]
	v_ashrrev_i32_e32 v3, 31, v3
	v_and_b32_e32 v1, v1, v14
	v_xor_b32_e32 v14, vcc_hi, v3
	v_xor_b32_e32 v3, vcc_lo, v3
	v_lshlrev_b32_e32 v49, 25, v0
	v_and_b32_e32 v2, v2, v3
	v_cmp_gt_i64_e32 vcc, 0, v[48:49]
	v_not_b32_e32 v3, v49
	v_lshlrev_b32_e32 v49, 24, v0
	v_ashrrev_i32_e32 v3, 31, v3
	v_not_b32_e32 v0, v49
	v_and_b32_e32 v1, v1, v14
	v_xor_b32_e32 v14, vcc_hi, v3
	v_xor_b32_e32 v3, vcc_lo, v3
	v_cmp_gt_i64_e32 vcc, 0, v[48:49]
	v_ashrrev_i32_e32 v0, 31, v0
	v_and_b32_e32 v2, v2, v3
	v_xor_b32_e32 v3, vcc_hi, v0
	v_xor_b32_e32 v0, vcc_lo, v0
	v_and_b32_e32 v1, v1, v14
	v_and_b32_e32 v0, v2, v0
	;; [unrolled: 1-line block ×3, first 2 shown]
	v_mbcnt_lo_u32_b32 v2, v0, 0
	v_mbcnt_hi_u32_b32 v14, v1, v2
	v_cmp_eq_u32_e32 vcc, 0, v14
	v_cmp_ne_u64_e64 s[42:43], 0, v[0:1]
	s_and_b64 s[56:57], s[42:43], vcc
	; wave barrier
	s_and_saveexec_b64 s[42:43], s[56:57]
	s_cbranch_execz .LBB187_75
; %bb.74:                               ;   in Loop: Header=BB187_67 Depth=1
	v_bcnt_u32_b32 v0, v0, 0
	v_bcnt_u32_b32 v0, v1, v0
	s_waitcnt lgkmcnt(0)
	v_add_u32_e32 v0, v12, v0
	ds_write_b32 v13, v0
.LBB187_75:                             ;   in Loop: Header=BB187_67 Depth=1
	s_or_b64 exec, exec, s[42:43]
	v_cmp_ne_u64_e32 vcc, s[50:51], v[56:57]
	v_cndmask_b32_e32 v1, v72, v57, vcc
	v_cndmask_b32_e32 v0, -1, v56, vcc
	v_lshrrev_b64 v[0:1], s44, v[0:1]
	v_and_b32_e32 v0, s55, v0
	v_lshlrev_b32_e32 v1, 1, v0
	v_add_lshl_u32 v1, v1, v74, 2
	; wave barrier
	v_add_u32_e32 v16, 8, v1
	ds_read_b32 v15, v1 offset:8
	v_and_b32_e32 v1, 1, v0
	v_add_co_u32_e32 v2, vcc, -1, v1
	v_addc_co_u32_e64 v3, s[42:43], 0, -1, vcc
	v_cmp_ne_u32_e32 vcc, 0, v1
	v_lshlrev_b32_e32 v49, 30, v0
	v_xor_b32_e32 v1, vcc_hi, v3
	v_not_b32_e32 v3, v49
	v_xor_b32_e32 v2, vcc_lo, v2
	v_cmp_gt_i64_e32 vcc, 0, v[48:49]
	v_ashrrev_i32_e32 v3, 31, v3
	v_and_b32_e32 v2, exec_lo, v2
	v_xor_b32_e32 v17, vcc_hi, v3
	v_xor_b32_e32 v3, vcc_lo, v3
	v_lshlrev_b32_e32 v49, 29, v0
	v_and_b32_e32 v2, v2, v3
	v_not_b32_e32 v3, v49
	v_and_b32_e32 v1, exec_hi, v1
	v_cmp_gt_i64_e32 vcc, 0, v[48:49]
	v_ashrrev_i32_e32 v3, 31, v3
	v_and_b32_e32 v1, v1, v17
	v_xor_b32_e32 v17, vcc_hi, v3
	v_xor_b32_e32 v3, vcc_lo, v3
	v_lshlrev_b32_e32 v49, 28, v0
	v_and_b32_e32 v2, v2, v3
	v_not_b32_e32 v3, v49
	v_cmp_gt_i64_e32 vcc, 0, v[48:49]
	v_ashrrev_i32_e32 v3, 31, v3
	v_and_b32_e32 v1, v1, v17
	v_xor_b32_e32 v17, vcc_hi, v3
	v_xor_b32_e32 v3, vcc_lo, v3
	v_lshlrev_b32_e32 v49, 27, v0
	v_and_b32_e32 v2, v2, v3
	v_not_b32_e32 v3, v49
	;; [unrolled: 8-line block ×3, first 2 shown]
	v_cmp_gt_i64_e32 vcc, 0, v[48:49]
	v_ashrrev_i32_e32 v3, 31, v3
	v_and_b32_e32 v1, v1, v17
	v_xor_b32_e32 v17, vcc_hi, v3
	v_xor_b32_e32 v3, vcc_lo, v3
	v_lshlrev_b32_e32 v49, 25, v0
	v_and_b32_e32 v2, v2, v3
	v_cmp_gt_i64_e32 vcc, 0, v[48:49]
	v_not_b32_e32 v3, v49
	v_lshlrev_b32_e32 v49, 24, v0
	v_ashrrev_i32_e32 v3, 31, v3
	v_not_b32_e32 v0, v49
	v_and_b32_e32 v1, v1, v17
	v_xor_b32_e32 v17, vcc_hi, v3
	v_xor_b32_e32 v3, vcc_lo, v3
	v_cmp_gt_i64_e32 vcc, 0, v[48:49]
	v_ashrrev_i32_e32 v0, 31, v0
	v_and_b32_e32 v2, v2, v3
	v_xor_b32_e32 v3, vcc_hi, v0
	v_xor_b32_e32 v0, vcc_lo, v0
	v_and_b32_e32 v1, v1, v17
	v_and_b32_e32 v0, v2, v0
	;; [unrolled: 1-line block ×3, first 2 shown]
	v_mbcnt_lo_u32_b32 v2, v0, 0
	v_mbcnt_hi_u32_b32 v17, v1, v2
	v_cmp_eq_u32_e32 vcc, 0, v17
	v_cmp_ne_u64_e64 s[42:43], 0, v[0:1]
	s_and_b64 s[56:57], s[42:43], vcc
	; wave barrier
	s_and_saveexec_b64 s[42:43], s[56:57]
	s_cbranch_execz .LBB187_77
; %bb.76:                               ;   in Loop: Header=BB187_67 Depth=1
	v_bcnt_u32_b32 v0, v0, 0
	v_bcnt_u32_b32 v0, v1, v0
	s_waitcnt lgkmcnt(0)
	v_add_u32_e32 v0, v15, v0
	ds_write_b32 v16, v0
.LBB187_77:                             ;   in Loop: Header=BB187_67 Depth=1
	s_or_b64 exec, exec, s[42:43]
	v_cmp_ne_u64_e32 vcc, s[50:51], v[54:55]
	v_cndmask_b32_e32 v1, v72, v55, vcc
	v_cndmask_b32_e32 v0, -1, v54, vcc
	v_lshrrev_b64 v[0:1], s44, v[0:1]
	v_and_b32_e32 v0, s55, v0
	v_lshlrev_b32_e32 v1, 1, v0
	v_add_lshl_u32 v1, v1, v74, 2
	; wave barrier
	v_add_u32_e32 v19, 8, v1
	ds_read_b32 v18, v1 offset:8
	v_and_b32_e32 v1, 1, v0
	v_add_co_u32_e32 v2, vcc, -1, v1
	v_addc_co_u32_e64 v3, s[42:43], 0, -1, vcc
	v_cmp_ne_u32_e32 vcc, 0, v1
	v_lshlrev_b32_e32 v49, 30, v0
	v_xor_b32_e32 v1, vcc_hi, v3
	v_not_b32_e32 v3, v49
	v_xor_b32_e32 v2, vcc_lo, v2
	v_cmp_gt_i64_e32 vcc, 0, v[48:49]
	v_ashrrev_i32_e32 v3, 31, v3
	v_and_b32_e32 v2, exec_lo, v2
	v_xor_b32_e32 v20, vcc_hi, v3
	v_xor_b32_e32 v3, vcc_lo, v3
	v_lshlrev_b32_e32 v49, 29, v0
	v_and_b32_e32 v2, v2, v3
	v_not_b32_e32 v3, v49
	v_and_b32_e32 v1, exec_hi, v1
	v_cmp_gt_i64_e32 vcc, 0, v[48:49]
	v_ashrrev_i32_e32 v3, 31, v3
	v_and_b32_e32 v1, v1, v20
	v_xor_b32_e32 v20, vcc_hi, v3
	v_xor_b32_e32 v3, vcc_lo, v3
	v_lshlrev_b32_e32 v49, 28, v0
	v_and_b32_e32 v2, v2, v3
	v_not_b32_e32 v3, v49
	v_cmp_gt_i64_e32 vcc, 0, v[48:49]
	v_ashrrev_i32_e32 v3, 31, v3
	v_and_b32_e32 v1, v1, v20
	v_xor_b32_e32 v20, vcc_hi, v3
	v_xor_b32_e32 v3, vcc_lo, v3
	v_lshlrev_b32_e32 v49, 27, v0
	v_and_b32_e32 v2, v2, v3
	v_not_b32_e32 v3, v49
	;; [unrolled: 8-line block ×3, first 2 shown]
	v_cmp_gt_i64_e32 vcc, 0, v[48:49]
	v_ashrrev_i32_e32 v3, 31, v3
	v_and_b32_e32 v1, v1, v20
	v_xor_b32_e32 v20, vcc_hi, v3
	v_xor_b32_e32 v3, vcc_lo, v3
	v_lshlrev_b32_e32 v49, 25, v0
	v_and_b32_e32 v2, v2, v3
	v_cmp_gt_i64_e32 vcc, 0, v[48:49]
	v_not_b32_e32 v3, v49
	v_lshlrev_b32_e32 v49, 24, v0
	v_ashrrev_i32_e32 v3, 31, v3
	v_not_b32_e32 v0, v49
	v_and_b32_e32 v1, v1, v20
	v_xor_b32_e32 v20, vcc_hi, v3
	v_xor_b32_e32 v3, vcc_lo, v3
	v_cmp_gt_i64_e32 vcc, 0, v[48:49]
	v_ashrrev_i32_e32 v0, 31, v0
	v_and_b32_e32 v2, v2, v3
	v_xor_b32_e32 v3, vcc_hi, v0
	v_xor_b32_e32 v0, vcc_lo, v0
	v_and_b32_e32 v1, v1, v20
	v_and_b32_e32 v0, v2, v0
	;; [unrolled: 1-line block ×3, first 2 shown]
	v_mbcnt_lo_u32_b32 v2, v0, 0
	v_mbcnt_hi_u32_b32 v20, v1, v2
	v_cmp_eq_u32_e32 vcc, 0, v20
	v_cmp_ne_u64_e64 s[42:43], 0, v[0:1]
	s_and_b64 s[56:57], s[42:43], vcc
	; wave barrier
	s_and_saveexec_b64 s[42:43], s[56:57]
	s_cbranch_execz .LBB187_79
; %bb.78:                               ;   in Loop: Header=BB187_67 Depth=1
	v_bcnt_u32_b32 v0, v0, 0
	v_bcnt_u32_b32 v0, v1, v0
	s_waitcnt lgkmcnt(0)
	v_add_u32_e32 v0, v18, v0
	ds_write_b32 v19, v0
.LBB187_79:                             ;   in Loop: Header=BB187_67 Depth=1
	s_or_b64 exec, exec, s[42:43]
	v_cmp_ne_u64_e32 vcc, s[50:51], v[52:53]
	v_cndmask_b32_e32 v1, v72, v53, vcc
	v_cndmask_b32_e32 v0, -1, v52, vcc
	v_lshrrev_b64 v[0:1], s44, v[0:1]
	v_and_b32_e32 v0, s55, v0
	v_lshlrev_b32_e32 v1, 1, v0
	v_add_lshl_u32 v1, v1, v74, 2
	; wave barrier
	v_add_u32_e32 v22, 8, v1
	ds_read_b32 v21, v1 offset:8
	v_and_b32_e32 v1, 1, v0
	v_add_co_u32_e32 v2, vcc, -1, v1
	v_addc_co_u32_e64 v3, s[42:43], 0, -1, vcc
	v_cmp_ne_u32_e32 vcc, 0, v1
	v_lshlrev_b32_e32 v49, 30, v0
	v_xor_b32_e32 v1, vcc_hi, v3
	v_not_b32_e32 v3, v49
	v_xor_b32_e32 v2, vcc_lo, v2
	v_cmp_gt_i64_e32 vcc, 0, v[48:49]
	v_ashrrev_i32_e32 v3, 31, v3
	v_and_b32_e32 v2, exec_lo, v2
	v_xor_b32_e32 v23, vcc_hi, v3
	v_xor_b32_e32 v3, vcc_lo, v3
	v_lshlrev_b32_e32 v49, 29, v0
	v_and_b32_e32 v2, v2, v3
	v_not_b32_e32 v3, v49
	v_and_b32_e32 v1, exec_hi, v1
	v_cmp_gt_i64_e32 vcc, 0, v[48:49]
	v_ashrrev_i32_e32 v3, 31, v3
	v_and_b32_e32 v1, v1, v23
	v_xor_b32_e32 v23, vcc_hi, v3
	v_xor_b32_e32 v3, vcc_lo, v3
	v_lshlrev_b32_e32 v49, 28, v0
	v_and_b32_e32 v2, v2, v3
	v_not_b32_e32 v3, v49
	v_cmp_gt_i64_e32 vcc, 0, v[48:49]
	v_ashrrev_i32_e32 v3, 31, v3
	v_and_b32_e32 v1, v1, v23
	v_xor_b32_e32 v23, vcc_hi, v3
	v_xor_b32_e32 v3, vcc_lo, v3
	v_lshlrev_b32_e32 v49, 27, v0
	v_and_b32_e32 v2, v2, v3
	v_not_b32_e32 v3, v49
	v_cmp_gt_i64_e32 vcc, 0, v[48:49]
	v_ashrrev_i32_e32 v3, 31, v3
	v_and_b32_e32 v1, v1, v23
	v_xor_b32_e32 v23, vcc_hi, v3
	v_xor_b32_e32 v3, vcc_lo, v3
	v_lshlrev_b32_e32 v49, 26, v0
	v_and_b32_e32 v2, v2, v3
	v_not_b32_e32 v3, v49
	v_cmp_gt_i64_e32 vcc, 0, v[48:49]
	v_ashrrev_i32_e32 v3, 31, v3
	v_and_b32_e32 v1, v1, v23
	v_xor_b32_e32 v23, vcc_hi, v3
	v_xor_b32_e32 v3, vcc_lo, v3
	v_lshlrev_b32_e32 v49, 25, v0
	v_and_b32_e32 v2, v2, v3
	v_cmp_gt_i64_e32 vcc, 0, v[48:49]
	v_not_b32_e32 v3, v49
	v_lshlrev_b32_e32 v49, 24, v0
	v_ashrrev_i32_e32 v3, 31, v3
	v_not_b32_e32 v0, v49
	v_and_b32_e32 v1, v1, v23
	v_xor_b32_e32 v23, vcc_hi, v3
	v_xor_b32_e32 v3, vcc_lo, v3
	v_cmp_gt_i64_e32 vcc, 0, v[48:49]
	v_ashrrev_i32_e32 v0, 31, v0
	v_and_b32_e32 v2, v2, v3
	v_xor_b32_e32 v3, vcc_hi, v0
	v_xor_b32_e32 v0, vcc_lo, v0
	v_and_b32_e32 v1, v1, v23
	v_and_b32_e32 v0, v2, v0
	;; [unrolled: 1-line block ×3, first 2 shown]
	v_mbcnt_lo_u32_b32 v2, v0, 0
	v_mbcnt_hi_u32_b32 v23, v1, v2
	v_cmp_eq_u32_e32 vcc, 0, v23
	v_cmp_ne_u64_e64 s[42:43], 0, v[0:1]
	s_and_b64 s[56:57], s[42:43], vcc
	; wave barrier
	s_and_saveexec_b64 s[42:43], s[56:57]
	s_cbranch_execz .LBB187_81
; %bb.80:                               ;   in Loop: Header=BB187_67 Depth=1
	v_bcnt_u32_b32 v0, v0, 0
	v_bcnt_u32_b32 v0, v1, v0
	s_waitcnt lgkmcnt(0)
	v_add_u32_e32 v0, v21, v0
	ds_write_b32 v22, v0
.LBB187_81:                             ;   in Loop: Header=BB187_67 Depth=1
	s_or_b64 exec, exec, s[42:43]
	v_cmp_ne_u64_e32 vcc, s[50:51], v[50:51]
	v_cndmask_b32_e32 v1, v72, v51, vcc
	v_cndmask_b32_e32 v0, -1, v50, vcc
	v_lshrrev_b64 v[0:1], s44, v[0:1]
	v_and_b32_e32 v0, s55, v0
	v_lshlrev_b32_e32 v1, 1, v0
	v_add_lshl_u32 v1, v1, v74, 2
	; wave barrier
	v_add_u32_e32 v25, 8, v1
	ds_read_b32 v24, v1 offset:8
	v_and_b32_e32 v1, 1, v0
	v_add_co_u32_e32 v2, vcc, -1, v1
	v_addc_co_u32_e64 v3, s[42:43], 0, -1, vcc
	v_cmp_ne_u32_e32 vcc, 0, v1
	v_lshlrev_b32_e32 v49, 30, v0
	v_xor_b32_e32 v1, vcc_hi, v3
	v_not_b32_e32 v3, v49
	v_xor_b32_e32 v2, vcc_lo, v2
	v_cmp_gt_i64_e32 vcc, 0, v[48:49]
	v_ashrrev_i32_e32 v3, 31, v3
	v_and_b32_e32 v2, exec_lo, v2
	v_xor_b32_e32 v26, vcc_hi, v3
	v_xor_b32_e32 v3, vcc_lo, v3
	v_lshlrev_b32_e32 v49, 29, v0
	v_and_b32_e32 v2, v2, v3
	v_not_b32_e32 v3, v49
	v_and_b32_e32 v1, exec_hi, v1
	v_cmp_gt_i64_e32 vcc, 0, v[48:49]
	v_ashrrev_i32_e32 v3, 31, v3
	v_and_b32_e32 v1, v1, v26
	v_xor_b32_e32 v26, vcc_hi, v3
	v_xor_b32_e32 v3, vcc_lo, v3
	v_lshlrev_b32_e32 v49, 28, v0
	v_and_b32_e32 v2, v2, v3
	v_not_b32_e32 v3, v49
	v_cmp_gt_i64_e32 vcc, 0, v[48:49]
	v_ashrrev_i32_e32 v3, 31, v3
	v_and_b32_e32 v1, v1, v26
	v_xor_b32_e32 v26, vcc_hi, v3
	v_xor_b32_e32 v3, vcc_lo, v3
	v_lshlrev_b32_e32 v49, 27, v0
	v_and_b32_e32 v2, v2, v3
	v_not_b32_e32 v3, v49
	;; [unrolled: 8-line block ×3, first 2 shown]
	v_cmp_gt_i64_e32 vcc, 0, v[48:49]
	v_ashrrev_i32_e32 v3, 31, v3
	v_and_b32_e32 v1, v1, v26
	v_xor_b32_e32 v26, vcc_hi, v3
	v_xor_b32_e32 v3, vcc_lo, v3
	v_lshlrev_b32_e32 v49, 25, v0
	v_and_b32_e32 v2, v2, v3
	v_cmp_gt_i64_e32 vcc, 0, v[48:49]
	v_not_b32_e32 v3, v49
	v_lshlrev_b32_e32 v49, 24, v0
	v_ashrrev_i32_e32 v3, 31, v3
	v_not_b32_e32 v0, v49
	v_and_b32_e32 v1, v1, v26
	v_xor_b32_e32 v26, vcc_hi, v3
	v_xor_b32_e32 v3, vcc_lo, v3
	v_cmp_gt_i64_e32 vcc, 0, v[48:49]
	v_ashrrev_i32_e32 v0, 31, v0
	v_and_b32_e32 v2, v2, v3
	v_xor_b32_e32 v3, vcc_hi, v0
	v_xor_b32_e32 v0, vcc_lo, v0
	v_and_b32_e32 v1, v1, v26
	v_and_b32_e32 v0, v2, v0
	;; [unrolled: 1-line block ×3, first 2 shown]
	v_mbcnt_lo_u32_b32 v2, v0, 0
	v_mbcnt_hi_u32_b32 v26, v1, v2
	v_cmp_eq_u32_e32 vcc, 0, v26
	v_cmp_ne_u64_e64 s[42:43], 0, v[0:1]
	s_and_b64 s[56:57], s[42:43], vcc
	; wave barrier
	s_and_saveexec_b64 s[42:43], s[56:57]
	s_cbranch_execz .LBB187_83
; %bb.82:                               ;   in Loop: Header=BB187_67 Depth=1
	v_bcnt_u32_b32 v0, v0, 0
	v_bcnt_u32_b32 v0, v1, v0
	s_waitcnt lgkmcnt(0)
	v_add_u32_e32 v0, v24, v0
	ds_write_b32 v25, v0
.LBB187_83:                             ;   in Loop: Header=BB187_67 Depth=1
	s_or_b64 exec, exec, s[42:43]
	; wave barrier
	s_waitcnt lgkmcnt(0)
	s_barrier
	ds_read2_b32 v[2:3], v112 offset0:2 offset1:3
	ds_read2_b32 v[0:1], v73 offset0:2 offset1:3
	s_waitcnt lgkmcnt(1)
	v_add_u32_e32 v27, v3, v2
	s_waitcnt lgkmcnt(0)
	v_add3_u32 v1, v27, v0, v1
	s_nop 1
	v_mov_b32_dpp v27, v1 row_shr:1 row_mask:0xf bank_mask:0xf
	v_cndmask_b32_e64 v27, v27, 0, s[16:17]
	v_add_u32_e32 v1, v27, v1
	s_nop 1
	v_mov_b32_dpp v27, v1 row_shr:2 row_mask:0xf bank_mask:0xf
	v_cndmask_b32_e64 v27, 0, v27, s[18:19]
	v_add_u32_e32 v1, v1, v27
	;; [unrolled: 4-line block ×4, first 2 shown]
	s_nop 1
	v_mov_b32_dpp v27, v1 row_bcast:15 row_mask:0xf bank_mask:0xf
	v_cndmask_b32_e64 v27, v27, 0, s[24:25]
	v_add_u32_e32 v1, v1, v27
	s_nop 1
	v_mov_b32_dpp v27, v1 row_bcast:31 row_mask:0xf bank_mask:0xf
	v_cndmask_b32_e64 v27, 0, v27, s[26:27]
	v_add_u32_e32 v1, v1, v27
	s_and_saveexec_b64 s[42:43], s[28:29]
	s_cbranch_execz .LBB187_85
; %bb.84:                               ;   in Loop: Header=BB187_67 Depth=1
	ds_write_b32 v70, v1
.LBB187_85:                             ;   in Loop: Header=BB187_67 Depth=1
	s_or_b64 exec, exec, s[42:43]
	s_waitcnt lgkmcnt(0)
	s_barrier
	s_and_saveexec_b64 s[42:43], s[30:31]
	s_cbranch_execz .LBB187_87
; %bb.86:                               ;   in Loop: Header=BB187_67 Depth=1
	ds_read_b32 v27, v69
	s_waitcnt lgkmcnt(0)
	s_nop 0
	v_mov_b32_dpp v28, v27 row_shr:1 row_mask:0xf bank_mask:0xf
	v_cndmask_b32_e64 v28, v28, 0, s[40:41]
	v_add_u32_e32 v27, v28, v27
	ds_write_b32 v69, v27
.LBB187_87:                             ;   in Loop: Header=BB187_67 Depth=1
	s_or_b64 exec, exec, s[42:43]
	v_mov_b32_e32 v27, 0
	s_waitcnt lgkmcnt(0)
	s_barrier
	s_and_saveexec_b64 s[42:43], s[34:35]
	s_cbranch_execz .LBB187_89
; %bb.88:                               ;   in Loop: Header=BB187_67 Depth=1
	ds_read_b32 v27, v76
.LBB187_89:                             ;   in Loop: Header=BB187_67 Depth=1
	s_or_b64 exec, exec, s[42:43]
	s_waitcnt lgkmcnt(0)
	v_add_u32_e32 v1, v27, v1
	ds_bpermute_b32 v1, v75, v1
	s_cmp_gt_u32 s44, 55
	s_waitcnt lgkmcnt(0)
	v_cndmask_b32_e64 v1, v1, v27, s[36:37]
	v_cndmask_b32_e64 v1, v1, 0, s[38:39]
	v_add_u32_e32 v2, v1, v2
	v_add_u32_e32 v3, v2, v3
	;; [unrolled: 1-line block ×3, first 2 shown]
	ds_write2_b32 v112, v1, v2 offset0:2 offset1:3
	ds_write2_b32 v73, v3, v0 offset0:2 offset1:3
	s_waitcnt lgkmcnt(0)
	s_barrier
	ds_read_b32 v0, v4
	ds_read_b32 v1, v7
	;; [unrolled: 1-line block ×8, first 2 shown]
	s_waitcnt lgkmcnt(7)
	v_add_u32_e32 v84, v0, v5
	s_waitcnt lgkmcnt(6)
	v_add3_u32 v83, v8, v6, v1
	s_waitcnt lgkmcnt(5)
	v_add3_u32 v82, v11, v9, v2
	;; [unrolled: 2-line block ×7, first 2 shown]
	s_cbranch_scc0 .LBB187_66
; %bb.90:
                                        ; implicit-def: $vgpr14_vgpr15
                                        ; implicit-def: $vgpr10_vgpr11
                                        ; implicit-def: $vgpr6_vgpr7
                                        ; implicit-def: $vgpr2_vgpr3
                                        ; implicit-def: $vgpr30_vgpr31
                                        ; implicit-def: $vgpr26_vgpr27
                                        ; implicit-def: $vgpr22_vgpr23
                                        ; implicit-def: $vgpr18_vgpr19
                                        ; implicit-def: $sgpr44_sgpr45
                                        ; implicit-def: $sgpr53
.LBB187_91:
	v_lshlrev_b32_e32 v16, 3, v84
	v_lshlrev_b32_e32 v17, 3, v83
	;; [unrolled: 1-line block ×9, first 2 shown]
	s_barrier
	ds_write_b64 v16, v[64:65]
	ds_write_b64 v17, v[62:63]
	;; [unrolled: 1-line block ×8, first 2 shown]
	s_waitcnt lgkmcnt(0)
	s_barrier
	ds_read2_b64 v[0:3], v24 offset1:1
	ds_read2_b64 v[4:7], v24 offset0:2 offset1:3
	ds_read2_b64 v[8:11], v24 offset0:4 offset1:5
	;; [unrolled: 1-line block ×3, first 2 shown]
	s_waitcnt lgkmcnt(0)
	s_barrier
	ds_write_b64 v16, v[46:47]
	ds_write_b64 v17, v[44:45]
	ds_write_b64 v18, v[42:43]
	ds_write_b64 v19, v[40:41]
	ds_write_b64 v20, v[38:39]
	ds_write_b64 v21, v[36:37]
	ds_write_b64 v22, v[34:35]
	ds_write_b64 v23, v[32:33]
	v_ashrrev_i32_e32 v18, 31, v1
	v_not_b32_e32 v18, v18
	v_cmp_gt_i64_e32 vcc, 0, v[0:1]
	v_xor_b32_e32 v0, v18, v0
	v_ashrrev_i32_e32 v18, 31, v3
	v_bfrev_b32_e32 v16, -2
	v_not_b32_e32 v18, v18
	v_cndmask_b32_e64 v17, v16, 0, vcc
	v_cmp_gt_i64_e32 vcc, 0, v[2:3]
	v_xor_b32_e32 v2, v18, v2
	v_ashrrev_i32_e32 v18, 31, v5
	v_not_b32_e32 v18, v18
	v_xor_b32_e32 v1, v17, v1
	v_cndmask_b32_e64 v17, v16, 0, vcc
	v_cmp_gt_i64_e32 vcc, 0, v[4:5]
	v_xor_b32_e32 v4, v18, v4
	v_ashrrev_i32_e32 v18, 31, v7
	s_waitcnt lgkmcnt(0)
	s_barrier
	ds_read2_b64 v[50:53], v24 offset1:1
	ds_read2_b64 v[54:57], v24 offset0:2 offset1:3
	ds_read2_b64 v[58:61], v24 offset0:4 offset1:5
	;; [unrolled: 1-line block ×3, first 2 shown]
	v_xor_b32_e32 v3, v17, v3
	v_cndmask_b32_e64 v17, v16, 0, vcc
	v_cmp_gt_i64_e32 vcc, 0, v[6:7]
	v_not_b32_e32 v18, v18
	v_xor_b32_e32 v5, v17, v5
	v_cndmask_b32_e64 v17, v16, 0, vcc
	v_xor_b32_e32 v6, v18, v6
	v_cmp_gt_i64_e32 vcc, 0, v[8:9]
	v_ashrrev_i32_e32 v18, 31, v9
	v_xor_b32_e32 v7, v17, v7
	v_cndmask_b32_e64 v17, v16, 0, vcc
	v_not_b32_e32 v18, v18
	v_cmp_gt_i64_e32 vcc, 0, v[10:11]
	v_xor_b32_e32 v9, v17, v9
	v_xor_b32_e32 v8, v18, v8
	v_cndmask_b32_e64 v17, v16, 0, vcc
	v_ashrrev_i32_e32 v18, 31, v11
	v_cmp_gt_i64_e32 vcc, 0, v[12:13]
	v_not_b32_e32 v18, v18
	v_xor_b32_e32 v11, v17, v11
	v_cndmask_b32_e64 v17, v16, 0, vcc
	v_xor_b32_e32 v10, v18, v10
	v_ashrrev_i32_e32 v18, 31, v13
	v_xor_b32_e32 v13, v17, v13
	v_cmp_gt_i64_e32 vcc, 0, v[14:15]
	v_ashrrev_i32_e32 v17, 31, v15
	v_not_b32_e32 v18, v18
	v_cndmask_b32_e64 v16, v16, 0, vcc
	v_not_b32_e32 v17, v17
	v_xor_b32_e32 v12, v18, v12
	v_xor_b32_e32 v15, v16, v15
	;; [unrolled: 1-line block ×3, first 2 shown]
.LBB187_92:
	s_waitcnt lgkmcnt(0)
	s_barrier
	ds_write2_b64 v111, v[0:1], v[2:3] offset1:1
	ds_write2_b64 v111, v[4:5], v[6:7] offset0:2 offset1:3
	ds_write2_b64 v111, v[8:9], v[10:11] offset0:4 offset1:5
	;; [unrolled: 1-line block ×3, first 2 shown]
	s_waitcnt lgkmcnt(0)
	s_barrier
	ds_read_b64 v[14:15], v104 offset:1024
	ds_read_b64 v[12:13], v105 offset:2048
	;; [unrolled: 1-line block ×7, first 2 shown]
	v_mov_b32_e32 v67, 0
	v_lshlrev_b64 v[2:3], 3, v[66:67]
	v_mov_b32_e32 v16, s47
	v_add_co_u32_e32 v2, vcc, s33, v2
	v_addc_co_u32_e32 v3, vcc, v16, v3, vcc
	s_and_saveexec_b64 s[16:17], s[0:1]
	s_cbranch_execnz .LBB187_111
; %bb.93:
	s_or_b64 exec, exec, s[16:17]
	s_and_saveexec_b64 s[16:17], s[2:3]
	s_cbranch_execnz .LBB187_112
.LBB187_94:
	s_or_b64 exec, exec, s[16:17]
	s_and_saveexec_b64 s[16:17], s[4:5]
	s_cbranch_execnz .LBB187_113
.LBB187_95:
	s_or_b64 exec, exec, s[16:17]
	s_and_saveexec_b64 s[16:17], s[6:7]
	s_cbranch_execnz .LBB187_114
.LBB187_96:
	s_or_b64 exec, exec, s[16:17]
	s_and_saveexec_b64 s[16:17], s[8:9]
	s_cbranch_execnz .LBB187_115
.LBB187_97:
	s_or_b64 exec, exec, s[16:17]
	s_and_saveexec_b64 s[16:17], s[10:11]
	s_cbranch_execnz .LBB187_116
.LBB187_98:
	s_or_b64 exec, exec, s[16:17]
	s_and_saveexec_b64 s[16:17], s[12:13]
	s_cbranch_execnz .LBB187_117
.LBB187_99:
	s_or_b64 exec, exec, s[16:17]
	s_and_saveexec_b64 s[16:17], s[14:15]
	s_cbranch_execz .LBB187_101
.LBB187_100:
	s_mul_i32 s18, s46, 0x380
	s_mov_b32 s19, 0
	s_lshl_b64 s[18:19], s[18:19], 3
	s_waitcnt lgkmcnt(1)
	v_mov_b32_e32 v4, s19
	v_add_co_u32_e32 v2, vcc, s18, v2
	v_addc_co_u32_e32 v3, vcc, v3, v4, vcc
	s_waitcnt lgkmcnt(0)
	global_store_dwordx2 v[2:3], v[0:1], off
.LBB187_101:
	s_or_b64 exec, exec, s[16:17]
	s_waitcnt lgkmcnt(0)
	s_barrier
	ds_write2_b64 v111, v[50:51], v[52:53] offset1:1
	ds_write2_b64 v111, v[54:55], v[56:57] offset0:2 offset1:3
	ds_write2_b64 v111, v[58:59], v[60:61] offset0:4 offset1:5
	;; [unrolled: 1-line block ×3, first 2 shown]
	s_waitcnt lgkmcnt(0)
	s_barrier
	ds_read_b64 v[14:15], v104 offset:1024
	ds_read_b64 v[12:13], v105 offset:2048
	;; [unrolled: 1-line block ×7, first 2 shown]
	v_mov_b32_e32 v69, 0
	v_lshlrev_b64 v[2:3], 3, v[68:69]
	v_mov_b32_e32 v16, s54
	v_add_co_u32_e32 v2, vcc, s49, v2
	v_addc_co_u32_e32 v3, vcc, v16, v3, vcc
	s_and_saveexec_b64 s[16:17], s[0:1]
	s_cbranch_execnz .LBB187_118
; %bb.102:
	s_or_b64 exec, exec, s[16:17]
	s_and_saveexec_b64 s[0:1], s[2:3]
	s_cbranch_execnz .LBB187_119
.LBB187_103:
	s_or_b64 exec, exec, s[0:1]
	s_and_saveexec_b64 s[0:1], s[4:5]
	s_cbranch_execnz .LBB187_120
.LBB187_104:
	s_or_b64 exec, exec, s[0:1]
	s_and_saveexec_b64 s[0:1], s[6:7]
	s_cbranch_execnz .LBB187_121
.LBB187_105:
	s_or_b64 exec, exec, s[0:1]
	s_and_saveexec_b64 s[0:1], s[8:9]
	s_cbranch_execnz .LBB187_122
.LBB187_106:
	s_or_b64 exec, exec, s[0:1]
	s_and_saveexec_b64 s[0:1], s[10:11]
	s_cbranch_execnz .LBB187_123
.LBB187_107:
	s_or_b64 exec, exec, s[0:1]
	s_and_saveexec_b64 s[0:1], s[12:13]
	s_cbranch_execnz .LBB187_124
.LBB187_108:
	s_or_b64 exec, exec, s[0:1]
	s_and_saveexec_b64 s[0:1], s[14:15]
	s_cbranch_execz .LBB187_110
.LBB187_109:
	s_mul_i32 s0, s48, 0x380
	s_mov_b32 s1, 0
	s_lshl_b64 s[0:1], s[0:1], 3
	s_waitcnt lgkmcnt(1)
	v_mov_b32_e32 v4, s1
	v_add_co_u32_e32 v2, vcc, s0, v2
	v_addc_co_u32_e32 v3, vcc, v3, v4, vcc
	s_waitcnt lgkmcnt(0)
	global_store_dwordx2 v[2:3], v[0:1], off
.LBB187_110:
	s_endpgm
.LBB187_111:
	ds_read_b64 v[16:17], v71
	s_waitcnt lgkmcnt(0)
	global_store_dwordx2 v[2:3], v[16:17], off
	s_or_b64 exec, exec, s[16:17]
	s_and_saveexec_b64 s[16:17], s[2:3]
	s_cbranch_execz .LBB187_94
.LBB187_112:
	s_lshl_b32 s18, s46, 7
	s_mov_b32 s19, 0
	s_lshl_b64 s[18:19], s[18:19], 3
	v_mov_b32_e32 v17, s19
	v_add_co_u32_e32 v16, vcc, s18, v2
	v_addc_co_u32_e32 v17, vcc, v3, v17, vcc
	s_waitcnt lgkmcnt(6)
	global_store_dwordx2 v[16:17], v[14:15], off
	s_or_b64 exec, exec, s[16:17]
	s_and_saveexec_b64 s[16:17], s[4:5]
	s_cbranch_execz .LBB187_95
.LBB187_113:
	s_lshl_b32 s18, s46, 8
	s_mov_b32 s19, 0
	s_lshl_b64 s[18:19], s[18:19], 3
	s_waitcnt lgkmcnt(6)
	v_mov_b32_e32 v15, s19
	v_add_co_u32_e32 v14, vcc, s18, v2
	v_addc_co_u32_e32 v15, vcc, v3, v15, vcc
	s_waitcnt lgkmcnt(5)
	global_store_dwordx2 v[14:15], v[12:13], off
	s_or_b64 exec, exec, s[16:17]
	s_and_saveexec_b64 s[16:17], s[6:7]
	s_cbranch_execz .LBB187_96
.LBB187_114:
	s_mul_i32 s18, s46, 0x180
	s_mov_b32 s19, 0
	s_lshl_b64 s[18:19], s[18:19], 3
	s_waitcnt lgkmcnt(5)
	v_mov_b32_e32 v13, s19
	v_add_co_u32_e32 v12, vcc, s18, v2
	v_addc_co_u32_e32 v13, vcc, v3, v13, vcc
	s_waitcnt lgkmcnt(4)
	global_store_dwordx2 v[12:13], v[10:11], off
	s_or_b64 exec, exec, s[16:17]
	s_and_saveexec_b64 s[16:17], s[8:9]
	s_cbranch_execz .LBB187_97
.LBB187_115:
	s_lshl_b32 s18, s46, 9
	s_mov_b32 s19, 0
	s_lshl_b64 s[18:19], s[18:19], 3
	s_waitcnt lgkmcnt(4)
	v_mov_b32_e32 v11, s19
	v_add_co_u32_e32 v10, vcc, s18, v2
	v_addc_co_u32_e32 v11, vcc, v3, v11, vcc
	s_waitcnt lgkmcnt(3)
	global_store_dwordx2 v[10:11], v[8:9], off
	s_or_b64 exec, exec, s[16:17]
	s_and_saveexec_b64 s[16:17], s[10:11]
	s_cbranch_execz .LBB187_98
.LBB187_116:
	s_mul_i32 s18, s46, 0x280
	s_mov_b32 s19, 0
	s_lshl_b64 s[18:19], s[18:19], 3
	s_waitcnt lgkmcnt(3)
	v_mov_b32_e32 v9, s19
	v_add_co_u32_e32 v8, vcc, s18, v2
	v_addc_co_u32_e32 v9, vcc, v3, v9, vcc
	s_waitcnt lgkmcnt(2)
	global_store_dwordx2 v[8:9], v[6:7], off
	s_or_b64 exec, exec, s[16:17]
	s_and_saveexec_b64 s[16:17], s[12:13]
	s_cbranch_execz .LBB187_99
.LBB187_117:
	s_mul_i32 s18, s46, 0x300
	s_mov_b32 s19, 0
	s_lshl_b64 s[18:19], s[18:19], 3
	s_waitcnt lgkmcnt(2)
	v_mov_b32_e32 v7, s19
	v_add_co_u32_e32 v6, vcc, s18, v2
	v_addc_co_u32_e32 v7, vcc, v3, v7, vcc
	s_waitcnt lgkmcnt(1)
	global_store_dwordx2 v[6:7], v[4:5], off
	s_or_b64 exec, exec, s[16:17]
	s_and_saveexec_b64 s[16:17], s[14:15]
	s_cbranch_execnz .LBB187_100
	s_branch .LBB187_101
.LBB187_118:
	ds_read_b64 v[16:17], v71
	s_waitcnt lgkmcnt(0)
	global_store_dwordx2 v[2:3], v[16:17], off
	s_or_b64 exec, exec, s[16:17]
	s_and_saveexec_b64 s[0:1], s[2:3]
	s_cbranch_execz .LBB187_103
.LBB187_119:
	s_lshl_b32 s2, s48, 7
	s_mov_b32 s3, 0
	s_lshl_b64 s[2:3], s[2:3], 3
	v_mov_b32_e32 v17, s3
	v_add_co_u32_e32 v16, vcc, s2, v2
	v_addc_co_u32_e32 v17, vcc, v3, v17, vcc
	s_waitcnt lgkmcnt(6)
	global_store_dwordx2 v[16:17], v[14:15], off
	s_or_b64 exec, exec, s[0:1]
	s_and_saveexec_b64 s[0:1], s[4:5]
	s_cbranch_execz .LBB187_104
.LBB187_120:
	s_lshl_b32 s2, s48, 8
	s_mov_b32 s3, 0
	s_lshl_b64 s[2:3], s[2:3], 3
	s_waitcnt lgkmcnt(6)
	v_mov_b32_e32 v15, s3
	v_add_co_u32_e32 v14, vcc, s2, v2
	v_addc_co_u32_e32 v15, vcc, v3, v15, vcc
	s_waitcnt lgkmcnt(5)
	global_store_dwordx2 v[14:15], v[12:13], off
	s_or_b64 exec, exec, s[0:1]
	s_and_saveexec_b64 s[0:1], s[6:7]
	s_cbranch_execz .LBB187_105
.LBB187_121:
	s_mul_i32 s2, s48, 0x180
	s_mov_b32 s3, 0
	s_lshl_b64 s[2:3], s[2:3], 3
	s_waitcnt lgkmcnt(5)
	v_mov_b32_e32 v13, s3
	v_add_co_u32_e32 v12, vcc, s2, v2
	v_addc_co_u32_e32 v13, vcc, v3, v13, vcc
	s_waitcnt lgkmcnt(4)
	global_store_dwordx2 v[12:13], v[10:11], off
	s_or_b64 exec, exec, s[0:1]
	s_and_saveexec_b64 s[0:1], s[8:9]
	s_cbranch_execz .LBB187_106
.LBB187_122:
	s_lshl_b32 s2, s48, 9
	s_mov_b32 s3, 0
	s_lshl_b64 s[2:3], s[2:3], 3
	s_waitcnt lgkmcnt(4)
	v_mov_b32_e32 v11, s3
	v_add_co_u32_e32 v10, vcc, s2, v2
	v_addc_co_u32_e32 v11, vcc, v3, v11, vcc
	s_waitcnt lgkmcnt(3)
	global_store_dwordx2 v[10:11], v[8:9], off
	s_or_b64 exec, exec, s[0:1]
	s_and_saveexec_b64 s[0:1], s[10:11]
	s_cbranch_execz .LBB187_107
.LBB187_123:
	s_mul_i32 s2, s48, 0x280
	s_mov_b32 s3, 0
	s_lshl_b64 s[2:3], s[2:3], 3
	s_waitcnt lgkmcnt(3)
	v_mov_b32_e32 v9, s3
	v_add_co_u32_e32 v8, vcc, s2, v2
	v_addc_co_u32_e32 v9, vcc, v3, v9, vcc
	s_waitcnt lgkmcnt(2)
	global_store_dwordx2 v[8:9], v[6:7], off
	s_or_b64 exec, exec, s[0:1]
	s_and_saveexec_b64 s[0:1], s[12:13]
	s_cbranch_execz .LBB187_108
.LBB187_124:
	s_mul_i32 s2, s48, 0x300
	s_mov_b32 s3, 0
	s_lshl_b64 s[2:3], s[2:3], 3
	s_waitcnt lgkmcnt(2)
	v_mov_b32_e32 v7, s3
	v_add_co_u32_e32 v6, vcc, s2, v2
	v_addc_co_u32_e32 v7, vcc, v3, v7, vcc
	s_waitcnt lgkmcnt(1)
	global_store_dwordx2 v[6:7], v[4:5], off
	s_or_b64 exec, exec, s[0:1]
	s_and_saveexec_b64 s[0:1], s[14:15]
	s_cbranch_execnz .LBB187_109
	s_branch .LBB187_110
	.section	.rodata,"a",@progbits
	.p2align	6, 0x0
	.amdhsa_kernel _ZN2at6native18radixSortKVInPlaceILi2ELin1ELi128ELi8EdljEEvNS_4cuda6detail10TensorInfoIT3_T5_EES6_S6_S6_NS4_IT4_S6_EES6_b
		.amdhsa_group_segment_fixed_size 8448
		.amdhsa_private_segment_fixed_size 0
		.amdhsa_kernarg_size 712
		.amdhsa_user_sgpr_count 6
		.amdhsa_user_sgpr_private_segment_buffer 1
		.amdhsa_user_sgpr_dispatch_ptr 0
		.amdhsa_user_sgpr_queue_ptr 0
		.amdhsa_user_sgpr_kernarg_segment_ptr 1
		.amdhsa_user_sgpr_dispatch_id 0
		.amdhsa_user_sgpr_flat_scratch_init 0
		.amdhsa_user_sgpr_kernarg_preload_length 0
		.amdhsa_user_sgpr_kernarg_preload_offset 0
		.amdhsa_user_sgpr_private_segment_size 0
		.amdhsa_uses_dynamic_stack 0
		.amdhsa_system_sgpr_private_segment_wavefront_offset 0
		.amdhsa_system_sgpr_workgroup_id_x 1
		.amdhsa_system_sgpr_workgroup_id_y 1
		.amdhsa_system_sgpr_workgroup_id_z 1
		.amdhsa_system_sgpr_workgroup_info 0
		.amdhsa_system_vgpr_workitem_id 2
		.amdhsa_next_free_vgpr 139
		.amdhsa_next_free_sgpr 60
		.amdhsa_accum_offset 140
		.amdhsa_reserve_vcc 1
		.amdhsa_reserve_flat_scratch 0
		.amdhsa_float_round_mode_32 0
		.amdhsa_float_round_mode_16_64 0
		.amdhsa_float_denorm_mode_32 3
		.amdhsa_float_denorm_mode_16_64 3
		.amdhsa_dx10_clamp 1
		.amdhsa_ieee_mode 1
		.amdhsa_fp16_overflow 0
		.amdhsa_tg_split 0
		.amdhsa_exception_fp_ieee_invalid_op 0
		.amdhsa_exception_fp_denorm_src 0
		.amdhsa_exception_fp_ieee_div_zero 0
		.amdhsa_exception_fp_ieee_overflow 0
		.amdhsa_exception_fp_ieee_underflow 0
		.amdhsa_exception_fp_ieee_inexact 0
		.amdhsa_exception_int_div_zero 0
	.end_amdhsa_kernel
	.section	.text._ZN2at6native18radixSortKVInPlaceILi2ELin1ELi128ELi8EdljEEvNS_4cuda6detail10TensorInfoIT3_T5_EES6_S6_S6_NS4_IT4_S6_EES6_b,"axG",@progbits,_ZN2at6native18radixSortKVInPlaceILi2ELin1ELi128ELi8EdljEEvNS_4cuda6detail10TensorInfoIT3_T5_EES6_S6_S6_NS4_IT4_S6_EES6_b,comdat
.Lfunc_end187:
	.size	_ZN2at6native18radixSortKVInPlaceILi2ELin1ELi128ELi8EdljEEvNS_4cuda6detail10TensorInfoIT3_T5_EES6_S6_S6_NS4_IT4_S6_EES6_b, .Lfunc_end187-_ZN2at6native18radixSortKVInPlaceILi2ELin1ELi128ELi8EdljEEvNS_4cuda6detail10TensorInfoIT3_T5_EES6_S6_S6_NS4_IT4_S6_EES6_b
                                        ; -- End function
	.section	.AMDGPU.csdata,"",@progbits
; Kernel info:
; codeLenInByte = 13848
; NumSgprs: 64
; NumVgprs: 139
; NumAgprs: 0
; TotalNumVgprs: 139
; ScratchSize: 0
; MemoryBound: 0
; FloatMode: 240
; IeeeMode: 1
; LDSByteSize: 8448 bytes/workgroup (compile time only)
; SGPRBlocks: 7
; VGPRBlocks: 17
; NumSGPRsForWavesPerEU: 64
; NumVGPRsForWavesPerEU: 139
; AccumOffset: 140
; Occupancy: 3
; WaveLimiterHint : 1
; COMPUTE_PGM_RSRC2:SCRATCH_EN: 0
; COMPUTE_PGM_RSRC2:USER_SGPR: 6
; COMPUTE_PGM_RSRC2:TRAP_HANDLER: 0
; COMPUTE_PGM_RSRC2:TGID_X_EN: 1
; COMPUTE_PGM_RSRC2:TGID_Y_EN: 1
; COMPUTE_PGM_RSRC2:TGID_Z_EN: 1
; COMPUTE_PGM_RSRC2:TIDIG_COMP_CNT: 2
; COMPUTE_PGM_RSRC3_GFX90A:ACCUM_OFFSET: 34
; COMPUTE_PGM_RSRC3_GFX90A:TG_SPLIT: 0
	.section	.text._ZN2at6native18radixSortKVInPlaceILi2ELin1ELi32ELi4EdljEEvNS_4cuda6detail10TensorInfoIT3_T5_EES6_S6_S6_NS4_IT4_S6_EES6_b,"axG",@progbits,_ZN2at6native18radixSortKVInPlaceILi2ELin1ELi32ELi4EdljEEvNS_4cuda6detail10TensorInfoIT3_T5_EES6_S6_S6_NS4_IT4_S6_EES6_b,comdat
	.protected	_ZN2at6native18radixSortKVInPlaceILi2ELin1ELi32ELi4EdljEEvNS_4cuda6detail10TensorInfoIT3_T5_EES6_S6_S6_NS4_IT4_S6_EES6_b ; -- Begin function _ZN2at6native18radixSortKVInPlaceILi2ELin1ELi32ELi4EdljEEvNS_4cuda6detail10TensorInfoIT3_T5_EES6_S6_S6_NS4_IT4_S6_EES6_b
	.globl	_ZN2at6native18radixSortKVInPlaceILi2ELin1ELi32ELi4EdljEEvNS_4cuda6detail10TensorInfoIT3_T5_EES6_S6_S6_NS4_IT4_S6_EES6_b
	.p2align	8
	.type	_ZN2at6native18radixSortKVInPlaceILi2ELin1ELi32ELi4EdljEEvNS_4cuda6detail10TensorInfoIT3_T5_EES6_S6_S6_NS4_IT4_S6_EES6_b,@function
_ZN2at6native18radixSortKVInPlaceILi2ELin1ELi32ELi4EdljEEvNS_4cuda6detail10TensorInfoIT3_T5_EES6_S6_S6_NS4_IT4_S6_EES6_b: ; @_ZN2at6native18radixSortKVInPlaceILi2ELin1ELi32ELi4EdljEEvNS_4cuda6detail10TensorInfoIT3_T5_EES6_S6_S6_NS4_IT4_S6_EES6_b
; %bb.0:
	s_load_dwordx2 s[0:1], s[4:5], 0x1c8
	s_load_dwordx4 s[24:27], s[4:5], 0xd8
	s_waitcnt lgkmcnt(0)
	s_mul_i32 s1, s1, s8
	s_add_i32 s1, s1, s7
	s_mul_i32 s8, s1, s0
	s_add_i32 s8, s8, s6
	s_cmp_ge_u32 s8, s24
	s_cbranch_scc1 .LBB188_60
; %bb.1:
	s_load_dword s9, s[4:5], 0xc
	s_load_dwordx2 s[0:1], s[4:5], 0x6c
	s_load_dword s6, s[4:5], 0x1b8
	s_add_u32 s14, s4, 0xe8
	s_load_dwordx2 s[2:3], s[4:5], 0x0
	s_waitcnt lgkmcnt(0)
	v_cvt_f32_u32_e32 v1, s9
	s_addc_u32 s15, s5, 0
	s_sub_i32 s7, 0, s9
	s_mov_b32 s13, 0
	v_rcp_iflag_f32_e32 v1, v1
	s_mov_b32 s12, s8
	v_mul_f32_e32 v1, 0x4f7ffffe, v1
	v_cvt_u32_f32_e32 v1, v1
	v_readfirstlane_b32 s10, v1
	s_mul_i32 s7, s7, s10
	s_mul_hi_u32 s7, s10, s7
	s_add_i32 s10, s10, s7
	s_mul_hi_u32 s10, s8, s10
	s_cmp_lt_i32 s6, 2
	s_cbranch_scc1 .LBB188_4
; %bb.2:
	s_add_i32 s12, s6, -1
	s_add_i32 s11, s6, 1
	s_lshl_b64 s[6:7], s[12:13], 2
	s_add_u32 s6, s6, s14
	s_addc_u32 s7, s7, s15
	s_add_u32 s6, s6, 8
	s_addc_u32 s7, s7, 0
	s_mov_b32 s12, s8
.LBB188_3:                              ; =>This Inner Loop Header: Depth=1
	s_load_dword s16, s[6:7], 0x0
	s_load_dword s18, s[6:7], 0x64
	s_mov_b32 s17, s12
	s_waitcnt lgkmcnt(0)
	v_cvt_f32_u32_e32 v1, s16
	s_sub_i32 s12, 0, s16
	v_rcp_iflag_f32_e32 v1, v1
	v_mul_f32_e32 v1, 0x4f7ffffe, v1
	v_cvt_u32_f32_e32 v1, v1
	v_readfirstlane_b32 s19, v1
	s_mul_i32 s12, s12, s19
	s_mul_hi_u32 s12, s19, s12
	s_add_i32 s19, s19, s12
	s_mul_hi_u32 s12, s17, s19
	s_mul_i32 s19, s12, s16
	s_sub_i32 s19, s17, s19
	s_add_i32 s20, s12, 1
	s_sub_i32 s21, s19, s16
	s_cmp_ge_u32 s19, s16
	s_cselect_b32 s12, s20, s12
	s_cselect_b32 s19, s21, s19
	s_add_i32 s20, s12, 1
	s_cmp_ge_u32 s19, s16
	s_cselect_b32 s12, s20, s12
	s_mul_i32 s16, s12, s16
	s_sub_i32 s16, s17, s16
	s_mul_i32 s16, s18, s16
	s_add_i32 s11, s11, -1
	s_add_i32 s13, s16, s13
	s_add_u32 s6, s6, -4
	s_addc_u32 s7, s7, -1
	s_cmp_gt_u32 s11, 2
	s_cbranch_scc1 .LBB188_3
.LBB188_4:
	s_mul_i32 s6, s10, s9
	s_sub_i32 s6, s8, s6
	s_add_i32 s7, s10, 1
	s_sub_i32 s11, s6, s9
	s_cmp_ge_u32 s6, s9
	s_cselect_b32 s7, s7, s10
	s_cselect_b32 s6, s11, s6
	s_add_i32 s10, s7, 1
	s_cmp_ge_u32 s6, s9
	s_cselect_b32 s6, s10, s7
	s_load_dwordx2 s[28:29], s[4:5], 0x1c0
	s_mul_i32 s7, s6, s9
	s_sub_i32 s4, s8, s7
	s_mul_i32 s4, s4, s1
	s_mul_i32 s0, s6, s0
	s_add_i32 s0, s0, s4
	s_waitcnt lgkmcnt(0)
	s_bitcmp1_b32 s29, 0
	s_cselect_b64 s[16:17], -1, 0
	s_and_b64 s[6:7], s[16:17], exec
	s_mov_b32 s1, 0
	s_mov_b32 s4, -1
	s_cselect_b32 s5, -1, 0x7fffffff
	s_lshl_b64 s[0:1], s[0:1], 3
	s_add_u32 s27, s2, s0
	s_mov_b32 s6, s4
	s_mov_b32 s7, s5
	;; [unrolled: 1-line block ×6, first 2 shown]
	v_pk_mov_b32 v[2:3], s[4:5], s[4:5] op_sel:[0,1]
	s_addc_u32 s29, s3, s1
	v_cmp_gt_u32_e64 s[0:1], s25, v0
	v_pk_mov_b32 v[4:5], s[6:7], s[6:7] op_sel:[0,1]
	v_pk_mov_b32 v[6:7], s[8:9], s[8:9] op_sel:[0,1]
	;; [unrolled: 1-line block ×4, first 2 shown]
	v_mul_lo_u32 v34, v0, s26
	s_and_saveexec_b64 s[2:3], s[0:1]
	s_cbranch_execz .LBB188_6
; %bb.5:
	v_mov_b32_e32 v35, 0
	v_lshlrev_b64 v[2:3], 3, v[34:35]
	v_mov_b32_e32 v1, s29
	v_add_co_u32_e32 v2, vcc, s27, v2
	v_addc_co_u32_e32 v3, vcc, v1, v3, vcc
	global_load_dwordx2 v[10:11], v[2:3], off
	v_pk_mov_b32 v[2:3], s[4:5], s[4:5] op_sel:[0,1]
	v_pk_mov_b32 v[4:5], s[6:7], s[6:7] op_sel:[0,1]
	;; [unrolled: 1-line block ×4, first 2 shown]
.LBB188_6:
	s_or_b64 exec, exec, s[2:3]
	v_or_b32_e32 v1, 32, v0
	v_cmp_gt_u32_e64 s[2:3], s25, v1
	s_and_saveexec_b64 s[4:5], s[2:3]
	s_cbranch_execz .LBB188_8
; %bb.7:
	v_mul_lo_u32 v2, v1, s26
	v_mov_b32_e32 v3, 0
	v_lshlrev_b64 v[2:3], 3, v[2:3]
	v_mov_b32_e32 v4, s29
	v_add_co_u32_e32 v2, vcc, s27, v2
	v_addc_co_u32_e32 v3, vcc, v4, v3, vcc
	global_load_dwordx2 v[4:5], v[2:3], off
.LBB188_8:
	s_or_b64 exec, exec, s[4:5]
	s_load_dwordx2 s[10:11], s[14:15], 0x0
	v_or_b32_e32 v18, 64, v0
	v_cmp_gt_u32_e64 s[4:5], s25, v18
	s_and_saveexec_b64 s[6:7], s[4:5]
	s_cbranch_execz .LBB188_10
; %bb.9:
	v_mul_lo_u32 v2, v18, s26
	v_mov_b32_e32 v3, 0
	v_lshlrev_b64 v[2:3], 3, v[2:3]
	v_mov_b32_e32 v6, s29
	v_add_co_u32_e32 v2, vcc, s27, v2
	v_addc_co_u32_e32 v3, vcc, v6, v3, vcc
	global_load_dwordx2 v[6:7], v[2:3], off
.LBB188_10:
	s_or_b64 exec, exec, s[6:7]
	s_load_dword s14, s[14:15], 0x6c
	v_or_b32_e32 v19, 0x60, v0
	v_cmp_gt_u32_e64 s[6:7], s25, v19
	s_and_saveexec_b64 s[8:9], s[6:7]
	s_cbranch_execz .LBB188_12
; %bb.11:
	v_mul_lo_u32 v2, v19, s26
	v_mov_b32_e32 v3, 0
	v_lshlrev_b64 v[2:3], 3, v[2:3]
	v_mov_b32_e32 v8, s29
	v_add_co_u32_e32 v2, vcc, s27, v2
	v_addc_co_u32_e32 v3, vcc, v8, v3, vcc
	global_load_dwordx2 v[8:9], v[2:3], off
.LBB188_12:
	s_or_b64 exec, exec, s[8:9]
	v_lshrrev_b32_e32 v2, 5, v1
	v_add_lshl_u32 v55, v2, v0, 3
	v_lshrrev_b32_e32 v2, 5, v18
	v_add_lshl_u32 v56, v2, v0, 3
	;; [unrolled: 2-line block ×3, first 2 shown]
	v_lshlrev_b32_e32 v26, 2, v0
	v_lshrrev_b32_e32 v2, 3, v0
	v_or_b32_e32 v2, v2, v26
	s_waitcnt lgkmcnt(0)
	s_mul_i32 s8, s14, s12
	v_lshlrev_b32_e32 v54, 3, v0
	v_lshlrev_b32_e32 v58, 3, v2
	s_add_i32 s8, s8, s13
	s_mov_b32 s9, 0
	s_waitcnt vmcnt(0)
	ds_write_b64 v54, v[10:11]
	ds_write_b64 v55, v[4:5] offset:256
	ds_write_b64 v56, v[6:7] offset:512
	;; [unrolled: 1-line block ×3, first 2 shown]
	s_waitcnt lgkmcnt(0)
	; wave barrier
	s_waitcnt lgkmcnt(0)
	ds_read2_b64 v[14:17], v58 offset1:1
	ds_read2_b64 v[10:13], v58 offset0:2 offset1:3
	s_lshl_b64 s[12:13], s[8:9], 3
	s_add_u32 s33, s10, s12
	s_mov_b32 s8, s9
	s_addc_u32 s40, s11, s13
	s_mov_b32 s10, s9
	s_mov_b32 s11, s9
	;; [unrolled: 1-line block ×6, first 2 shown]
	v_pk_mov_b32 v[2:3], s[8:9], s[8:9] op_sel:[0,1]
	v_pk_mov_b32 v[4:5], s[10:11], s[10:11] op_sel:[0,1]
	;; [unrolled: 1-line block ×4, first 2 shown]
	v_pk_mov_b32 v[2:3], 0, 0
	v_mul_lo_u32 v36, v0, s28
	s_waitcnt lgkmcnt(0)
	; wave barrier
	s_waitcnt lgkmcnt(0)
	s_and_saveexec_b64 s[8:9], s[0:1]
	s_cbranch_execnz .LBB188_32
; %bb.13:
	s_or_b64 exec, exec, s[8:9]
	s_and_saveexec_b64 s[8:9], s[2:3]
	s_cbranch_execnz .LBB188_33
.LBB188_14:
	s_or_b64 exec, exec, s[8:9]
	s_and_saveexec_b64 s[8:9], s[4:5]
	s_cbranch_execnz .LBB188_34
.LBB188_15:
	s_or_b64 exec, exec, s[8:9]
	s_xor_b64 s[30:31], s[16:17], -1
	s_and_saveexec_b64 s[8:9], s[6:7]
	s_cbranch_execz .LBB188_17
.LBB188_16:
	v_mul_lo_u32 v8, v19, s28
	v_mov_b32_e32 v9, 0
	v_lshlrev_b64 v[8:9], 3, v[8:9]
	v_mov_b32_e32 v18, s40
	v_add_co_u32_e32 v8, vcc, s33, v8
	v_addc_co_u32_e32 v9, vcc, v18, v9, vcc
	global_load_dwordx2 v[8:9], v[8:9], off
.LBB188_17:
	s_or_b64 exec, exec, s[8:9]
	s_waitcnt vmcnt(0)
	ds_write_b64 v54, v[2:3]
	ds_write_b64 v55, v[4:5] offset:256
	ds_write_b64 v56, v[6:7] offset:512
	;; [unrolled: 1-line block ×3, first 2 shown]
	v_mbcnt_lo_u32_b32 v2, -1, 0
	v_mbcnt_hi_u32_b32 v2, -1, v2
	s_getpc_b64 s[8:9]
	s_add_u32 s8, s8, _ZN7rocprim17ROCPRIM_400000_NS16block_radix_sortIdLj32ELj4ElLj1ELj1ELj0ELNS0_26block_radix_rank_algorithmE1ELNS0_18block_padding_hintE2ELNS0_4arch9wavefront6targetE1EE19radix_bits_per_passE@rel32@lo+4
	s_addc_u32 s9, s9, _ZN7rocprim17ROCPRIM_400000_NS16block_radix_sortIdLj32ELj4ElLj1ELj1ELj0ELNS0_26block_radix_rank_algorithmE1ELNS0_18block_padding_hintE2ELNS0_4arch9wavefront6targetE1EE19radix_bits_per_passE@rel32@hi+12
	v_and_b32_e32 v3, 15, v2
	s_waitcnt lgkmcnt(0)
	; wave barrier
	s_waitcnt lgkmcnt(0)
	ds_read2_b64 v[18:21], v58 offset1:1
	ds_read2_b64 v[22:25], v58 offset0:2 offset1:3
	s_load_dword s41, s[8:9], 0x0
	v_cmp_eq_u32_e64 s[10:11], 0, v3
	v_cmp_lt_u32_e64 s[12:13], 1, v3
	v_cmp_lt_u32_e64 s[14:15], 3, v3
	;; [unrolled: 1-line block ×3, first 2 shown]
	v_and_b32_e32 v3, 16, v2
	v_cmp_eq_u32_e64 s[18:19], 0, v3
	v_add_u32_e32 v3, -1, v2
	v_and_b32_e32 v4, 0x60, v2
	v_cmp_lt_i32_e32 vcc, v3, v4
	s_movk_i32 s8, 0x100
	v_cndmask_b32_e32 v3, v3, v2, vcc
	v_cmp_gt_u32_e64 s[8:9], s8, v0
	v_lshlrev_b32_e32 v37, 5, v0
	s_mov_b32 s42, 0
	s_mov_b32 s24, -1
	v_cmp_eq_u32_e64 s[20:21], 31, v0
	v_lshlrev_b32_e32 v59, 2, v3
	v_cmp_eq_u32_e64 s[22:23], 0, v2
	v_lshlrev_b32_e32 v35, 3, v26
	s_and_b64 vcc, exec, s[30:31]
	v_ashrrev_i32_e32 v64, 31, v15
	v_ashrrev_i32_e32 v63, 31, v17
	;; [unrolled: 1-line block ×4, first 2 shown]
	v_add_u32_e64 v60, 7, 2
	s_waitcnt lgkmcnt(0)
	; wave barrier
	s_waitcnt lgkmcnt(0)
	s_cbranch_vccz .LBB188_35
; %bb.18:
	v_bfrev_b32_e32 v65, 1
	v_cmp_lt_i64_e32 vcc, -1, v[14:15]
	v_cndmask_b32_e32 v2, -1, v65, vcc
	v_cmp_lt_i64_e32 vcc, -1, v[16:17]
	v_cndmask_b32_e32 v4, -1, v65, vcc
	;; [unrolled: 2-line block ×4, first 2 shown]
	v_xor_b32_e32 v3, v2, v15
	v_xor_b32_e32 v2, v64, v14
	v_xor_b32_e32 v5, v4, v17
	v_xor_b32_e32 v4, v63, v16
	v_xor_b32_e32 v7, v6, v11
	v_xor_b32_e32 v6, v62, v10
	v_xor_b32_e32 v9, v8, v13
	v_xor_b32_e32 v8, v61, v12
	v_and_b32_e32 v66, 14, v60
	v_mov_b32_e32 v67, 0
	s_brev_b32 s25, -2
	s_movk_i32 s43, 0xe0
	v_pk_mov_b32 v[26:27], v[18:19], v[18:19] op_sel:[0,1]
	v_pk_mov_b32 v[28:29], v[20:21], v[20:21] op_sel:[0,1]
	;; [unrolled: 1-line block ×4, first 2 shown]
	s_branch .LBB188_20
.LBB188_19:                             ;   in Loop: Header=BB188_20 Depth=1
	v_lshlrev_b32_e32 v26, 3, v71
	v_lshlrev_b32_e32 v27, 3, v69
	;; [unrolled: 1-line block ×4, first 2 shown]
	s_waitcnt lgkmcnt(0)
	; wave barrier
	ds_write_b64 v26, v[52:53]
	ds_write_b64 v27, v[50:51]
	;; [unrolled: 1-line block ×4, first 2 shown]
	s_waitcnt lgkmcnt(0)
	; wave barrier
	s_waitcnt lgkmcnt(0)
	ds_read2_b64 v[2:5], v35 offset1:1
	ds_read2_b64 v[6:9], v35 offset0:2 offset1:3
	s_waitcnt lgkmcnt(0)
	; wave barrier
	s_waitcnt lgkmcnt(0)
	ds_write_b64 v26, v[44:45]
	ds_write_b64 v27, v[42:43]
	;; [unrolled: 1-line block ×4, first 2 shown]
	s_waitcnt lgkmcnt(0)
	; wave barrier
	s_waitcnt lgkmcnt(0)
	ds_read2_b64 v[26:29], v35 offset1:1
	ds_read2_b64 v[30:33], v35 offset0:2 offset1:3
	s_add_i32 s42, s42, 4
	s_waitcnt lgkmcnt(0)
	; wave barrier
	s_waitcnt lgkmcnt(0)
	s_cbranch_execz .LBB188_31
.LBB188_20:                             ; =>This Loop Header: Depth=1
                                        ;     Child Loop BB188_23 Depth 2
	v_pk_mov_b32 v[46:47], v[8:9], v[8:9] op_sel:[0,1]
	v_pk_mov_b32 v[48:49], v[6:7], v[6:7] op_sel:[0,1]
	;; [unrolled: 1-line block ×8, first 2 shown]
	s_and_saveexec_b64 s[30:31], s[8:9]
	s_cbranch_execz .LBB188_27
; %bb.21:                               ;   in Loop: Header=BB188_20 Depth=1
	s_mov_b32 s44, 0
	s_mov_b64 s[34:35], 0
	v_pk_mov_b32 v[2:3], v[0:1], v[0:1] op_sel:[0,1]
	s_branch .LBB188_23
.LBB188_22:                             ;   in Loop: Header=BB188_23 Depth=2
	s_or_b64 exec, exec, s[38:39]
	s_add_i32 s44, s44, 2
	v_cmp_eq_u32_e32 vcc, s44, v66
	v_add_u32_e32 v3, 64, v3
	s_or_b64 s[34:35], vcc, s[34:35]
	v_add_u32_e32 v2, 64, v2
	s_andn2_b64 exec, exec, s[34:35]
	s_cbranch_execz .LBB188_27
.LBB188_23:                             ;   Parent Loop BB188_20 Depth=1
                                        ; =>  This Inner Loop Header: Depth=2
	s_or_b32 s36, s44, 1
	v_cmp_le_u32_e64 s[36:37], s36, 7
	v_cmp_le_u32_e64 s[46:47], s44, 7
	s_and_saveexec_b64 s[38:39], s[46:47]
	s_cbranch_execz .LBB188_25
; %bb.24:                               ;   in Loop: Header=BB188_23 Depth=2
	v_lshlrev_b32_e32 v4, 2, v2
	ds_write_b32 v4, v67
.LBB188_25:                             ;   in Loop: Header=BB188_23 Depth=2
	s_or_b64 exec, exec, s[38:39]
	s_and_saveexec_b64 s[38:39], s[36:37]
	s_cbranch_execz .LBB188_22
; %bb.26:                               ;   in Loop: Header=BB188_23 Depth=2
	v_lshlrev_b32_e32 v4, 2, v3
	ds_write_b32 v4, v67
	s_branch .LBB188_22
.LBB188_27:                             ;   in Loop: Header=BB188_20 Depth=1
	s_or_b64 exec, exec, s[30:31]
	s_sub_i32 s30, 64, s42
	s_min_u32 s30, s41, s30
	v_cmp_ne_u64_e32 vcc, s[24:25], v[52:53]
	s_lshl_b32 s30, -1, s30
	v_cndmask_b32_e32 v3, v65, v53, vcc
	v_cndmask_b32_e32 v2, 0, v52, vcc
	s_not_b32 s30, s30
	v_lshrrev_b64 v[2:3], s42, v[2:3]
	v_and_b32_e32 v2, s30, v2
	v_lshrrev_b32_e32 v3, 3, v2
	v_lshlrev_b32_e32 v2, 5, v2
	v_and_or_b32 v2, v2, s43, v0
	v_lshlrev_b32_e32 v2, 1, v2
	v_add_lshl_u32 v27, v2, v3, 1
	ds_read_u16 v26, v27
	v_cmp_ne_u64_e32 vcc, s[24:25], v[50:51]
	v_cndmask_b32_e32 v3, v65, v51, vcc
	s_waitcnt lgkmcnt(0)
	v_add_u16_e32 v2, 1, v26
	ds_write_b16 v27, v2
	v_cndmask_b32_e32 v2, 0, v50, vcc
	v_lshrrev_b64 v[2:3], s42, v[2:3]
	v_and_b32_e32 v2, s30, v2
	v_lshrrev_b32_e32 v3, 3, v2
	v_lshlrev_b32_e32 v2, 5, v2
	v_and_or_b32 v2, v2, s43, v0
	v_lshlrev_b32_e32 v2, 1, v2
	v_add_lshl_u32 v29, v2, v3, 1
	ds_read_u16 v28, v29
	v_cmp_ne_u64_e32 vcc, s[24:25], v[48:49]
	v_cndmask_b32_e32 v3, v65, v49, vcc
	s_waitcnt lgkmcnt(0)
	v_add_u16_e32 v2, 1, v28
	ds_write_b16 v29, v2
	v_cndmask_b32_e32 v2, 0, v48, vcc
	;; [unrolled: 14-line block ×3, first 2 shown]
	v_lshrrev_b64 v[2:3], s42, v[2:3]
	v_and_b32_e32 v2, s30, v2
	v_lshrrev_b32_e32 v3, 3, v2
	v_lshlrev_b32_e32 v2, 5, v2
	v_and_or_b32 v2, v2, s43, v0
	v_lshlrev_b32_e32 v2, 1, v2
	v_add_lshl_u32 v33, v2, v3, 1
	ds_read_u16 v32, v33
	s_waitcnt lgkmcnt(0)
	v_add_u16_e32 v2, 1, v32
	ds_write_b16 v33, v2
	s_waitcnt lgkmcnt(0)
	; wave barrier
	s_waitcnt lgkmcnt(0)
	ds_read2_b32 v[8:9], v37 offset1:1
	ds_read2_b32 v[6:7], v37 offset0:2 offset1:3
	ds_read2_b32 v[2:3], v37 offset0:4 offset1:5
	;; [unrolled: 1-line block ×3, first 2 shown]
	s_waitcnt lgkmcnt(3)
	v_add_u32_e32 v68, v9, v8
	s_waitcnt lgkmcnt(2)
	v_add3_u32 v68, v68, v6, v7
	s_waitcnt lgkmcnt(1)
	v_add3_u32 v68, v68, v2, v3
	;; [unrolled: 2-line block ×3, first 2 shown]
	s_nop 1
	v_mov_b32_dpp v68, v5 row_shr:1 row_mask:0xf bank_mask:0xf
	v_cndmask_b32_e64 v68, v68, 0, s[10:11]
	v_add_u32_e32 v5, v68, v5
	s_nop 1
	v_mov_b32_dpp v68, v5 row_shr:2 row_mask:0xf bank_mask:0xf
	v_cndmask_b32_e64 v68, 0, v68, s[12:13]
	v_add_u32_e32 v5, v5, v68
	;; [unrolled: 4-line block ×4, first 2 shown]
	s_nop 1
	v_mov_b32_dpp v68, v5 row_bcast:15 row_mask:0xf bank_mask:0xf
	v_cndmask_b32_e64 v68, v68, 0, s[18:19]
	v_add_u32_e32 v5, v5, v68
	s_and_saveexec_b64 s[30:31], s[20:21]
	s_cbranch_execz .LBB188_29
; %bb.28:                               ;   in Loop: Header=BB188_20 Depth=1
	ds_write_b32 v67, v5 offset:1024
.LBB188_29:                             ;   in Loop: Header=BB188_20 Depth=1
	s_or_b64 exec, exec, s[30:31]
	ds_bpermute_b32 v5, v59, v5
	s_waitcnt lgkmcnt(0)
	; wave barrier
	s_waitcnt lgkmcnt(0)
	ds_read_b32 v68, v67 offset:1024
	s_cmp_gt_u32 s42, 59
	v_cndmask_b32_e64 v5, v5, 0, s[22:23]
	s_waitcnt lgkmcnt(0)
	v_lshl_add_u32 v5, v68, 16, v5
	v_add_u32_e32 v8, v5, v8
	v_add_u32_e32 v9, v8, v9
	ds_write2_b32 v37, v5, v8 offset1:1
	v_add_u32_e32 v5, v9, v6
	v_add_u32_e32 v6, v5, v7
	;; [unrolled: 1-line block ×5, first 2 shown]
	ds_write2_b32 v37, v9, v5 offset0:2 offset1:3
	ds_write2_b32 v37, v6, v2 offset0:4 offset1:5
	;; [unrolled: 1-line block ×3, first 2 shown]
	s_waitcnt lgkmcnt(0)
	; wave barrier
	s_waitcnt lgkmcnt(0)
	ds_read_u16 v2, v27
	ds_read_u16 v3, v29
	ds_read_u16 v4, v31
	ds_read_u16 v5, v33
	s_waitcnt lgkmcnt(3)
	v_add_u32_sdwa v71, v2, v26 dst_sel:DWORD dst_unused:UNUSED_PAD src0_sel:DWORD src1_sel:WORD_0
	s_waitcnt lgkmcnt(2)
	v_add_u32_sdwa v69, v3, v28 dst_sel:DWORD dst_unused:UNUSED_PAD src0_sel:DWORD src1_sel:WORD_0
	;; [unrolled: 2-line block ×4, first 2 shown]
	s_cbranch_scc0 .LBB188_19
; %bb.30:
                                        ; implicit-def: $vgpr8_vgpr9
                                        ; implicit-def: $vgpr4_vgpr5
                                        ; implicit-def: $vgpr32_vgpr33
                                        ; implicit-def: $vgpr28_vgpr29
                                        ; implicit-def: $sgpr42
.LBB188_31:
	v_lshlrev_b32_e32 v26, 3, v71
	v_lshlrev_b32_e32 v27, 3, v69
	v_lshlrev_b32_e32 v28, 3, v68
	v_lshlrev_b32_e32 v29, 3, v70
	s_waitcnt lgkmcnt(0)
	; wave barrier
	ds_write_b64 v26, v[52:53]
	ds_write_b64 v27, v[50:51]
	;; [unrolled: 1-line block ×4, first 2 shown]
	s_waitcnt lgkmcnt(0)
	; wave barrier
	s_waitcnt lgkmcnt(0)
	ds_read2_b64 v[2:5], v35 offset1:1
	ds_read2_b64 v[6:9], v35 offset0:2 offset1:3
	s_waitcnt lgkmcnt(0)
	; wave barrier
	s_waitcnt lgkmcnt(0)
	ds_write_b64 v26, v[44:45]
	ds_write_b64 v27, v[42:43]
	;; [unrolled: 1-line block ×4, first 2 shown]
	v_bfrev_b32_e32 v38, 1
	v_cmp_lt_i64_e32 vcc, -1, v[2:3]
	v_ashrrev_i32_e32 v40, 31, v3
	s_waitcnt lgkmcnt(0)
	; wave barrier
	s_waitcnt lgkmcnt(0)
	ds_read2_b64 v[26:29], v35 offset1:1
	ds_read2_b64 v[30:33], v35 offset0:2 offset1:3
	v_cndmask_b32_e64 v39, v38, -1, vcc
	v_not_b32_e32 v40, v40
	v_cmp_lt_i64_e32 vcc, -1, v[4:5]
	v_xor_b32_e32 v3, v39, v3
	v_xor_b32_e32 v2, v40, v2
	v_cndmask_b32_e64 v39, v38, -1, vcc
	v_ashrrev_i32_e32 v40, 31, v5
	v_cmp_lt_i64_e32 vcc, -1, v[6:7]
	v_not_b32_e32 v40, v40
	v_xor_b32_e32 v5, v39, v5
	v_cndmask_b32_e64 v39, v38, -1, vcc
	v_xor_b32_e32 v4, v40, v4
	v_ashrrev_i32_e32 v40, 31, v7
	v_xor_b32_e32 v7, v39, v7
	v_cmp_lt_i64_e32 vcc, -1, v[8:9]
	v_ashrrev_i32_e32 v39, 31, v9
	v_not_b32_e32 v40, v40
	v_cndmask_b32_e64 v38, v38, -1, vcc
	v_not_b32_e32 v39, v39
	v_xor_b32_e32 v6, v40, v6
	v_xor_b32_e32 v9, v38, v9
	;; [unrolled: 1-line block ×3, first 2 shown]
	s_branch .LBB188_50
.LBB188_32:
	v_mov_b32_e32 v37, 0
	v_lshlrev_b64 v[2:3], 3, v[36:37]
	v_mov_b32_e32 v4, s40
	v_add_co_u32_e32 v2, vcc, s33, v2
	v_addc_co_u32_e32 v3, vcc, v4, v3, vcc
	global_load_dwordx2 v[2:3], v[2:3], off
	v_mov_b32_e32 v4, v37
	v_mov_b32_e32 v5, v37
	;; [unrolled: 1-line block ×6, first 2 shown]
	s_or_b64 exec, exec, s[8:9]
	s_and_saveexec_b64 s[8:9], s[2:3]
	s_cbranch_execz .LBB188_14
.LBB188_33:
	v_mul_lo_u32 v4, v1, s28
	v_mov_b32_e32 v5, 0
	v_lshlrev_b64 v[4:5], 3, v[4:5]
	v_mov_b32_e32 v20, s40
	v_add_co_u32_e32 v4, vcc, s33, v4
	v_addc_co_u32_e32 v5, vcc, v20, v5, vcc
	global_load_dwordx2 v[4:5], v[4:5], off
	s_or_b64 exec, exec, s[8:9]
	s_and_saveexec_b64 s[8:9], s[4:5]
	s_cbranch_execz .LBB188_15
.LBB188_34:
	v_mul_lo_u32 v6, v18, s28
	v_mov_b32_e32 v7, 0
	v_lshlrev_b64 v[6:7], 3, v[6:7]
	v_mov_b32_e32 v18, s40
	v_add_co_u32_e32 v6, vcc, s33, v6
	v_addc_co_u32_e32 v7, vcc, v18, v7, vcc
	global_load_dwordx2 v[6:7], v[6:7], off
	s_or_b64 exec, exec, s[8:9]
	s_xor_b64 s[30:31], s[16:17], -1
	s_and_saveexec_b64 s[8:9], s[6:7]
	s_cbranch_execnz .LBB188_16
	s_branch .LBB188_17
.LBB188_35:
                                        ; implicit-def: $vgpr32_vgpr33
                                        ; implicit-def: $vgpr28_vgpr29
                                        ; implicit-def: $vgpr2_vgpr3_vgpr4_vgpr5_vgpr6_vgpr7_vgpr8_vgpr9
	s_cbranch_execz .LBB188_50
; %bb.36:
	v_bfrev_b32_e32 v38, -2
	v_cmp_gt_i64_e32 vcc, 0, v[14:15]
	v_cndmask_b32_e64 v2, v38, 0, vcc
	v_not_b32_e32 v4, v64
	v_cmp_gt_i64_e32 vcc, 0, v[16:17]
	v_xor_b32_e32 v3, v2, v15
	v_xor_b32_e32 v2, v4, v14
	v_cndmask_b32_e64 v4, v38, 0, vcc
	v_not_b32_e32 v6, v63
	v_cmp_gt_i64_e32 vcc, 0, v[10:11]
	v_xor_b32_e32 v5, v4, v17
	v_xor_b32_e32 v4, v6, v16
	v_cndmask_b32_e64 v6, v38, 0, vcc
	v_not_b32_e32 v8, v62
	v_cmp_gt_i64_e32 vcc, 0, v[12:13]
	s_mov_b32 s24, 0
	v_xor_b32_e32 v7, v6, v11
	v_xor_b32_e32 v6, v8, v10
	v_cndmask_b32_e64 v8, v38, 0, vcc
	v_not_b32_e32 v10, v61
	s_brev_b32 s25, 1
	v_xor_b32_e32 v9, v8, v13
	v_xor_b32_e32 v8, v10, v12
	v_and_b32_e32 v39, 14, v60
	v_mov_b32_e32 v40, 0
	s_movk_i32 s42, 0xe0
	s_mov_b32 s43, s24
	s_branch .LBB188_38
.LBB188_37:                             ;   in Loop: Header=BB188_38 Depth=1
	v_lshlrev_b32_e32 v18, 3, v44
	v_lshlrev_b32_e32 v19, 3, v42
	;; [unrolled: 1-line block ×4, first 2 shown]
	s_waitcnt lgkmcnt(0)
	; wave barrier
	ds_write_b64 v18, v[32:33]
	ds_write_b64 v19, v[30:31]
	;; [unrolled: 1-line block ×4, first 2 shown]
	s_waitcnt lgkmcnt(0)
	; wave barrier
	s_waitcnt lgkmcnt(0)
	ds_read2_b64 v[2:5], v35 offset1:1
	ds_read2_b64 v[6:9], v35 offset0:2 offset1:3
	s_waitcnt lgkmcnt(0)
	; wave barrier
	s_waitcnt lgkmcnt(0)
	ds_write_b64 v18, v[16:17]
	ds_write_b64 v19, v[14:15]
	;; [unrolled: 1-line block ×4, first 2 shown]
	s_waitcnt lgkmcnt(0)
	; wave barrier
	s_waitcnt lgkmcnt(0)
	ds_read2_b64 v[18:21], v35 offset1:1
	ds_read2_b64 v[22:25], v35 offset0:2 offset1:3
	s_add_i32 s43, s43, 4
	s_waitcnt lgkmcnt(0)
	; wave barrier
	s_waitcnt lgkmcnt(0)
	s_cbranch_execz .LBB188_49
.LBB188_38:                             ; =>This Loop Header: Depth=1
                                        ;     Child Loop BB188_41 Depth 2
	s_waitcnt lgkmcnt(1)
	v_pk_mov_b32 v[26:27], v[8:9], v[8:9] op_sel:[0,1]
	v_pk_mov_b32 v[28:29], v[6:7], v[6:7] op_sel:[0,1]
	s_waitcnt lgkmcnt(0)
	v_pk_mov_b32 v[30:31], v[4:5], v[4:5] op_sel:[0,1]
	v_pk_mov_b32 v[32:33], v[2:3], v[2:3] op_sel:[0,1]
	;; [unrolled: 1-line block ×6, first 2 shown]
	s_and_saveexec_b64 s[30:31], s[8:9]
	s_cbranch_execz .LBB188_45
; %bb.39:                               ;   in Loop: Header=BB188_38 Depth=1
	s_mov_b32 s44, 0
	s_mov_b64 s[34:35], 0
	v_pk_mov_b32 v[2:3], v[0:1], v[0:1] op_sel:[0,1]
	s_branch .LBB188_41
.LBB188_40:                             ;   in Loop: Header=BB188_41 Depth=2
	s_or_b64 exec, exec, s[38:39]
	s_add_i32 s44, s44, 2
	v_cmp_eq_u32_e32 vcc, s44, v39
	v_add_u32_e32 v3, 64, v3
	s_or_b64 s[34:35], vcc, s[34:35]
	v_add_u32_e32 v2, 64, v2
	s_andn2_b64 exec, exec, s[34:35]
	s_cbranch_execz .LBB188_45
.LBB188_41:                             ;   Parent Loop BB188_38 Depth=1
                                        ; =>  This Inner Loop Header: Depth=2
	s_or_b32 s36, s44, 1
	v_cmp_le_u32_e64 s[36:37], s36, 7
	v_cmp_le_u32_e64 s[46:47], s44, 7
	s_and_saveexec_b64 s[38:39], s[46:47]
	s_cbranch_execz .LBB188_43
; %bb.42:                               ;   in Loop: Header=BB188_41 Depth=2
	v_lshlrev_b32_e32 v4, 2, v2
	ds_write_b32 v4, v40
.LBB188_43:                             ;   in Loop: Header=BB188_41 Depth=2
	s_or_b64 exec, exec, s[38:39]
	s_and_saveexec_b64 s[38:39], s[36:37]
	s_cbranch_execz .LBB188_40
; %bb.44:                               ;   in Loop: Header=BB188_41 Depth=2
	v_lshlrev_b32_e32 v4, 2, v3
	ds_write_b32 v4, v40
	s_branch .LBB188_40
.LBB188_45:                             ;   in Loop: Header=BB188_38 Depth=1
	s_or_b64 exec, exec, s[30:31]
	s_sub_i32 s30, 64, s43
	s_min_u32 s30, s41, s30
	v_cmp_ne_u64_e32 vcc, s[24:25], v[32:33]
	s_lshl_b32 s30, -1, s30
	v_cndmask_b32_e32 v3, v38, v33, vcc
	v_cndmask_b32_e32 v2, -1, v32, vcc
	s_not_b32 s30, s30
	v_lshrrev_b64 v[2:3], s43, v[2:3]
	v_and_b32_e32 v2, s30, v2
	v_lshrrev_b32_e32 v3, 3, v2
	v_lshlrev_b32_e32 v2, 5, v2
	v_and_or_b32 v2, v2, s42, v0
	v_lshlrev_b32_e32 v2, 1, v2
	v_add_lshl_u32 v19, v2, v3, 1
	ds_read_u16 v18, v19
	v_cmp_ne_u64_e32 vcc, s[24:25], v[30:31]
	v_cndmask_b32_e32 v3, v38, v31, vcc
	s_waitcnt lgkmcnt(0)
	v_add_u16_e32 v2, 1, v18
	ds_write_b16 v19, v2
	v_cndmask_b32_e32 v2, -1, v30, vcc
	v_lshrrev_b64 v[2:3], s43, v[2:3]
	v_and_b32_e32 v2, s30, v2
	v_lshrrev_b32_e32 v3, 3, v2
	v_lshlrev_b32_e32 v2, 5, v2
	v_and_or_b32 v2, v2, s42, v0
	v_lshlrev_b32_e32 v2, 1, v2
	v_add_lshl_u32 v21, v2, v3, 1
	ds_read_u16 v20, v21
	v_cmp_ne_u64_e32 vcc, s[24:25], v[28:29]
	v_cndmask_b32_e32 v3, v38, v29, vcc
	s_waitcnt lgkmcnt(0)
	v_add_u16_e32 v2, 1, v20
	ds_write_b16 v21, v2
	v_cndmask_b32_e32 v2, -1, v28, vcc
	;; [unrolled: 14-line block ×3, first 2 shown]
	v_lshrrev_b64 v[2:3], s43, v[2:3]
	v_and_b32_e32 v2, s30, v2
	v_lshrrev_b32_e32 v3, 3, v2
	v_lshlrev_b32_e32 v2, 5, v2
	v_and_or_b32 v2, v2, s42, v0
	v_lshlrev_b32_e32 v2, 1, v2
	v_add_lshl_u32 v25, v2, v3, 1
	ds_read_u16 v24, v25
	s_waitcnt lgkmcnt(0)
	v_add_u16_e32 v2, 1, v24
	ds_write_b16 v25, v2
	s_waitcnt lgkmcnt(0)
	; wave barrier
	s_waitcnt lgkmcnt(0)
	ds_read2_b32 v[8:9], v37 offset1:1
	ds_read2_b32 v[6:7], v37 offset0:2 offset1:3
	ds_read2_b32 v[2:3], v37 offset0:4 offset1:5
	;; [unrolled: 1-line block ×3, first 2 shown]
	s_waitcnt lgkmcnt(3)
	v_add_u32_e32 v41, v9, v8
	s_waitcnt lgkmcnt(2)
	v_add3_u32 v41, v41, v6, v7
	s_waitcnt lgkmcnt(1)
	v_add3_u32 v41, v41, v2, v3
	;; [unrolled: 2-line block ×3, first 2 shown]
	s_nop 1
	v_mov_b32_dpp v41, v5 row_shr:1 row_mask:0xf bank_mask:0xf
	v_cndmask_b32_e64 v41, v41, 0, s[10:11]
	v_add_u32_e32 v5, v41, v5
	s_nop 1
	v_mov_b32_dpp v41, v5 row_shr:2 row_mask:0xf bank_mask:0xf
	v_cndmask_b32_e64 v41, 0, v41, s[12:13]
	v_add_u32_e32 v5, v5, v41
	;; [unrolled: 4-line block ×4, first 2 shown]
	s_nop 1
	v_mov_b32_dpp v41, v5 row_bcast:15 row_mask:0xf bank_mask:0xf
	v_cndmask_b32_e64 v41, v41, 0, s[18:19]
	v_add_u32_e32 v5, v5, v41
	s_and_saveexec_b64 s[30:31], s[20:21]
	s_cbranch_execz .LBB188_47
; %bb.46:                               ;   in Loop: Header=BB188_38 Depth=1
	ds_write_b32 v40, v5 offset:1024
.LBB188_47:                             ;   in Loop: Header=BB188_38 Depth=1
	s_or_b64 exec, exec, s[30:31]
	ds_bpermute_b32 v5, v59, v5
	s_waitcnt lgkmcnt(0)
	; wave barrier
	s_waitcnt lgkmcnt(0)
	ds_read_b32 v41, v40 offset:1024
	s_cmp_gt_u32 s43, 59
	v_cndmask_b32_e64 v5, v5, 0, s[22:23]
	s_waitcnt lgkmcnt(0)
	v_lshl_add_u32 v5, v41, 16, v5
	v_add_u32_e32 v8, v5, v8
	v_add_u32_e32 v9, v8, v9
	ds_write2_b32 v37, v5, v8 offset1:1
	v_add_u32_e32 v5, v9, v6
	v_add_u32_e32 v6, v5, v7
	;; [unrolled: 1-line block ×5, first 2 shown]
	ds_write2_b32 v37, v9, v5 offset0:2 offset1:3
	ds_write2_b32 v37, v6, v2 offset0:4 offset1:5
	ds_write2_b32 v37, v3, v4 offset0:6 offset1:7
	s_waitcnt lgkmcnt(0)
	; wave barrier
	s_waitcnt lgkmcnt(0)
	ds_read_u16 v2, v19
	ds_read_u16 v3, v21
	ds_read_u16 v4, v23
	ds_read_u16 v5, v25
	s_waitcnt lgkmcnt(3)
	v_add_u32_sdwa v44, v2, v18 dst_sel:DWORD dst_unused:UNUSED_PAD src0_sel:DWORD src1_sel:WORD_0
	s_waitcnt lgkmcnt(2)
	v_add_u32_sdwa v42, v3, v20 dst_sel:DWORD dst_unused:UNUSED_PAD src0_sel:DWORD src1_sel:WORD_0
	;; [unrolled: 2-line block ×4, first 2 shown]
	s_cbranch_scc0 .LBB188_37
; %bb.48:
                                        ; implicit-def: $vgpr8_vgpr9
                                        ; implicit-def: $vgpr4_vgpr5
                                        ; implicit-def: $vgpr24_vgpr25
                                        ; implicit-def: $vgpr20_vgpr21
                                        ; implicit-def: $sgpr43
.LBB188_49:
	v_lshlrev_b32_e32 v0, 3, v44
	v_lshlrev_b32_e32 v1, 3, v42
	;; [unrolled: 1-line block ×4, first 2 shown]
	s_waitcnt lgkmcnt(0)
	; wave barrier
	ds_write_b64 v0, v[32:33]
	ds_write_b64 v1, v[30:31]
	;; [unrolled: 1-line block ×4, first 2 shown]
	s_waitcnt lgkmcnt(0)
	; wave barrier
	s_waitcnt lgkmcnt(0)
	ds_read2_b64 v[2:5], v35 offset1:1
	ds_read2_b64 v[6:9], v35 offset0:2 offset1:3
	s_waitcnt lgkmcnt(0)
	; wave barrier
	s_waitcnt lgkmcnt(0)
	ds_write_b64 v0, v[16:17]
	ds_write_b64 v1, v[14:15]
	;; [unrolled: 1-line block ×4, first 2 shown]
	v_bfrev_b32_e32 v0, -2
	v_cmp_gt_i64_e32 vcc, 0, v[2:3]
	v_ashrrev_i32_e32 v10, 31, v3
	s_waitcnt lgkmcnt(0)
	; wave barrier
	s_waitcnt lgkmcnt(0)
	ds_read2_b64 v[26:29], v35 offset1:1
	ds_read2_b64 v[30:33], v35 offset0:2 offset1:3
	v_cndmask_b32_e64 v1, v0, 0, vcc
	v_not_b32_e32 v10, v10
	v_cmp_gt_i64_e32 vcc, 0, v[4:5]
	v_xor_b32_e32 v3, v1, v3
	v_xor_b32_e32 v2, v10, v2
	v_cndmask_b32_e64 v1, v0, 0, vcc
	v_ashrrev_i32_e32 v10, 31, v5
	v_cmp_gt_i64_e32 vcc, 0, v[6:7]
	v_not_b32_e32 v10, v10
	v_xor_b32_e32 v5, v1, v5
	v_cndmask_b32_e64 v1, v0, 0, vcc
	v_xor_b32_e32 v4, v10, v4
	v_ashrrev_i32_e32 v10, 31, v7
	v_xor_b32_e32 v7, v1, v7
	v_cmp_gt_i64_e32 vcc, 0, v[8:9]
	v_ashrrev_i32_e32 v1, 31, v9
	v_not_b32_e32 v10, v10
	v_cndmask_b32_e64 v0, v0, 0, vcc
	v_not_b32_e32 v1, v1
	v_xor_b32_e32 v6, v10, v6
	v_xor_b32_e32 v9, v0, v9
	;; [unrolled: 1-line block ×3, first 2 shown]
.LBB188_50:
	s_waitcnt lgkmcnt(0)
	; wave barrier
	s_waitcnt lgkmcnt(0)
	ds_write2_b64 v58, v[2:3], v[4:5] offset1:1
	ds_write2_b64 v58, v[6:7], v[8:9] offset0:2 offset1:3
	s_waitcnt lgkmcnt(0)
	; wave barrier
	s_waitcnt lgkmcnt(0)
	ds_read_b64 v[6:7], v55 offset:256
	ds_read_b64 v[4:5], v56 offset:512
	;; [unrolled: 1-line block ×3, first 2 shown]
	v_mov_b32_e32 v35, 0
	v_lshlrev_b64 v[2:3], 3, v[34:35]
	v_mov_b32_e32 v8, s29
	v_add_co_u32_e32 v2, vcc, s27, v2
	v_addc_co_u32_e32 v3, vcc, v8, v3, vcc
	s_and_saveexec_b64 s[8:9], s[0:1]
	s_cbranch_execnz .LBB188_61
; %bb.51:
	s_or_b64 exec, exec, s[8:9]
	s_and_saveexec_b64 s[8:9], s[2:3]
	s_cbranch_execnz .LBB188_62
.LBB188_52:
	s_or_b64 exec, exec, s[8:9]
	s_and_saveexec_b64 s[8:9], s[4:5]
	s_cbranch_execnz .LBB188_63
.LBB188_53:
	s_or_b64 exec, exec, s[8:9]
	s_and_saveexec_b64 s[8:9], s[6:7]
	s_cbranch_execz .LBB188_55
.LBB188_54:
	s_mul_i32 s10, s26, 0x60
	s_mov_b32 s11, 0
	s_lshl_b64 s[10:11], s[10:11], 3
	s_waitcnt lgkmcnt(1)
	v_mov_b32_e32 v4, s11
	v_add_co_u32_e32 v2, vcc, s10, v2
	v_addc_co_u32_e32 v3, vcc, v3, v4, vcc
	s_waitcnt lgkmcnt(0)
	global_store_dwordx2 v[2:3], v[0:1], off
.LBB188_55:
	s_or_b64 exec, exec, s[8:9]
	s_waitcnt lgkmcnt(0)
	; wave barrier
	s_waitcnt lgkmcnt(0)
	ds_write2_b64 v58, v[26:27], v[28:29] offset1:1
	ds_write2_b64 v58, v[30:31], v[32:33] offset0:2 offset1:3
	s_waitcnt lgkmcnt(0)
	; wave barrier
	s_waitcnt lgkmcnt(0)
	ds_read_b64 v[6:7], v55 offset:256
	ds_read_b64 v[4:5], v56 offset:512
	;; [unrolled: 1-line block ×3, first 2 shown]
	v_mov_b32_e32 v37, 0
	v_lshlrev_b64 v[2:3], 3, v[36:37]
	v_mov_b32_e32 v8, s40
	v_add_co_u32_e32 v2, vcc, s33, v2
	v_addc_co_u32_e32 v3, vcc, v8, v3, vcc
	s_and_saveexec_b64 s[8:9], s[0:1]
	s_cbranch_execnz .LBB188_64
; %bb.56:
	s_or_b64 exec, exec, s[8:9]
	s_and_saveexec_b64 s[0:1], s[2:3]
	s_cbranch_execnz .LBB188_65
.LBB188_57:
	s_or_b64 exec, exec, s[0:1]
	s_and_saveexec_b64 s[0:1], s[4:5]
	s_cbranch_execnz .LBB188_66
.LBB188_58:
	s_or_b64 exec, exec, s[0:1]
	s_and_saveexec_b64 s[0:1], s[6:7]
	s_cbranch_execz .LBB188_60
.LBB188_59:
	s_mul_i32 s0, s28, 0x60
	s_mov_b32 s1, 0
	s_lshl_b64 s[0:1], s[0:1], 3
	s_waitcnt lgkmcnt(1)
	v_mov_b32_e32 v4, s1
	v_add_co_u32_e32 v2, vcc, s0, v2
	v_addc_co_u32_e32 v3, vcc, v3, v4, vcc
	s_waitcnt lgkmcnt(0)
	global_store_dwordx2 v[2:3], v[0:1], off
.LBB188_60:
	s_endpgm
.LBB188_61:
	ds_read_b64 v[8:9], v54
	s_waitcnt lgkmcnt(0)
	global_store_dwordx2 v[2:3], v[8:9], off
	s_or_b64 exec, exec, s[8:9]
	s_and_saveexec_b64 s[8:9], s[2:3]
	s_cbranch_execz .LBB188_52
.LBB188_62:
	s_lshl_b32 s10, s26, 5
	s_mov_b32 s11, 0
	s_lshl_b64 s[10:11], s[10:11], 3
	v_mov_b32_e32 v9, s11
	v_add_co_u32_e32 v8, vcc, s10, v2
	v_addc_co_u32_e32 v9, vcc, v3, v9, vcc
	s_waitcnt lgkmcnt(2)
	global_store_dwordx2 v[8:9], v[6:7], off
	s_or_b64 exec, exec, s[8:9]
	s_and_saveexec_b64 s[8:9], s[4:5]
	s_cbranch_execz .LBB188_53
.LBB188_63:
	s_lshl_b32 s10, s26, 6
	s_mov_b32 s11, 0
	s_lshl_b64 s[10:11], s[10:11], 3
	s_waitcnt lgkmcnt(2)
	v_mov_b32_e32 v7, s11
	v_add_co_u32_e32 v6, vcc, s10, v2
	v_addc_co_u32_e32 v7, vcc, v3, v7, vcc
	s_waitcnt lgkmcnt(1)
	global_store_dwordx2 v[6:7], v[4:5], off
	s_or_b64 exec, exec, s[8:9]
	s_and_saveexec_b64 s[8:9], s[6:7]
	s_cbranch_execnz .LBB188_54
	s_branch .LBB188_55
.LBB188_64:
	ds_read_b64 v[8:9], v54
	s_waitcnt lgkmcnt(0)
	global_store_dwordx2 v[2:3], v[8:9], off
	s_or_b64 exec, exec, s[8:9]
	s_and_saveexec_b64 s[0:1], s[2:3]
	s_cbranch_execz .LBB188_57
.LBB188_65:
	s_lshl_b32 s2, s28, 5
	s_mov_b32 s3, 0
	s_lshl_b64 s[2:3], s[2:3], 3
	v_mov_b32_e32 v9, s3
	v_add_co_u32_e32 v8, vcc, s2, v2
	v_addc_co_u32_e32 v9, vcc, v3, v9, vcc
	s_waitcnt lgkmcnt(2)
	global_store_dwordx2 v[8:9], v[6:7], off
	s_or_b64 exec, exec, s[0:1]
	s_and_saveexec_b64 s[0:1], s[4:5]
	s_cbranch_execz .LBB188_58
.LBB188_66:
	s_lshl_b32 s2, s28, 6
	s_mov_b32 s3, 0
	s_lshl_b64 s[2:3], s[2:3], 3
	s_waitcnt lgkmcnt(2)
	v_mov_b32_e32 v7, s3
	v_add_co_u32_e32 v6, vcc, s2, v2
	v_addc_co_u32_e32 v7, vcc, v3, v7, vcc
	s_waitcnt lgkmcnt(1)
	global_store_dwordx2 v[6:7], v[4:5], off
	s_or_b64 exec, exec, s[0:1]
	s_and_saveexec_b64 s[0:1], s[6:7]
	s_cbranch_execnz .LBB188_59
	s_branch .LBB188_60
	.section	.rodata,"a",@progbits
	.p2align	6, 0x0
	.amdhsa_kernel _ZN2at6native18radixSortKVInPlaceILi2ELin1ELi32ELi4EdljEEvNS_4cuda6detail10TensorInfoIT3_T5_EES6_S6_S6_NS4_IT4_S6_EES6_b
		.amdhsa_group_segment_fixed_size 1056
		.amdhsa_private_segment_fixed_size 0
		.amdhsa_kernarg_size 712
		.amdhsa_user_sgpr_count 6
		.amdhsa_user_sgpr_private_segment_buffer 1
		.amdhsa_user_sgpr_dispatch_ptr 0
		.amdhsa_user_sgpr_queue_ptr 0
		.amdhsa_user_sgpr_kernarg_segment_ptr 1
		.amdhsa_user_sgpr_dispatch_id 0
		.amdhsa_user_sgpr_flat_scratch_init 0
		.amdhsa_user_sgpr_kernarg_preload_length 0
		.amdhsa_user_sgpr_kernarg_preload_offset 0
		.amdhsa_user_sgpr_private_segment_size 0
		.amdhsa_uses_dynamic_stack 0
		.amdhsa_system_sgpr_private_segment_wavefront_offset 0
		.amdhsa_system_sgpr_workgroup_id_x 1
		.amdhsa_system_sgpr_workgroup_id_y 1
		.amdhsa_system_sgpr_workgroup_id_z 1
		.amdhsa_system_sgpr_workgroup_info 0
		.amdhsa_system_vgpr_workitem_id 0
		.amdhsa_next_free_vgpr 72
		.amdhsa_next_free_sgpr 48
		.amdhsa_accum_offset 72
		.amdhsa_reserve_vcc 1
		.amdhsa_reserve_flat_scratch 0
		.amdhsa_float_round_mode_32 0
		.amdhsa_float_round_mode_16_64 0
		.amdhsa_float_denorm_mode_32 3
		.amdhsa_float_denorm_mode_16_64 3
		.amdhsa_dx10_clamp 1
		.amdhsa_ieee_mode 1
		.amdhsa_fp16_overflow 0
		.amdhsa_tg_split 0
		.amdhsa_exception_fp_ieee_invalid_op 0
		.amdhsa_exception_fp_denorm_src 0
		.amdhsa_exception_fp_ieee_div_zero 0
		.amdhsa_exception_fp_ieee_overflow 0
		.amdhsa_exception_fp_ieee_underflow 0
		.amdhsa_exception_fp_ieee_inexact 0
		.amdhsa_exception_int_div_zero 0
	.end_amdhsa_kernel
	.section	.text._ZN2at6native18radixSortKVInPlaceILi2ELin1ELi32ELi4EdljEEvNS_4cuda6detail10TensorInfoIT3_T5_EES6_S6_S6_NS4_IT4_S6_EES6_b,"axG",@progbits,_ZN2at6native18radixSortKVInPlaceILi2ELin1ELi32ELi4EdljEEvNS_4cuda6detail10TensorInfoIT3_T5_EES6_S6_S6_NS4_IT4_S6_EES6_b,comdat
.Lfunc_end188:
	.size	_ZN2at6native18radixSortKVInPlaceILi2ELin1ELi32ELi4EdljEEvNS_4cuda6detail10TensorInfoIT3_T5_EES6_S6_S6_NS4_IT4_S6_EES6_b, .Lfunc_end188-_ZN2at6native18radixSortKVInPlaceILi2ELin1ELi32ELi4EdljEEvNS_4cuda6detail10TensorInfoIT3_T5_EES6_S6_S6_NS4_IT4_S6_EES6_b
                                        ; -- End function
	.section	.AMDGPU.csdata,"",@progbits
; Kernel info:
; codeLenInByte = 5152
; NumSgprs: 52
; NumVgprs: 72
; NumAgprs: 0
; TotalNumVgprs: 72
; ScratchSize: 0
; MemoryBound: 0
; FloatMode: 240
; IeeeMode: 1
; LDSByteSize: 1056 bytes/workgroup (compile time only)
; SGPRBlocks: 6
; VGPRBlocks: 8
; NumSGPRsForWavesPerEU: 52
; NumVGPRsForWavesPerEU: 72
; AccumOffset: 72
; Occupancy: 7
; WaveLimiterHint : 1
; COMPUTE_PGM_RSRC2:SCRATCH_EN: 0
; COMPUTE_PGM_RSRC2:USER_SGPR: 6
; COMPUTE_PGM_RSRC2:TRAP_HANDLER: 0
; COMPUTE_PGM_RSRC2:TGID_X_EN: 1
; COMPUTE_PGM_RSRC2:TGID_Y_EN: 1
; COMPUTE_PGM_RSRC2:TGID_Z_EN: 1
; COMPUTE_PGM_RSRC2:TIDIG_COMP_CNT: 0
; COMPUTE_PGM_RSRC3_GFX90A:ACCUM_OFFSET: 17
; COMPUTE_PGM_RSRC3_GFX90A:TG_SPLIT: 0
	.section	.text._ZN2at6native18radixSortKVInPlaceILi2ELin1ELi16ELi2EdljEEvNS_4cuda6detail10TensorInfoIT3_T5_EES6_S6_S6_NS4_IT4_S6_EES6_b,"axG",@progbits,_ZN2at6native18radixSortKVInPlaceILi2ELin1ELi16ELi2EdljEEvNS_4cuda6detail10TensorInfoIT3_T5_EES6_S6_S6_NS4_IT4_S6_EES6_b,comdat
	.protected	_ZN2at6native18radixSortKVInPlaceILi2ELin1ELi16ELi2EdljEEvNS_4cuda6detail10TensorInfoIT3_T5_EES6_S6_S6_NS4_IT4_S6_EES6_b ; -- Begin function _ZN2at6native18radixSortKVInPlaceILi2ELin1ELi16ELi2EdljEEvNS_4cuda6detail10TensorInfoIT3_T5_EES6_S6_S6_NS4_IT4_S6_EES6_b
	.globl	_ZN2at6native18radixSortKVInPlaceILi2ELin1ELi16ELi2EdljEEvNS_4cuda6detail10TensorInfoIT3_T5_EES6_S6_S6_NS4_IT4_S6_EES6_b
	.p2align	8
	.type	_ZN2at6native18radixSortKVInPlaceILi2ELin1ELi16ELi2EdljEEvNS_4cuda6detail10TensorInfoIT3_T5_EES6_S6_S6_NS4_IT4_S6_EES6_b,@function
_ZN2at6native18radixSortKVInPlaceILi2ELin1ELi16ELi2EdljEEvNS_4cuda6detail10TensorInfoIT3_T5_EES6_S6_S6_NS4_IT4_S6_EES6_b: ; @_ZN2at6native18radixSortKVInPlaceILi2ELin1ELi16ELi2EdljEEvNS_4cuda6detail10TensorInfoIT3_T5_EES6_S6_S6_NS4_IT4_S6_EES6_b
; %bb.0:
	s_load_dwordx2 s[0:1], s[4:5], 0x1c8
	s_load_dwordx4 s[16:19], s[4:5], 0xd8
	s_waitcnt lgkmcnt(0)
	s_mul_i32 s1, s1, s8
	s_add_i32 s1, s1, s7
	s_mul_i32 s12, s1, s0
	s_add_i32 s12, s12, s6
	s_cmp_ge_u32 s12, s16
	s_cbranch_scc1 .LBB189_50
; %bb.1:
	s_load_dword s13, s[4:5], 0xc
	s_load_dwordx2 s[6:7], s[4:5], 0x6c
	s_load_dword s10, s[4:5], 0x1b8
	s_add_u32 s2, s4, 0xe8
	s_load_dwordx2 s[0:1], s[4:5], 0x0
	s_waitcnt lgkmcnt(0)
	v_cvt_f32_u32_e32 v1, s13
	s_addc_u32 s3, s5, 0
	s_sub_i32 s8, 0, s13
	s_mov_b32 s9, 0
	v_rcp_iflag_f32_e32 v1, v1
	v_mul_f32_e32 v1, 0x4f7ffffe, v1
	v_cvt_u32_f32_e32 v1, v1
	v_readfirstlane_b32 s11, v1
	s_mul_i32 s8, s8, s11
	s_mul_hi_u32 s8, s11, s8
	s_add_i32 s11, s11, s8
	s_mul_hi_u32 s14, s12, s11
	s_cmp_lt_i32 s10, 2
	s_mov_b32 s8, s12
	s_cbranch_scc1 .LBB189_4
; %bb.2:
	s_add_i32 s8, s10, -1
	s_add_i32 s15, s10, 1
	s_lshl_b64 s[10:11], s[8:9], 2
	s_add_u32 s8, s10, s2
	s_addc_u32 s11, s11, s3
	s_add_u32 s10, s8, 8
	s_addc_u32 s11, s11, 0
	s_mov_b32 s8, s12
.LBB189_3:                              ; =>This Inner Loop Header: Depth=1
	s_load_dword s16, s[10:11], 0x0
	s_load_dword s20, s[10:11], 0x64
	s_mov_b32 s19, s8
	s_waitcnt lgkmcnt(0)
	v_cvt_f32_u32_e32 v1, s16
	s_sub_i32 s8, 0, s16
	v_rcp_iflag_f32_e32 v1, v1
	v_mul_f32_e32 v1, 0x4f7ffffe, v1
	v_cvt_u32_f32_e32 v1, v1
	v_readfirstlane_b32 s21, v1
	s_mul_i32 s8, s8, s21
	s_mul_hi_u32 s8, s21, s8
	s_add_i32 s21, s21, s8
	s_mul_hi_u32 s8, s19, s21
	s_mul_i32 s21, s8, s16
	s_sub_i32 s21, s19, s21
	s_add_i32 s22, s8, 1
	s_sub_i32 s23, s21, s16
	s_cmp_ge_u32 s21, s16
	s_cselect_b32 s8, s22, s8
	s_cselect_b32 s21, s23, s21
	s_add_i32 s22, s8, 1
	s_cmp_ge_u32 s21, s16
	s_cselect_b32 s8, s22, s8
	s_mul_i32 s16, s8, s16
	s_sub_i32 s16, s19, s16
	s_mul_i32 s16, s20, s16
	s_add_i32 s15, s15, -1
	s_add_i32 s9, s16, s9
	s_add_u32 s10, s10, -4
	s_addc_u32 s11, s11, -1
	s_cmp_gt_u32 s15, 2
	s_cbranch_scc1 .LBB189_3
.LBB189_4:
	s_mul_i32 s10, s14, s13
	s_sub_i32 s10, s12, s10
	s_add_i32 s11, s14, 1
	s_sub_i32 s15, s10, s13
	s_cmp_ge_u32 s10, s13
	s_cselect_b32 s11, s11, s14
	s_cselect_b32 s10, s15, s10
	s_add_i32 s14, s11, 1
	s_cmp_ge_u32 s10, s13
	s_cselect_b32 s10, s14, s11
	s_load_dwordx2 s[20:21], s[4:5], 0x1c0
	s_mul_i32 s11, s10, s13
	s_sub_i32 s11, s12, s11
	s_load_dwordx2 s[12:13], s[2:3], 0x0
	s_mul_i32 s11, s11, s7
	s_mul_i32 s4, s10, s6
	s_add_i32 s6, s4, s11
	s_waitcnt lgkmcnt(0)
	s_bitcmp1_b32 s21, 0
	s_cselect_b64 s[10:11], -1, 0
	s_and_b64 s[14:15], s[10:11], exec
	s_mov_b32 s7, 0
	s_cselect_b32 s5, -1, 0x7fffffff
	s_lshl_b64 s[6:7], s[6:7], 3
	s_mov_b32 s4, -1
	s_add_u32 s19, s0, s6
	s_addc_u32 s21, s1, s7
	s_mov_b32 s6, s4
	s_mov_b32 s7, s5
	v_pk_mov_b32 v[2:3], s[4:5], s[4:5] op_sel:[0,1]
	v_cmp_gt_u32_e64 s[0:1], s17, v0
	v_pk_mov_b32 v[4:5], s[6:7], s[6:7] op_sel:[0,1]
	v_pk_mov_b32 v[6:7], s[4:5], s[4:5] op_sel:[0,1]
	v_mul_lo_u32 v18, v0, s18
	s_and_saveexec_b64 s[14:15], s[0:1]
	s_cbranch_execz .LBB189_6
; %bb.5:
	v_mov_b32_e32 v19, 0
	v_lshlrev_b64 v[2:3], 3, v[18:19]
	v_mov_b32_e32 v1, s21
	v_add_co_u32_e32 v2, vcc, s19, v2
	v_addc_co_u32_e32 v3, vcc, v1, v3, vcc
	global_load_dwordx2 v[6:7], v[2:3], off
	v_pk_mov_b32 v[2:3], s[4:5], s[4:5] op_sel:[0,1]
	v_pk_mov_b32 v[4:5], s[6:7], s[6:7] op_sel:[0,1]
.LBB189_6:
	s_or_b64 exec, exec, s[14:15]
	s_load_dword s6, s[2:3], 0x6c
	v_or_b32_e32 v1, 16, v0
	v_cmp_gt_u32_e64 s[2:3], s17, v1
	s_and_saveexec_b64 s[4:5], s[2:3]
	s_cbranch_execz .LBB189_8
; %bb.7:
	v_mul_lo_u32 v2, v1, s18
	v_mov_b32_e32 v3, 0
	v_lshlrev_b64 v[2:3], 3, v[2:3]
	v_mov_b32_e32 v4, s21
	v_add_co_u32_e32 v2, vcc, s19, v2
	v_addc_co_u32_e32 v3, vcc, v4, v3, vcc
	global_load_dwordx2 v[4:5], v[2:3], off
.LBB189_8:
	s_or_b64 exec, exec, s[4:5]
	s_waitcnt lgkmcnt(0)
	s_mul_i32 s4, s6, s8
	s_add_i32 s4, s4, s9
	s_mov_b32 s5, 0
	s_lshl_b64 s[6:7], s[4:5], 3
	v_lshlrev_b32_e32 v30, 3, v0
	v_lshlrev_b32_e32 v31, 4, v0
	s_add_u32 s33, s12, s6
	s_waitcnt vmcnt(0)
	ds_write2_b64 v30, v[6:7], v[4:5] offset1:16
	s_waitcnt lgkmcnt(0)
	; wave barrier
	s_waitcnt lgkmcnt(0)
	ds_read2_b64 v[2:5], v31 offset1:1
	s_addc_u32 s34, s13, s7
	s_mov_b32 s6, s5
	s_mov_b32 s7, s5
	;; [unrolled: 1-line block ×3, first 2 shown]
	v_pk_mov_b32 v[8:9], s[6:7], s[6:7] op_sel:[0,1]
	v_pk_mov_b32 v[6:7], s[4:5], s[4:5] op_sel:[0,1]
	v_pk_mov_b32 v[6:7], 0, 0
	v_mul_lo_u32 v20, v0, s20
	s_waitcnt lgkmcnt(0)
	; wave barrier
	s_waitcnt lgkmcnt(0)
	s_and_saveexec_b64 s[4:5], s[0:1]
	s_cbranch_execz .LBB189_10
; %bb.9:
	v_mov_b32_e32 v21, 0
	v_lshlrev_b64 v[6:7], 3, v[20:21]
	v_mov_b32_e32 v8, s34
	v_add_co_u32_e32 v6, vcc, s33, v6
	v_addc_co_u32_e32 v7, vcc, v8, v7, vcc
	global_load_dwordx2 v[6:7], v[6:7], off
	v_mov_b32_e32 v8, v21
	v_mov_b32_e32 v9, v21
.LBB189_10:
	s_or_b64 exec, exec, s[4:5]
	s_xor_b64 s[24:25], s[10:11], -1
	v_lshlrev_b32_e32 v10, 1, v0
	s_and_saveexec_b64 s[4:5], s[2:3]
	s_cbranch_execz .LBB189_12
; %bb.11:
	v_mul_lo_u32 v8, v1, s20
	v_mov_b32_e32 v9, 0
	v_lshlrev_b64 v[8:9], 3, v[8:9]
	v_mov_b32_e32 v11, s34
	v_add_co_u32_e32 v8, vcc, s33, v8
	v_addc_co_u32_e32 v9, vcc, v11, v9, vcc
	global_load_dwordx2 v[8:9], v[8:9], off
.LBB189_12:
	s_or_b64 exec, exec, s[4:5]
	v_mbcnt_lo_u32_b32 v11, -1, 0
	s_getpc_b64 s[4:5]
	s_add_u32 s4, s4, _ZN7rocprim17ROCPRIM_400000_NS16block_radix_sortIdLj16ELj2ElLj1ELj1ELj0ELNS0_26block_radix_rank_algorithmE1ELNS0_18block_padding_hintE2ELNS0_4arch9wavefront6targetE1EE19radix_bits_per_passE@rel32@lo+4
	s_addc_u32 s5, s5, _ZN7rocprim17ROCPRIM_400000_NS16block_radix_sortIdLj16ELj2ElLj1ELj1ELj0ELNS0_26block_radix_rank_algorithmE1ELNS0_18block_padding_hintE2ELNS0_4arch9wavefront6targetE1EE19radix_bits_per_passE@rel32@hi+12
	v_mbcnt_hi_u32_b32 v11, -1, v11
	s_waitcnt vmcnt(0)
	ds_write2_b64 v30, v[6:7], v[8:9] offset1:16
	s_waitcnt lgkmcnt(0)
	; wave barrier
	s_waitcnt lgkmcnt(0)
	ds_read2_b64 v[6:9], v31 offset1:1
	s_load_dword s35, s[4:5], 0x0
	v_and_b32_e32 v12, 15, v11
	v_cmp_eq_u32_e64 s[6:7], 0, v12
	v_cmp_lt_u32_e64 s[8:9], 1, v12
	v_cmp_lt_u32_e64 s[10:11], 3, v12
	;; [unrolled: 1-line block ×3, first 2 shown]
	v_add_u32_e32 v12, -1, v11
	v_and_b32_e32 v13, 0x70, v11
	v_cmp_lt_i32_e32 vcc, v12, v13
	s_movk_i32 s4, 0x80
	v_cndmask_b32_e32 v12, v12, v11, vcc
	v_cmp_gt_u32_e64 s[4:5], s4, v0
	v_lshlrev_b32_e32 v21, 5, v0
	s_mov_b32 s36, 0
	s_mov_b32 s22, -1
	v_cmp_eq_u32_e64 s[14:15], 15, v0
	s_movk_i32 s37, 0x70
	v_lshlrev_b32_e32 v32, 2, v12
	v_cmp_eq_u32_e64 s[16:17], 0, v11
	v_lshlrev_b32_e32 v19, 3, v10
	s_and_b64 vcc, exec, s[24:25]
	v_ashrrev_i32_e32 v35, 31, v3
	v_ashrrev_i32_e32 v34, 31, v5
	v_add_u32_e64 v33, 7, 2
	s_waitcnt lgkmcnt(0)
	; wave barrier
	s_waitcnt lgkmcnt(0)
	s_cbranch_vccz .LBB189_27
; %bb.13:
	v_bfrev_b32_e32 v36, 1
	v_cmp_lt_i64_e32 vcc, -1, v[2:3]
	v_cndmask_b32_e32 v10, -1, v36, vcc
	v_cmp_lt_i64_e32 vcc, -1, v[4:5]
	v_cndmask_b32_e32 v12, -1, v36, vcc
	v_xor_b32_e32 v11, v10, v3
	v_xor_b32_e32 v10, v35, v2
	;; [unrolled: 1-line block ×4, first 2 shown]
	v_and_b32_e32 v37, 14, v33
	v_mov_b32_e32 v38, 0
	s_brev_b32 s23, -2
	v_pk_mov_b32 v[14:15], v[6:7], v[6:7] op_sel:[0,1]
	v_pk_mov_b32 v[16:17], v[8:9], v[8:9] op_sel:[0,1]
	s_branch .LBB189_15
.LBB189_14:                             ;   in Loop: Header=BB189_15 Depth=1
	v_lshlrev_b32_e32 v14, 3, v39
	v_lshlrev_b32_e32 v15, 3, v40
	s_waitcnt lgkmcnt(0)
	; wave barrier
	ds_write_b64 v14, v[28:29]
	ds_write_b64 v15, v[26:27]
	s_waitcnt lgkmcnt(0)
	; wave barrier
	s_waitcnt lgkmcnt(0)
	ds_read2_b64 v[10:13], v19 offset1:1
	s_waitcnt lgkmcnt(0)
	; wave barrier
	s_waitcnt lgkmcnt(0)
	ds_write_b64 v14, v[24:25]
	ds_write_b64 v15, v[22:23]
	s_waitcnt lgkmcnt(0)
	; wave barrier
	s_waitcnt lgkmcnt(0)
	ds_read2_b64 v[14:17], v19 offset1:1
	s_add_i32 s36, s36, 4
	s_waitcnt lgkmcnt(0)
	; wave barrier
	s_waitcnt lgkmcnt(0)
	s_cbranch_execz .LBB189_26
.LBB189_15:                             ; =>This Loop Header: Depth=1
                                        ;     Child Loop BB189_18 Depth 2
	v_pk_mov_b32 v[26:27], v[12:13], v[12:13] op_sel:[0,1]
	v_pk_mov_b32 v[28:29], v[10:11], v[10:11] op_sel:[0,1]
	;; [unrolled: 1-line block ×4, first 2 shown]
	s_and_saveexec_b64 s[24:25], s[4:5]
	s_cbranch_execz .LBB189_22
; %bb.16:                               ;   in Loop: Header=BB189_15 Depth=1
	s_mov_b32 s38, 0
	s_mov_b64 s[26:27], 0
	v_pk_mov_b32 v[10:11], v[0:1], v[0:1] op_sel:[0,1]
	s_branch .LBB189_18
.LBB189_17:                             ;   in Loop: Header=BB189_18 Depth=2
	s_or_b64 exec, exec, s[30:31]
	s_add_i32 s38, s38, 2
	v_cmp_eq_u32_e32 vcc, s38, v37
	v_add_u32_e32 v11, 32, v11
	s_or_b64 s[26:27], vcc, s[26:27]
	v_add_u32_e32 v10, 32, v10
	s_andn2_b64 exec, exec, s[26:27]
	s_cbranch_execz .LBB189_22
.LBB189_18:                             ;   Parent Loop BB189_15 Depth=1
                                        ; =>  This Inner Loop Header: Depth=2
	s_or_b32 s28, s38, 1
	v_cmp_le_u32_e64 s[28:29], s28, 7
	v_cmp_le_u32_e64 s[40:41], s38, 7
	s_and_saveexec_b64 s[30:31], s[40:41]
	s_cbranch_execz .LBB189_20
; %bb.19:                               ;   in Loop: Header=BB189_18 Depth=2
	v_lshlrev_b32_e32 v12, 2, v10
	ds_write_b32 v12, v38
.LBB189_20:                             ;   in Loop: Header=BB189_18 Depth=2
	s_or_b64 exec, exec, s[30:31]
	s_and_saveexec_b64 s[30:31], s[28:29]
	s_cbranch_execz .LBB189_17
; %bb.21:                               ;   in Loop: Header=BB189_18 Depth=2
	v_lshlrev_b32_e32 v12, 2, v11
	ds_write_b32 v12, v38
	s_branch .LBB189_17
.LBB189_22:                             ;   in Loop: Header=BB189_15 Depth=1
	s_or_b64 exec, exec, s[24:25]
	s_sub_i32 s24, 64, s36
	s_min_u32 s24, s35, s24
	v_cmp_ne_u64_e32 vcc, s[22:23], v[28:29]
	s_lshl_b32 s24, -1, s24
	v_cndmask_b32_e32 v11, v36, v29, vcc
	v_cndmask_b32_e32 v10, 0, v28, vcc
	s_not_b32 s24, s24
	v_lshrrev_b64 v[10:11], s36, v[10:11]
	v_and_b32_e32 v10, s24, v10
	v_lshrrev_b32_e32 v11, 3, v10
	v_lshlrev_b32_e32 v10, 4, v10
	v_and_or_b32 v10, v10, s37, v0
	v_lshlrev_b32_e32 v10, 1, v10
	v_add_lshl_u32 v40, v10, v11, 1
	ds_read_u16 v39, v40
	v_cmp_ne_u64_e32 vcc, s[22:23], v[26:27]
	v_cndmask_b32_e32 v11, v36, v27, vcc
	s_waitcnt lgkmcnt(0)
	v_add_u16_e32 v10, 1, v39
	ds_write_b16 v40, v10
	v_cndmask_b32_e32 v10, 0, v26, vcc
	v_lshrrev_b64 v[10:11], s36, v[10:11]
	v_and_b32_e32 v10, s24, v10
	v_lshrrev_b32_e32 v11, 3, v10
	v_lshlrev_b32_e32 v10, 4, v10
	v_and_or_b32 v10, v10, s37, v0
	v_lshlrev_b32_e32 v10, 1, v10
	v_add_lshl_u32 v42, v10, v11, 1
	ds_read_u16 v41, v42
	s_waitcnt lgkmcnt(0)
	v_add_u16_e32 v10, 1, v41
	ds_write_b16 v42, v10
	s_waitcnt lgkmcnt(0)
	; wave barrier
	s_waitcnt lgkmcnt(0)
	ds_read2_b32 v[16:17], v21 offset1:1
	ds_read2_b32 v[14:15], v21 offset0:2 offset1:3
	ds_read2_b32 v[10:11], v21 offset0:4 offset1:5
	;; [unrolled: 1-line block ×3, first 2 shown]
	s_waitcnt lgkmcnt(3)
	v_add_u32_e32 v43, v17, v16
	s_waitcnt lgkmcnt(2)
	v_add3_u32 v43, v43, v14, v15
	s_waitcnt lgkmcnt(1)
	v_add3_u32 v43, v43, v10, v11
	s_waitcnt lgkmcnt(0)
	v_add3_u32 v13, v43, v12, v13
	s_nop 1
	v_mov_b32_dpp v43, v13 row_shr:1 row_mask:0xf bank_mask:0xf
	v_cndmask_b32_e64 v43, v43, 0, s[6:7]
	v_add_u32_e32 v13, v43, v13
	s_nop 1
	v_mov_b32_dpp v43, v13 row_shr:2 row_mask:0xf bank_mask:0xf
	v_cndmask_b32_e64 v43, 0, v43, s[8:9]
	v_add_u32_e32 v13, v13, v43
	;; [unrolled: 4-line block ×4, first 2 shown]
	s_and_saveexec_b64 s[24:25], s[14:15]
	s_cbranch_execz .LBB189_24
; %bb.23:                               ;   in Loop: Header=BB189_15 Depth=1
	ds_write_b32 v38, v13 offset:512
.LBB189_24:                             ;   in Loop: Header=BB189_15 Depth=1
	s_or_b64 exec, exec, s[24:25]
	ds_bpermute_b32 v13, v32, v13
	s_waitcnt lgkmcnt(0)
	; wave barrier
	s_waitcnt lgkmcnt(0)
	ds_read_b32 v43, v38 offset:512
	s_cmp_gt_u32 s36, 59
	v_cndmask_b32_e64 v13, v13, 0, s[16:17]
	s_waitcnt lgkmcnt(0)
	v_lshl_add_u32 v13, v43, 16, v13
	v_add_u32_e32 v16, v13, v16
	v_add_u32_e32 v17, v16, v17
	ds_write2_b32 v21, v13, v16 offset1:1
	v_add_u32_e32 v13, v17, v14
	v_add_u32_e32 v14, v13, v15
	v_add_u32_e32 v10, v14, v10
	v_add_u32_e32 v11, v10, v11
	v_add_u32_e32 v12, v11, v12
	ds_write2_b32 v21, v17, v13 offset0:2 offset1:3
	ds_write2_b32 v21, v14, v10 offset0:4 offset1:5
	;; [unrolled: 1-line block ×3, first 2 shown]
	s_waitcnt lgkmcnt(0)
	; wave barrier
	s_waitcnt lgkmcnt(0)
	ds_read_u16 v10, v40
	ds_read_u16 v11, v42
	s_waitcnt lgkmcnt(1)
	v_add_u32_sdwa v39, v10, v39 dst_sel:DWORD dst_unused:UNUSED_PAD src0_sel:DWORD src1_sel:WORD_0
	s_waitcnt lgkmcnt(0)
	v_add_u32_sdwa v40, v11, v41 dst_sel:DWORD dst_unused:UNUSED_PAD src0_sel:DWORD src1_sel:WORD_0
	s_cbranch_scc0 .LBB189_14
; %bb.25:
                                        ; implicit-def: $vgpr12_vgpr13
                                        ; implicit-def: $vgpr16_vgpr17
                                        ; implicit-def: $sgpr36
.LBB189_26:
	v_lshlrev_b32_e32 v10, 3, v39
	v_lshlrev_b32_e32 v11, 3, v40
	s_waitcnt lgkmcnt(0)
	; wave barrier
	ds_write_b64 v10, v[28:29]
	ds_write_b64 v11, v[26:27]
	s_waitcnt lgkmcnt(0)
	; wave barrier
	s_waitcnt lgkmcnt(0)
	ds_read2_b64 v[14:17], v19 offset1:1
	s_waitcnt lgkmcnt(0)
	; wave barrier
	s_waitcnt lgkmcnt(0)
	ds_write_b64 v10, v[24:25]
	ds_write_b64 v11, v[22:23]
	s_waitcnt lgkmcnt(0)
	; wave barrier
	s_waitcnt lgkmcnt(0)
	ds_read2_b64 v[10:13], v19 offset1:1
	v_bfrev_b32_e32 v22, 1
	v_cmp_lt_i64_e32 vcc, -1, v[14:15]
	v_cndmask_b32_e64 v23, v22, -1, vcc
	v_ashrrev_i32_e32 v24, 31, v15
	v_xor_b32_e32 v15, v23, v15
	v_cmp_lt_i64_e32 vcc, -1, v[16:17]
	v_ashrrev_i32_e32 v23, 31, v17
	v_not_b32_e32 v24, v24
	v_cndmask_b32_e64 v22, v22, -1, vcc
	v_not_b32_e32 v23, v23
	v_xor_b32_e32 v14, v24, v14
	v_xor_b32_e32 v17, v22, v17
	;; [unrolled: 1-line block ×3, first 2 shown]
	s_branch .LBB189_42
.LBB189_27:
                                        ; implicit-def: $vgpr12_vgpr13
                                        ; implicit-def: $vgpr14_vgpr15_vgpr16_vgpr17
	s_cbranch_execz .LBB189_42
; %bb.28:
	v_bfrev_b32_e32 v22, -2
	v_cmp_gt_i64_e32 vcc, 0, v[2:3]
	s_waitcnt lgkmcnt(0)
	v_cndmask_b32_e64 v10, v22, 0, vcc
	v_not_b32_e32 v11, v35
	v_cmp_gt_i64_e32 vcc, 0, v[4:5]
	s_mov_b32 s22, 0
	v_xor_b32_e32 v3, v10, v3
	v_xor_b32_e32 v2, v11, v2
	v_cndmask_b32_e64 v10, v22, 0, vcc
	v_not_b32_e32 v11, v34
	s_brev_b32 s23, 1
	v_xor_b32_e32 v5, v10, v5
	v_xor_b32_e32 v4, v11, v4
	v_and_b32_e32 v23, 14, v33
	v_mov_b32_e32 v24, 0
	s_movk_i32 s36, 0x70
	s_mov_b32 s37, s22
	s_branch .LBB189_30
.LBB189_29:                             ;   in Loop: Header=BB189_30 Depth=1
	v_lshlrev_b32_e32 v6, 3, v25
	v_lshlrev_b32_e32 v7, 3, v26
	s_waitcnt lgkmcnt(0)
	; wave barrier
	ds_write_b64 v6, v[16:17]
	ds_write_b64 v7, v[14:15]
	s_waitcnt lgkmcnt(0)
	; wave barrier
	s_waitcnt lgkmcnt(0)
	ds_read2_b64 v[2:5], v19 offset1:1
	s_waitcnt lgkmcnt(0)
	; wave barrier
	s_waitcnt lgkmcnt(0)
	ds_write_b64 v6, v[12:13]
	ds_write_b64 v7, v[10:11]
	s_waitcnt lgkmcnt(0)
	; wave barrier
	s_waitcnt lgkmcnt(0)
	ds_read2_b64 v[6:9], v19 offset1:1
	s_add_i32 s37, s37, 4
	s_waitcnt lgkmcnt(0)
	; wave barrier
	s_waitcnt lgkmcnt(0)
	s_cbranch_execz .LBB189_41
.LBB189_30:                             ; =>This Loop Header: Depth=1
                                        ;     Child Loop BB189_33 Depth 2
	v_pk_mov_b32 v[14:15], v[4:5], v[4:5] op_sel:[0,1]
	v_pk_mov_b32 v[16:17], v[2:3], v[2:3] op_sel:[0,1]
	;; [unrolled: 1-line block ×4, first 2 shown]
	s_and_saveexec_b64 s[24:25], s[4:5]
	s_cbranch_execz .LBB189_37
; %bb.31:                               ;   in Loop: Header=BB189_30 Depth=1
	s_mov_b32 s38, 0
	s_mov_b64 s[26:27], 0
	v_pk_mov_b32 v[2:3], v[0:1], v[0:1] op_sel:[0,1]
	s_branch .LBB189_33
.LBB189_32:                             ;   in Loop: Header=BB189_33 Depth=2
	s_or_b64 exec, exec, s[30:31]
	s_add_i32 s38, s38, 2
	v_cmp_eq_u32_e32 vcc, s38, v23
	v_add_u32_e32 v3, 32, v3
	s_or_b64 s[26:27], vcc, s[26:27]
	v_add_u32_e32 v2, 32, v2
	s_andn2_b64 exec, exec, s[26:27]
	s_cbranch_execz .LBB189_37
.LBB189_33:                             ;   Parent Loop BB189_30 Depth=1
                                        ; =>  This Inner Loop Header: Depth=2
	s_or_b32 s28, s38, 1
	v_cmp_le_u32_e64 s[28:29], s28, 7
	v_cmp_le_u32_e64 s[40:41], s38, 7
	s_and_saveexec_b64 s[30:31], s[40:41]
	s_cbranch_execz .LBB189_35
; %bb.34:                               ;   in Loop: Header=BB189_33 Depth=2
	v_lshlrev_b32_e32 v4, 2, v2
	ds_write_b32 v4, v24
.LBB189_35:                             ;   in Loop: Header=BB189_33 Depth=2
	s_or_b64 exec, exec, s[30:31]
	s_and_saveexec_b64 s[30:31], s[28:29]
	s_cbranch_execz .LBB189_32
; %bb.36:                               ;   in Loop: Header=BB189_33 Depth=2
	v_lshlrev_b32_e32 v4, 2, v3
	ds_write_b32 v4, v24
	s_branch .LBB189_32
.LBB189_37:                             ;   in Loop: Header=BB189_30 Depth=1
	s_or_b64 exec, exec, s[24:25]
	s_sub_i32 s24, 64, s37
	s_min_u32 s24, s35, s24
	v_cmp_ne_u64_e32 vcc, s[22:23], v[16:17]
	s_lshl_b32 s24, -1, s24
	v_cndmask_b32_e32 v3, v22, v17, vcc
	v_cndmask_b32_e32 v2, -1, v16, vcc
	s_not_b32 s24, s24
	v_lshrrev_b64 v[2:3], s37, v[2:3]
	v_and_b32_e32 v2, s24, v2
	v_lshrrev_b32_e32 v3, 3, v2
	v_lshlrev_b32_e32 v2, 4, v2
	v_and_or_b32 v2, v2, s36, v0
	v_lshlrev_b32_e32 v2, 1, v2
	v_add_lshl_u32 v26, v2, v3, 1
	ds_read_u16 v25, v26
	v_cmp_ne_u64_e32 vcc, s[22:23], v[14:15]
	v_cndmask_b32_e32 v3, v22, v15, vcc
	s_waitcnt lgkmcnt(0)
	v_add_u16_e32 v2, 1, v25
	ds_write_b16 v26, v2
	v_cndmask_b32_e32 v2, -1, v14, vcc
	v_lshrrev_b64 v[2:3], s37, v[2:3]
	v_and_b32_e32 v2, s24, v2
	v_lshrrev_b32_e32 v3, 3, v2
	v_lshlrev_b32_e32 v2, 4, v2
	v_and_or_b32 v2, v2, s36, v0
	v_lshlrev_b32_e32 v2, 1, v2
	v_add_lshl_u32 v28, v2, v3, 1
	ds_read_u16 v27, v28
	s_waitcnt lgkmcnt(0)
	v_add_u16_e32 v2, 1, v27
	ds_write_b16 v28, v2
	s_waitcnt lgkmcnt(0)
	; wave barrier
	s_waitcnt lgkmcnt(0)
	ds_read2_b32 v[8:9], v21 offset1:1
	ds_read2_b32 v[6:7], v21 offset0:2 offset1:3
	ds_read2_b32 v[2:3], v21 offset0:4 offset1:5
	ds_read2_b32 v[4:5], v21 offset0:6 offset1:7
	s_waitcnt lgkmcnt(3)
	v_add_u32_e32 v29, v9, v8
	s_waitcnt lgkmcnt(2)
	v_add3_u32 v29, v29, v6, v7
	s_waitcnt lgkmcnt(1)
	v_add3_u32 v29, v29, v2, v3
	;; [unrolled: 2-line block ×3, first 2 shown]
	s_nop 1
	v_mov_b32_dpp v29, v5 row_shr:1 row_mask:0xf bank_mask:0xf
	v_cndmask_b32_e64 v29, v29, 0, s[6:7]
	v_add_u32_e32 v5, v29, v5
	s_nop 1
	v_mov_b32_dpp v29, v5 row_shr:2 row_mask:0xf bank_mask:0xf
	v_cndmask_b32_e64 v29, 0, v29, s[8:9]
	v_add_u32_e32 v5, v5, v29
	s_nop 1
	v_mov_b32_dpp v29, v5 row_shr:4 row_mask:0xf bank_mask:0xf
	v_cndmask_b32_e64 v29, 0, v29, s[10:11]
	v_add_u32_e32 v5, v5, v29
	s_nop 1
	v_mov_b32_dpp v29, v5 row_shr:8 row_mask:0xf bank_mask:0xf
	v_cndmask_b32_e64 v29, 0, v29, s[12:13]
	v_add_u32_e32 v5, v5, v29
	s_and_saveexec_b64 s[24:25], s[14:15]
	s_cbranch_execz .LBB189_39
; %bb.38:                               ;   in Loop: Header=BB189_30 Depth=1
	ds_write_b32 v24, v5 offset:512
.LBB189_39:                             ;   in Loop: Header=BB189_30 Depth=1
	s_or_b64 exec, exec, s[24:25]
	ds_bpermute_b32 v5, v32, v5
	s_waitcnt lgkmcnt(0)
	; wave barrier
	s_waitcnt lgkmcnt(0)
	ds_read_b32 v29, v24 offset:512
	s_cmp_gt_u32 s37, 59
	v_cndmask_b32_e64 v5, v5, 0, s[16:17]
	s_waitcnt lgkmcnt(0)
	v_lshl_add_u32 v5, v29, 16, v5
	v_add_u32_e32 v8, v5, v8
	v_add_u32_e32 v9, v8, v9
	ds_write2_b32 v21, v5, v8 offset1:1
	v_add_u32_e32 v5, v9, v6
	v_add_u32_e32 v6, v5, v7
	;; [unrolled: 1-line block ×5, first 2 shown]
	ds_write2_b32 v21, v9, v5 offset0:2 offset1:3
	ds_write2_b32 v21, v6, v2 offset0:4 offset1:5
	;; [unrolled: 1-line block ×3, first 2 shown]
	s_waitcnt lgkmcnt(0)
	; wave barrier
	s_waitcnt lgkmcnt(0)
	ds_read_u16 v2, v26
	ds_read_u16 v3, v28
	s_waitcnt lgkmcnt(1)
	v_add_u32_sdwa v25, v2, v25 dst_sel:DWORD dst_unused:UNUSED_PAD src0_sel:DWORD src1_sel:WORD_0
	s_waitcnt lgkmcnt(0)
	v_add_u32_sdwa v26, v3, v27 dst_sel:DWORD dst_unused:UNUSED_PAD src0_sel:DWORD src1_sel:WORD_0
	s_cbranch_scc0 .LBB189_29
; %bb.40:
                                        ; implicit-def: $vgpr4_vgpr5
                                        ; implicit-def: $vgpr8_vgpr9
                                        ; implicit-def: $sgpr37
.LBB189_41:
	v_lshlrev_b32_e32 v4, 3, v25
	v_lshlrev_b32_e32 v5, 3, v26
	s_waitcnt lgkmcnt(0)
	; wave barrier
	ds_write_b64 v4, v[16:17]
	ds_write_b64 v5, v[14:15]
	s_waitcnt lgkmcnt(0)
	; wave barrier
	s_waitcnt lgkmcnt(0)
	ds_read2_b64 v[0:3], v19 offset1:1
	s_waitcnt lgkmcnt(0)
	; wave barrier
	s_waitcnt lgkmcnt(0)
	ds_write_b64 v4, v[12:13]
	ds_write_b64 v5, v[10:11]
	s_waitcnt lgkmcnt(0)
	; wave barrier
	s_waitcnt lgkmcnt(0)
	ds_read2_b64 v[10:13], v19 offset1:1
	v_bfrev_b32_e32 v4, -2
	v_cmp_gt_i64_e32 vcc, 0, v[0:1]
	v_cndmask_b32_e64 v5, v4, 0, vcc
	v_ashrrev_i32_e32 v6, 31, v1
	v_not_b32_e32 v6, v6
	v_xor_b32_e32 v15, v5, v1
	v_cmp_gt_i64_e32 vcc, 0, v[2:3]
	v_ashrrev_i32_e32 v1, 31, v3
	v_xor_b32_e32 v14, v6, v0
	v_cndmask_b32_e64 v0, v4, 0, vcc
	v_not_b32_e32 v1, v1
	v_xor_b32_e32 v17, v0, v3
	v_xor_b32_e32 v16, v1, v2
.LBB189_42:
	s_waitcnt lgkmcnt(0)
	; wave barrier
	s_waitcnt lgkmcnt(0)
	ds_write2_b64 v31, v[14:15], v[16:17] offset1:1
	s_waitcnt lgkmcnt(0)
	; wave barrier
	s_waitcnt lgkmcnt(0)
	ds_read_b64 v[0:1], v30 offset:128
	v_mov_b32_e32 v19, 0
	v_lshlrev_b64 v[2:3], 3, v[18:19]
	v_mov_b32_e32 v4, s21
	v_add_co_u32_e32 v2, vcc, s19, v2
	v_addc_co_u32_e32 v3, vcc, v4, v3, vcc
	s_and_saveexec_b64 s[4:5], s[0:1]
	s_cbranch_execz .LBB189_44
; %bb.43:
	ds_read_b64 v[4:5], v30
	s_waitcnt lgkmcnt(0)
	global_store_dwordx2 v[2:3], v[4:5], off
.LBB189_44:
	s_or_b64 exec, exec, s[4:5]
	s_and_saveexec_b64 s[4:5], s[2:3]
	s_cbranch_execz .LBB189_46
; %bb.45:
	s_lshl_b32 s6, s18, 4
	s_mov_b32 s7, 0
	s_lshl_b64 s[6:7], s[6:7], 3
	v_mov_b32_e32 v4, s7
	v_add_co_u32_e32 v2, vcc, s6, v2
	v_addc_co_u32_e32 v3, vcc, v3, v4, vcc
	s_waitcnt lgkmcnt(0)
	global_store_dwordx2 v[2:3], v[0:1], off
.LBB189_46:
	s_or_b64 exec, exec, s[4:5]
	s_waitcnt lgkmcnt(0)
	; wave barrier
	s_waitcnt lgkmcnt(0)
	ds_write2_b64 v31, v[10:11], v[12:13] offset1:1
	s_waitcnt lgkmcnt(0)
	; wave barrier
	s_waitcnt lgkmcnt(0)
	ds_read_b64 v[0:1], v30 offset:128
	v_mov_b32_e32 v21, 0
	v_lshlrev_b64 v[2:3], 3, v[20:21]
	v_mov_b32_e32 v4, s34
	v_add_co_u32_e32 v2, vcc, s33, v2
	v_addc_co_u32_e32 v3, vcc, v4, v3, vcc
	s_and_saveexec_b64 s[4:5], s[0:1]
	s_cbranch_execz .LBB189_48
; %bb.47:
	ds_read_b64 v[4:5], v30
	s_waitcnt lgkmcnt(0)
	global_store_dwordx2 v[2:3], v[4:5], off
.LBB189_48:
	s_or_b64 exec, exec, s[4:5]
	s_and_saveexec_b64 s[0:1], s[2:3]
	s_cbranch_execz .LBB189_50
; %bb.49:
	s_lshl_b32 s0, s20, 4
	s_mov_b32 s1, 0
	s_lshl_b64 s[0:1], s[0:1], 3
	v_mov_b32_e32 v4, s1
	v_add_co_u32_e32 v2, vcc, s0, v2
	v_addc_co_u32_e32 v3, vcc, v3, v4, vcc
	s_waitcnt lgkmcnt(0)
	global_store_dwordx2 v[2:3], v[0:1], off
.LBB189_50:
	s_endpgm
	.section	.rodata,"a",@progbits
	.p2align	6, 0x0
	.amdhsa_kernel _ZN2at6native18radixSortKVInPlaceILi2ELin1ELi16ELi2EdljEEvNS_4cuda6detail10TensorInfoIT3_T5_EES6_S6_S6_NS4_IT4_S6_EES6_b
		.amdhsa_group_segment_fixed_size 528
		.amdhsa_private_segment_fixed_size 0
		.amdhsa_kernarg_size 712
		.amdhsa_user_sgpr_count 6
		.amdhsa_user_sgpr_private_segment_buffer 1
		.amdhsa_user_sgpr_dispatch_ptr 0
		.amdhsa_user_sgpr_queue_ptr 0
		.amdhsa_user_sgpr_kernarg_segment_ptr 1
		.amdhsa_user_sgpr_dispatch_id 0
		.amdhsa_user_sgpr_flat_scratch_init 0
		.amdhsa_user_sgpr_kernarg_preload_length 0
		.amdhsa_user_sgpr_kernarg_preload_offset 0
		.amdhsa_user_sgpr_private_segment_size 0
		.amdhsa_uses_dynamic_stack 0
		.amdhsa_system_sgpr_private_segment_wavefront_offset 0
		.amdhsa_system_sgpr_workgroup_id_x 1
		.amdhsa_system_sgpr_workgroup_id_y 1
		.amdhsa_system_sgpr_workgroup_id_z 1
		.amdhsa_system_sgpr_workgroup_info 0
		.amdhsa_system_vgpr_workitem_id 0
		.amdhsa_next_free_vgpr 44
		.amdhsa_next_free_sgpr 42
		.amdhsa_accum_offset 44
		.amdhsa_reserve_vcc 1
		.amdhsa_reserve_flat_scratch 0
		.amdhsa_float_round_mode_32 0
		.amdhsa_float_round_mode_16_64 0
		.amdhsa_float_denorm_mode_32 3
		.amdhsa_float_denorm_mode_16_64 3
		.amdhsa_dx10_clamp 1
		.amdhsa_ieee_mode 1
		.amdhsa_fp16_overflow 0
		.amdhsa_tg_split 0
		.amdhsa_exception_fp_ieee_invalid_op 0
		.amdhsa_exception_fp_denorm_src 0
		.amdhsa_exception_fp_ieee_div_zero 0
		.amdhsa_exception_fp_ieee_overflow 0
		.amdhsa_exception_fp_ieee_underflow 0
		.amdhsa_exception_fp_ieee_inexact 0
		.amdhsa_exception_int_div_zero 0
	.end_amdhsa_kernel
	.section	.text._ZN2at6native18radixSortKVInPlaceILi2ELin1ELi16ELi2EdljEEvNS_4cuda6detail10TensorInfoIT3_T5_EES6_S6_S6_NS4_IT4_S6_EES6_b,"axG",@progbits,_ZN2at6native18radixSortKVInPlaceILi2ELin1ELi16ELi2EdljEEvNS_4cuda6detail10TensorInfoIT3_T5_EES6_S6_S6_NS4_IT4_S6_EES6_b,comdat
.Lfunc_end189:
	.size	_ZN2at6native18radixSortKVInPlaceILi2ELin1ELi16ELi2EdljEEvNS_4cuda6detail10TensorInfoIT3_T5_EES6_S6_S6_NS4_IT4_S6_EES6_b, .Lfunc_end189-_ZN2at6native18radixSortKVInPlaceILi2ELin1ELi16ELi2EdljEEvNS_4cuda6detail10TensorInfoIT3_T5_EES6_S6_S6_NS4_IT4_S6_EES6_b
                                        ; -- End function
	.section	.AMDGPU.csdata,"",@progbits
; Kernel info:
; codeLenInByte = 3372
; NumSgprs: 46
; NumVgprs: 44
; NumAgprs: 0
; TotalNumVgprs: 44
; ScratchSize: 0
; MemoryBound: 0
; FloatMode: 240
; IeeeMode: 1
; LDSByteSize: 528 bytes/workgroup (compile time only)
; SGPRBlocks: 5
; VGPRBlocks: 5
; NumSGPRsForWavesPerEU: 46
; NumVGPRsForWavesPerEU: 44
; AccumOffset: 44
; Occupancy: 8
; WaveLimiterHint : 1
; COMPUTE_PGM_RSRC2:SCRATCH_EN: 0
; COMPUTE_PGM_RSRC2:USER_SGPR: 6
; COMPUTE_PGM_RSRC2:TRAP_HANDLER: 0
; COMPUTE_PGM_RSRC2:TGID_X_EN: 1
; COMPUTE_PGM_RSRC2:TGID_Y_EN: 1
; COMPUTE_PGM_RSRC2:TGID_Z_EN: 1
; COMPUTE_PGM_RSRC2:TIDIG_COMP_CNT: 0
; COMPUTE_PGM_RSRC3_GFX90A:ACCUM_OFFSET: 10
; COMPUTE_PGM_RSRC3_GFX90A:TG_SPLIT: 0
	.section	.text._ZN2at6native18radixSortKVInPlaceILin1ELin1ELi512ELi8EdljEEvNS_4cuda6detail10TensorInfoIT3_T5_EES6_S6_S6_NS4_IT4_S6_EES6_b,"axG",@progbits,_ZN2at6native18radixSortKVInPlaceILin1ELin1ELi512ELi8EdljEEvNS_4cuda6detail10TensorInfoIT3_T5_EES6_S6_S6_NS4_IT4_S6_EES6_b,comdat
	.protected	_ZN2at6native18radixSortKVInPlaceILin1ELin1ELi512ELi8EdljEEvNS_4cuda6detail10TensorInfoIT3_T5_EES6_S6_S6_NS4_IT4_S6_EES6_b ; -- Begin function _ZN2at6native18radixSortKVInPlaceILin1ELin1ELi512ELi8EdljEEvNS_4cuda6detail10TensorInfoIT3_T5_EES6_S6_S6_NS4_IT4_S6_EES6_b
	.globl	_ZN2at6native18radixSortKVInPlaceILin1ELin1ELi512ELi8EdljEEvNS_4cuda6detail10TensorInfoIT3_T5_EES6_S6_S6_NS4_IT4_S6_EES6_b
	.p2align	8
	.type	_ZN2at6native18radixSortKVInPlaceILin1ELin1ELi512ELi8EdljEEvNS_4cuda6detail10TensorInfoIT3_T5_EES6_S6_S6_NS4_IT4_S6_EES6_b,@function
_ZN2at6native18radixSortKVInPlaceILin1ELin1ELi512ELi8EdljEEvNS_4cuda6detail10TensorInfoIT3_T5_EES6_S6_S6_NS4_IT4_S6_EES6_b: ; @_ZN2at6native18radixSortKVInPlaceILin1ELin1ELi512ELi8EdljEEvNS_4cuda6detail10TensorInfoIT3_T5_EES6_S6_S6_NS4_IT4_S6_EES6_b
; %bb.0:
	s_load_dwordx2 s[0:1], s[4:5], 0x1c8
	s_load_dwordx4 s[48:51], s[4:5], 0xd8
	s_add_u32 s54, s4, 0x1c8
	s_addc_u32 s55, s5, 0
	s_waitcnt lgkmcnt(0)
	s_mul_i32 s1, s1, s8
	s_add_i32 s1, s1, s7
	s_mul_i32 s0, s1, s0
	s_add_i32 s26, s0, s6
	s_cmp_ge_u32 s26, s48
	s_cbranch_scc1 .LBB190_113
; %bb.1:
	s_load_dword s2, s[4:5], 0xd0
	s_mov_b32 s1, 0
	s_mov_b32 s0, s26
	s_waitcnt lgkmcnt(0)
	s_cmp_lt_i32 s2, 2
	s_cbranch_scc1 .LBB190_4
; %bb.2:
	s_add_i32 s0, s2, -1
	s_add_i32 s6, s2, 1
	s_lshl_b64 s[2:3], s[0:1], 2
	s_add_u32 s0, s2, s4
	s_addc_u32 s3, s3, s5
	s_add_u32 s2, s0, 8
	s_addc_u32 s3, s3, 0
	s_mov_b32 s0, s26
.LBB190_3:                              ; =>This Inner Loop Header: Depth=1
	s_load_dword s7, s[2:3], 0x0
	s_load_dword s9, s[2:3], 0x64
	s_mov_b32 s8, s0
	s_waitcnt lgkmcnt(0)
	v_cvt_f32_u32_e32 v1, s7
	s_sub_i32 s0, 0, s7
	v_rcp_iflag_f32_e32 v1, v1
	v_mul_f32_e32 v1, 0x4f7ffffe, v1
	v_cvt_u32_f32_e32 v1, v1
	v_readfirstlane_b32 s10, v1
	s_mul_i32 s0, s0, s10
	s_mul_hi_u32 s0, s10, s0
	s_add_i32 s10, s10, s0
	s_mul_hi_u32 s0, s8, s10
	s_mul_i32 s10, s0, s7
	s_sub_i32 s10, s8, s10
	s_add_i32 s11, s0, 1
	s_sub_i32 s12, s10, s7
	s_cmp_ge_u32 s10, s7
	s_cselect_b32 s0, s11, s0
	s_cselect_b32 s10, s12, s10
	s_add_i32 s11, s0, 1
	s_cmp_ge_u32 s10, s7
	s_cselect_b32 s0, s11, s0
	s_mul_i32 s7, s0, s7
	s_sub_i32 s7, s8, s7
	s_mul_i32 s7, s9, s7
	s_add_i32 s6, s6, -1
	s_add_i32 s1, s7, s1
	s_add_u32 s2, s2, -4
	s_addc_u32 s3, s3, -1
	s_cmp_gt_u32 s6, 2
	s_cbranch_scc1 .LBB190_3
.LBB190_4:
	s_load_dword s2, s[4:5], 0x1b8
	s_mov_b32 s25, 0
	s_waitcnt lgkmcnt(0)
	s_cmp_lt_i32 s2, 2
	s_cbranch_scc1 .LBB190_7
; %bb.5:
	s_add_i32 s24, s2, -1
	s_add_i32 s6, s2, 1
	s_lshl_b64 s[2:3], s[24:25], 2
	s_add_u32 s2, s2, s4
	s_addc_u32 s3, s3, s5
	s_add_u32 s2, s2, 0xf0
	s_addc_u32 s3, s3, 0
.LBB190_6:                              ; =>This Inner Loop Header: Depth=1
	s_load_dword s7, s[2:3], 0x0
	s_load_dword s9, s[2:3], 0x64
	s_mov_b32 s8, s26
	s_waitcnt lgkmcnt(0)
	v_cvt_f32_u32_e32 v1, s7
	s_sub_i32 s10, 0, s7
	v_rcp_iflag_f32_e32 v1, v1
	v_mul_f32_e32 v1, 0x4f7ffffe, v1
	v_cvt_u32_f32_e32 v1, v1
	v_readfirstlane_b32 s11, v1
	s_mul_i32 s10, s10, s11
	s_mul_hi_u32 s10, s11, s10
	s_add_i32 s11, s11, s10
	s_mul_hi_u32 s10, s26, s11
	s_mul_i32 s11, s10, s7
	s_sub_i32 s11, s26, s11
	s_add_i32 s12, s10, 1
	s_sub_i32 s13, s11, s7
	s_cmp_ge_u32 s11, s7
	s_cselect_b32 s10, s12, s10
	s_cselect_b32 s11, s13, s11
	s_add_i32 s12, s10, 1
	s_cmp_ge_u32 s11, s7
	s_cselect_b32 s26, s12, s10
	s_mul_i32 s7, s26, s7
	s_sub_i32 s7, s8, s7
	s_mul_i32 s7, s9, s7
	s_add_i32 s6, s6, -1
	s_add_i32 s25, s7, s25
	s_add_u32 s2, s2, -4
	s_addc_u32 s3, s3, -1
	s_cmp_gt_u32 s6, 2
	s_cbranch_scc1 .LBB190_6
.LBB190_7:
	s_load_dword s2, s[4:5], 0x6c
	s_load_dwordx2 s[52:53], s[4:5], 0x1c0
	s_mov_b32 s8, -1
	v_and_b32_e32 v70, 0x3ff, v0
	s_mov_b32 s10, s8
	s_waitcnt lgkmcnt(0)
	s_mul_i32 s0, s2, s0
	s_load_dwordx2 s[2:3], s[4:5], 0x0
	s_add_i32 s0, s0, s1
	s_bitcmp1_b32 s53, 0
	s_cselect_b64 s[34:35], -1, 0
	s_and_b64 s[6:7], s[34:35], exec
	s_mov_b32 s1, 0
	s_cselect_b32 s9, -1, 0x7fffffff
	s_lshl_b64 s[0:1], s[0:1], 3
	s_waitcnt lgkmcnt(0)
	s_add_u32 s33, s2, s0
	s_mov_b32 s11, s9
	s_mov_b32 s12, s8
	s_mov_b32 s13, s9
	s_mov_b32 s14, s8
	s_mov_b32 s15, s9
	s_mov_b32 s16, s8
	s_mov_b32 s17, s9
	s_mov_b32 s18, s8
	s_mov_b32 s19, s9
	s_mov_b32 s20, s8
	s_mov_b32 s21, s9
	s_mov_b32 s22, s8
	s_mov_b32 s23, s9
	v_pk_mov_b32 v[2:3], s[8:9], s[8:9] op_sel:[0,1]
	s_addc_u32 s51, s3, s1
	v_cmp_gt_u32_e64 s[0:1], s49, v70
	v_pk_mov_b32 v[4:5], s[10:11], s[10:11] op_sel:[0,1]
	v_pk_mov_b32 v[6:7], s[12:13], s[12:13] op_sel:[0,1]
	;; [unrolled: 1-line block ×8, first 2 shown]
	v_mul_lo_u32 v66, v70, s50
	s_and_saveexec_b64 s[2:3], s[0:1]
	s_cbranch_execz .LBB190_9
; %bb.8:
	v_mov_b32_e32 v67, 0
	v_lshlrev_b64 v[2:3], 3, v[66:67]
	v_mov_b32_e32 v1, s51
	v_add_co_u32_e32 v2, vcc, s33, v2
	v_addc_co_u32_e32 v3, vcc, v1, v3, vcc
	global_load_dwordx2 v[18:19], v[2:3], off
	v_pk_mov_b32 v[2:3], s[8:9], s[8:9] op_sel:[0,1]
	v_pk_mov_b32 v[4:5], s[10:11], s[10:11] op_sel:[0,1]
	;; [unrolled: 1-line block ×8, first 2 shown]
.LBB190_9:
	s_or_b64 exec, exec, s[2:3]
	v_add_u32_e32 v1, 0x200, v70
	v_cmp_gt_u32_e64 s[2:3], s49, v1
	s_and_saveexec_b64 s[6:7], s[2:3]
	s_cbranch_execz .LBB190_11
; %bb.10:
	v_mul_lo_u32 v2, v1, s50
	v_mov_b32_e32 v3, 0
	v_lshlrev_b64 v[2:3], 3, v[2:3]
	v_mov_b32_e32 v4, s51
	v_add_co_u32_e32 v2, vcc, s33, v2
	v_addc_co_u32_e32 v3, vcc, v4, v3, vcc
	global_load_dwordx2 v[4:5], v[2:3], off
.LBB190_11:
	s_or_b64 exec, exec, s[6:7]
	v_or_b32_e32 v34, 0x400, v70
	v_cmp_gt_u32_e64 s[46:47], s49, v34
	s_and_saveexec_b64 s[6:7], s[46:47]
	s_cbranch_execz .LBB190_13
; %bb.12:
	v_mul_lo_u32 v2, v34, s50
	v_mov_b32_e32 v3, 0
	v_lshlrev_b64 v[2:3], 3, v[2:3]
	v_mov_b32_e32 v6, s51
	v_add_co_u32_e32 v2, vcc, s33, v2
	v_addc_co_u32_e32 v3, vcc, v6, v3, vcc
	global_load_dwordx2 v[6:7], v[2:3], off
.LBB190_13:
	s_or_b64 exec, exec, s[6:7]
	v_add_u32_e32 v35, 0x600, v70
	v_cmp_gt_u32_e64 s[6:7], s49, v35
	s_and_saveexec_b64 s[8:9], s[6:7]
	s_cbranch_execz .LBB190_15
; %bb.14:
	v_mul_lo_u32 v2, v35, s50
	v_mov_b32_e32 v3, 0
	v_lshlrev_b64 v[2:3], 3, v[2:3]
	v_mov_b32_e32 v8, s51
	v_add_co_u32_e32 v2, vcc, s33, v2
	v_addc_co_u32_e32 v3, vcc, v8, v3, vcc
	global_load_dwordx2 v[8:9], v[2:3], off
.LBB190_15:
	s_or_b64 exec, exec, s[8:9]
	v_or_b32_e32 v36, 0x800, v70
	v_cmp_gt_u32_e64 s[8:9], s49, v36
	s_and_saveexec_b64 s[10:11], s[8:9]
	s_cbranch_execz .LBB190_17
; %bb.16:
	v_mul_lo_u32 v2, v36, s50
	v_mov_b32_e32 v3, 0
	v_lshlrev_b64 v[2:3], 3, v[2:3]
	v_mov_b32_e32 v10, s51
	v_add_co_u32_e32 v2, vcc, s33, v2
	v_addc_co_u32_e32 v3, vcc, v10, v3, vcc
	global_load_dwordx2 v[10:11], v[2:3], off
.LBB190_17:
	s_or_b64 exec, exec, s[10:11]
	v_add_u32_e32 v37, 0xa00, v70
	v_cmp_gt_u32_e64 s[10:11], s49, v37
	s_and_saveexec_b64 s[12:13], s[10:11]
	s_cbranch_execz .LBB190_19
; %bb.18:
	v_mul_lo_u32 v2, v37, s50
	v_mov_b32_e32 v3, 0
	v_lshlrev_b64 v[2:3], 3, v[2:3]
	v_mov_b32_e32 v12, s51
	v_add_co_u32_e32 v2, vcc, s33, v2
	v_addc_co_u32_e32 v3, vcc, v12, v3, vcc
	global_load_dwordx2 v[12:13], v[2:3], off
.LBB190_19:
	s_or_b64 exec, exec, s[12:13]
	s_load_dwordx2 s[18:19], s[4:5], 0xe8
	v_or_b32_e32 v38, 0xc00, v70
	v_cmp_gt_u32_e64 s[12:13], s49, v38
	s_and_saveexec_b64 s[14:15], s[12:13]
	s_cbranch_execz .LBB190_21
; %bb.20:
	v_mul_lo_u32 v2, v38, s50
	v_mov_b32_e32 v3, 0
	v_lshlrev_b64 v[2:3], 3, v[2:3]
	v_mov_b32_e32 v14, s51
	v_add_co_u32_e32 v2, vcc, s33, v2
	v_addc_co_u32_e32 v3, vcc, v14, v3, vcc
	global_load_dwordx2 v[14:15], v[2:3], off
.LBB190_21:
	s_or_b64 exec, exec, s[14:15]
	s_load_dword s16, s[4:5], 0x154
	v_add_u32_e32 v39, 0xe00, v70
	v_cmp_gt_u32_e64 s[14:15], s49, v39
	s_and_saveexec_b64 s[4:5], s[14:15]
	s_cbranch_execz .LBB190_23
; %bb.22:
	v_mul_lo_u32 v2, v39, s50
	v_mov_b32_e32 v3, 0
	v_lshlrev_b64 v[2:3], 3, v[2:3]
	v_mov_b32_e32 v16, s51
	v_add_co_u32_e32 v2, vcc, s33, v2
	v_addc_co_u32_e32 v3, vcc, v16, v3, vcc
	global_load_dwordx2 v[16:17], v[2:3], off
.LBB190_23:
	s_or_b64 exec, exec, s[4:5]
	v_lshrrev_b32_e32 v2, 5, v70
	v_add_lshl_u32 v71, v2, v70, 3
	v_lshrrev_b32_e32 v2, 5, v1
	v_add_lshl_u32 v104, v2, v70, 3
	;; [unrolled: 2-line block ×8, first 2 shown]
	v_lshlrev_b32_e32 v67, 3, v70
	v_lshrrev_b32_e32 v2, 2, v70
	v_add_lshl_u32 v111, v2, v67, 3
	s_waitcnt vmcnt(0)
	ds_write_b64 v71, v[18:19]
	ds_write_b64 v104, v[4:5] offset:4096
	ds_write_b64 v105, v[6:7] offset:8192
	ds_write_b64 v106, v[8:9] offset:12288
	ds_write_b64 v107, v[10:11] offset:16384
	ds_write_b64 v108, v[12:13] offset:20480
	ds_write_b64 v109, v[14:15] offset:24576
	ds_write_b64 v110, v[16:17] offset:28672
	s_waitcnt lgkmcnt(0)
	s_barrier
	ds_read2_b64 v[30:33], v111 offset1:1
	ds_read2_b64 v[26:29], v111 offset0:2 offset1:3
	ds_read2_b64 v[22:25], v111 offset0:4 offset1:5
	;; [unrolled: 1-line block ×3, first 2 shown]
	s_mul_i32 s4, s16, s26
	s_add_i32 s16, s4, s25
	s_mov_b32 s17, 0
	s_lshl_b64 s[4:5], s[16:17], 3
	s_add_u32 s53, s18, s4
	s_mov_b32 s16, s17
	s_addc_u32 s58, s19, s5
	s_mov_b32 s18, s17
	s_mov_b32 s19, s17
	s_mov_b32 s20, s17
	s_mov_b32 s21, s17
	s_mov_b32 s22, s17
	s_mov_b32 s23, s17
	s_mov_b32 s24, s17
	s_mov_b32 s25, s17
	s_mov_b32 s26, s17
	s_mov_b32 s27, s17
	s_mov_b32 s28, s17
	s_mov_b32 s29, s17
	s_mov_b32 s30, s17
	s_mov_b32 s31, s17
	v_pk_mov_b32 v[2:3], s[16:17], s[16:17] op_sel:[0,1]
	v_pk_mov_b32 v[4:5], s[18:19], s[18:19] op_sel:[0,1]
	;; [unrolled: 1-line block ×8, first 2 shown]
	v_pk_mov_b32 v[2:3], 0, 0
	v_mul_lo_u32 v68, v70, s52
	s_waitcnt lgkmcnt(0)
	s_barrier
	s_and_saveexec_b64 s[4:5], s[0:1]
	s_cbranch_execnz .LBB190_60
; %bb.24:
	s_or_b64 exec, exec, s[4:5]
	s_and_saveexec_b64 s[4:5], s[2:3]
	s_cbranch_execnz .LBB190_61
.LBB190_25:
	s_or_b64 exec, exec, s[4:5]
	s_and_saveexec_b64 s[4:5], s[46:47]
	s_cbranch_execnz .LBB190_62
.LBB190_26:
	s_or_b64 exec, exec, s[4:5]
	s_and_saveexec_b64 s[4:5], s[6:7]
	s_cbranch_execnz .LBB190_63
.LBB190_27:
	s_or_b64 exec, exec, s[4:5]
	s_and_saveexec_b64 s[4:5], s[8:9]
	s_cbranch_execnz .LBB190_64
.LBB190_28:
	s_or_b64 exec, exec, s[4:5]
	s_and_saveexec_b64 s[4:5], s[10:11]
	s_cbranch_execnz .LBB190_65
.LBB190_29:
	s_or_b64 exec, exec, s[4:5]
	s_and_saveexec_b64 s[4:5], s[12:13]
	s_cbranch_execnz .LBB190_66
.LBB190_30:
	s_or_b64 exec, exec, s[4:5]
	s_xor_b64 s[4:5], s[34:35], -1
	s_and_saveexec_b64 s[16:17], s[14:15]
	s_cbranch_execz .LBB190_32
.LBB190_31:
	v_mul_lo_u32 v16, v39, s52
	v_mov_b32_e32 v17, 0
	v_lshlrev_b64 v[16:17], 3, v[16:17]
	v_mov_b32_e32 v1, s58
	v_add_co_u32_e32 v16, vcc, s53, v16
	v_addc_co_u32_e32 v17, vcc, v1, v17, vcc
	global_load_dwordx2 v[16:17], v[16:17], off
.LBB190_32:
	s_or_b64 exec, exec, s[16:17]
	s_waitcnt vmcnt(0)
	ds_write_b64 v71, v[2:3]
	ds_write_b64 v104, v[4:5] offset:4096
	ds_write_b64 v105, v[6:7] offset:8192
	;; [unrolled: 1-line block ×7, first 2 shown]
	s_waitcnt lgkmcnt(0)
	s_barrier
	ds_read2_b64 v[46:49], v111 offset1:1
	ds_read2_b64 v[42:45], v111 offset0:2 offset1:3
	ds_read2_b64 v[38:41], v111 offset0:4 offset1:5
	;; [unrolled: 1-line block ×3, first 2 shown]
	s_and_b64 vcc, exec, s[4:5]
	v_bfe_u32 v114, v0, 10, 10
	v_bfe_u32 v115, v0, 20, 10
	v_ashrrev_i32_e32 v124, 31, v31
	v_ashrrev_i32_e32 v123, 31, v33
	;; [unrolled: 1-line block ×8, first 2 shown]
	v_mbcnt_lo_u32_b32 v116, -1, 0
	v_lshlrev_b32_e32 v69, 2, v70
	v_lshlrev_b32_e32 v112, 4, v70
	v_cmp_gt_u32_e64 s[16:17], 8, v70
	v_cmp_lt_u32_e64 s[18:19], 63, v70
	v_cmp_eq_u32_e64 s[20:21], 0, v70
	v_lshrrev_b32_e32 v113, 4, v70
	s_waitcnt lgkmcnt(0)
	s_barrier
	s_cbranch_vccz .LBB190_67
; %bb.33:
	v_bfrev_b32_e32 v125, 1
	v_cmp_lt_i64_e32 vcc, -1, v[30:31]
	v_cndmask_b32_e32 v0, -1, v125, vcc
	v_cmp_lt_i64_e32 vcc, -1, v[32:33]
	v_cndmask_b32_e32 v2, -1, v125, vcc
	;; [unrolled: 2-line block ×7, first 2 shown]
	v_cmp_lt_i64_e32 vcc, -1, v[20:21]
	v_mbcnt_hi_u32_b32 v72, -1, v116
	v_and_b32_e32 v73, 0x3c0, v70
	v_xor_b32_e32 v1, v0, v31
	v_xor_b32_e32 v0, v124, v30
	;; [unrolled: 1-line block ×4, first 2 shown]
	v_cndmask_b32_e32 v14, -1, v125, vcc
	v_add_lshl_u32 v16, v72, v73, 6
	v_and_b32_e32 v74, 0x1e00, v67
	v_xor_b32_e32 v5, v4, v27
	v_xor_b32_e32 v4, v122, v26
	;; [unrolled: 1-line block ×12, first 2 shown]
	ds_write2_b64 v16, v[0:1], v[2:3] offset1:1
	ds_write2_b64 v16, v[4:5], v[6:7] offset0:2 offset1:3
	ds_write2_b64 v16, v[8:9], v[10:11] offset0:4 offset1:5
	;; [unrolled: 1-line block ×3, first 2 shown]
	v_or_b32_e32 v0, v72, v74
	v_lshlrev_b32_e32 v17, 3, v0
	; wave barrier
	ds_read2st64_b64 v[0:3], v17 offset1:1
	ds_read2st64_b64 v[4:7], v17 offset0:2 offset1:3
	ds_read2st64_b64 v[8:11], v17 offset0:4 offset1:5
	;; [unrolled: 1-line block ×3, first 2 shown]
	; wave barrier
	ds_write2_b64 v16, v[46:47], v[48:49] offset1:1
	ds_write2_b64 v16, v[42:43], v[44:45] offset0:2 offset1:3
	ds_write2_b64 v16, v[38:39], v[40:41] offset0:4 offset1:5
	ds_write2_b64 v16, v[34:35], v[36:37] offset0:6 offset1:7
	; wave barrier
	ds_read2st64_b64 v[50:53], v17 offset1:1
	ds_read2st64_b64 v[54:57], v17 offset0:2 offset1:3
	ds_read2st64_b64 v[58:61], v17 offset0:4 offset1:5
	;; [unrolled: 1-line block ×3, first 2 shown]
	s_waitcnt lgkmcnt(0)
	s_barrier
	s_load_dword s22, s[54:55], 0xc
	s_getpc_b64 s[4:5]
	s_add_u32 s4, s4, _ZN7rocprim17ROCPRIM_400000_NS16block_radix_sortIdLj512ELj8ElLj1ELj1ELj0ELNS0_26block_radix_rank_algorithmE1ELNS0_18block_padding_hintE2ELNS0_4arch9wavefront6targetE1EE19radix_bits_per_passE@rel32@lo+4
	s_addc_u32 s5, s5, _ZN7rocprim17ROCPRIM_400000_NS16block_radix_sortIdLj512ELj8ElLj1ELj1ELj0ELNS0_26block_radix_rank_algorithmE1ELNS0_18block_padding_hintE2ELNS0_4arch9wavefront6targetE1EE19radix_bits_per_passE@rel32@hi+12
	s_load_dword s59, s[4:5], 0x0
	s_mov_b32 s48, -1
	v_and_b32_e32 v129, 60, v113
	s_waitcnt lgkmcnt(0)
	s_lshr_b32 s4, s22, 16
	s_and_b32 s5, s22, 0xffff
	v_mad_u32_u24 v16, v115, s4, v114
	v_mad_u64_u32 v[16:17], s[4:5], v16, s5, v[70:71]
	v_lshrrev_b32_e32 v127, 6, v16
	v_and_b32_e32 v16, 15, v72
	v_cmp_eq_u32_e64 s[22:23], 0, v16
	v_cmp_lt_u32_e64 s[24:25], 1, v16
	v_cmp_lt_u32_e64 s[26:27], 3, v16
	;; [unrolled: 1-line block ×3, first 2 shown]
	v_and_b32_e32 v16, 16, v72
	v_cmp_eq_u32_e64 s[30:31], 0, v16
	v_min_u32_e32 v16, 0x1c0, v73
	v_or_b32_e32 v16, 63, v16
	v_cmp_eq_u32_e64 s[36:37], v16, v70
	v_add_u32_e32 v16, -1, v72
	v_and_b32_e32 v17, 64, v72
	v_cmp_lt_i32_e32 vcc, v16, v17
	v_cndmask_b32_e32 v16, v16, v72, vcc
	v_lshlrev_b32_e32 v128, 2, v16
	v_and_b32_e32 v16, 7, v72
	v_cmp_eq_u32_e64 s[40:41], 0, v16
	v_cmp_lt_u32_e64 s[42:43], 1, v16
	v_cmp_lt_u32_e64 s[44:45], 3, v16
	v_and_or_b32 v16, v72, 63, v74
	s_brev_b32 s49, -2
	v_add_u32_e32 v126, 32, v112
	v_cmp_lt_u32_e64 s[34:35], 31, v72
	s_mov_b32 s60, 64
	v_cmp_eq_u32_e64 s[38:39], 0, v72
	v_add_u32_e32 v130, -4, v129
	v_lshlrev_b32_e32 v131, 3, v16
	s_mov_b64 s[56:57], 0
	v_mov_b32_e32 v86, 0
	s_branch .LBB190_35
.LBB190_34:                             ;   in Loop: Header=BB190_35 Depth=1
	v_lshlrev_b32_e32 v50, 3, v138
	v_lshlrev_b32_e32 v51, 3, v137
	;; [unrolled: 1-line block ×8, first 2 shown]
	s_barrier
	ds_write_b64 v50, v[102:103]
	ds_write_b64 v51, v[100:101]
	;; [unrolled: 1-line block ×8, first 2 shown]
	s_waitcnt lgkmcnt(0)
	s_barrier
	ds_read2st64_b64 v[0:3], v131 offset1:1
	ds_read2st64_b64 v[4:7], v131 offset0:2 offset1:3
	ds_read2st64_b64 v[8:11], v131 offset0:4 offset1:5
	ds_read2st64_b64 v[12:15], v131 offset0:6 offset1:7
	s_waitcnt lgkmcnt(0)
	s_barrier
	ds_write_b64 v50, v[84:85]
	ds_write_b64 v51, v[82:83]
	;; [unrolled: 1-line block ×8, first 2 shown]
	s_waitcnt lgkmcnt(0)
	s_barrier
	ds_read2st64_b64 v[50:53], v131 offset1:1
	ds_read2st64_b64 v[54:57], v131 offset0:2 offset1:3
	ds_read2st64_b64 v[58:61], v131 offset0:4 offset1:5
	;; [unrolled: 1-line block ×3, first 2 shown]
	s_add_u32 s56, s56, 8
	s_addc_u32 s57, s57, 0
	s_add_i32 s60, s60, -8
	s_waitcnt lgkmcnt(0)
	s_barrier
	s_cbranch_execz .LBB190_59
.LBB190_35:                             ; =>This Inner Loop Header: Depth=1
	v_pk_mov_b32 v[102:103], v[0:1], v[0:1] op_sel:[0,1]
	s_min_u32 s4, s59, s60
	v_cmp_ne_u64_e32 vcc, s[48:49], v[102:103]
	s_lshl_b32 s4, -1, s4
	v_cndmask_b32_e32 v1, v125, v103, vcc
	v_cndmask_b32_e32 v0, 0, v102, vcc
	s_not_b32 s61, s4
	v_lshrrev_b64 v[0:1], s56, v[0:1]
	v_and_b32_e32 v0, s61, v0
	v_lshl_add_u32 v1, v0, 3, v127
	v_pk_mov_b32 v[98:99], v[4:5], v[4:5] op_sel:[0,1]
	v_lshl_add_u32 v4, v1, 2, 32
	v_and_b32_e32 v1, 1, v0
	v_pk_mov_b32 v[100:101], v[2:3], v[2:3] op_sel:[0,1]
	v_add_co_u32_e32 v2, vcc, -1, v1
	v_addc_co_u32_e64 v3, s[4:5], 0, -1, vcc
	v_cmp_ne_u32_e32 vcc, 0, v1
	v_lshlrev_b32_e32 v87, 30, v0
	v_xor_b32_e32 v1, vcc_hi, v3
	v_not_b32_e32 v3, v87
	v_xor_b32_e32 v2, vcc_lo, v2
	v_cmp_gt_i64_e32 vcc, 0, v[86:87]
	v_ashrrev_i32_e32 v3, 31, v3
	v_and_b32_e32 v2, exec_lo, v2
	v_xor_b32_e32 v5, vcc_hi, v3
	v_xor_b32_e32 v3, vcc_lo, v3
	v_lshlrev_b32_e32 v87, 29, v0
	v_and_b32_e32 v2, v2, v3
	v_not_b32_e32 v3, v87
	v_and_b32_e32 v1, exec_hi, v1
	v_cmp_gt_i64_e32 vcc, 0, v[86:87]
	v_ashrrev_i32_e32 v3, 31, v3
	v_and_b32_e32 v1, v1, v5
	v_xor_b32_e32 v5, vcc_hi, v3
	v_xor_b32_e32 v3, vcc_lo, v3
	v_lshlrev_b32_e32 v87, 28, v0
	v_and_b32_e32 v2, v2, v3
	v_not_b32_e32 v3, v87
	v_cmp_gt_i64_e32 vcc, 0, v[86:87]
	v_ashrrev_i32_e32 v3, 31, v3
	v_and_b32_e32 v1, v1, v5
	v_xor_b32_e32 v5, vcc_hi, v3
	v_xor_b32_e32 v3, vcc_lo, v3
	v_lshlrev_b32_e32 v87, 27, v0
	v_and_b32_e32 v2, v2, v3
	v_not_b32_e32 v3, v87
	;; [unrolled: 8-line block ×3, first 2 shown]
	v_cmp_gt_i64_e32 vcc, 0, v[86:87]
	v_ashrrev_i32_e32 v3, 31, v3
	v_and_b32_e32 v1, v1, v5
	v_xor_b32_e32 v5, vcc_hi, v3
	v_xor_b32_e32 v3, vcc_lo, v3
	v_lshlrev_b32_e32 v87, 25, v0
	v_and_b32_e32 v2, v2, v3
	v_cmp_gt_i64_e32 vcc, 0, v[86:87]
	v_not_b32_e32 v3, v87
	v_lshlrev_b32_e32 v87, 24, v0
	v_ashrrev_i32_e32 v3, 31, v3
	v_not_b32_e32 v0, v87
	v_and_b32_e32 v1, v1, v5
	v_xor_b32_e32 v5, vcc_hi, v3
	v_xor_b32_e32 v3, vcc_lo, v3
	v_cmp_gt_i64_e32 vcc, 0, v[86:87]
	v_ashrrev_i32_e32 v0, 31, v0
	v_and_b32_e32 v2, v2, v3
	v_xor_b32_e32 v3, vcc_hi, v0
	v_xor_b32_e32 v0, vcc_lo, v0
	v_and_b32_e32 v1, v1, v5
	v_and_b32_e32 v0, v2, v0
	;; [unrolled: 1-line block ×3, first 2 shown]
	v_mbcnt_lo_u32_b32 v2, v0, 0
	v_mbcnt_hi_u32_b32 v5, v1, v2
	v_cmp_eq_u32_e32 vcc, 0, v5
	v_cmp_ne_u64_e64 s[4:5], 0, v[0:1]
	v_pk_mov_b32 v[88:89], v[14:15], v[14:15] op_sel:[0,1]
	v_pk_mov_b32 v[90:91], v[12:13], v[12:13] op_sel:[0,1]
	;; [unrolled: 1-line block ×13, first 2 shown]
	s_and_b64 s[62:63], s[4:5], vcc
	ds_write2_b32 v112, v86, v86 offset0:8 offset1:9
	ds_write2_b32 v126, v86, v86 offset0:2 offset1:3
	s_waitcnt lgkmcnt(0)
	s_barrier
	s_waitcnt lgkmcnt(0)
	; wave barrier
	s_and_saveexec_b64 s[4:5], s[62:63]
	s_cbranch_execz .LBB190_37
; %bb.36:                               ;   in Loop: Header=BB190_35 Depth=1
	v_bcnt_u32_b32 v0, v0, 0
	v_bcnt_u32_b32 v0, v1, v0
	ds_write_b32 v4, v0
.LBB190_37:                             ;   in Loop: Header=BB190_35 Depth=1
	s_or_b64 exec, exec, s[4:5]
	v_cmp_ne_u64_e32 vcc, s[48:49], v[100:101]
	v_cndmask_b32_e32 v1, v125, v101, vcc
	v_cndmask_b32_e32 v0, 0, v100, vcc
	v_lshrrev_b64 v[0:1], s56, v[0:1]
	v_and_b32_e32 v0, s61, v0
	v_lshlrev_b32_e32 v1, 3, v0
	v_add_lshl_u32 v1, v1, v127, 2
	; wave barrier
	v_add_u32_e32 v7, 32, v1
	ds_read_b32 v6, v1 offset:32
	v_and_b32_e32 v1, 1, v0
	v_add_co_u32_e32 v2, vcc, -1, v1
	v_addc_co_u32_e64 v3, s[4:5], 0, -1, vcc
	v_cmp_ne_u32_e32 vcc, 0, v1
	v_lshlrev_b32_e32 v87, 30, v0
	v_xor_b32_e32 v1, vcc_hi, v3
	v_not_b32_e32 v3, v87
	v_xor_b32_e32 v2, vcc_lo, v2
	v_cmp_gt_i64_e32 vcc, 0, v[86:87]
	v_ashrrev_i32_e32 v3, 31, v3
	v_and_b32_e32 v2, exec_lo, v2
	v_xor_b32_e32 v8, vcc_hi, v3
	v_xor_b32_e32 v3, vcc_lo, v3
	v_lshlrev_b32_e32 v87, 29, v0
	v_and_b32_e32 v2, v2, v3
	v_not_b32_e32 v3, v87
	v_and_b32_e32 v1, exec_hi, v1
	v_cmp_gt_i64_e32 vcc, 0, v[86:87]
	v_ashrrev_i32_e32 v3, 31, v3
	v_and_b32_e32 v1, v1, v8
	v_xor_b32_e32 v8, vcc_hi, v3
	v_xor_b32_e32 v3, vcc_lo, v3
	v_lshlrev_b32_e32 v87, 28, v0
	v_and_b32_e32 v2, v2, v3
	v_not_b32_e32 v3, v87
	v_cmp_gt_i64_e32 vcc, 0, v[86:87]
	v_ashrrev_i32_e32 v3, 31, v3
	v_and_b32_e32 v1, v1, v8
	v_xor_b32_e32 v8, vcc_hi, v3
	v_xor_b32_e32 v3, vcc_lo, v3
	v_lshlrev_b32_e32 v87, 27, v0
	v_and_b32_e32 v2, v2, v3
	v_not_b32_e32 v3, v87
	;; [unrolled: 8-line block ×3, first 2 shown]
	v_cmp_gt_i64_e32 vcc, 0, v[86:87]
	v_ashrrev_i32_e32 v3, 31, v3
	v_and_b32_e32 v1, v1, v8
	v_xor_b32_e32 v8, vcc_hi, v3
	v_xor_b32_e32 v3, vcc_lo, v3
	v_lshlrev_b32_e32 v87, 25, v0
	v_and_b32_e32 v2, v2, v3
	v_cmp_gt_i64_e32 vcc, 0, v[86:87]
	v_not_b32_e32 v3, v87
	v_lshlrev_b32_e32 v87, 24, v0
	v_ashrrev_i32_e32 v3, 31, v3
	v_not_b32_e32 v0, v87
	v_and_b32_e32 v1, v1, v8
	v_xor_b32_e32 v8, vcc_hi, v3
	v_xor_b32_e32 v3, vcc_lo, v3
	v_cmp_gt_i64_e32 vcc, 0, v[86:87]
	v_ashrrev_i32_e32 v0, 31, v0
	v_and_b32_e32 v2, v2, v3
	v_xor_b32_e32 v3, vcc_hi, v0
	v_xor_b32_e32 v0, vcc_lo, v0
	v_and_b32_e32 v1, v1, v8
	v_and_b32_e32 v0, v2, v0
	;; [unrolled: 1-line block ×3, first 2 shown]
	v_mbcnt_lo_u32_b32 v2, v0, 0
	v_mbcnt_hi_u32_b32 v8, v1, v2
	v_cmp_eq_u32_e32 vcc, 0, v8
	v_cmp_ne_u64_e64 s[4:5], 0, v[0:1]
	s_and_b64 s[62:63], s[4:5], vcc
	; wave barrier
	s_and_saveexec_b64 s[4:5], s[62:63]
	s_cbranch_execz .LBB190_39
; %bb.38:                               ;   in Loop: Header=BB190_35 Depth=1
	v_bcnt_u32_b32 v0, v0, 0
	v_bcnt_u32_b32 v0, v1, v0
	s_waitcnt lgkmcnt(0)
	v_add_u32_e32 v0, v6, v0
	ds_write_b32 v7, v0
.LBB190_39:                             ;   in Loop: Header=BB190_35 Depth=1
	s_or_b64 exec, exec, s[4:5]
	v_cmp_ne_u64_e32 vcc, s[48:49], v[98:99]
	v_cndmask_b32_e32 v1, v125, v99, vcc
	v_cndmask_b32_e32 v0, 0, v98, vcc
	v_lshrrev_b64 v[0:1], s56, v[0:1]
	v_and_b32_e32 v0, s61, v0
	v_lshlrev_b32_e32 v1, 3, v0
	v_add_lshl_u32 v1, v1, v127, 2
	; wave barrier
	v_add_u32_e32 v10, 32, v1
	ds_read_b32 v9, v1 offset:32
	v_and_b32_e32 v1, 1, v0
	v_add_co_u32_e32 v2, vcc, -1, v1
	v_addc_co_u32_e64 v3, s[4:5], 0, -1, vcc
	v_cmp_ne_u32_e32 vcc, 0, v1
	v_lshlrev_b32_e32 v87, 30, v0
	v_xor_b32_e32 v1, vcc_hi, v3
	v_not_b32_e32 v3, v87
	v_xor_b32_e32 v2, vcc_lo, v2
	v_cmp_gt_i64_e32 vcc, 0, v[86:87]
	v_ashrrev_i32_e32 v3, 31, v3
	v_and_b32_e32 v2, exec_lo, v2
	v_xor_b32_e32 v11, vcc_hi, v3
	v_xor_b32_e32 v3, vcc_lo, v3
	v_lshlrev_b32_e32 v87, 29, v0
	v_and_b32_e32 v2, v2, v3
	v_not_b32_e32 v3, v87
	v_and_b32_e32 v1, exec_hi, v1
	v_cmp_gt_i64_e32 vcc, 0, v[86:87]
	v_ashrrev_i32_e32 v3, 31, v3
	v_and_b32_e32 v1, v1, v11
	v_xor_b32_e32 v11, vcc_hi, v3
	v_xor_b32_e32 v3, vcc_lo, v3
	v_lshlrev_b32_e32 v87, 28, v0
	v_and_b32_e32 v2, v2, v3
	v_not_b32_e32 v3, v87
	v_cmp_gt_i64_e32 vcc, 0, v[86:87]
	v_ashrrev_i32_e32 v3, 31, v3
	v_and_b32_e32 v1, v1, v11
	v_xor_b32_e32 v11, vcc_hi, v3
	v_xor_b32_e32 v3, vcc_lo, v3
	v_lshlrev_b32_e32 v87, 27, v0
	v_and_b32_e32 v2, v2, v3
	v_not_b32_e32 v3, v87
	;; [unrolled: 8-line block ×3, first 2 shown]
	v_cmp_gt_i64_e32 vcc, 0, v[86:87]
	v_ashrrev_i32_e32 v3, 31, v3
	v_and_b32_e32 v1, v1, v11
	v_xor_b32_e32 v11, vcc_hi, v3
	v_xor_b32_e32 v3, vcc_lo, v3
	v_lshlrev_b32_e32 v87, 25, v0
	v_and_b32_e32 v2, v2, v3
	v_cmp_gt_i64_e32 vcc, 0, v[86:87]
	v_not_b32_e32 v3, v87
	v_lshlrev_b32_e32 v87, 24, v0
	v_ashrrev_i32_e32 v3, 31, v3
	v_not_b32_e32 v0, v87
	v_and_b32_e32 v1, v1, v11
	v_xor_b32_e32 v11, vcc_hi, v3
	v_xor_b32_e32 v3, vcc_lo, v3
	v_cmp_gt_i64_e32 vcc, 0, v[86:87]
	v_ashrrev_i32_e32 v0, 31, v0
	v_and_b32_e32 v2, v2, v3
	v_xor_b32_e32 v3, vcc_hi, v0
	v_xor_b32_e32 v0, vcc_lo, v0
	v_and_b32_e32 v1, v1, v11
	v_and_b32_e32 v0, v2, v0
	;; [unrolled: 1-line block ×3, first 2 shown]
	v_mbcnt_lo_u32_b32 v2, v0, 0
	v_mbcnt_hi_u32_b32 v11, v1, v2
	v_cmp_eq_u32_e32 vcc, 0, v11
	v_cmp_ne_u64_e64 s[4:5], 0, v[0:1]
	s_and_b64 s[62:63], s[4:5], vcc
	; wave barrier
	s_and_saveexec_b64 s[4:5], s[62:63]
	s_cbranch_execz .LBB190_41
; %bb.40:                               ;   in Loop: Header=BB190_35 Depth=1
	v_bcnt_u32_b32 v0, v0, 0
	v_bcnt_u32_b32 v0, v1, v0
	s_waitcnt lgkmcnt(0)
	v_add_u32_e32 v0, v9, v0
	ds_write_b32 v10, v0
.LBB190_41:                             ;   in Loop: Header=BB190_35 Depth=1
	s_or_b64 exec, exec, s[4:5]
	v_cmp_ne_u64_e32 vcc, s[48:49], v[96:97]
	v_cndmask_b32_e32 v1, v125, v97, vcc
	v_cndmask_b32_e32 v0, 0, v96, vcc
	v_lshrrev_b64 v[0:1], s56, v[0:1]
	v_and_b32_e32 v0, s61, v0
	v_lshlrev_b32_e32 v1, 3, v0
	v_add_lshl_u32 v1, v1, v127, 2
	; wave barrier
	v_add_u32_e32 v13, 32, v1
	ds_read_b32 v12, v1 offset:32
	v_and_b32_e32 v1, 1, v0
	v_add_co_u32_e32 v2, vcc, -1, v1
	v_addc_co_u32_e64 v3, s[4:5], 0, -1, vcc
	v_cmp_ne_u32_e32 vcc, 0, v1
	v_lshlrev_b32_e32 v87, 30, v0
	v_xor_b32_e32 v1, vcc_hi, v3
	v_not_b32_e32 v3, v87
	v_xor_b32_e32 v2, vcc_lo, v2
	v_cmp_gt_i64_e32 vcc, 0, v[86:87]
	v_ashrrev_i32_e32 v3, 31, v3
	v_and_b32_e32 v2, exec_lo, v2
	v_xor_b32_e32 v14, vcc_hi, v3
	v_xor_b32_e32 v3, vcc_lo, v3
	v_lshlrev_b32_e32 v87, 29, v0
	v_and_b32_e32 v2, v2, v3
	v_not_b32_e32 v3, v87
	v_and_b32_e32 v1, exec_hi, v1
	v_cmp_gt_i64_e32 vcc, 0, v[86:87]
	v_ashrrev_i32_e32 v3, 31, v3
	v_and_b32_e32 v1, v1, v14
	v_xor_b32_e32 v14, vcc_hi, v3
	v_xor_b32_e32 v3, vcc_lo, v3
	v_lshlrev_b32_e32 v87, 28, v0
	v_and_b32_e32 v2, v2, v3
	v_not_b32_e32 v3, v87
	v_cmp_gt_i64_e32 vcc, 0, v[86:87]
	v_ashrrev_i32_e32 v3, 31, v3
	v_and_b32_e32 v1, v1, v14
	v_xor_b32_e32 v14, vcc_hi, v3
	v_xor_b32_e32 v3, vcc_lo, v3
	v_lshlrev_b32_e32 v87, 27, v0
	v_and_b32_e32 v2, v2, v3
	v_not_b32_e32 v3, v87
	;; [unrolled: 8-line block ×3, first 2 shown]
	v_cmp_gt_i64_e32 vcc, 0, v[86:87]
	v_ashrrev_i32_e32 v3, 31, v3
	v_and_b32_e32 v1, v1, v14
	v_xor_b32_e32 v14, vcc_hi, v3
	v_xor_b32_e32 v3, vcc_lo, v3
	v_lshlrev_b32_e32 v87, 25, v0
	v_and_b32_e32 v2, v2, v3
	v_cmp_gt_i64_e32 vcc, 0, v[86:87]
	v_not_b32_e32 v3, v87
	v_lshlrev_b32_e32 v87, 24, v0
	v_ashrrev_i32_e32 v3, 31, v3
	v_not_b32_e32 v0, v87
	v_and_b32_e32 v1, v1, v14
	v_xor_b32_e32 v14, vcc_hi, v3
	v_xor_b32_e32 v3, vcc_lo, v3
	v_cmp_gt_i64_e32 vcc, 0, v[86:87]
	v_ashrrev_i32_e32 v0, 31, v0
	v_and_b32_e32 v2, v2, v3
	v_xor_b32_e32 v3, vcc_hi, v0
	v_xor_b32_e32 v0, vcc_lo, v0
	v_and_b32_e32 v1, v1, v14
	v_and_b32_e32 v0, v2, v0
	;; [unrolled: 1-line block ×3, first 2 shown]
	v_mbcnt_lo_u32_b32 v2, v0, 0
	v_mbcnt_hi_u32_b32 v14, v1, v2
	v_cmp_eq_u32_e32 vcc, 0, v14
	v_cmp_ne_u64_e64 s[4:5], 0, v[0:1]
	s_and_b64 s[62:63], s[4:5], vcc
	; wave barrier
	s_and_saveexec_b64 s[4:5], s[62:63]
	s_cbranch_execz .LBB190_43
; %bb.42:                               ;   in Loop: Header=BB190_35 Depth=1
	v_bcnt_u32_b32 v0, v0, 0
	v_bcnt_u32_b32 v0, v1, v0
	s_waitcnt lgkmcnt(0)
	v_add_u32_e32 v0, v12, v0
	ds_write_b32 v13, v0
.LBB190_43:                             ;   in Loop: Header=BB190_35 Depth=1
	s_or_b64 exec, exec, s[4:5]
	v_cmp_ne_u64_e32 vcc, s[48:49], v[94:95]
	v_cndmask_b32_e32 v1, v125, v95, vcc
	v_cndmask_b32_e32 v0, 0, v94, vcc
	v_lshrrev_b64 v[0:1], s56, v[0:1]
	v_and_b32_e32 v0, s61, v0
	v_lshlrev_b32_e32 v1, 3, v0
	v_add_lshl_u32 v1, v1, v127, 2
	; wave barrier
	v_add_u32_e32 v50, 32, v1
	ds_read_b32 v15, v1 offset:32
	v_and_b32_e32 v1, 1, v0
	v_add_co_u32_e32 v2, vcc, -1, v1
	v_addc_co_u32_e64 v3, s[4:5], 0, -1, vcc
	v_cmp_ne_u32_e32 vcc, 0, v1
	v_lshlrev_b32_e32 v87, 30, v0
	v_xor_b32_e32 v1, vcc_hi, v3
	v_not_b32_e32 v3, v87
	v_xor_b32_e32 v2, vcc_lo, v2
	v_cmp_gt_i64_e32 vcc, 0, v[86:87]
	v_ashrrev_i32_e32 v3, 31, v3
	v_and_b32_e32 v2, exec_lo, v2
	v_xor_b32_e32 v51, vcc_hi, v3
	v_xor_b32_e32 v3, vcc_lo, v3
	v_lshlrev_b32_e32 v87, 29, v0
	v_and_b32_e32 v2, v2, v3
	v_not_b32_e32 v3, v87
	v_and_b32_e32 v1, exec_hi, v1
	v_cmp_gt_i64_e32 vcc, 0, v[86:87]
	v_ashrrev_i32_e32 v3, 31, v3
	v_and_b32_e32 v1, v1, v51
	v_xor_b32_e32 v51, vcc_hi, v3
	v_xor_b32_e32 v3, vcc_lo, v3
	v_lshlrev_b32_e32 v87, 28, v0
	v_and_b32_e32 v2, v2, v3
	v_not_b32_e32 v3, v87
	v_cmp_gt_i64_e32 vcc, 0, v[86:87]
	v_ashrrev_i32_e32 v3, 31, v3
	v_and_b32_e32 v1, v1, v51
	v_xor_b32_e32 v51, vcc_hi, v3
	v_xor_b32_e32 v3, vcc_lo, v3
	v_lshlrev_b32_e32 v87, 27, v0
	v_and_b32_e32 v2, v2, v3
	v_not_b32_e32 v3, v87
	;; [unrolled: 8-line block ×3, first 2 shown]
	v_cmp_gt_i64_e32 vcc, 0, v[86:87]
	v_ashrrev_i32_e32 v3, 31, v3
	v_and_b32_e32 v1, v1, v51
	v_xor_b32_e32 v51, vcc_hi, v3
	v_xor_b32_e32 v3, vcc_lo, v3
	v_lshlrev_b32_e32 v87, 25, v0
	v_and_b32_e32 v2, v2, v3
	v_cmp_gt_i64_e32 vcc, 0, v[86:87]
	v_not_b32_e32 v3, v87
	v_lshlrev_b32_e32 v87, 24, v0
	v_ashrrev_i32_e32 v3, 31, v3
	v_not_b32_e32 v0, v87
	v_and_b32_e32 v1, v1, v51
	v_xor_b32_e32 v51, vcc_hi, v3
	v_xor_b32_e32 v3, vcc_lo, v3
	v_cmp_gt_i64_e32 vcc, 0, v[86:87]
	v_ashrrev_i32_e32 v0, 31, v0
	v_and_b32_e32 v2, v2, v3
	v_xor_b32_e32 v3, vcc_hi, v0
	v_xor_b32_e32 v0, vcc_lo, v0
	v_and_b32_e32 v1, v1, v51
	v_and_b32_e32 v0, v2, v0
	;; [unrolled: 1-line block ×3, first 2 shown]
	v_mbcnt_lo_u32_b32 v2, v0, 0
	v_mbcnt_hi_u32_b32 v51, v1, v2
	v_cmp_eq_u32_e32 vcc, 0, v51
	v_cmp_ne_u64_e64 s[4:5], 0, v[0:1]
	s_and_b64 s[62:63], s[4:5], vcc
	; wave barrier
	s_and_saveexec_b64 s[4:5], s[62:63]
	s_cbranch_execz .LBB190_45
; %bb.44:                               ;   in Loop: Header=BB190_35 Depth=1
	v_bcnt_u32_b32 v0, v0, 0
	v_bcnt_u32_b32 v0, v1, v0
	s_waitcnt lgkmcnt(0)
	v_add_u32_e32 v0, v15, v0
	ds_write_b32 v50, v0
.LBB190_45:                             ;   in Loop: Header=BB190_35 Depth=1
	s_or_b64 exec, exec, s[4:5]
	v_cmp_ne_u64_e32 vcc, s[48:49], v[92:93]
	v_cndmask_b32_e32 v1, v125, v93, vcc
	v_cndmask_b32_e32 v0, 0, v92, vcc
	v_lshrrev_b64 v[0:1], s56, v[0:1]
	v_and_b32_e32 v0, s61, v0
	v_lshlrev_b32_e32 v1, 3, v0
	v_add_lshl_u32 v1, v1, v127, 2
	; wave barrier
	v_add_u32_e32 v53, 32, v1
	ds_read_b32 v52, v1 offset:32
	v_and_b32_e32 v1, 1, v0
	v_add_co_u32_e32 v2, vcc, -1, v1
	v_addc_co_u32_e64 v3, s[4:5], 0, -1, vcc
	v_cmp_ne_u32_e32 vcc, 0, v1
	v_lshlrev_b32_e32 v87, 30, v0
	v_xor_b32_e32 v1, vcc_hi, v3
	v_not_b32_e32 v3, v87
	v_xor_b32_e32 v2, vcc_lo, v2
	v_cmp_gt_i64_e32 vcc, 0, v[86:87]
	v_ashrrev_i32_e32 v3, 31, v3
	v_and_b32_e32 v2, exec_lo, v2
	v_xor_b32_e32 v54, vcc_hi, v3
	v_xor_b32_e32 v3, vcc_lo, v3
	v_lshlrev_b32_e32 v87, 29, v0
	v_and_b32_e32 v2, v2, v3
	v_not_b32_e32 v3, v87
	v_and_b32_e32 v1, exec_hi, v1
	v_cmp_gt_i64_e32 vcc, 0, v[86:87]
	v_ashrrev_i32_e32 v3, 31, v3
	v_and_b32_e32 v1, v1, v54
	v_xor_b32_e32 v54, vcc_hi, v3
	v_xor_b32_e32 v3, vcc_lo, v3
	v_lshlrev_b32_e32 v87, 28, v0
	v_and_b32_e32 v2, v2, v3
	v_not_b32_e32 v3, v87
	v_cmp_gt_i64_e32 vcc, 0, v[86:87]
	v_ashrrev_i32_e32 v3, 31, v3
	v_and_b32_e32 v1, v1, v54
	v_xor_b32_e32 v54, vcc_hi, v3
	v_xor_b32_e32 v3, vcc_lo, v3
	v_lshlrev_b32_e32 v87, 27, v0
	v_and_b32_e32 v2, v2, v3
	v_not_b32_e32 v3, v87
	;; [unrolled: 8-line block ×3, first 2 shown]
	v_cmp_gt_i64_e32 vcc, 0, v[86:87]
	v_ashrrev_i32_e32 v3, 31, v3
	v_and_b32_e32 v1, v1, v54
	v_xor_b32_e32 v54, vcc_hi, v3
	v_xor_b32_e32 v3, vcc_lo, v3
	v_lshlrev_b32_e32 v87, 25, v0
	v_and_b32_e32 v2, v2, v3
	v_cmp_gt_i64_e32 vcc, 0, v[86:87]
	v_not_b32_e32 v3, v87
	v_lshlrev_b32_e32 v87, 24, v0
	v_ashrrev_i32_e32 v3, 31, v3
	v_not_b32_e32 v0, v87
	v_and_b32_e32 v1, v1, v54
	v_xor_b32_e32 v54, vcc_hi, v3
	v_xor_b32_e32 v3, vcc_lo, v3
	v_cmp_gt_i64_e32 vcc, 0, v[86:87]
	v_ashrrev_i32_e32 v0, 31, v0
	v_and_b32_e32 v2, v2, v3
	v_xor_b32_e32 v3, vcc_hi, v0
	v_xor_b32_e32 v0, vcc_lo, v0
	v_and_b32_e32 v1, v1, v54
	v_and_b32_e32 v0, v2, v0
	;; [unrolled: 1-line block ×3, first 2 shown]
	v_mbcnt_lo_u32_b32 v2, v0, 0
	v_mbcnt_hi_u32_b32 v54, v1, v2
	v_cmp_eq_u32_e32 vcc, 0, v54
	v_cmp_ne_u64_e64 s[4:5], 0, v[0:1]
	s_and_b64 s[62:63], s[4:5], vcc
	; wave barrier
	s_and_saveexec_b64 s[4:5], s[62:63]
	s_cbranch_execz .LBB190_47
; %bb.46:                               ;   in Loop: Header=BB190_35 Depth=1
	v_bcnt_u32_b32 v0, v0, 0
	v_bcnt_u32_b32 v0, v1, v0
	s_waitcnt lgkmcnt(0)
	v_add_u32_e32 v0, v52, v0
	ds_write_b32 v53, v0
.LBB190_47:                             ;   in Loop: Header=BB190_35 Depth=1
	s_or_b64 exec, exec, s[4:5]
	v_cmp_ne_u64_e32 vcc, s[48:49], v[90:91]
	v_cndmask_b32_e32 v1, v125, v91, vcc
	v_cndmask_b32_e32 v0, 0, v90, vcc
	v_lshrrev_b64 v[0:1], s56, v[0:1]
	v_and_b32_e32 v0, s61, v0
	v_lshlrev_b32_e32 v1, 3, v0
	v_add_lshl_u32 v1, v1, v127, 2
	; wave barrier
	v_add_u32_e32 v56, 32, v1
	ds_read_b32 v55, v1 offset:32
	v_and_b32_e32 v1, 1, v0
	v_add_co_u32_e32 v2, vcc, -1, v1
	v_addc_co_u32_e64 v3, s[4:5], 0, -1, vcc
	v_cmp_ne_u32_e32 vcc, 0, v1
	v_lshlrev_b32_e32 v87, 30, v0
	v_xor_b32_e32 v1, vcc_hi, v3
	v_not_b32_e32 v3, v87
	v_xor_b32_e32 v2, vcc_lo, v2
	v_cmp_gt_i64_e32 vcc, 0, v[86:87]
	v_ashrrev_i32_e32 v3, 31, v3
	v_and_b32_e32 v2, exec_lo, v2
	v_xor_b32_e32 v57, vcc_hi, v3
	v_xor_b32_e32 v3, vcc_lo, v3
	v_lshlrev_b32_e32 v87, 29, v0
	v_and_b32_e32 v2, v2, v3
	v_not_b32_e32 v3, v87
	v_and_b32_e32 v1, exec_hi, v1
	v_cmp_gt_i64_e32 vcc, 0, v[86:87]
	v_ashrrev_i32_e32 v3, 31, v3
	v_and_b32_e32 v1, v1, v57
	v_xor_b32_e32 v57, vcc_hi, v3
	v_xor_b32_e32 v3, vcc_lo, v3
	v_lshlrev_b32_e32 v87, 28, v0
	v_and_b32_e32 v2, v2, v3
	v_not_b32_e32 v3, v87
	v_cmp_gt_i64_e32 vcc, 0, v[86:87]
	v_ashrrev_i32_e32 v3, 31, v3
	v_and_b32_e32 v1, v1, v57
	v_xor_b32_e32 v57, vcc_hi, v3
	v_xor_b32_e32 v3, vcc_lo, v3
	v_lshlrev_b32_e32 v87, 27, v0
	v_and_b32_e32 v2, v2, v3
	v_not_b32_e32 v3, v87
	v_cmp_gt_i64_e32 vcc, 0, v[86:87]
	v_ashrrev_i32_e32 v3, 31, v3
	v_and_b32_e32 v1, v1, v57
	v_xor_b32_e32 v57, vcc_hi, v3
	v_xor_b32_e32 v3, vcc_lo, v3
	v_lshlrev_b32_e32 v87, 26, v0
	v_and_b32_e32 v2, v2, v3
	v_not_b32_e32 v3, v87
	v_cmp_gt_i64_e32 vcc, 0, v[86:87]
	v_ashrrev_i32_e32 v3, 31, v3
	v_and_b32_e32 v1, v1, v57
	v_xor_b32_e32 v57, vcc_hi, v3
	v_xor_b32_e32 v3, vcc_lo, v3
	v_lshlrev_b32_e32 v87, 25, v0
	v_and_b32_e32 v2, v2, v3
	v_cmp_gt_i64_e32 vcc, 0, v[86:87]
	v_not_b32_e32 v3, v87
	v_lshlrev_b32_e32 v87, 24, v0
	v_ashrrev_i32_e32 v3, 31, v3
	v_not_b32_e32 v0, v87
	v_and_b32_e32 v1, v1, v57
	v_xor_b32_e32 v57, vcc_hi, v3
	v_xor_b32_e32 v3, vcc_lo, v3
	v_cmp_gt_i64_e32 vcc, 0, v[86:87]
	v_ashrrev_i32_e32 v0, 31, v0
	v_and_b32_e32 v2, v2, v3
	v_xor_b32_e32 v3, vcc_hi, v0
	v_xor_b32_e32 v0, vcc_lo, v0
	v_and_b32_e32 v1, v1, v57
	v_and_b32_e32 v0, v2, v0
	;; [unrolled: 1-line block ×3, first 2 shown]
	v_mbcnt_lo_u32_b32 v2, v0, 0
	v_mbcnt_hi_u32_b32 v57, v1, v2
	v_cmp_eq_u32_e32 vcc, 0, v57
	v_cmp_ne_u64_e64 s[4:5], 0, v[0:1]
	s_and_b64 s[62:63], s[4:5], vcc
	; wave barrier
	s_and_saveexec_b64 s[4:5], s[62:63]
	s_cbranch_execz .LBB190_49
; %bb.48:                               ;   in Loop: Header=BB190_35 Depth=1
	v_bcnt_u32_b32 v0, v0, 0
	v_bcnt_u32_b32 v0, v1, v0
	s_waitcnt lgkmcnt(0)
	v_add_u32_e32 v0, v55, v0
	ds_write_b32 v56, v0
.LBB190_49:                             ;   in Loop: Header=BB190_35 Depth=1
	s_or_b64 exec, exec, s[4:5]
	v_cmp_ne_u64_e32 vcc, s[48:49], v[88:89]
	v_cndmask_b32_e32 v1, v125, v89, vcc
	v_cndmask_b32_e32 v0, 0, v88, vcc
	v_lshrrev_b64 v[0:1], s56, v[0:1]
	v_and_b32_e32 v0, s61, v0
	v_lshlrev_b32_e32 v1, 3, v0
	v_add_lshl_u32 v1, v1, v127, 2
	; wave barrier
	v_add_u32_e32 v59, 32, v1
	ds_read_b32 v58, v1 offset:32
	v_and_b32_e32 v1, 1, v0
	v_add_co_u32_e32 v2, vcc, -1, v1
	v_addc_co_u32_e64 v3, s[4:5], 0, -1, vcc
	v_cmp_ne_u32_e32 vcc, 0, v1
	v_lshlrev_b32_e32 v87, 30, v0
	v_xor_b32_e32 v1, vcc_hi, v3
	v_not_b32_e32 v3, v87
	v_xor_b32_e32 v2, vcc_lo, v2
	v_cmp_gt_i64_e32 vcc, 0, v[86:87]
	v_ashrrev_i32_e32 v3, 31, v3
	v_and_b32_e32 v2, exec_lo, v2
	v_xor_b32_e32 v60, vcc_hi, v3
	v_xor_b32_e32 v3, vcc_lo, v3
	v_lshlrev_b32_e32 v87, 29, v0
	v_and_b32_e32 v2, v2, v3
	v_not_b32_e32 v3, v87
	v_and_b32_e32 v1, exec_hi, v1
	v_cmp_gt_i64_e32 vcc, 0, v[86:87]
	v_ashrrev_i32_e32 v3, 31, v3
	v_and_b32_e32 v1, v1, v60
	v_xor_b32_e32 v60, vcc_hi, v3
	v_xor_b32_e32 v3, vcc_lo, v3
	v_lshlrev_b32_e32 v87, 28, v0
	v_and_b32_e32 v2, v2, v3
	v_not_b32_e32 v3, v87
	v_cmp_gt_i64_e32 vcc, 0, v[86:87]
	v_ashrrev_i32_e32 v3, 31, v3
	v_and_b32_e32 v1, v1, v60
	v_xor_b32_e32 v60, vcc_hi, v3
	v_xor_b32_e32 v3, vcc_lo, v3
	v_lshlrev_b32_e32 v87, 27, v0
	v_and_b32_e32 v2, v2, v3
	v_not_b32_e32 v3, v87
	;; [unrolled: 8-line block ×3, first 2 shown]
	v_cmp_gt_i64_e32 vcc, 0, v[86:87]
	v_ashrrev_i32_e32 v3, 31, v3
	v_and_b32_e32 v1, v1, v60
	v_xor_b32_e32 v60, vcc_hi, v3
	v_xor_b32_e32 v3, vcc_lo, v3
	v_lshlrev_b32_e32 v87, 25, v0
	v_and_b32_e32 v2, v2, v3
	v_cmp_gt_i64_e32 vcc, 0, v[86:87]
	v_not_b32_e32 v3, v87
	v_lshlrev_b32_e32 v87, 24, v0
	v_ashrrev_i32_e32 v3, 31, v3
	v_not_b32_e32 v0, v87
	v_and_b32_e32 v1, v1, v60
	v_xor_b32_e32 v60, vcc_hi, v3
	v_xor_b32_e32 v3, vcc_lo, v3
	v_cmp_gt_i64_e32 vcc, 0, v[86:87]
	v_ashrrev_i32_e32 v0, 31, v0
	v_and_b32_e32 v2, v2, v3
	v_xor_b32_e32 v3, vcc_hi, v0
	v_xor_b32_e32 v0, vcc_lo, v0
	v_and_b32_e32 v1, v1, v60
	v_and_b32_e32 v0, v2, v0
	;; [unrolled: 1-line block ×3, first 2 shown]
	v_mbcnt_lo_u32_b32 v2, v0, 0
	v_mbcnt_hi_u32_b32 v60, v1, v2
	v_cmp_eq_u32_e32 vcc, 0, v60
	v_cmp_ne_u64_e64 s[4:5], 0, v[0:1]
	s_and_b64 s[62:63], s[4:5], vcc
	; wave barrier
	s_and_saveexec_b64 s[4:5], s[62:63]
	s_cbranch_execz .LBB190_51
; %bb.50:                               ;   in Loop: Header=BB190_35 Depth=1
	v_bcnt_u32_b32 v0, v0, 0
	v_bcnt_u32_b32 v0, v1, v0
	s_waitcnt lgkmcnt(0)
	v_add_u32_e32 v0, v58, v0
	ds_write_b32 v59, v0
.LBB190_51:                             ;   in Loop: Header=BB190_35 Depth=1
	s_or_b64 exec, exec, s[4:5]
	; wave barrier
	s_waitcnt lgkmcnt(0)
	s_barrier
	ds_read2_b32 v[2:3], v112 offset0:8 offset1:9
	ds_read2_b32 v[0:1], v126 offset0:2 offset1:3
	s_waitcnt lgkmcnt(1)
	v_add_u32_e32 v61, v3, v2
	s_waitcnt lgkmcnt(0)
	v_add3_u32 v1, v61, v0, v1
	s_nop 1
	v_mov_b32_dpp v61, v1 row_shr:1 row_mask:0xf bank_mask:0xf
	v_cndmask_b32_e64 v61, v61, 0, s[22:23]
	v_add_u32_e32 v1, v61, v1
	s_nop 1
	v_mov_b32_dpp v61, v1 row_shr:2 row_mask:0xf bank_mask:0xf
	v_cndmask_b32_e64 v61, 0, v61, s[24:25]
	v_add_u32_e32 v1, v1, v61
	;; [unrolled: 4-line block ×4, first 2 shown]
	s_nop 1
	v_mov_b32_dpp v61, v1 row_bcast:15 row_mask:0xf bank_mask:0xf
	v_cndmask_b32_e64 v61, v61, 0, s[30:31]
	v_add_u32_e32 v1, v1, v61
	s_nop 1
	v_mov_b32_dpp v61, v1 row_bcast:31 row_mask:0xf bank_mask:0xf
	v_cndmask_b32_e64 v61, 0, v61, s[34:35]
	v_add_u32_e32 v1, v1, v61
	s_and_saveexec_b64 s[4:5], s[36:37]
	s_cbranch_execz .LBB190_53
; %bb.52:                               ;   in Loop: Header=BB190_35 Depth=1
	ds_write_b32 v129, v1
.LBB190_53:                             ;   in Loop: Header=BB190_35 Depth=1
	s_or_b64 exec, exec, s[4:5]
	s_waitcnt lgkmcnt(0)
	s_barrier
	s_and_saveexec_b64 s[4:5], s[16:17]
	s_cbranch_execz .LBB190_55
; %bb.54:                               ;   in Loop: Header=BB190_35 Depth=1
	ds_read_b32 v61, v69
	s_waitcnt lgkmcnt(0)
	s_nop 0
	v_mov_b32_dpp v62, v61 row_shr:1 row_mask:0xf bank_mask:0xf
	v_cndmask_b32_e64 v62, v62, 0, s[40:41]
	v_add_u32_e32 v61, v62, v61
	s_nop 1
	v_mov_b32_dpp v62, v61 row_shr:2 row_mask:0xf bank_mask:0xf
	v_cndmask_b32_e64 v62, 0, v62, s[42:43]
	v_add_u32_e32 v61, v61, v62
	;; [unrolled: 4-line block ×3, first 2 shown]
	ds_write_b32 v69, v61
.LBB190_55:                             ;   in Loop: Header=BB190_35 Depth=1
	s_or_b64 exec, exec, s[4:5]
	v_mov_b32_e32 v61, 0
	s_waitcnt lgkmcnt(0)
	s_barrier
	s_and_saveexec_b64 s[4:5], s[18:19]
	s_cbranch_execz .LBB190_57
; %bb.56:                               ;   in Loop: Header=BB190_35 Depth=1
	ds_read_b32 v61, v130
.LBB190_57:                             ;   in Loop: Header=BB190_35 Depth=1
	s_or_b64 exec, exec, s[4:5]
	s_waitcnt lgkmcnt(0)
	v_add_u32_e32 v1, v61, v1
	ds_bpermute_b32 v1, v128, v1
	s_cmp_gt_u32 s56, 55
	s_waitcnt lgkmcnt(0)
	v_cndmask_b32_e64 v1, v1, v61, s[38:39]
	v_cndmask_b32_e64 v1, v1, 0, s[20:21]
	v_add_u32_e32 v2, v1, v2
	v_add_u32_e32 v3, v2, v3
	;; [unrolled: 1-line block ×3, first 2 shown]
	ds_write2_b32 v112, v1, v2 offset0:8 offset1:9
	ds_write2_b32 v126, v3, v0 offset0:2 offset1:3
	s_waitcnt lgkmcnt(0)
	s_barrier
	ds_read_b32 v0, v4
	ds_read_b32 v1, v7
	;; [unrolled: 1-line block ×8, first 2 shown]
	s_waitcnt lgkmcnt(7)
	v_add_u32_e32 v138, v0, v5
	s_waitcnt lgkmcnt(6)
	v_add3_u32 v137, v8, v6, v1
	s_waitcnt lgkmcnt(5)
	v_add3_u32 v136, v11, v9, v2
	;; [unrolled: 2-line block ×7, first 2 shown]
	s_cbranch_scc0 .LBB190_34
; %bb.58:
                                        ; implicit-def: $vgpr14_vgpr15
                                        ; implicit-def: $vgpr10_vgpr11
                                        ; implicit-def: $vgpr6_vgpr7
                                        ; implicit-def: $vgpr2_vgpr3
                                        ; implicit-def: $vgpr64_vgpr65
                                        ; implicit-def: $vgpr60_vgpr61
                                        ; implicit-def: $vgpr56_vgpr57
                                        ; implicit-def: $vgpr52_vgpr53
                                        ; implicit-def: $sgpr56_sgpr57
                                        ; implicit-def: $sgpr60
.LBB190_59:
	v_lshlrev_b32_e32 v50, 3, v138
	v_lshlrev_b32_e32 v51, 3, v137
	;; [unrolled: 1-line block ×9, first 2 shown]
	s_barrier
	ds_write_b64 v50, v[102:103]
	ds_write_b64 v51, v[100:101]
	ds_write_b64 v52, v[98:99]
	ds_write_b64 v53, v[96:97]
	ds_write_b64 v54, v[94:95]
	ds_write_b64 v55, v[92:93]
	ds_write_b64 v56, v[90:91]
	ds_write_b64 v57, v[88:89]
	s_waitcnt lgkmcnt(0)
	s_barrier
	ds_read2_b64 v[0:3], v62 offset1:1
	ds_read2_b64 v[4:7], v62 offset0:2 offset1:3
	ds_read2_b64 v[8:11], v62 offset0:4 offset1:5
	;; [unrolled: 1-line block ×3, first 2 shown]
	s_waitcnt lgkmcnt(0)
	s_barrier
	ds_write_b64 v50, v[84:85]
	ds_write_b64 v51, v[82:83]
	;; [unrolled: 1-line block ×8, first 2 shown]
	v_ashrrev_i32_e32 v72, 31, v1
	v_not_b32_e32 v72, v72
	v_cmp_lt_i64_e32 vcc, -1, v[0:1]
	v_xor_b32_e32 v0, v72, v0
	v_ashrrev_i32_e32 v72, 31, v3
	v_bfrev_b32_e32 v16, 1
	v_not_b32_e32 v72, v72
	v_cndmask_b32_e64 v17, v16, -1, vcc
	v_cmp_lt_i64_e32 vcc, -1, v[2:3]
	v_xor_b32_e32 v2, v72, v2
	v_ashrrev_i32_e32 v72, 31, v5
	v_not_b32_e32 v72, v72
	v_xor_b32_e32 v1, v17, v1
	v_cndmask_b32_e64 v17, v16, -1, vcc
	v_cmp_lt_i64_e32 vcc, -1, v[4:5]
	v_xor_b32_e32 v4, v72, v4
	v_ashrrev_i32_e32 v72, 31, v7
	s_waitcnt lgkmcnt(0)
	s_barrier
	ds_read2_b64 v[50:53], v62 offset1:1
	ds_read2_b64 v[54:57], v62 offset0:2 offset1:3
	ds_read2_b64 v[58:61], v62 offset0:4 offset1:5
	;; [unrolled: 1-line block ×3, first 2 shown]
	v_xor_b32_e32 v3, v17, v3
	v_cndmask_b32_e64 v17, v16, -1, vcc
	v_cmp_lt_i64_e32 vcc, -1, v[6:7]
	v_not_b32_e32 v72, v72
	v_xor_b32_e32 v5, v17, v5
	v_cndmask_b32_e64 v17, v16, -1, vcc
	v_xor_b32_e32 v6, v72, v6
	v_cmp_lt_i64_e32 vcc, -1, v[8:9]
	v_ashrrev_i32_e32 v72, 31, v9
	v_xor_b32_e32 v7, v17, v7
	v_cndmask_b32_e64 v17, v16, -1, vcc
	v_not_b32_e32 v72, v72
	v_cmp_lt_i64_e32 vcc, -1, v[10:11]
	v_xor_b32_e32 v9, v17, v9
	v_xor_b32_e32 v8, v72, v8
	v_cndmask_b32_e64 v17, v16, -1, vcc
	v_ashrrev_i32_e32 v72, 31, v11
	v_cmp_lt_i64_e32 vcc, -1, v[12:13]
	v_not_b32_e32 v72, v72
	v_xor_b32_e32 v11, v17, v11
	v_cndmask_b32_e64 v17, v16, -1, vcc
	v_xor_b32_e32 v10, v72, v10
	v_ashrrev_i32_e32 v72, 31, v13
	v_xor_b32_e32 v13, v17, v13
	v_cmp_lt_i64_e32 vcc, -1, v[14:15]
	v_ashrrev_i32_e32 v17, 31, v15
	v_not_b32_e32 v72, v72
	v_cndmask_b32_e64 v16, v16, -1, vcc
	v_not_b32_e32 v17, v17
	v_xor_b32_e32 v12, v72, v12
	v_xor_b32_e32 v15, v16, v15
	;; [unrolled: 1-line block ×3, first 2 shown]
	s_branch .LBB190_95
.LBB190_60:
	v_mov_b32_e32 v69, 0
	v_lshlrev_b64 v[2:3], 3, v[68:69]
	v_mov_b32_e32 v4, s58
	v_add_co_u32_e32 v2, vcc, s53, v2
	v_addc_co_u32_e32 v3, vcc, v4, v3, vcc
	global_load_dwordx2 v[2:3], v[2:3], off
	v_mov_b32_e32 v4, v69
	v_mov_b32_e32 v5, v69
	;; [unrolled: 1-line block ×14, first 2 shown]
	s_or_b64 exec, exec, s[4:5]
	s_and_saveexec_b64 s[4:5], s[2:3]
	s_cbranch_execz .LBB190_25
.LBB190_61:
	v_mul_lo_u32 v4, v1, s52
	v_mov_b32_e32 v5, 0
	v_lshlrev_b64 v[4:5], 3, v[4:5]
	v_mov_b32_e32 v1, s58
	v_add_co_u32_e32 v4, vcc, s53, v4
	v_addc_co_u32_e32 v5, vcc, v1, v5, vcc
	global_load_dwordx2 v[4:5], v[4:5], off
	s_or_b64 exec, exec, s[4:5]
	s_and_saveexec_b64 s[4:5], s[46:47]
	s_cbranch_execz .LBB190_26
.LBB190_62:
	v_mul_lo_u32 v6, v34, s52
	v_mov_b32_e32 v7, 0
	v_lshlrev_b64 v[6:7], 3, v[6:7]
	v_mov_b32_e32 v1, s58
	v_add_co_u32_e32 v6, vcc, s53, v6
	v_addc_co_u32_e32 v7, vcc, v1, v7, vcc
	global_load_dwordx2 v[6:7], v[6:7], off
	s_or_b64 exec, exec, s[4:5]
	s_and_saveexec_b64 s[4:5], s[6:7]
	s_cbranch_execz .LBB190_27
.LBB190_63:
	v_mul_lo_u32 v8, v35, s52
	v_mov_b32_e32 v9, 0
	v_lshlrev_b64 v[8:9], 3, v[8:9]
	v_mov_b32_e32 v1, s58
	v_add_co_u32_e32 v8, vcc, s53, v8
	v_addc_co_u32_e32 v9, vcc, v1, v9, vcc
	global_load_dwordx2 v[8:9], v[8:9], off
	s_or_b64 exec, exec, s[4:5]
	s_and_saveexec_b64 s[4:5], s[8:9]
	s_cbranch_execz .LBB190_28
.LBB190_64:
	v_mul_lo_u32 v10, v36, s52
	v_mov_b32_e32 v11, 0
	v_lshlrev_b64 v[10:11], 3, v[10:11]
	v_mov_b32_e32 v1, s58
	v_add_co_u32_e32 v10, vcc, s53, v10
	v_addc_co_u32_e32 v11, vcc, v1, v11, vcc
	global_load_dwordx2 v[10:11], v[10:11], off
	s_or_b64 exec, exec, s[4:5]
	s_and_saveexec_b64 s[4:5], s[10:11]
	s_cbranch_execz .LBB190_29
.LBB190_65:
	v_mul_lo_u32 v12, v37, s52
	v_mov_b32_e32 v13, 0
	v_lshlrev_b64 v[12:13], 3, v[12:13]
	v_mov_b32_e32 v1, s58
	v_add_co_u32_e32 v12, vcc, s53, v12
	v_addc_co_u32_e32 v13, vcc, v1, v13, vcc
	global_load_dwordx2 v[12:13], v[12:13], off
	s_or_b64 exec, exec, s[4:5]
	s_and_saveexec_b64 s[4:5], s[12:13]
	s_cbranch_execz .LBB190_30
.LBB190_66:
	v_mul_lo_u32 v14, v38, s52
	v_mov_b32_e32 v15, 0
	v_lshlrev_b64 v[14:15], 3, v[14:15]
	v_mov_b32_e32 v1, s58
	v_add_co_u32_e32 v14, vcc, s53, v14
	v_addc_co_u32_e32 v15, vcc, v1, v15, vcc
	global_load_dwordx2 v[14:15], v[14:15], off
	s_or_b64 exec, exec, s[4:5]
	s_xor_b64 s[4:5], s[34:35], -1
	s_and_saveexec_b64 s[16:17], s[14:15]
	s_cbranch_execnz .LBB190_31
	s_branch .LBB190_32
.LBB190_67:
                                        ; implicit-def: $vgpr64_vgpr65
                                        ; implicit-def: $vgpr60_vgpr61
                                        ; implicit-def: $vgpr56_vgpr57
                                        ; implicit-def: $vgpr52_vgpr53
                                        ; implicit-def: $vgpr0_vgpr1_vgpr2_vgpr3_vgpr4_vgpr5_vgpr6_vgpr7_vgpr8_vgpr9_vgpr10_vgpr11_vgpr12_vgpr13_vgpr14_vgpr15
	s_cbranch_execz .LBB190_95
; %bb.68:
	v_bfrev_b32_e32 v72, -2
	v_cmp_gt_i64_e32 vcc, 0, v[30:31]
	v_cndmask_b32_e64 v0, v72, 0, vcc
	v_not_b32_e32 v2, v124
	v_cmp_gt_i64_e32 vcc, 0, v[32:33]
	v_xor_b32_e32 v1, v0, v31
	v_xor_b32_e32 v0, v2, v30
	v_cndmask_b32_e64 v2, v72, 0, vcc
	v_not_b32_e32 v4, v123
	v_cmp_gt_i64_e32 vcc, 0, v[26:27]
	v_xor_b32_e32 v3, v2, v33
	v_xor_b32_e32 v2, v4, v32
	v_cndmask_b32_e64 v4, v72, 0, vcc
	v_not_b32_e32 v6, v122
	v_cmp_gt_i64_e32 vcc, 0, v[28:29]
	v_xor_b32_e32 v5, v4, v27
	v_xor_b32_e32 v4, v6, v26
	v_cndmask_b32_e64 v6, v72, 0, vcc
	v_not_b32_e32 v8, v121
	v_cmp_gt_i64_e32 vcc, 0, v[22:23]
	v_xor_b32_e32 v7, v6, v29
	v_xor_b32_e32 v6, v8, v28
	v_cndmask_b32_e64 v8, v72, 0, vcc
	v_not_b32_e32 v10, v120
	v_cmp_gt_i64_e32 vcc, 0, v[24:25]
	v_xor_b32_e32 v9, v8, v23
	v_xor_b32_e32 v8, v10, v22
	v_cndmask_b32_e64 v10, v72, 0, vcc
	v_not_b32_e32 v12, v119
	v_cmp_gt_i64_e32 vcc, 0, v[18:19]
	v_xor_b32_e32 v11, v10, v25
	v_xor_b32_e32 v10, v12, v24
	v_cndmask_b32_e64 v12, v72, 0, vcc
	v_not_b32_e32 v14, v118
	v_cmp_gt_i64_e32 vcc, 0, v[20:21]
	v_xor_b32_e32 v13, v12, v19
	v_xor_b32_e32 v12, v14, v18
	v_cndmask_b32_e64 v14, v72, 0, vcc
	v_not_b32_e32 v16, v117
	s_waitcnt lgkmcnt(3)
	v_mbcnt_hi_u32_b32 v50, -1, v116
	v_and_b32_e32 v51, 0x3c0, v70
	v_xor_b32_e32 v15, v14, v21
	v_xor_b32_e32 v14, v16, v20
	v_add_lshl_u32 v16, v50, v51, 6
	v_and_b32_e32 v52, 0x1e00, v67
	ds_write2_b64 v16, v[0:1], v[2:3] offset1:1
	ds_write2_b64 v16, v[4:5], v[6:7] offset0:2 offset1:3
	ds_write2_b64 v16, v[8:9], v[10:11] offset0:4 offset1:5
	ds_write2_b64 v16, v[12:13], v[14:15] offset0:6 offset1:7
	v_or_b32_e32 v0, v50, v52
	v_lshlrev_b32_e32 v28, 3, v0
	; wave barrier
	ds_read2st64_b64 v[0:3], v28 offset1:1
	ds_read2st64_b64 v[4:7], v28 offset0:2 offset1:3
	ds_read2st64_b64 v[8:11], v28 offset0:4 offset1:5
	;; [unrolled: 1-line block ×3, first 2 shown]
	; wave barrier
	ds_write2_b64 v16, v[46:47], v[48:49] offset1:1
	ds_write2_b64 v16, v[42:43], v[44:45] offset0:2 offset1:3
	ds_write2_b64 v16, v[38:39], v[40:41] offset0:4 offset1:5
	;; [unrolled: 1-line block ×3, first 2 shown]
	; wave barrier
	ds_read2st64_b64 v[16:19], v28 offset1:1
	ds_read2st64_b64 v[20:23], v28 offset0:2 offset1:3
	ds_read2st64_b64 v[24:27], v28 offset0:4 offset1:5
	;; [unrolled: 1-line block ×3, first 2 shown]
	s_waitcnt lgkmcnt(0)
	s_barrier
	s_load_dword s16, s[54:55], 0xc
	s_getpc_b64 s[4:5]
	s_add_u32 s4, s4, _ZN7rocprim17ROCPRIM_400000_NS16block_radix_sortIdLj512ELj8ElLj1ELj1ELj0ELNS0_26block_radix_rank_algorithmE1ELNS0_18block_padding_hintE2ELNS0_4arch9wavefront6targetE1EE19radix_bits_per_passE@rel32@lo+4
	s_addc_u32 s5, s5, _ZN7rocprim17ROCPRIM_400000_NS16block_radix_sortIdLj512ELj8ElLj1ELj1ELj0ELNS0_26block_radix_rank_algorithmE1ELNS0_18block_padding_hintE2ELNS0_4arch9wavefront6targetE1EE19radix_bits_per_passE@rel32@hi+12
	s_load_dword s56, s[4:5], 0x0
	s_mov_b32 s54, 0
	v_cmp_gt_u32_e64 s[30:31], 8, v70
	s_waitcnt lgkmcnt(0)
	s_lshr_b32 s4, s16, 16
	s_and_b32 s5, s16, 0xffff
	v_mad_u32_u24 v32, v115, s4, v114
	v_mad_u64_u32 v[32:33], s[4:5], v32, s5, v[70:71]
	v_lshrrev_b32_e32 v74, 6, v32
	v_and_b32_e32 v32, 15, v50
	v_cmp_eq_u32_e64 s[16:17], 0, v32
	v_cmp_lt_u32_e64 s[18:19], 1, v32
	v_cmp_lt_u32_e64 s[20:21], 3, v32
	;; [unrolled: 1-line block ×3, first 2 shown]
	v_and_b32_e32 v32, 16, v50
	v_cmp_eq_u32_e64 s[24:25], 0, v32
	v_min_u32_e32 v32, 0x1c0, v51
	v_or_b32_e32 v32, 63, v32
	v_cmp_eq_u32_e64 s[28:29], v32, v70
	v_add_u32_e32 v32, -1, v50
	v_and_b32_e32 v33, 64, v50
	v_cmp_lt_i32_e32 vcc, v32, v33
	v_cndmask_b32_e32 v32, v32, v50, vcc
	v_lshlrev_b32_e32 v75, 2, v32
	v_and_b32_e32 v32, 7, v50
	v_cmp_lt_u32_e64 s[34:35], 63, v70
	v_cmp_eq_u32_e64 s[38:39], 0, v70
	v_and_b32_e32 v70, 60, v113
	v_cmp_eq_u32_e64 s[40:41], 0, v32
	v_cmp_lt_u32_e64 s[42:43], 1, v32
	v_cmp_lt_u32_e64 s[44:45], 3, v32
	v_and_or_b32 v32, v50, 63, v52
	s_mov_b64 s[48:49], 0
	s_brev_b32 s55, 1
	v_add_u32_e32 v73, 32, v112
	v_cmp_lt_u32_e64 s[26:27], 31, v50
	s_mov_b32 s57, 64
	v_cmp_eq_u32_e64 s[36:37], 0, v50
	v_add_u32_e32 v76, -4, v70
	v_lshlrev_b32_e32 v77, 3, v32
	v_mov_b32_e32 v48, 0
	s_branch .LBB190_70
.LBB190_69:                             ;   in Loop: Header=BB190_70 Depth=1
	v_lshlrev_b32_e32 v16, 3, v84
	v_lshlrev_b32_e32 v17, 3, v83
	v_lshlrev_b32_e32 v18, 3, v82
	v_lshlrev_b32_e32 v19, 3, v81
	v_lshlrev_b32_e32 v20, 3, v80
	v_lshlrev_b32_e32 v21, 3, v78
	v_lshlrev_b32_e32 v22, 3, v49
	v_lshlrev_b32_e32 v23, 3, v79
	s_barrier
	ds_write_b64 v16, v[64:65]
	ds_write_b64 v17, v[62:63]
	;; [unrolled: 1-line block ×8, first 2 shown]
	s_waitcnt lgkmcnt(0)
	s_barrier
	ds_read2st64_b64 v[0:3], v77 offset1:1
	ds_read2st64_b64 v[4:7], v77 offset0:2 offset1:3
	ds_read2st64_b64 v[8:11], v77 offset0:4 offset1:5
	;; [unrolled: 1-line block ×3, first 2 shown]
	s_waitcnt lgkmcnt(0)
	s_barrier
	ds_write_b64 v16, v[46:47]
	ds_write_b64 v17, v[44:45]
	;; [unrolled: 1-line block ×8, first 2 shown]
	s_waitcnt lgkmcnt(0)
	s_barrier
	ds_read2st64_b64 v[16:19], v77 offset1:1
	ds_read2st64_b64 v[20:23], v77 offset0:2 offset1:3
	ds_read2st64_b64 v[24:27], v77 offset0:4 offset1:5
	;; [unrolled: 1-line block ×3, first 2 shown]
	s_add_u32 s48, s48, 8
	s_addc_u32 s49, s49, 0
	s_add_i32 s57, s57, -8
	s_waitcnt lgkmcnt(0)
	s_barrier
	s_cbranch_execz .LBB190_94
.LBB190_70:                             ; =>This Inner Loop Header: Depth=1
	v_pk_mov_b32 v[64:65], v[0:1], v[0:1] op_sel:[0,1]
	s_min_u32 s4, s56, s57
	v_cmp_ne_u64_e32 vcc, s[54:55], v[64:65]
	s_lshl_b32 s4, -1, s4
	v_cndmask_b32_e32 v1, v72, v65, vcc
	v_cndmask_b32_e32 v0, -1, v64, vcc
	s_not_b32 s59, s4
	v_lshrrev_b64 v[0:1], s48, v[0:1]
	v_and_b32_e32 v0, s59, v0
	v_lshl_add_u32 v1, v0, 3, v74
	v_pk_mov_b32 v[60:61], v[4:5], v[4:5] op_sel:[0,1]
	v_lshl_add_u32 v4, v1, 2, 32
	v_and_b32_e32 v1, 1, v0
	v_pk_mov_b32 v[62:63], v[2:3], v[2:3] op_sel:[0,1]
	v_add_co_u32_e32 v2, vcc, -1, v1
	v_addc_co_u32_e64 v3, s[4:5], 0, -1, vcc
	v_cmp_ne_u32_e32 vcc, 0, v1
	v_lshlrev_b32_e32 v49, 30, v0
	v_xor_b32_e32 v1, vcc_hi, v3
	v_not_b32_e32 v3, v49
	v_xor_b32_e32 v2, vcc_lo, v2
	v_cmp_gt_i64_e32 vcc, 0, v[48:49]
	v_ashrrev_i32_e32 v3, 31, v3
	v_and_b32_e32 v2, exec_lo, v2
	v_xor_b32_e32 v5, vcc_hi, v3
	v_xor_b32_e32 v3, vcc_lo, v3
	v_lshlrev_b32_e32 v49, 29, v0
	v_and_b32_e32 v2, v2, v3
	v_not_b32_e32 v3, v49
	v_and_b32_e32 v1, exec_hi, v1
	v_cmp_gt_i64_e32 vcc, 0, v[48:49]
	v_ashrrev_i32_e32 v3, 31, v3
	v_and_b32_e32 v1, v1, v5
	v_xor_b32_e32 v5, vcc_hi, v3
	v_xor_b32_e32 v3, vcc_lo, v3
	v_lshlrev_b32_e32 v49, 28, v0
	v_and_b32_e32 v2, v2, v3
	v_not_b32_e32 v3, v49
	v_cmp_gt_i64_e32 vcc, 0, v[48:49]
	v_ashrrev_i32_e32 v3, 31, v3
	v_and_b32_e32 v1, v1, v5
	v_xor_b32_e32 v5, vcc_hi, v3
	v_xor_b32_e32 v3, vcc_lo, v3
	v_lshlrev_b32_e32 v49, 27, v0
	v_and_b32_e32 v2, v2, v3
	v_not_b32_e32 v3, v49
	v_cmp_gt_i64_e32 vcc, 0, v[48:49]
	v_ashrrev_i32_e32 v3, 31, v3
	v_and_b32_e32 v1, v1, v5
	v_xor_b32_e32 v5, vcc_hi, v3
	v_xor_b32_e32 v3, vcc_lo, v3
	v_lshlrev_b32_e32 v49, 26, v0
	v_and_b32_e32 v2, v2, v3
	v_not_b32_e32 v3, v49
	v_cmp_gt_i64_e32 vcc, 0, v[48:49]
	v_ashrrev_i32_e32 v3, 31, v3
	v_and_b32_e32 v1, v1, v5
	v_xor_b32_e32 v5, vcc_hi, v3
	v_xor_b32_e32 v3, vcc_lo, v3
	v_lshlrev_b32_e32 v49, 25, v0
	v_and_b32_e32 v2, v2, v3
	v_cmp_gt_i64_e32 vcc, 0, v[48:49]
	v_not_b32_e32 v3, v49
	v_lshlrev_b32_e32 v49, 24, v0
	v_ashrrev_i32_e32 v3, 31, v3
	v_not_b32_e32 v0, v49
	v_and_b32_e32 v1, v1, v5
	v_xor_b32_e32 v5, vcc_hi, v3
	v_xor_b32_e32 v3, vcc_lo, v3
	v_cmp_gt_i64_e32 vcc, 0, v[48:49]
	v_ashrrev_i32_e32 v0, 31, v0
	v_and_b32_e32 v2, v2, v3
	v_xor_b32_e32 v3, vcc_hi, v0
	v_xor_b32_e32 v0, vcc_lo, v0
	v_and_b32_e32 v1, v1, v5
	v_and_b32_e32 v0, v2, v0
	;; [unrolled: 1-line block ×3, first 2 shown]
	v_mbcnt_lo_u32_b32 v2, v0, 0
	v_mbcnt_hi_u32_b32 v5, v1, v2
	v_cmp_eq_u32_e32 vcc, 0, v5
	v_cmp_ne_u64_e64 s[4:5], 0, v[0:1]
	v_pk_mov_b32 v[50:51], v[14:15], v[14:15] op_sel:[0,1]
	v_pk_mov_b32 v[52:53], v[12:13], v[12:13] op_sel:[0,1]
	;; [unrolled: 1-line block ×13, first 2 shown]
	s_and_b64 s[60:61], s[4:5], vcc
	ds_write2_b32 v112, v48, v48 offset0:8 offset1:9
	ds_write2_b32 v73, v48, v48 offset0:2 offset1:3
	s_waitcnt lgkmcnt(0)
	s_barrier
	s_waitcnt lgkmcnt(0)
	; wave barrier
	s_and_saveexec_b64 s[4:5], s[60:61]
	s_cbranch_execz .LBB190_72
; %bb.71:                               ;   in Loop: Header=BB190_70 Depth=1
	v_bcnt_u32_b32 v0, v0, 0
	v_bcnt_u32_b32 v0, v1, v0
	ds_write_b32 v4, v0
.LBB190_72:                             ;   in Loop: Header=BB190_70 Depth=1
	s_or_b64 exec, exec, s[4:5]
	v_cmp_ne_u64_e32 vcc, s[54:55], v[62:63]
	v_cndmask_b32_e32 v1, v72, v63, vcc
	v_cndmask_b32_e32 v0, -1, v62, vcc
	v_lshrrev_b64 v[0:1], s48, v[0:1]
	v_and_b32_e32 v0, s59, v0
	v_lshlrev_b32_e32 v1, 3, v0
	v_add_lshl_u32 v1, v1, v74, 2
	; wave barrier
	v_add_u32_e32 v7, 32, v1
	ds_read_b32 v6, v1 offset:32
	v_and_b32_e32 v1, 1, v0
	v_add_co_u32_e32 v2, vcc, -1, v1
	v_addc_co_u32_e64 v3, s[4:5], 0, -1, vcc
	v_cmp_ne_u32_e32 vcc, 0, v1
	v_lshlrev_b32_e32 v49, 30, v0
	v_xor_b32_e32 v1, vcc_hi, v3
	v_not_b32_e32 v3, v49
	v_xor_b32_e32 v2, vcc_lo, v2
	v_cmp_gt_i64_e32 vcc, 0, v[48:49]
	v_ashrrev_i32_e32 v3, 31, v3
	v_and_b32_e32 v2, exec_lo, v2
	v_xor_b32_e32 v8, vcc_hi, v3
	v_xor_b32_e32 v3, vcc_lo, v3
	v_lshlrev_b32_e32 v49, 29, v0
	v_and_b32_e32 v2, v2, v3
	v_not_b32_e32 v3, v49
	v_and_b32_e32 v1, exec_hi, v1
	v_cmp_gt_i64_e32 vcc, 0, v[48:49]
	v_ashrrev_i32_e32 v3, 31, v3
	v_and_b32_e32 v1, v1, v8
	v_xor_b32_e32 v8, vcc_hi, v3
	v_xor_b32_e32 v3, vcc_lo, v3
	v_lshlrev_b32_e32 v49, 28, v0
	v_and_b32_e32 v2, v2, v3
	v_not_b32_e32 v3, v49
	v_cmp_gt_i64_e32 vcc, 0, v[48:49]
	v_ashrrev_i32_e32 v3, 31, v3
	v_and_b32_e32 v1, v1, v8
	v_xor_b32_e32 v8, vcc_hi, v3
	v_xor_b32_e32 v3, vcc_lo, v3
	v_lshlrev_b32_e32 v49, 27, v0
	v_and_b32_e32 v2, v2, v3
	v_not_b32_e32 v3, v49
	;; [unrolled: 8-line block ×3, first 2 shown]
	v_cmp_gt_i64_e32 vcc, 0, v[48:49]
	v_ashrrev_i32_e32 v3, 31, v3
	v_and_b32_e32 v1, v1, v8
	v_xor_b32_e32 v8, vcc_hi, v3
	v_xor_b32_e32 v3, vcc_lo, v3
	v_lshlrev_b32_e32 v49, 25, v0
	v_and_b32_e32 v2, v2, v3
	v_cmp_gt_i64_e32 vcc, 0, v[48:49]
	v_not_b32_e32 v3, v49
	v_lshlrev_b32_e32 v49, 24, v0
	v_ashrrev_i32_e32 v3, 31, v3
	v_not_b32_e32 v0, v49
	v_and_b32_e32 v1, v1, v8
	v_xor_b32_e32 v8, vcc_hi, v3
	v_xor_b32_e32 v3, vcc_lo, v3
	v_cmp_gt_i64_e32 vcc, 0, v[48:49]
	v_ashrrev_i32_e32 v0, 31, v0
	v_and_b32_e32 v2, v2, v3
	v_xor_b32_e32 v3, vcc_hi, v0
	v_xor_b32_e32 v0, vcc_lo, v0
	v_and_b32_e32 v1, v1, v8
	v_and_b32_e32 v0, v2, v0
	;; [unrolled: 1-line block ×3, first 2 shown]
	v_mbcnt_lo_u32_b32 v2, v0, 0
	v_mbcnt_hi_u32_b32 v8, v1, v2
	v_cmp_eq_u32_e32 vcc, 0, v8
	v_cmp_ne_u64_e64 s[4:5], 0, v[0:1]
	s_and_b64 s[60:61], s[4:5], vcc
	; wave barrier
	s_and_saveexec_b64 s[4:5], s[60:61]
	s_cbranch_execz .LBB190_74
; %bb.73:                               ;   in Loop: Header=BB190_70 Depth=1
	v_bcnt_u32_b32 v0, v0, 0
	v_bcnt_u32_b32 v0, v1, v0
	s_waitcnt lgkmcnt(0)
	v_add_u32_e32 v0, v6, v0
	ds_write_b32 v7, v0
.LBB190_74:                             ;   in Loop: Header=BB190_70 Depth=1
	s_or_b64 exec, exec, s[4:5]
	v_cmp_ne_u64_e32 vcc, s[54:55], v[60:61]
	v_cndmask_b32_e32 v1, v72, v61, vcc
	v_cndmask_b32_e32 v0, -1, v60, vcc
	v_lshrrev_b64 v[0:1], s48, v[0:1]
	v_and_b32_e32 v0, s59, v0
	v_lshlrev_b32_e32 v1, 3, v0
	v_add_lshl_u32 v1, v1, v74, 2
	; wave barrier
	v_add_u32_e32 v10, 32, v1
	ds_read_b32 v9, v1 offset:32
	v_and_b32_e32 v1, 1, v0
	v_add_co_u32_e32 v2, vcc, -1, v1
	v_addc_co_u32_e64 v3, s[4:5], 0, -1, vcc
	v_cmp_ne_u32_e32 vcc, 0, v1
	v_lshlrev_b32_e32 v49, 30, v0
	v_xor_b32_e32 v1, vcc_hi, v3
	v_not_b32_e32 v3, v49
	v_xor_b32_e32 v2, vcc_lo, v2
	v_cmp_gt_i64_e32 vcc, 0, v[48:49]
	v_ashrrev_i32_e32 v3, 31, v3
	v_and_b32_e32 v2, exec_lo, v2
	v_xor_b32_e32 v11, vcc_hi, v3
	v_xor_b32_e32 v3, vcc_lo, v3
	v_lshlrev_b32_e32 v49, 29, v0
	v_and_b32_e32 v2, v2, v3
	v_not_b32_e32 v3, v49
	v_and_b32_e32 v1, exec_hi, v1
	v_cmp_gt_i64_e32 vcc, 0, v[48:49]
	v_ashrrev_i32_e32 v3, 31, v3
	v_and_b32_e32 v1, v1, v11
	v_xor_b32_e32 v11, vcc_hi, v3
	v_xor_b32_e32 v3, vcc_lo, v3
	v_lshlrev_b32_e32 v49, 28, v0
	v_and_b32_e32 v2, v2, v3
	v_not_b32_e32 v3, v49
	v_cmp_gt_i64_e32 vcc, 0, v[48:49]
	v_ashrrev_i32_e32 v3, 31, v3
	v_and_b32_e32 v1, v1, v11
	v_xor_b32_e32 v11, vcc_hi, v3
	v_xor_b32_e32 v3, vcc_lo, v3
	v_lshlrev_b32_e32 v49, 27, v0
	v_and_b32_e32 v2, v2, v3
	v_not_b32_e32 v3, v49
	;; [unrolled: 8-line block ×3, first 2 shown]
	v_cmp_gt_i64_e32 vcc, 0, v[48:49]
	v_ashrrev_i32_e32 v3, 31, v3
	v_and_b32_e32 v1, v1, v11
	v_xor_b32_e32 v11, vcc_hi, v3
	v_xor_b32_e32 v3, vcc_lo, v3
	v_lshlrev_b32_e32 v49, 25, v0
	v_and_b32_e32 v2, v2, v3
	v_cmp_gt_i64_e32 vcc, 0, v[48:49]
	v_not_b32_e32 v3, v49
	v_lshlrev_b32_e32 v49, 24, v0
	v_ashrrev_i32_e32 v3, 31, v3
	v_not_b32_e32 v0, v49
	v_and_b32_e32 v1, v1, v11
	v_xor_b32_e32 v11, vcc_hi, v3
	v_xor_b32_e32 v3, vcc_lo, v3
	v_cmp_gt_i64_e32 vcc, 0, v[48:49]
	v_ashrrev_i32_e32 v0, 31, v0
	v_and_b32_e32 v2, v2, v3
	v_xor_b32_e32 v3, vcc_hi, v0
	v_xor_b32_e32 v0, vcc_lo, v0
	v_and_b32_e32 v1, v1, v11
	v_and_b32_e32 v0, v2, v0
	;; [unrolled: 1-line block ×3, first 2 shown]
	v_mbcnt_lo_u32_b32 v2, v0, 0
	v_mbcnt_hi_u32_b32 v11, v1, v2
	v_cmp_eq_u32_e32 vcc, 0, v11
	v_cmp_ne_u64_e64 s[4:5], 0, v[0:1]
	s_and_b64 s[60:61], s[4:5], vcc
	; wave barrier
	s_and_saveexec_b64 s[4:5], s[60:61]
	s_cbranch_execz .LBB190_76
; %bb.75:                               ;   in Loop: Header=BB190_70 Depth=1
	v_bcnt_u32_b32 v0, v0, 0
	v_bcnt_u32_b32 v0, v1, v0
	s_waitcnt lgkmcnt(0)
	v_add_u32_e32 v0, v9, v0
	ds_write_b32 v10, v0
.LBB190_76:                             ;   in Loop: Header=BB190_70 Depth=1
	s_or_b64 exec, exec, s[4:5]
	v_cmp_ne_u64_e32 vcc, s[54:55], v[58:59]
	v_cndmask_b32_e32 v1, v72, v59, vcc
	v_cndmask_b32_e32 v0, -1, v58, vcc
	v_lshrrev_b64 v[0:1], s48, v[0:1]
	v_and_b32_e32 v0, s59, v0
	v_lshlrev_b32_e32 v1, 3, v0
	v_add_lshl_u32 v1, v1, v74, 2
	; wave barrier
	v_add_u32_e32 v13, 32, v1
	ds_read_b32 v12, v1 offset:32
	v_and_b32_e32 v1, 1, v0
	v_add_co_u32_e32 v2, vcc, -1, v1
	v_addc_co_u32_e64 v3, s[4:5], 0, -1, vcc
	v_cmp_ne_u32_e32 vcc, 0, v1
	v_lshlrev_b32_e32 v49, 30, v0
	v_xor_b32_e32 v1, vcc_hi, v3
	v_not_b32_e32 v3, v49
	v_xor_b32_e32 v2, vcc_lo, v2
	v_cmp_gt_i64_e32 vcc, 0, v[48:49]
	v_ashrrev_i32_e32 v3, 31, v3
	v_and_b32_e32 v2, exec_lo, v2
	v_xor_b32_e32 v14, vcc_hi, v3
	v_xor_b32_e32 v3, vcc_lo, v3
	v_lshlrev_b32_e32 v49, 29, v0
	v_and_b32_e32 v2, v2, v3
	v_not_b32_e32 v3, v49
	v_and_b32_e32 v1, exec_hi, v1
	v_cmp_gt_i64_e32 vcc, 0, v[48:49]
	v_ashrrev_i32_e32 v3, 31, v3
	v_and_b32_e32 v1, v1, v14
	v_xor_b32_e32 v14, vcc_hi, v3
	v_xor_b32_e32 v3, vcc_lo, v3
	v_lshlrev_b32_e32 v49, 28, v0
	v_and_b32_e32 v2, v2, v3
	v_not_b32_e32 v3, v49
	v_cmp_gt_i64_e32 vcc, 0, v[48:49]
	v_ashrrev_i32_e32 v3, 31, v3
	v_and_b32_e32 v1, v1, v14
	v_xor_b32_e32 v14, vcc_hi, v3
	v_xor_b32_e32 v3, vcc_lo, v3
	v_lshlrev_b32_e32 v49, 27, v0
	v_and_b32_e32 v2, v2, v3
	v_not_b32_e32 v3, v49
	;; [unrolled: 8-line block ×3, first 2 shown]
	v_cmp_gt_i64_e32 vcc, 0, v[48:49]
	v_ashrrev_i32_e32 v3, 31, v3
	v_and_b32_e32 v1, v1, v14
	v_xor_b32_e32 v14, vcc_hi, v3
	v_xor_b32_e32 v3, vcc_lo, v3
	v_lshlrev_b32_e32 v49, 25, v0
	v_and_b32_e32 v2, v2, v3
	v_cmp_gt_i64_e32 vcc, 0, v[48:49]
	v_not_b32_e32 v3, v49
	v_lshlrev_b32_e32 v49, 24, v0
	v_ashrrev_i32_e32 v3, 31, v3
	v_not_b32_e32 v0, v49
	v_and_b32_e32 v1, v1, v14
	v_xor_b32_e32 v14, vcc_hi, v3
	v_xor_b32_e32 v3, vcc_lo, v3
	v_cmp_gt_i64_e32 vcc, 0, v[48:49]
	v_ashrrev_i32_e32 v0, 31, v0
	v_and_b32_e32 v2, v2, v3
	v_xor_b32_e32 v3, vcc_hi, v0
	v_xor_b32_e32 v0, vcc_lo, v0
	v_and_b32_e32 v1, v1, v14
	v_and_b32_e32 v0, v2, v0
	;; [unrolled: 1-line block ×3, first 2 shown]
	v_mbcnt_lo_u32_b32 v2, v0, 0
	v_mbcnt_hi_u32_b32 v14, v1, v2
	v_cmp_eq_u32_e32 vcc, 0, v14
	v_cmp_ne_u64_e64 s[4:5], 0, v[0:1]
	s_and_b64 s[60:61], s[4:5], vcc
	; wave barrier
	s_and_saveexec_b64 s[4:5], s[60:61]
	s_cbranch_execz .LBB190_78
; %bb.77:                               ;   in Loop: Header=BB190_70 Depth=1
	v_bcnt_u32_b32 v0, v0, 0
	v_bcnt_u32_b32 v0, v1, v0
	s_waitcnt lgkmcnt(0)
	v_add_u32_e32 v0, v12, v0
	ds_write_b32 v13, v0
.LBB190_78:                             ;   in Loop: Header=BB190_70 Depth=1
	s_or_b64 exec, exec, s[4:5]
	v_cmp_ne_u64_e32 vcc, s[54:55], v[56:57]
	v_cndmask_b32_e32 v1, v72, v57, vcc
	v_cndmask_b32_e32 v0, -1, v56, vcc
	v_lshrrev_b64 v[0:1], s48, v[0:1]
	v_and_b32_e32 v0, s59, v0
	v_lshlrev_b32_e32 v1, 3, v0
	v_add_lshl_u32 v1, v1, v74, 2
	; wave barrier
	v_add_u32_e32 v16, 32, v1
	ds_read_b32 v15, v1 offset:32
	v_and_b32_e32 v1, 1, v0
	v_add_co_u32_e32 v2, vcc, -1, v1
	v_addc_co_u32_e64 v3, s[4:5], 0, -1, vcc
	v_cmp_ne_u32_e32 vcc, 0, v1
	v_lshlrev_b32_e32 v49, 30, v0
	v_xor_b32_e32 v1, vcc_hi, v3
	v_not_b32_e32 v3, v49
	v_xor_b32_e32 v2, vcc_lo, v2
	v_cmp_gt_i64_e32 vcc, 0, v[48:49]
	v_ashrrev_i32_e32 v3, 31, v3
	v_and_b32_e32 v2, exec_lo, v2
	v_xor_b32_e32 v17, vcc_hi, v3
	v_xor_b32_e32 v3, vcc_lo, v3
	v_lshlrev_b32_e32 v49, 29, v0
	v_and_b32_e32 v2, v2, v3
	v_not_b32_e32 v3, v49
	v_and_b32_e32 v1, exec_hi, v1
	v_cmp_gt_i64_e32 vcc, 0, v[48:49]
	v_ashrrev_i32_e32 v3, 31, v3
	v_and_b32_e32 v1, v1, v17
	v_xor_b32_e32 v17, vcc_hi, v3
	v_xor_b32_e32 v3, vcc_lo, v3
	v_lshlrev_b32_e32 v49, 28, v0
	v_and_b32_e32 v2, v2, v3
	v_not_b32_e32 v3, v49
	v_cmp_gt_i64_e32 vcc, 0, v[48:49]
	v_ashrrev_i32_e32 v3, 31, v3
	v_and_b32_e32 v1, v1, v17
	v_xor_b32_e32 v17, vcc_hi, v3
	v_xor_b32_e32 v3, vcc_lo, v3
	v_lshlrev_b32_e32 v49, 27, v0
	v_and_b32_e32 v2, v2, v3
	v_not_b32_e32 v3, v49
	;; [unrolled: 8-line block ×3, first 2 shown]
	v_cmp_gt_i64_e32 vcc, 0, v[48:49]
	v_ashrrev_i32_e32 v3, 31, v3
	v_and_b32_e32 v1, v1, v17
	v_xor_b32_e32 v17, vcc_hi, v3
	v_xor_b32_e32 v3, vcc_lo, v3
	v_lshlrev_b32_e32 v49, 25, v0
	v_and_b32_e32 v2, v2, v3
	v_cmp_gt_i64_e32 vcc, 0, v[48:49]
	v_not_b32_e32 v3, v49
	v_lshlrev_b32_e32 v49, 24, v0
	v_ashrrev_i32_e32 v3, 31, v3
	v_not_b32_e32 v0, v49
	v_and_b32_e32 v1, v1, v17
	v_xor_b32_e32 v17, vcc_hi, v3
	v_xor_b32_e32 v3, vcc_lo, v3
	v_cmp_gt_i64_e32 vcc, 0, v[48:49]
	v_ashrrev_i32_e32 v0, 31, v0
	v_and_b32_e32 v2, v2, v3
	v_xor_b32_e32 v3, vcc_hi, v0
	v_xor_b32_e32 v0, vcc_lo, v0
	v_and_b32_e32 v1, v1, v17
	v_and_b32_e32 v0, v2, v0
	;; [unrolled: 1-line block ×3, first 2 shown]
	v_mbcnt_lo_u32_b32 v2, v0, 0
	v_mbcnt_hi_u32_b32 v17, v1, v2
	v_cmp_eq_u32_e32 vcc, 0, v17
	v_cmp_ne_u64_e64 s[4:5], 0, v[0:1]
	s_and_b64 s[60:61], s[4:5], vcc
	; wave barrier
	s_and_saveexec_b64 s[4:5], s[60:61]
	s_cbranch_execz .LBB190_80
; %bb.79:                               ;   in Loop: Header=BB190_70 Depth=1
	v_bcnt_u32_b32 v0, v0, 0
	v_bcnt_u32_b32 v0, v1, v0
	s_waitcnt lgkmcnt(0)
	v_add_u32_e32 v0, v15, v0
	ds_write_b32 v16, v0
.LBB190_80:                             ;   in Loop: Header=BB190_70 Depth=1
	s_or_b64 exec, exec, s[4:5]
	v_cmp_ne_u64_e32 vcc, s[54:55], v[54:55]
	v_cndmask_b32_e32 v1, v72, v55, vcc
	v_cndmask_b32_e32 v0, -1, v54, vcc
	v_lshrrev_b64 v[0:1], s48, v[0:1]
	v_and_b32_e32 v0, s59, v0
	v_lshlrev_b32_e32 v1, 3, v0
	v_add_lshl_u32 v1, v1, v74, 2
	; wave barrier
	v_add_u32_e32 v19, 32, v1
	ds_read_b32 v18, v1 offset:32
	v_and_b32_e32 v1, 1, v0
	v_add_co_u32_e32 v2, vcc, -1, v1
	v_addc_co_u32_e64 v3, s[4:5], 0, -1, vcc
	v_cmp_ne_u32_e32 vcc, 0, v1
	v_lshlrev_b32_e32 v49, 30, v0
	v_xor_b32_e32 v1, vcc_hi, v3
	v_not_b32_e32 v3, v49
	v_xor_b32_e32 v2, vcc_lo, v2
	v_cmp_gt_i64_e32 vcc, 0, v[48:49]
	v_ashrrev_i32_e32 v3, 31, v3
	v_and_b32_e32 v2, exec_lo, v2
	v_xor_b32_e32 v20, vcc_hi, v3
	v_xor_b32_e32 v3, vcc_lo, v3
	v_lshlrev_b32_e32 v49, 29, v0
	v_and_b32_e32 v2, v2, v3
	v_not_b32_e32 v3, v49
	v_and_b32_e32 v1, exec_hi, v1
	v_cmp_gt_i64_e32 vcc, 0, v[48:49]
	v_ashrrev_i32_e32 v3, 31, v3
	v_and_b32_e32 v1, v1, v20
	v_xor_b32_e32 v20, vcc_hi, v3
	v_xor_b32_e32 v3, vcc_lo, v3
	v_lshlrev_b32_e32 v49, 28, v0
	v_and_b32_e32 v2, v2, v3
	v_not_b32_e32 v3, v49
	v_cmp_gt_i64_e32 vcc, 0, v[48:49]
	v_ashrrev_i32_e32 v3, 31, v3
	v_and_b32_e32 v1, v1, v20
	v_xor_b32_e32 v20, vcc_hi, v3
	v_xor_b32_e32 v3, vcc_lo, v3
	v_lshlrev_b32_e32 v49, 27, v0
	v_and_b32_e32 v2, v2, v3
	v_not_b32_e32 v3, v49
	;; [unrolled: 8-line block ×3, first 2 shown]
	v_cmp_gt_i64_e32 vcc, 0, v[48:49]
	v_ashrrev_i32_e32 v3, 31, v3
	v_and_b32_e32 v1, v1, v20
	v_xor_b32_e32 v20, vcc_hi, v3
	v_xor_b32_e32 v3, vcc_lo, v3
	v_lshlrev_b32_e32 v49, 25, v0
	v_and_b32_e32 v2, v2, v3
	v_cmp_gt_i64_e32 vcc, 0, v[48:49]
	v_not_b32_e32 v3, v49
	v_lshlrev_b32_e32 v49, 24, v0
	v_ashrrev_i32_e32 v3, 31, v3
	v_not_b32_e32 v0, v49
	v_and_b32_e32 v1, v1, v20
	v_xor_b32_e32 v20, vcc_hi, v3
	v_xor_b32_e32 v3, vcc_lo, v3
	v_cmp_gt_i64_e32 vcc, 0, v[48:49]
	v_ashrrev_i32_e32 v0, 31, v0
	v_and_b32_e32 v2, v2, v3
	v_xor_b32_e32 v3, vcc_hi, v0
	v_xor_b32_e32 v0, vcc_lo, v0
	v_and_b32_e32 v1, v1, v20
	v_and_b32_e32 v0, v2, v0
	;; [unrolled: 1-line block ×3, first 2 shown]
	v_mbcnt_lo_u32_b32 v2, v0, 0
	v_mbcnt_hi_u32_b32 v20, v1, v2
	v_cmp_eq_u32_e32 vcc, 0, v20
	v_cmp_ne_u64_e64 s[4:5], 0, v[0:1]
	s_and_b64 s[60:61], s[4:5], vcc
	; wave barrier
	s_and_saveexec_b64 s[4:5], s[60:61]
	s_cbranch_execz .LBB190_82
; %bb.81:                               ;   in Loop: Header=BB190_70 Depth=1
	v_bcnt_u32_b32 v0, v0, 0
	v_bcnt_u32_b32 v0, v1, v0
	s_waitcnt lgkmcnt(0)
	v_add_u32_e32 v0, v18, v0
	ds_write_b32 v19, v0
.LBB190_82:                             ;   in Loop: Header=BB190_70 Depth=1
	s_or_b64 exec, exec, s[4:5]
	v_cmp_ne_u64_e32 vcc, s[54:55], v[52:53]
	v_cndmask_b32_e32 v1, v72, v53, vcc
	v_cndmask_b32_e32 v0, -1, v52, vcc
	v_lshrrev_b64 v[0:1], s48, v[0:1]
	v_and_b32_e32 v0, s59, v0
	v_lshlrev_b32_e32 v1, 3, v0
	v_add_lshl_u32 v1, v1, v74, 2
	; wave barrier
	v_add_u32_e32 v22, 32, v1
	ds_read_b32 v21, v1 offset:32
	v_and_b32_e32 v1, 1, v0
	v_add_co_u32_e32 v2, vcc, -1, v1
	v_addc_co_u32_e64 v3, s[4:5], 0, -1, vcc
	v_cmp_ne_u32_e32 vcc, 0, v1
	v_lshlrev_b32_e32 v49, 30, v0
	v_xor_b32_e32 v1, vcc_hi, v3
	v_not_b32_e32 v3, v49
	v_xor_b32_e32 v2, vcc_lo, v2
	v_cmp_gt_i64_e32 vcc, 0, v[48:49]
	v_ashrrev_i32_e32 v3, 31, v3
	v_and_b32_e32 v2, exec_lo, v2
	v_xor_b32_e32 v23, vcc_hi, v3
	v_xor_b32_e32 v3, vcc_lo, v3
	v_lshlrev_b32_e32 v49, 29, v0
	v_and_b32_e32 v2, v2, v3
	v_not_b32_e32 v3, v49
	v_and_b32_e32 v1, exec_hi, v1
	v_cmp_gt_i64_e32 vcc, 0, v[48:49]
	v_ashrrev_i32_e32 v3, 31, v3
	v_and_b32_e32 v1, v1, v23
	v_xor_b32_e32 v23, vcc_hi, v3
	v_xor_b32_e32 v3, vcc_lo, v3
	v_lshlrev_b32_e32 v49, 28, v0
	v_and_b32_e32 v2, v2, v3
	v_not_b32_e32 v3, v49
	v_cmp_gt_i64_e32 vcc, 0, v[48:49]
	v_ashrrev_i32_e32 v3, 31, v3
	v_and_b32_e32 v1, v1, v23
	v_xor_b32_e32 v23, vcc_hi, v3
	v_xor_b32_e32 v3, vcc_lo, v3
	v_lshlrev_b32_e32 v49, 27, v0
	v_and_b32_e32 v2, v2, v3
	v_not_b32_e32 v3, v49
	;; [unrolled: 8-line block ×3, first 2 shown]
	v_cmp_gt_i64_e32 vcc, 0, v[48:49]
	v_ashrrev_i32_e32 v3, 31, v3
	v_and_b32_e32 v1, v1, v23
	v_xor_b32_e32 v23, vcc_hi, v3
	v_xor_b32_e32 v3, vcc_lo, v3
	v_lshlrev_b32_e32 v49, 25, v0
	v_and_b32_e32 v2, v2, v3
	v_cmp_gt_i64_e32 vcc, 0, v[48:49]
	v_not_b32_e32 v3, v49
	v_lshlrev_b32_e32 v49, 24, v0
	v_ashrrev_i32_e32 v3, 31, v3
	v_not_b32_e32 v0, v49
	v_and_b32_e32 v1, v1, v23
	v_xor_b32_e32 v23, vcc_hi, v3
	v_xor_b32_e32 v3, vcc_lo, v3
	v_cmp_gt_i64_e32 vcc, 0, v[48:49]
	v_ashrrev_i32_e32 v0, 31, v0
	v_and_b32_e32 v2, v2, v3
	v_xor_b32_e32 v3, vcc_hi, v0
	v_xor_b32_e32 v0, vcc_lo, v0
	v_and_b32_e32 v1, v1, v23
	v_and_b32_e32 v0, v2, v0
	;; [unrolled: 1-line block ×3, first 2 shown]
	v_mbcnt_lo_u32_b32 v2, v0, 0
	v_mbcnt_hi_u32_b32 v23, v1, v2
	v_cmp_eq_u32_e32 vcc, 0, v23
	v_cmp_ne_u64_e64 s[4:5], 0, v[0:1]
	s_and_b64 s[60:61], s[4:5], vcc
	; wave barrier
	s_and_saveexec_b64 s[4:5], s[60:61]
	s_cbranch_execz .LBB190_84
; %bb.83:                               ;   in Loop: Header=BB190_70 Depth=1
	v_bcnt_u32_b32 v0, v0, 0
	v_bcnt_u32_b32 v0, v1, v0
	s_waitcnt lgkmcnt(0)
	v_add_u32_e32 v0, v21, v0
	ds_write_b32 v22, v0
.LBB190_84:                             ;   in Loop: Header=BB190_70 Depth=1
	s_or_b64 exec, exec, s[4:5]
	v_cmp_ne_u64_e32 vcc, s[54:55], v[50:51]
	v_cndmask_b32_e32 v1, v72, v51, vcc
	v_cndmask_b32_e32 v0, -1, v50, vcc
	v_lshrrev_b64 v[0:1], s48, v[0:1]
	v_and_b32_e32 v0, s59, v0
	v_lshlrev_b32_e32 v1, 3, v0
	v_add_lshl_u32 v1, v1, v74, 2
	; wave barrier
	v_add_u32_e32 v25, 32, v1
	ds_read_b32 v24, v1 offset:32
	v_and_b32_e32 v1, 1, v0
	v_add_co_u32_e32 v2, vcc, -1, v1
	v_addc_co_u32_e64 v3, s[4:5], 0, -1, vcc
	v_cmp_ne_u32_e32 vcc, 0, v1
	v_lshlrev_b32_e32 v49, 30, v0
	v_xor_b32_e32 v1, vcc_hi, v3
	v_not_b32_e32 v3, v49
	v_xor_b32_e32 v2, vcc_lo, v2
	v_cmp_gt_i64_e32 vcc, 0, v[48:49]
	v_ashrrev_i32_e32 v3, 31, v3
	v_and_b32_e32 v2, exec_lo, v2
	v_xor_b32_e32 v26, vcc_hi, v3
	v_xor_b32_e32 v3, vcc_lo, v3
	v_lshlrev_b32_e32 v49, 29, v0
	v_and_b32_e32 v2, v2, v3
	v_not_b32_e32 v3, v49
	v_and_b32_e32 v1, exec_hi, v1
	v_cmp_gt_i64_e32 vcc, 0, v[48:49]
	v_ashrrev_i32_e32 v3, 31, v3
	v_and_b32_e32 v1, v1, v26
	v_xor_b32_e32 v26, vcc_hi, v3
	v_xor_b32_e32 v3, vcc_lo, v3
	v_lshlrev_b32_e32 v49, 28, v0
	v_and_b32_e32 v2, v2, v3
	v_not_b32_e32 v3, v49
	v_cmp_gt_i64_e32 vcc, 0, v[48:49]
	v_ashrrev_i32_e32 v3, 31, v3
	v_and_b32_e32 v1, v1, v26
	v_xor_b32_e32 v26, vcc_hi, v3
	v_xor_b32_e32 v3, vcc_lo, v3
	v_lshlrev_b32_e32 v49, 27, v0
	v_and_b32_e32 v2, v2, v3
	v_not_b32_e32 v3, v49
	;; [unrolled: 8-line block ×3, first 2 shown]
	v_cmp_gt_i64_e32 vcc, 0, v[48:49]
	v_ashrrev_i32_e32 v3, 31, v3
	v_and_b32_e32 v1, v1, v26
	v_xor_b32_e32 v26, vcc_hi, v3
	v_xor_b32_e32 v3, vcc_lo, v3
	v_lshlrev_b32_e32 v49, 25, v0
	v_and_b32_e32 v2, v2, v3
	v_cmp_gt_i64_e32 vcc, 0, v[48:49]
	v_not_b32_e32 v3, v49
	v_lshlrev_b32_e32 v49, 24, v0
	v_ashrrev_i32_e32 v3, 31, v3
	v_not_b32_e32 v0, v49
	v_and_b32_e32 v1, v1, v26
	v_xor_b32_e32 v26, vcc_hi, v3
	v_xor_b32_e32 v3, vcc_lo, v3
	v_cmp_gt_i64_e32 vcc, 0, v[48:49]
	v_ashrrev_i32_e32 v0, 31, v0
	v_and_b32_e32 v2, v2, v3
	v_xor_b32_e32 v3, vcc_hi, v0
	v_xor_b32_e32 v0, vcc_lo, v0
	v_and_b32_e32 v1, v1, v26
	v_and_b32_e32 v0, v2, v0
	;; [unrolled: 1-line block ×3, first 2 shown]
	v_mbcnt_lo_u32_b32 v2, v0, 0
	v_mbcnt_hi_u32_b32 v26, v1, v2
	v_cmp_eq_u32_e32 vcc, 0, v26
	v_cmp_ne_u64_e64 s[4:5], 0, v[0:1]
	s_and_b64 s[60:61], s[4:5], vcc
	; wave barrier
	s_and_saveexec_b64 s[4:5], s[60:61]
	s_cbranch_execz .LBB190_86
; %bb.85:                               ;   in Loop: Header=BB190_70 Depth=1
	v_bcnt_u32_b32 v0, v0, 0
	v_bcnt_u32_b32 v0, v1, v0
	s_waitcnt lgkmcnt(0)
	v_add_u32_e32 v0, v24, v0
	ds_write_b32 v25, v0
.LBB190_86:                             ;   in Loop: Header=BB190_70 Depth=1
	s_or_b64 exec, exec, s[4:5]
	; wave barrier
	s_waitcnt lgkmcnt(0)
	s_barrier
	ds_read2_b32 v[2:3], v112 offset0:8 offset1:9
	ds_read2_b32 v[0:1], v73 offset0:2 offset1:3
	s_waitcnt lgkmcnt(1)
	v_add_u32_e32 v27, v3, v2
	s_waitcnt lgkmcnt(0)
	v_add3_u32 v1, v27, v0, v1
	s_nop 1
	v_mov_b32_dpp v27, v1 row_shr:1 row_mask:0xf bank_mask:0xf
	v_cndmask_b32_e64 v27, v27, 0, s[16:17]
	v_add_u32_e32 v1, v27, v1
	s_nop 1
	v_mov_b32_dpp v27, v1 row_shr:2 row_mask:0xf bank_mask:0xf
	v_cndmask_b32_e64 v27, 0, v27, s[18:19]
	v_add_u32_e32 v1, v1, v27
	;; [unrolled: 4-line block ×4, first 2 shown]
	s_nop 1
	v_mov_b32_dpp v27, v1 row_bcast:15 row_mask:0xf bank_mask:0xf
	v_cndmask_b32_e64 v27, v27, 0, s[24:25]
	v_add_u32_e32 v1, v1, v27
	s_nop 1
	v_mov_b32_dpp v27, v1 row_bcast:31 row_mask:0xf bank_mask:0xf
	v_cndmask_b32_e64 v27, 0, v27, s[26:27]
	v_add_u32_e32 v1, v1, v27
	s_and_saveexec_b64 s[4:5], s[28:29]
	s_cbranch_execz .LBB190_88
; %bb.87:                               ;   in Loop: Header=BB190_70 Depth=1
	ds_write_b32 v70, v1
.LBB190_88:                             ;   in Loop: Header=BB190_70 Depth=1
	s_or_b64 exec, exec, s[4:5]
	s_waitcnt lgkmcnt(0)
	s_barrier
	s_and_saveexec_b64 s[4:5], s[30:31]
	s_cbranch_execz .LBB190_90
; %bb.89:                               ;   in Loop: Header=BB190_70 Depth=1
	ds_read_b32 v27, v69
	s_waitcnt lgkmcnt(0)
	s_nop 0
	v_mov_b32_dpp v28, v27 row_shr:1 row_mask:0xf bank_mask:0xf
	v_cndmask_b32_e64 v28, v28, 0, s[40:41]
	v_add_u32_e32 v27, v28, v27
	s_nop 1
	v_mov_b32_dpp v28, v27 row_shr:2 row_mask:0xf bank_mask:0xf
	v_cndmask_b32_e64 v28, 0, v28, s[42:43]
	v_add_u32_e32 v27, v27, v28
	;; [unrolled: 4-line block ×3, first 2 shown]
	ds_write_b32 v69, v27
.LBB190_90:                             ;   in Loop: Header=BB190_70 Depth=1
	s_or_b64 exec, exec, s[4:5]
	v_mov_b32_e32 v27, 0
	s_waitcnt lgkmcnt(0)
	s_barrier
	s_and_saveexec_b64 s[4:5], s[34:35]
	s_cbranch_execz .LBB190_92
; %bb.91:                               ;   in Loop: Header=BB190_70 Depth=1
	ds_read_b32 v27, v76
.LBB190_92:                             ;   in Loop: Header=BB190_70 Depth=1
	s_or_b64 exec, exec, s[4:5]
	s_waitcnt lgkmcnt(0)
	v_add_u32_e32 v1, v27, v1
	ds_bpermute_b32 v1, v75, v1
	s_cmp_gt_u32 s48, 55
	s_waitcnt lgkmcnt(0)
	v_cndmask_b32_e64 v1, v1, v27, s[36:37]
	v_cndmask_b32_e64 v1, v1, 0, s[38:39]
	v_add_u32_e32 v2, v1, v2
	v_add_u32_e32 v3, v2, v3
	;; [unrolled: 1-line block ×3, first 2 shown]
	ds_write2_b32 v112, v1, v2 offset0:8 offset1:9
	ds_write2_b32 v73, v3, v0 offset0:2 offset1:3
	s_waitcnt lgkmcnt(0)
	s_barrier
	ds_read_b32 v0, v4
	ds_read_b32 v1, v7
	ds_read_b32 v2, v10
	ds_read_b32 v3, v13
	ds_read_b32 v4, v16
	ds_read_b32 v7, v19
	ds_read_b32 v10, v22
	ds_read_b32 v13, v25
	s_waitcnt lgkmcnt(7)
	v_add_u32_e32 v84, v0, v5
	s_waitcnt lgkmcnt(6)
	v_add3_u32 v83, v8, v6, v1
	s_waitcnt lgkmcnt(5)
	v_add3_u32 v82, v11, v9, v2
	;; [unrolled: 2-line block ×7, first 2 shown]
	s_cbranch_scc0 .LBB190_69
; %bb.93:
                                        ; implicit-def: $vgpr14_vgpr15
                                        ; implicit-def: $vgpr10_vgpr11
                                        ; implicit-def: $vgpr6_vgpr7
                                        ; implicit-def: $vgpr2_vgpr3
                                        ; implicit-def: $vgpr30_vgpr31
                                        ; implicit-def: $vgpr26_vgpr27
                                        ; implicit-def: $vgpr22_vgpr23
                                        ; implicit-def: $vgpr18_vgpr19
                                        ; implicit-def: $sgpr48_sgpr49
                                        ; implicit-def: $sgpr57
.LBB190_94:
	v_lshlrev_b32_e32 v16, 3, v84
	v_lshlrev_b32_e32 v17, 3, v83
	;; [unrolled: 1-line block ×9, first 2 shown]
	s_barrier
	ds_write_b64 v16, v[64:65]
	ds_write_b64 v17, v[62:63]
	;; [unrolled: 1-line block ×8, first 2 shown]
	s_waitcnt lgkmcnt(0)
	s_barrier
	ds_read2_b64 v[0:3], v24 offset1:1
	ds_read2_b64 v[4:7], v24 offset0:2 offset1:3
	ds_read2_b64 v[8:11], v24 offset0:4 offset1:5
	;; [unrolled: 1-line block ×3, first 2 shown]
	s_waitcnt lgkmcnt(0)
	s_barrier
	ds_write_b64 v16, v[46:47]
	ds_write_b64 v17, v[44:45]
	;; [unrolled: 1-line block ×8, first 2 shown]
	v_ashrrev_i32_e32 v18, 31, v1
	v_not_b32_e32 v18, v18
	v_cmp_gt_i64_e32 vcc, 0, v[0:1]
	v_xor_b32_e32 v0, v18, v0
	v_ashrrev_i32_e32 v18, 31, v3
	v_bfrev_b32_e32 v16, -2
	v_not_b32_e32 v18, v18
	v_cndmask_b32_e64 v17, v16, 0, vcc
	v_cmp_gt_i64_e32 vcc, 0, v[2:3]
	v_xor_b32_e32 v2, v18, v2
	v_ashrrev_i32_e32 v18, 31, v5
	v_not_b32_e32 v18, v18
	v_xor_b32_e32 v1, v17, v1
	v_cndmask_b32_e64 v17, v16, 0, vcc
	v_cmp_gt_i64_e32 vcc, 0, v[4:5]
	v_xor_b32_e32 v4, v18, v4
	v_ashrrev_i32_e32 v18, 31, v7
	s_waitcnt lgkmcnt(0)
	s_barrier
	ds_read2_b64 v[50:53], v24 offset1:1
	ds_read2_b64 v[54:57], v24 offset0:2 offset1:3
	ds_read2_b64 v[58:61], v24 offset0:4 offset1:5
	;; [unrolled: 1-line block ×3, first 2 shown]
	v_xor_b32_e32 v3, v17, v3
	v_cndmask_b32_e64 v17, v16, 0, vcc
	v_cmp_gt_i64_e32 vcc, 0, v[6:7]
	v_not_b32_e32 v18, v18
	v_xor_b32_e32 v5, v17, v5
	v_cndmask_b32_e64 v17, v16, 0, vcc
	v_xor_b32_e32 v6, v18, v6
	v_cmp_gt_i64_e32 vcc, 0, v[8:9]
	v_ashrrev_i32_e32 v18, 31, v9
	v_xor_b32_e32 v7, v17, v7
	v_cndmask_b32_e64 v17, v16, 0, vcc
	v_not_b32_e32 v18, v18
	v_cmp_gt_i64_e32 vcc, 0, v[10:11]
	v_xor_b32_e32 v9, v17, v9
	v_xor_b32_e32 v8, v18, v8
	v_cndmask_b32_e64 v17, v16, 0, vcc
	v_ashrrev_i32_e32 v18, 31, v11
	v_cmp_gt_i64_e32 vcc, 0, v[12:13]
	v_not_b32_e32 v18, v18
	v_xor_b32_e32 v11, v17, v11
	v_cndmask_b32_e64 v17, v16, 0, vcc
	v_xor_b32_e32 v10, v18, v10
	v_ashrrev_i32_e32 v18, 31, v13
	v_xor_b32_e32 v13, v17, v13
	v_cmp_gt_i64_e32 vcc, 0, v[14:15]
	v_ashrrev_i32_e32 v17, 31, v15
	v_not_b32_e32 v18, v18
	v_cndmask_b32_e64 v16, v16, 0, vcc
	v_not_b32_e32 v17, v17
	v_xor_b32_e32 v12, v18, v12
	v_xor_b32_e32 v15, v16, v15
	;; [unrolled: 1-line block ×3, first 2 shown]
.LBB190_95:
	s_waitcnt lgkmcnt(0)
	s_barrier
	ds_write2_b64 v111, v[0:1], v[2:3] offset1:1
	ds_write2_b64 v111, v[4:5], v[6:7] offset0:2 offset1:3
	ds_write2_b64 v111, v[8:9], v[10:11] offset0:4 offset1:5
	;; [unrolled: 1-line block ×3, first 2 shown]
	s_waitcnt lgkmcnt(0)
	s_barrier
	ds_read_b64 v[14:15], v104 offset:4096
	ds_read_b64 v[12:13], v105 offset:8192
	;; [unrolled: 1-line block ×7, first 2 shown]
	v_mov_b32_e32 v67, 0
	v_lshlrev_b64 v[2:3], 3, v[66:67]
	v_mov_b32_e32 v16, s51
	v_add_co_u32_e32 v2, vcc, s33, v2
	v_addc_co_u32_e32 v3, vcc, v16, v3, vcc
	s_and_saveexec_b64 s[4:5], s[0:1]
	s_cbranch_execnz .LBB190_114
; %bb.96:
	s_or_b64 exec, exec, s[4:5]
	s_and_saveexec_b64 s[4:5], s[2:3]
	s_cbranch_execnz .LBB190_115
.LBB190_97:
	s_or_b64 exec, exec, s[4:5]
	s_and_saveexec_b64 s[4:5], s[46:47]
	s_cbranch_execnz .LBB190_116
.LBB190_98:
	s_or_b64 exec, exec, s[4:5]
	s_and_saveexec_b64 s[4:5], s[6:7]
	s_cbranch_execnz .LBB190_117
.LBB190_99:
	s_or_b64 exec, exec, s[4:5]
	s_and_saveexec_b64 s[4:5], s[8:9]
	s_cbranch_execnz .LBB190_118
.LBB190_100:
	s_or_b64 exec, exec, s[4:5]
	s_and_saveexec_b64 s[4:5], s[10:11]
	s_cbranch_execnz .LBB190_119
.LBB190_101:
	s_or_b64 exec, exec, s[4:5]
	s_and_saveexec_b64 s[4:5], s[12:13]
	s_cbranch_execnz .LBB190_120
.LBB190_102:
	s_or_b64 exec, exec, s[4:5]
	s_and_saveexec_b64 s[4:5], s[14:15]
	s_cbranch_execz .LBB190_104
.LBB190_103:
	s_mul_i32 s16, s50, 0xe00
	s_mov_b32 s17, 0
	s_lshl_b64 s[16:17], s[16:17], 3
	s_waitcnt lgkmcnt(1)
	v_mov_b32_e32 v4, s17
	v_add_co_u32_e32 v2, vcc, s16, v2
	v_addc_co_u32_e32 v3, vcc, v3, v4, vcc
	s_waitcnt lgkmcnt(0)
	global_store_dwordx2 v[2:3], v[0:1], off
.LBB190_104:
	s_or_b64 exec, exec, s[4:5]
	s_waitcnt lgkmcnt(0)
	s_barrier
	ds_write2_b64 v111, v[50:51], v[52:53] offset1:1
	ds_write2_b64 v111, v[54:55], v[56:57] offset0:2 offset1:3
	ds_write2_b64 v111, v[58:59], v[60:61] offset0:4 offset1:5
	;; [unrolled: 1-line block ×3, first 2 shown]
	s_waitcnt lgkmcnt(0)
	s_barrier
	ds_read_b64 v[14:15], v104 offset:4096
	ds_read_b64 v[12:13], v105 offset:8192
	;; [unrolled: 1-line block ×7, first 2 shown]
	v_mov_b32_e32 v69, 0
	v_lshlrev_b64 v[2:3], 3, v[68:69]
	v_mov_b32_e32 v16, s58
	v_add_co_u32_e32 v2, vcc, s53, v2
	v_addc_co_u32_e32 v3, vcc, v16, v3, vcc
	s_and_saveexec_b64 s[4:5], s[0:1]
	s_cbranch_execnz .LBB190_121
; %bb.105:
	s_or_b64 exec, exec, s[4:5]
	s_and_saveexec_b64 s[0:1], s[2:3]
	s_cbranch_execnz .LBB190_122
.LBB190_106:
	s_or_b64 exec, exec, s[0:1]
	s_and_saveexec_b64 s[0:1], s[46:47]
	s_cbranch_execnz .LBB190_123
.LBB190_107:
	s_or_b64 exec, exec, s[0:1]
	s_and_saveexec_b64 s[0:1], s[6:7]
	s_cbranch_execnz .LBB190_124
.LBB190_108:
	s_or_b64 exec, exec, s[0:1]
	s_and_saveexec_b64 s[0:1], s[8:9]
	s_cbranch_execnz .LBB190_125
.LBB190_109:
	s_or_b64 exec, exec, s[0:1]
	s_and_saveexec_b64 s[0:1], s[10:11]
	s_cbranch_execnz .LBB190_126
.LBB190_110:
	s_or_b64 exec, exec, s[0:1]
	s_and_saveexec_b64 s[0:1], s[12:13]
	s_cbranch_execnz .LBB190_127
.LBB190_111:
	s_or_b64 exec, exec, s[0:1]
	s_and_saveexec_b64 s[0:1], s[14:15]
	s_cbranch_execz .LBB190_113
.LBB190_112:
	s_mul_i32 s0, s52, 0xe00
	s_mov_b32 s1, 0
	s_lshl_b64 s[0:1], s[0:1], 3
	s_waitcnt lgkmcnt(1)
	v_mov_b32_e32 v4, s1
	v_add_co_u32_e32 v2, vcc, s0, v2
	v_addc_co_u32_e32 v3, vcc, v3, v4, vcc
	s_waitcnt lgkmcnt(0)
	global_store_dwordx2 v[2:3], v[0:1], off
.LBB190_113:
	s_endpgm
.LBB190_114:
	ds_read_b64 v[16:17], v71
	s_waitcnt lgkmcnt(0)
	global_store_dwordx2 v[2:3], v[16:17], off
	s_or_b64 exec, exec, s[4:5]
	s_and_saveexec_b64 s[4:5], s[2:3]
	s_cbranch_execz .LBB190_97
.LBB190_115:
	s_lshl_b32 s16, s50, 9
	s_mov_b32 s17, 0
	s_lshl_b64 s[16:17], s[16:17], 3
	v_mov_b32_e32 v17, s17
	v_add_co_u32_e32 v16, vcc, s16, v2
	v_addc_co_u32_e32 v17, vcc, v3, v17, vcc
	s_waitcnt lgkmcnt(6)
	global_store_dwordx2 v[16:17], v[14:15], off
	s_or_b64 exec, exec, s[4:5]
	s_and_saveexec_b64 s[4:5], s[46:47]
	s_cbranch_execz .LBB190_98
.LBB190_116:
	s_lshl_b32 s16, s50, 10
	s_mov_b32 s17, 0
	s_lshl_b64 s[16:17], s[16:17], 3
	s_waitcnt lgkmcnt(6)
	v_mov_b32_e32 v15, s17
	v_add_co_u32_e32 v14, vcc, s16, v2
	v_addc_co_u32_e32 v15, vcc, v3, v15, vcc
	s_waitcnt lgkmcnt(5)
	global_store_dwordx2 v[14:15], v[12:13], off
	s_or_b64 exec, exec, s[4:5]
	s_and_saveexec_b64 s[4:5], s[6:7]
	s_cbranch_execz .LBB190_99
.LBB190_117:
	s_mul_i32 s16, s50, 0x600
	s_mov_b32 s17, 0
	s_lshl_b64 s[16:17], s[16:17], 3
	s_waitcnt lgkmcnt(5)
	v_mov_b32_e32 v13, s17
	v_add_co_u32_e32 v12, vcc, s16, v2
	v_addc_co_u32_e32 v13, vcc, v3, v13, vcc
	s_waitcnt lgkmcnt(4)
	global_store_dwordx2 v[12:13], v[10:11], off
	s_or_b64 exec, exec, s[4:5]
	s_and_saveexec_b64 s[4:5], s[8:9]
	s_cbranch_execz .LBB190_100
.LBB190_118:
	s_lshl_b32 s16, s50, 11
	s_mov_b32 s17, 0
	s_lshl_b64 s[16:17], s[16:17], 3
	s_waitcnt lgkmcnt(4)
	v_mov_b32_e32 v11, s17
	v_add_co_u32_e32 v10, vcc, s16, v2
	v_addc_co_u32_e32 v11, vcc, v3, v11, vcc
	s_waitcnt lgkmcnt(3)
	global_store_dwordx2 v[10:11], v[8:9], off
	s_or_b64 exec, exec, s[4:5]
	s_and_saveexec_b64 s[4:5], s[10:11]
	s_cbranch_execz .LBB190_101
.LBB190_119:
	s_mul_i32 s16, s50, 0xa00
	s_mov_b32 s17, 0
	s_lshl_b64 s[16:17], s[16:17], 3
	s_waitcnt lgkmcnt(3)
	v_mov_b32_e32 v9, s17
	v_add_co_u32_e32 v8, vcc, s16, v2
	v_addc_co_u32_e32 v9, vcc, v3, v9, vcc
	s_waitcnt lgkmcnt(2)
	global_store_dwordx2 v[8:9], v[6:7], off
	s_or_b64 exec, exec, s[4:5]
	s_and_saveexec_b64 s[4:5], s[12:13]
	s_cbranch_execz .LBB190_102
.LBB190_120:
	s_mul_i32 s16, s50, 0xc00
	s_mov_b32 s17, 0
	s_lshl_b64 s[16:17], s[16:17], 3
	s_waitcnt lgkmcnt(2)
	v_mov_b32_e32 v7, s17
	v_add_co_u32_e32 v6, vcc, s16, v2
	v_addc_co_u32_e32 v7, vcc, v3, v7, vcc
	s_waitcnt lgkmcnt(1)
	global_store_dwordx2 v[6:7], v[4:5], off
	s_or_b64 exec, exec, s[4:5]
	s_and_saveexec_b64 s[4:5], s[14:15]
	s_cbranch_execnz .LBB190_103
	s_branch .LBB190_104
.LBB190_121:
	ds_read_b64 v[16:17], v71
	s_waitcnt lgkmcnt(0)
	global_store_dwordx2 v[2:3], v[16:17], off
	s_or_b64 exec, exec, s[4:5]
	s_and_saveexec_b64 s[0:1], s[2:3]
	s_cbranch_execz .LBB190_106
.LBB190_122:
	s_lshl_b32 s2, s52, 9
	s_mov_b32 s3, 0
	s_lshl_b64 s[2:3], s[2:3], 3
	v_mov_b32_e32 v17, s3
	v_add_co_u32_e32 v16, vcc, s2, v2
	v_addc_co_u32_e32 v17, vcc, v3, v17, vcc
	s_waitcnt lgkmcnt(6)
	global_store_dwordx2 v[16:17], v[14:15], off
	s_or_b64 exec, exec, s[0:1]
	s_and_saveexec_b64 s[0:1], s[46:47]
	s_cbranch_execz .LBB190_107
.LBB190_123:
	s_lshl_b32 s2, s52, 10
	s_mov_b32 s3, 0
	s_lshl_b64 s[2:3], s[2:3], 3
	s_waitcnt lgkmcnt(6)
	v_mov_b32_e32 v15, s3
	v_add_co_u32_e32 v14, vcc, s2, v2
	v_addc_co_u32_e32 v15, vcc, v3, v15, vcc
	s_waitcnt lgkmcnt(5)
	global_store_dwordx2 v[14:15], v[12:13], off
	s_or_b64 exec, exec, s[0:1]
	s_and_saveexec_b64 s[0:1], s[6:7]
	s_cbranch_execz .LBB190_108
.LBB190_124:
	s_mul_i32 s2, s52, 0x600
	s_mov_b32 s3, 0
	s_lshl_b64 s[2:3], s[2:3], 3
	s_waitcnt lgkmcnt(5)
	v_mov_b32_e32 v13, s3
	v_add_co_u32_e32 v12, vcc, s2, v2
	v_addc_co_u32_e32 v13, vcc, v3, v13, vcc
	s_waitcnt lgkmcnt(4)
	global_store_dwordx2 v[12:13], v[10:11], off
	s_or_b64 exec, exec, s[0:1]
	s_and_saveexec_b64 s[0:1], s[8:9]
	s_cbranch_execz .LBB190_109
.LBB190_125:
	s_lshl_b32 s2, s52, 11
	s_mov_b32 s3, 0
	s_lshl_b64 s[2:3], s[2:3], 3
	s_waitcnt lgkmcnt(4)
	v_mov_b32_e32 v11, s3
	v_add_co_u32_e32 v10, vcc, s2, v2
	v_addc_co_u32_e32 v11, vcc, v3, v11, vcc
	s_waitcnt lgkmcnt(3)
	global_store_dwordx2 v[10:11], v[8:9], off
	s_or_b64 exec, exec, s[0:1]
	s_and_saveexec_b64 s[0:1], s[10:11]
	s_cbranch_execz .LBB190_110
.LBB190_126:
	s_mul_i32 s2, s52, 0xa00
	s_mov_b32 s3, 0
	s_lshl_b64 s[2:3], s[2:3], 3
	s_waitcnt lgkmcnt(3)
	v_mov_b32_e32 v9, s3
	v_add_co_u32_e32 v8, vcc, s2, v2
	v_addc_co_u32_e32 v9, vcc, v3, v9, vcc
	s_waitcnt lgkmcnt(2)
	global_store_dwordx2 v[8:9], v[6:7], off
	s_or_b64 exec, exec, s[0:1]
	s_and_saveexec_b64 s[0:1], s[12:13]
	s_cbranch_execz .LBB190_111
.LBB190_127:
	s_mul_i32 s2, s52, 0xc00
	s_mov_b32 s3, 0
	s_lshl_b64 s[2:3], s[2:3], 3
	s_waitcnt lgkmcnt(2)
	v_mov_b32_e32 v7, s3
	v_add_co_u32_e32 v6, vcc, s2, v2
	v_addc_co_u32_e32 v7, vcc, v3, v7, vcc
	s_waitcnt lgkmcnt(1)
	global_store_dwordx2 v[6:7], v[4:5], off
	s_or_b64 exec, exec, s[0:1]
	s_and_saveexec_b64 s[0:1], s[14:15]
	s_cbranch_execnz .LBB190_112
	s_branch .LBB190_113
	.section	.rodata,"a",@progbits
	.p2align	6, 0x0
	.amdhsa_kernel _ZN2at6native18radixSortKVInPlaceILin1ELin1ELi512ELi8EdljEEvNS_4cuda6detail10TensorInfoIT3_T5_EES6_S6_S6_NS4_IT4_S6_EES6_b
		.amdhsa_group_segment_fixed_size 33792
		.amdhsa_private_segment_fixed_size 0
		.amdhsa_kernarg_size 712
		.amdhsa_user_sgpr_count 6
		.amdhsa_user_sgpr_private_segment_buffer 1
		.amdhsa_user_sgpr_dispatch_ptr 0
		.amdhsa_user_sgpr_queue_ptr 0
		.amdhsa_user_sgpr_kernarg_segment_ptr 1
		.amdhsa_user_sgpr_dispatch_id 0
		.amdhsa_user_sgpr_flat_scratch_init 0
		.amdhsa_user_sgpr_kernarg_preload_length 0
		.amdhsa_user_sgpr_kernarg_preload_offset 0
		.amdhsa_user_sgpr_private_segment_size 0
		.amdhsa_uses_dynamic_stack 0
		.amdhsa_system_sgpr_private_segment_wavefront_offset 0
		.amdhsa_system_sgpr_workgroup_id_x 1
		.amdhsa_system_sgpr_workgroup_id_y 1
		.amdhsa_system_sgpr_workgroup_id_z 1
		.amdhsa_system_sgpr_workgroup_info 0
		.amdhsa_system_vgpr_workitem_id 2
		.amdhsa_next_free_vgpr 139
		.amdhsa_next_free_sgpr 64
		.amdhsa_accum_offset 140
		.amdhsa_reserve_vcc 1
		.amdhsa_reserve_flat_scratch 0
		.amdhsa_float_round_mode_32 0
		.amdhsa_float_round_mode_16_64 0
		.amdhsa_float_denorm_mode_32 3
		.amdhsa_float_denorm_mode_16_64 3
		.amdhsa_dx10_clamp 1
		.amdhsa_ieee_mode 1
		.amdhsa_fp16_overflow 0
		.amdhsa_tg_split 0
		.amdhsa_exception_fp_ieee_invalid_op 0
		.amdhsa_exception_fp_denorm_src 0
		.amdhsa_exception_fp_ieee_div_zero 0
		.amdhsa_exception_fp_ieee_overflow 0
		.amdhsa_exception_fp_ieee_underflow 0
		.amdhsa_exception_fp_ieee_inexact 0
		.amdhsa_exception_int_div_zero 0
	.end_amdhsa_kernel
	.section	.text._ZN2at6native18radixSortKVInPlaceILin1ELin1ELi512ELi8EdljEEvNS_4cuda6detail10TensorInfoIT3_T5_EES6_S6_S6_NS4_IT4_S6_EES6_b,"axG",@progbits,_ZN2at6native18radixSortKVInPlaceILin1ELin1ELi512ELi8EdljEEvNS_4cuda6detail10TensorInfoIT3_T5_EES6_S6_S6_NS4_IT4_S6_EES6_b,comdat
.Lfunc_end190:
	.size	_ZN2at6native18radixSortKVInPlaceILin1ELin1ELi512ELi8EdljEEvNS_4cuda6detail10TensorInfoIT3_T5_EES6_S6_S6_NS4_IT4_S6_EES6_b, .Lfunc_end190-_ZN2at6native18radixSortKVInPlaceILin1ELin1ELi512ELi8EdljEEvNS_4cuda6detail10TensorInfoIT3_T5_EES6_S6_S6_NS4_IT4_S6_EES6_b
                                        ; -- End function
	.section	.AMDGPU.csdata,"",@progbits
; Kernel info:
; codeLenInByte = 14072
; NumSgprs: 68
; NumVgprs: 139
; NumAgprs: 0
; TotalNumVgprs: 139
; ScratchSize: 0
; MemoryBound: 0
; FloatMode: 240
; IeeeMode: 1
; LDSByteSize: 33792 bytes/workgroup (compile time only)
; SGPRBlocks: 8
; VGPRBlocks: 17
; NumSGPRsForWavesPerEU: 68
; NumVGPRsForWavesPerEU: 139
; AccumOffset: 140
; Occupancy: 2
; WaveLimiterHint : 1
; COMPUTE_PGM_RSRC2:SCRATCH_EN: 0
; COMPUTE_PGM_RSRC2:USER_SGPR: 6
; COMPUTE_PGM_RSRC2:TRAP_HANDLER: 0
; COMPUTE_PGM_RSRC2:TGID_X_EN: 1
; COMPUTE_PGM_RSRC2:TGID_Y_EN: 1
; COMPUTE_PGM_RSRC2:TGID_Z_EN: 1
; COMPUTE_PGM_RSRC2:TIDIG_COMP_CNT: 2
; COMPUTE_PGM_RSRC3_GFX90A:ACCUM_OFFSET: 34
; COMPUTE_PGM_RSRC3_GFX90A:TG_SPLIT: 0
	.section	.text._ZN2at6native18radixSortKVInPlaceILin1ELin1ELi256ELi8EdljEEvNS_4cuda6detail10TensorInfoIT3_T5_EES6_S6_S6_NS4_IT4_S6_EES6_b,"axG",@progbits,_ZN2at6native18radixSortKVInPlaceILin1ELin1ELi256ELi8EdljEEvNS_4cuda6detail10TensorInfoIT3_T5_EES6_S6_S6_NS4_IT4_S6_EES6_b,comdat
	.protected	_ZN2at6native18radixSortKVInPlaceILin1ELin1ELi256ELi8EdljEEvNS_4cuda6detail10TensorInfoIT3_T5_EES6_S6_S6_NS4_IT4_S6_EES6_b ; -- Begin function _ZN2at6native18radixSortKVInPlaceILin1ELin1ELi256ELi8EdljEEvNS_4cuda6detail10TensorInfoIT3_T5_EES6_S6_S6_NS4_IT4_S6_EES6_b
	.globl	_ZN2at6native18radixSortKVInPlaceILin1ELin1ELi256ELi8EdljEEvNS_4cuda6detail10TensorInfoIT3_T5_EES6_S6_S6_NS4_IT4_S6_EES6_b
	.p2align	8
	.type	_ZN2at6native18radixSortKVInPlaceILin1ELin1ELi256ELi8EdljEEvNS_4cuda6detail10TensorInfoIT3_T5_EES6_S6_S6_NS4_IT4_S6_EES6_b,@function
_ZN2at6native18radixSortKVInPlaceILin1ELin1ELi256ELi8EdljEEvNS_4cuda6detail10TensorInfoIT3_T5_EES6_S6_S6_NS4_IT4_S6_EES6_b: ; @_ZN2at6native18radixSortKVInPlaceILin1ELin1ELi256ELi8EdljEEvNS_4cuda6detail10TensorInfoIT3_T5_EES6_S6_S6_NS4_IT4_S6_EES6_b
; %bb.0:
	s_load_dwordx2 s[0:1], s[4:5], 0x1c8
	s_load_dwordx4 s[48:51], s[4:5], 0xd8
	s_add_u32 s52, s4, 0x1c8
	s_addc_u32 s53, s5, 0
	s_waitcnt lgkmcnt(0)
	s_mul_i32 s1, s1, s8
	s_add_i32 s1, s1, s7
	s_mul_i32 s0, s1, s0
	s_add_i32 s26, s0, s6
	s_cmp_ge_u32 s26, s48
	s_cbranch_scc1 .LBB191_113
; %bb.1:
	s_load_dword s2, s[4:5], 0xd0
	s_mov_b32 s1, 0
	s_mov_b32 s0, s26
	s_waitcnt lgkmcnt(0)
	s_cmp_lt_i32 s2, 2
	s_cbranch_scc1 .LBB191_4
; %bb.2:
	s_add_i32 s0, s2, -1
	s_add_i32 s6, s2, 1
	s_lshl_b64 s[2:3], s[0:1], 2
	s_add_u32 s0, s2, s4
	s_addc_u32 s3, s3, s5
	s_add_u32 s2, s0, 8
	s_addc_u32 s3, s3, 0
	s_mov_b32 s0, s26
.LBB191_3:                              ; =>This Inner Loop Header: Depth=1
	s_load_dword s7, s[2:3], 0x0
	s_load_dword s9, s[2:3], 0x64
	s_mov_b32 s8, s0
	s_waitcnt lgkmcnt(0)
	v_cvt_f32_u32_e32 v1, s7
	s_sub_i32 s0, 0, s7
	v_rcp_iflag_f32_e32 v1, v1
	v_mul_f32_e32 v1, 0x4f7ffffe, v1
	v_cvt_u32_f32_e32 v1, v1
	v_readfirstlane_b32 s10, v1
	s_mul_i32 s0, s0, s10
	s_mul_hi_u32 s0, s10, s0
	s_add_i32 s10, s10, s0
	s_mul_hi_u32 s0, s8, s10
	s_mul_i32 s10, s0, s7
	s_sub_i32 s10, s8, s10
	s_add_i32 s11, s0, 1
	s_sub_i32 s12, s10, s7
	s_cmp_ge_u32 s10, s7
	s_cselect_b32 s0, s11, s0
	s_cselect_b32 s10, s12, s10
	s_add_i32 s11, s0, 1
	s_cmp_ge_u32 s10, s7
	s_cselect_b32 s0, s11, s0
	s_mul_i32 s7, s0, s7
	s_sub_i32 s7, s8, s7
	s_mul_i32 s7, s9, s7
	s_add_i32 s6, s6, -1
	s_add_i32 s1, s7, s1
	s_add_u32 s2, s2, -4
	s_addc_u32 s3, s3, -1
	s_cmp_gt_u32 s6, 2
	s_cbranch_scc1 .LBB191_3
.LBB191_4:
	s_load_dword s2, s[4:5], 0x1b8
	s_mov_b32 s25, 0
	s_waitcnt lgkmcnt(0)
	s_cmp_lt_i32 s2, 2
	s_cbranch_scc1 .LBB191_7
; %bb.5:
	s_add_i32 s24, s2, -1
	s_add_i32 s6, s2, 1
	s_lshl_b64 s[2:3], s[24:25], 2
	s_add_u32 s2, s2, s4
	s_addc_u32 s3, s3, s5
	s_add_u32 s2, s2, 0xf0
	s_addc_u32 s3, s3, 0
.LBB191_6:                              ; =>This Inner Loop Header: Depth=1
	s_load_dword s7, s[2:3], 0x0
	s_load_dword s9, s[2:3], 0x64
	s_mov_b32 s8, s26
	s_waitcnt lgkmcnt(0)
	v_cvt_f32_u32_e32 v1, s7
	s_sub_i32 s10, 0, s7
	v_rcp_iflag_f32_e32 v1, v1
	v_mul_f32_e32 v1, 0x4f7ffffe, v1
	v_cvt_u32_f32_e32 v1, v1
	v_readfirstlane_b32 s11, v1
	s_mul_i32 s10, s10, s11
	s_mul_hi_u32 s10, s11, s10
	s_add_i32 s11, s11, s10
	s_mul_hi_u32 s10, s26, s11
	s_mul_i32 s11, s10, s7
	s_sub_i32 s11, s26, s11
	s_add_i32 s12, s10, 1
	s_sub_i32 s13, s11, s7
	s_cmp_ge_u32 s11, s7
	s_cselect_b32 s10, s12, s10
	s_cselect_b32 s11, s13, s11
	s_add_i32 s12, s10, 1
	s_cmp_ge_u32 s11, s7
	s_cselect_b32 s26, s12, s10
	s_mul_i32 s7, s26, s7
	s_sub_i32 s7, s8, s7
	s_mul_i32 s7, s9, s7
	s_add_i32 s6, s6, -1
	s_add_i32 s25, s7, s25
	s_add_u32 s2, s2, -4
	s_addc_u32 s3, s3, -1
	s_cmp_gt_u32 s6, 2
	s_cbranch_scc1 .LBB191_6
.LBB191_7:
	s_load_dword s2, s[4:5], 0x6c
	s_load_dwordx2 s[46:47], s[4:5], 0x1c0
	s_mov_b32 s8, -1
	v_and_b32_e32 v70, 0x3ff, v0
	s_mov_b32 s10, s8
	s_waitcnt lgkmcnt(0)
	s_mul_i32 s0, s2, s0
	s_load_dwordx2 s[2:3], s[4:5], 0x0
	s_add_i32 s0, s0, s1
	s_bitcmp1_b32 s47, 0
	s_cselect_b64 s[34:35], -1, 0
	s_and_b64 s[6:7], s[34:35], exec
	s_mov_b32 s1, 0
	s_cselect_b32 s9, -1, 0x7fffffff
	s_lshl_b64 s[0:1], s[0:1], 3
	s_waitcnt lgkmcnt(0)
	s_add_u32 s33, s2, s0
	s_mov_b32 s11, s9
	s_mov_b32 s12, s8
	;; [unrolled: 1-line block ×13, first 2 shown]
	v_pk_mov_b32 v[2:3], s[8:9], s[8:9] op_sel:[0,1]
	s_addc_u32 s47, s3, s1
	v_cmp_gt_u32_e64 s[0:1], s49, v70
	v_pk_mov_b32 v[4:5], s[10:11], s[10:11] op_sel:[0,1]
	v_pk_mov_b32 v[6:7], s[12:13], s[12:13] op_sel:[0,1]
	;; [unrolled: 1-line block ×8, first 2 shown]
	v_mul_lo_u32 v66, v70, s50
	s_and_saveexec_b64 s[2:3], s[0:1]
	s_cbranch_execz .LBB191_9
; %bb.8:
	v_mov_b32_e32 v67, 0
	v_lshlrev_b64 v[2:3], 3, v[66:67]
	v_mov_b32_e32 v1, s47
	v_add_co_u32_e32 v2, vcc, s33, v2
	v_addc_co_u32_e32 v3, vcc, v1, v3, vcc
	global_load_dwordx2 v[18:19], v[2:3], off
	v_pk_mov_b32 v[2:3], s[8:9], s[8:9] op_sel:[0,1]
	v_pk_mov_b32 v[4:5], s[10:11], s[10:11] op_sel:[0,1]
	;; [unrolled: 1-line block ×8, first 2 shown]
.LBB191_9:
	s_or_b64 exec, exec, s[2:3]
	v_add_u32_e32 v1, 0x100, v70
	v_cmp_gt_u32_e64 s[2:3], s49, v1
	s_and_saveexec_b64 s[6:7], s[2:3]
	s_cbranch_execz .LBB191_11
; %bb.10:
	v_mul_lo_u32 v2, v1, s50
	v_mov_b32_e32 v3, 0
	v_lshlrev_b64 v[2:3], 3, v[2:3]
	v_mov_b32_e32 v4, s47
	v_add_co_u32_e32 v2, vcc, s33, v2
	v_addc_co_u32_e32 v3, vcc, v4, v3, vcc
	global_load_dwordx2 v[4:5], v[2:3], off
.LBB191_11:
	s_or_b64 exec, exec, s[6:7]
	v_add_u32_e32 v34, 0x200, v70
	v_cmp_gt_u32_e64 s[44:45], s49, v34
	s_and_saveexec_b64 s[6:7], s[44:45]
	s_cbranch_execz .LBB191_13
; %bb.12:
	v_mul_lo_u32 v2, v34, s50
	v_mov_b32_e32 v3, 0
	v_lshlrev_b64 v[2:3], 3, v[2:3]
	v_mov_b32_e32 v6, s47
	v_add_co_u32_e32 v2, vcc, s33, v2
	v_addc_co_u32_e32 v3, vcc, v6, v3, vcc
	global_load_dwordx2 v[6:7], v[2:3], off
.LBB191_13:
	;; [unrolled: 14-line block ×3, first 2 shown]
	s_or_b64 exec, exec, s[8:9]
	v_or_b32_e32 v36, 0x400, v70
	v_cmp_gt_u32_e64 s[8:9], s49, v36
	s_and_saveexec_b64 s[10:11], s[8:9]
	s_cbranch_execz .LBB191_17
; %bb.16:
	v_mul_lo_u32 v2, v36, s50
	v_mov_b32_e32 v3, 0
	v_lshlrev_b64 v[2:3], 3, v[2:3]
	v_mov_b32_e32 v10, s47
	v_add_co_u32_e32 v2, vcc, s33, v2
	v_addc_co_u32_e32 v3, vcc, v10, v3, vcc
	global_load_dwordx2 v[10:11], v[2:3], off
.LBB191_17:
	s_or_b64 exec, exec, s[10:11]
	v_add_u32_e32 v37, 0x500, v70
	v_cmp_gt_u32_e64 s[10:11], s49, v37
	s_and_saveexec_b64 s[12:13], s[10:11]
	s_cbranch_execz .LBB191_19
; %bb.18:
	v_mul_lo_u32 v2, v37, s50
	v_mov_b32_e32 v3, 0
	v_lshlrev_b64 v[2:3], 3, v[2:3]
	v_mov_b32_e32 v12, s47
	v_add_co_u32_e32 v2, vcc, s33, v2
	v_addc_co_u32_e32 v3, vcc, v12, v3, vcc
	global_load_dwordx2 v[12:13], v[2:3], off
.LBB191_19:
	s_or_b64 exec, exec, s[12:13]
	s_load_dwordx2 s[18:19], s[4:5], 0xe8
	v_add_u32_e32 v38, 0x600, v70
	v_cmp_gt_u32_e64 s[12:13], s49, v38
	s_and_saveexec_b64 s[14:15], s[12:13]
	s_cbranch_execz .LBB191_21
; %bb.20:
	v_mul_lo_u32 v2, v38, s50
	v_mov_b32_e32 v3, 0
	v_lshlrev_b64 v[2:3], 3, v[2:3]
	v_mov_b32_e32 v14, s47
	v_add_co_u32_e32 v2, vcc, s33, v2
	v_addc_co_u32_e32 v3, vcc, v14, v3, vcc
	global_load_dwordx2 v[14:15], v[2:3], off
.LBB191_21:
	s_or_b64 exec, exec, s[14:15]
	s_load_dword s16, s[4:5], 0x154
	v_add_u32_e32 v39, 0x700, v70
	v_cmp_gt_u32_e64 s[14:15], s49, v39
	s_and_saveexec_b64 s[4:5], s[14:15]
	s_cbranch_execz .LBB191_23
; %bb.22:
	v_mul_lo_u32 v2, v39, s50
	v_mov_b32_e32 v3, 0
	v_lshlrev_b64 v[2:3], 3, v[2:3]
	v_mov_b32_e32 v16, s47
	v_add_co_u32_e32 v2, vcc, s33, v2
	v_addc_co_u32_e32 v3, vcc, v16, v3, vcc
	global_load_dwordx2 v[16:17], v[2:3], off
.LBB191_23:
	s_or_b64 exec, exec, s[4:5]
	v_lshrrev_b32_e32 v2, 5, v70
	v_add_lshl_u32 v71, v2, v70, 3
	v_lshrrev_b32_e32 v2, 5, v1
	v_add_lshl_u32 v104, v2, v70, 3
	;; [unrolled: 2-line block ×8, first 2 shown]
	v_lshlrev_b32_e32 v67, 3, v70
	v_lshrrev_b32_e32 v2, 2, v70
	v_add_lshl_u32 v111, v2, v67, 3
	s_waitcnt vmcnt(0)
	ds_write_b64 v71, v[18:19]
	ds_write_b64 v104, v[4:5] offset:2048
	ds_write_b64 v105, v[6:7] offset:4096
	;; [unrolled: 1-line block ×7, first 2 shown]
	s_waitcnt lgkmcnt(0)
	s_barrier
	ds_read2_b64 v[30:33], v111 offset1:1
	ds_read2_b64 v[26:29], v111 offset0:2 offset1:3
	ds_read2_b64 v[22:25], v111 offset0:4 offset1:5
	;; [unrolled: 1-line block ×3, first 2 shown]
	s_mul_i32 s4, s16, s26
	s_add_i32 s16, s4, s25
	s_mov_b32 s17, 0
	s_lshl_b64 s[4:5], s[16:17], 3
	s_add_u32 s51, s18, s4
	s_mov_b32 s16, s17
	s_addc_u32 s56, s19, s5
	s_mov_b32 s18, s17
	s_mov_b32 s19, s17
	;; [unrolled: 1-line block ×14, first 2 shown]
	v_pk_mov_b32 v[2:3], s[16:17], s[16:17] op_sel:[0,1]
	v_pk_mov_b32 v[4:5], s[18:19], s[18:19] op_sel:[0,1]
	;; [unrolled: 1-line block ×8, first 2 shown]
	v_pk_mov_b32 v[2:3], 0, 0
	v_mul_lo_u32 v68, v70, s46
	s_waitcnt lgkmcnt(0)
	s_barrier
	s_and_saveexec_b64 s[4:5], s[0:1]
	s_cbranch_execnz .LBB191_60
; %bb.24:
	s_or_b64 exec, exec, s[4:5]
	s_and_saveexec_b64 s[4:5], s[2:3]
	s_cbranch_execnz .LBB191_61
.LBB191_25:
	s_or_b64 exec, exec, s[4:5]
	s_and_saveexec_b64 s[4:5], s[44:45]
	s_cbranch_execnz .LBB191_62
.LBB191_26:
	s_or_b64 exec, exec, s[4:5]
	s_and_saveexec_b64 s[4:5], s[6:7]
	s_cbranch_execnz .LBB191_63
.LBB191_27:
	s_or_b64 exec, exec, s[4:5]
	s_and_saveexec_b64 s[4:5], s[8:9]
	s_cbranch_execnz .LBB191_64
.LBB191_28:
	s_or_b64 exec, exec, s[4:5]
	s_and_saveexec_b64 s[4:5], s[10:11]
	s_cbranch_execnz .LBB191_65
.LBB191_29:
	s_or_b64 exec, exec, s[4:5]
	s_and_saveexec_b64 s[4:5], s[12:13]
	s_cbranch_execnz .LBB191_66
.LBB191_30:
	s_or_b64 exec, exec, s[4:5]
	s_xor_b64 s[4:5], s[34:35], -1
	s_and_saveexec_b64 s[16:17], s[14:15]
	s_cbranch_execz .LBB191_32
.LBB191_31:
	v_mul_lo_u32 v16, v39, s46
	v_mov_b32_e32 v17, 0
	v_lshlrev_b64 v[16:17], 3, v[16:17]
	v_mov_b32_e32 v1, s56
	v_add_co_u32_e32 v16, vcc, s51, v16
	v_addc_co_u32_e32 v17, vcc, v1, v17, vcc
	global_load_dwordx2 v[16:17], v[16:17], off
.LBB191_32:
	s_or_b64 exec, exec, s[16:17]
	s_waitcnt vmcnt(0)
	ds_write_b64 v71, v[2:3]
	ds_write_b64 v104, v[4:5] offset:2048
	ds_write_b64 v105, v[6:7] offset:4096
	;; [unrolled: 1-line block ×7, first 2 shown]
	s_waitcnt lgkmcnt(0)
	s_barrier
	ds_read2_b64 v[46:49], v111 offset1:1
	ds_read2_b64 v[42:45], v111 offset0:2 offset1:3
	ds_read2_b64 v[38:41], v111 offset0:4 offset1:5
	;; [unrolled: 1-line block ×3, first 2 shown]
	s_and_b64 vcc, exec, s[4:5]
	v_bfe_u32 v114, v0, 10, 10
	v_bfe_u32 v115, v0, 20, 10
	v_ashrrev_i32_e32 v124, 31, v31
	v_ashrrev_i32_e32 v123, 31, v33
	;; [unrolled: 1-line block ×8, first 2 shown]
	v_mbcnt_lo_u32_b32 v116, -1, 0
	v_lshlrev_b32_e32 v69, 2, v70
	v_lshlrev_b32_e32 v112, 4, v70
	v_cmp_gt_u32_e64 s[16:17], 4, v70
	v_cmp_lt_u32_e64 s[18:19], 63, v70
	v_cmp_eq_u32_e64 s[20:21], 0, v70
	v_lshrrev_b32_e32 v113, 4, v70
	s_waitcnt lgkmcnt(0)
	s_barrier
	s_cbranch_vccz .LBB191_67
; %bb.33:
	v_bfrev_b32_e32 v125, 1
	v_cmp_lt_i64_e32 vcc, -1, v[30:31]
	v_cndmask_b32_e32 v0, -1, v125, vcc
	v_cmp_lt_i64_e32 vcc, -1, v[32:33]
	v_cndmask_b32_e32 v2, -1, v125, vcc
	;; [unrolled: 2-line block ×7, first 2 shown]
	v_cmp_lt_i64_e32 vcc, -1, v[20:21]
	v_mbcnt_hi_u32_b32 v72, -1, v116
	v_and_b32_e32 v73, 0x3c0, v70
	v_xor_b32_e32 v1, v0, v31
	v_xor_b32_e32 v0, v124, v30
	;; [unrolled: 1-line block ×4, first 2 shown]
	v_cndmask_b32_e32 v14, -1, v125, vcc
	v_add_lshl_u32 v16, v72, v73, 6
	v_and_b32_e32 v74, 0x1e00, v67
	v_xor_b32_e32 v5, v4, v27
	v_xor_b32_e32 v4, v122, v26
	v_xor_b32_e32 v7, v6, v29
	v_xor_b32_e32 v6, v121, v28
	v_xor_b32_e32 v9, v8, v23
	v_xor_b32_e32 v8, v120, v22
	v_xor_b32_e32 v11, v10, v25
	v_xor_b32_e32 v10, v119, v24
	v_xor_b32_e32 v13, v12, v19
	v_xor_b32_e32 v12, v118, v18
	v_xor_b32_e32 v15, v14, v21
	v_xor_b32_e32 v14, v117, v20
	ds_write2_b64 v16, v[0:1], v[2:3] offset1:1
	ds_write2_b64 v16, v[4:5], v[6:7] offset0:2 offset1:3
	ds_write2_b64 v16, v[8:9], v[10:11] offset0:4 offset1:5
	;; [unrolled: 1-line block ×3, first 2 shown]
	v_or_b32_e32 v0, v72, v74
	v_lshlrev_b32_e32 v17, 3, v0
	; wave barrier
	ds_read2st64_b64 v[0:3], v17 offset1:1
	ds_read2st64_b64 v[4:7], v17 offset0:2 offset1:3
	ds_read2st64_b64 v[8:11], v17 offset0:4 offset1:5
	;; [unrolled: 1-line block ×3, first 2 shown]
	; wave barrier
	ds_write2_b64 v16, v[46:47], v[48:49] offset1:1
	ds_write2_b64 v16, v[42:43], v[44:45] offset0:2 offset1:3
	ds_write2_b64 v16, v[38:39], v[40:41] offset0:4 offset1:5
	;; [unrolled: 1-line block ×3, first 2 shown]
	; wave barrier
	ds_read2st64_b64 v[50:53], v17 offset1:1
	ds_read2st64_b64 v[54:57], v17 offset0:2 offset1:3
	ds_read2st64_b64 v[58:61], v17 offset0:4 offset1:5
	;; [unrolled: 1-line block ×3, first 2 shown]
	s_waitcnt lgkmcnt(0)
	s_barrier
	s_load_dword s22, s[52:53], 0xc
	s_getpc_b64 s[4:5]
	s_add_u32 s4, s4, _ZN7rocprim17ROCPRIM_400000_NS16block_radix_sortIdLj256ELj8ElLj1ELj1ELj0ELNS0_26block_radix_rank_algorithmE1ELNS0_18block_padding_hintE2ELNS0_4arch9wavefront6targetE1EE19radix_bits_per_passE@rel32@lo+4
	s_addc_u32 s5, s5, _ZN7rocprim17ROCPRIM_400000_NS16block_radix_sortIdLj256ELj8ElLj1ELj1ELj0ELNS0_26block_radix_rank_algorithmE1ELNS0_18block_padding_hintE2ELNS0_4arch9wavefront6targetE1EE19radix_bits_per_passE@rel32@hi+12
	s_load_dword s57, s[4:5], 0x0
	s_mov_b32 s48, -1
	v_and_b32_e32 v129, 60, v113
	s_waitcnt lgkmcnt(0)
	s_lshr_b32 s4, s22, 16
	s_and_b32 s5, s22, 0xffff
	v_mad_u32_u24 v16, v115, s4, v114
	v_mad_u64_u32 v[16:17], s[4:5], v16, s5, v[70:71]
	v_lshrrev_b32_e32 v127, 6, v16
	v_and_b32_e32 v16, 15, v72
	v_cmp_eq_u32_e64 s[22:23], 0, v16
	v_cmp_lt_u32_e64 s[24:25], 1, v16
	v_cmp_lt_u32_e64 s[26:27], 3, v16
	;; [unrolled: 1-line block ×3, first 2 shown]
	v_and_b32_e32 v16, 16, v72
	v_cmp_eq_u32_e64 s[30:31], 0, v16
	v_min_u32_e32 v16, 0xc0, v73
	v_or_b32_e32 v16, 63, v16
	v_cmp_eq_u32_e64 s[36:37], v16, v70
	v_add_u32_e32 v16, -1, v72
	v_and_b32_e32 v17, 64, v72
	v_cmp_lt_i32_e32 vcc, v16, v17
	v_cndmask_b32_e32 v16, v16, v72, vcc
	v_lshlrev_b32_e32 v128, 2, v16
	v_and_b32_e32 v16, 3, v72
	v_cmp_eq_u32_e64 s[40:41], 0, v16
	v_cmp_lt_u32_e64 s[42:43], 1, v16
	v_and_or_b32 v16, v72, 63, v74
	s_brev_b32 s49, -2
	v_add_u32_e32 v126, 16, v112
	v_cmp_lt_u32_e64 s[34:35], 31, v72
	s_mov_b32 s58, 64
	v_cmp_eq_u32_e64 s[38:39], 0, v72
	v_add_u32_e32 v130, -4, v129
	v_lshlrev_b32_e32 v131, 3, v16
	s_mov_b64 s[54:55], 0
	v_mov_b32_e32 v86, 0
	s_branch .LBB191_35
.LBB191_34:                             ;   in Loop: Header=BB191_35 Depth=1
	v_lshlrev_b32_e32 v50, 3, v138
	v_lshlrev_b32_e32 v51, 3, v137
	;; [unrolled: 1-line block ×8, first 2 shown]
	s_barrier
	ds_write_b64 v50, v[102:103]
	ds_write_b64 v51, v[100:101]
	;; [unrolled: 1-line block ×8, first 2 shown]
	s_waitcnt lgkmcnt(0)
	s_barrier
	ds_read2st64_b64 v[0:3], v131 offset1:1
	ds_read2st64_b64 v[4:7], v131 offset0:2 offset1:3
	ds_read2st64_b64 v[8:11], v131 offset0:4 offset1:5
	;; [unrolled: 1-line block ×3, first 2 shown]
	s_waitcnt lgkmcnt(0)
	s_barrier
	ds_write_b64 v50, v[84:85]
	ds_write_b64 v51, v[82:83]
	;; [unrolled: 1-line block ×8, first 2 shown]
	s_waitcnt lgkmcnt(0)
	s_barrier
	ds_read2st64_b64 v[50:53], v131 offset1:1
	ds_read2st64_b64 v[54:57], v131 offset0:2 offset1:3
	ds_read2st64_b64 v[58:61], v131 offset0:4 offset1:5
	;; [unrolled: 1-line block ×3, first 2 shown]
	s_add_u32 s54, s54, 8
	s_addc_u32 s55, s55, 0
	s_add_i32 s58, s58, -8
	s_waitcnt lgkmcnt(0)
	s_barrier
	s_cbranch_execz .LBB191_59
.LBB191_35:                             ; =>This Inner Loop Header: Depth=1
	v_pk_mov_b32 v[102:103], v[0:1], v[0:1] op_sel:[0,1]
	s_min_u32 s4, s57, s58
	v_cmp_ne_u64_e32 vcc, s[48:49], v[102:103]
	s_lshl_b32 s4, -1, s4
	v_cndmask_b32_e32 v1, v125, v103, vcc
	v_cndmask_b32_e32 v0, 0, v102, vcc
	s_not_b32 s59, s4
	v_lshrrev_b64 v[0:1], s54, v[0:1]
	v_and_b32_e32 v0, s59, v0
	v_lshl_add_u32 v1, v0, 2, v127
	v_pk_mov_b32 v[98:99], v[4:5], v[4:5] op_sel:[0,1]
	v_lshl_add_u32 v4, v1, 2, 16
	v_and_b32_e32 v1, 1, v0
	v_pk_mov_b32 v[100:101], v[2:3], v[2:3] op_sel:[0,1]
	v_add_co_u32_e32 v2, vcc, -1, v1
	v_addc_co_u32_e64 v3, s[4:5], 0, -1, vcc
	v_cmp_ne_u32_e32 vcc, 0, v1
	v_lshlrev_b32_e32 v87, 30, v0
	v_xor_b32_e32 v1, vcc_hi, v3
	v_not_b32_e32 v3, v87
	v_xor_b32_e32 v2, vcc_lo, v2
	v_cmp_gt_i64_e32 vcc, 0, v[86:87]
	v_ashrrev_i32_e32 v3, 31, v3
	v_and_b32_e32 v2, exec_lo, v2
	v_xor_b32_e32 v5, vcc_hi, v3
	v_xor_b32_e32 v3, vcc_lo, v3
	v_lshlrev_b32_e32 v87, 29, v0
	v_and_b32_e32 v2, v2, v3
	v_not_b32_e32 v3, v87
	v_and_b32_e32 v1, exec_hi, v1
	v_cmp_gt_i64_e32 vcc, 0, v[86:87]
	v_ashrrev_i32_e32 v3, 31, v3
	v_and_b32_e32 v1, v1, v5
	v_xor_b32_e32 v5, vcc_hi, v3
	v_xor_b32_e32 v3, vcc_lo, v3
	v_lshlrev_b32_e32 v87, 28, v0
	v_and_b32_e32 v2, v2, v3
	v_not_b32_e32 v3, v87
	v_cmp_gt_i64_e32 vcc, 0, v[86:87]
	v_ashrrev_i32_e32 v3, 31, v3
	v_and_b32_e32 v1, v1, v5
	v_xor_b32_e32 v5, vcc_hi, v3
	v_xor_b32_e32 v3, vcc_lo, v3
	v_lshlrev_b32_e32 v87, 27, v0
	v_and_b32_e32 v2, v2, v3
	v_not_b32_e32 v3, v87
	;; [unrolled: 8-line block ×3, first 2 shown]
	v_cmp_gt_i64_e32 vcc, 0, v[86:87]
	v_ashrrev_i32_e32 v3, 31, v3
	v_and_b32_e32 v1, v1, v5
	v_xor_b32_e32 v5, vcc_hi, v3
	v_xor_b32_e32 v3, vcc_lo, v3
	v_lshlrev_b32_e32 v87, 25, v0
	v_and_b32_e32 v2, v2, v3
	v_cmp_gt_i64_e32 vcc, 0, v[86:87]
	v_not_b32_e32 v3, v87
	v_lshlrev_b32_e32 v87, 24, v0
	v_ashrrev_i32_e32 v3, 31, v3
	v_not_b32_e32 v0, v87
	v_and_b32_e32 v1, v1, v5
	v_xor_b32_e32 v5, vcc_hi, v3
	v_xor_b32_e32 v3, vcc_lo, v3
	v_cmp_gt_i64_e32 vcc, 0, v[86:87]
	v_ashrrev_i32_e32 v0, 31, v0
	v_and_b32_e32 v2, v2, v3
	v_xor_b32_e32 v3, vcc_hi, v0
	v_xor_b32_e32 v0, vcc_lo, v0
	v_and_b32_e32 v1, v1, v5
	v_and_b32_e32 v0, v2, v0
	;; [unrolled: 1-line block ×3, first 2 shown]
	v_mbcnt_lo_u32_b32 v2, v0, 0
	v_mbcnt_hi_u32_b32 v5, v1, v2
	v_cmp_eq_u32_e32 vcc, 0, v5
	v_cmp_ne_u64_e64 s[4:5], 0, v[0:1]
	v_pk_mov_b32 v[88:89], v[14:15], v[14:15] op_sel:[0,1]
	v_pk_mov_b32 v[90:91], v[12:13], v[12:13] op_sel:[0,1]
	;; [unrolled: 1-line block ×13, first 2 shown]
	s_and_b64 s[60:61], s[4:5], vcc
	ds_write2_b32 v112, v86, v86 offset0:4 offset1:5
	ds_write2_b32 v126, v86, v86 offset0:2 offset1:3
	s_waitcnt lgkmcnt(0)
	s_barrier
	s_waitcnt lgkmcnt(0)
	; wave barrier
	s_and_saveexec_b64 s[4:5], s[60:61]
	s_cbranch_execz .LBB191_37
; %bb.36:                               ;   in Loop: Header=BB191_35 Depth=1
	v_bcnt_u32_b32 v0, v0, 0
	v_bcnt_u32_b32 v0, v1, v0
	ds_write_b32 v4, v0
.LBB191_37:                             ;   in Loop: Header=BB191_35 Depth=1
	s_or_b64 exec, exec, s[4:5]
	v_cmp_ne_u64_e32 vcc, s[48:49], v[100:101]
	v_cndmask_b32_e32 v1, v125, v101, vcc
	v_cndmask_b32_e32 v0, 0, v100, vcc
	v_lshrrev_b64 v[0:1], s54, v[0:1]
	v_and_b32_e32 v0, s59, v0
	v_lshlrev_b32_e32 v1, 2, v0
	v_add_lshl_u32 v1, v1, v127, 2
	; wave barrier
	v_add_u32_e32 v7, 16, v1
	ds_read_b32 v6, v1 offset:16
	v_and_b32_e32 v1, 1, v0
	v_add_co_u32_e32 v2, vcc, -1, v1
	v_addc_co_u32_e64 v3, s[4:5], 0, -1, vcc
	v_cmp_ne_u32_e32 vcc, 0, v1
	v_lshlrev_b32_e32 v87, 30, v0
	v_xor_b32_e32 v1, vcc_hi, v3
	v_not_b32_e32 v3, v87
	v_xor_b32_e32 v2, vcc_lo, v2
	v_cmp_gt_i64_e32 vcc, 0, v[86:87]
	v_ashrrev_i32_e32 v3, 31, v3
	v_and_b32_e32 v2, exec_lo, v2
	v_xor_b32_e32 v8, vcc_hi, v3
	v_xor_b32_e32 v3, vcc_lo, v3
	v_lshlrev_b32_e32 v87, 29, v0
	v_and_b32_e32 v2, v2, v3
	v_not_b32_e32 v3, v87
	v_and_b32_e32 v1, exec_hi, v1
	v_cmp_gt_i64_e32 vcc, 0, v[86:87]
	v_ashrrev_i32_e32 v3, 31, v3
	v_and_b32_e32 v1, v1, v8
	v_xor_b32_e32 v8, vcc_hi, v3
	v_xor_b32_e32 v3, vcc_lo, v3
	v_lshlrev_b32_e32 v87, 28, v0
	v_and_b32_e32 v2, v2, v3
	v_not_b32_e32 v3, v87
	v_cmp_gt_i64_e32 vcc, 0, v[86:87]
	v_ashrrev_i32_e32 v3, 31, v3
	v_and_b32_e32 v1, v1, v8
	v_xor_b32_e32 v8, vcc_hi, v3
	v_xor_b32_e32 v3, vcc_lo, v3
	v_lshlrev_b32_e32 v87, 27, v0
	v_and_b32_e32 v2, v2, v3
	v_not_b32_e32 v3, v87
	;; [unrolled: 8-line block ×3, first 2 shown]
	v_cmp_gt_i64_e32 vcc, 0, v[86:87]
	v_ashrrev_i32_e32 v3, 31, v3
	v_and_b32_e32 v1, v1, v8
	v_xor_b32_e32 v8, vcc_hi, v3
	v_xor_b32_e32 v3, vcc_lo, v3
	v_lshlrev_b32_e32 v87, 25, v0
	v_and_b32_e32 v2, v2, v3
	v_cmp_gt_i64_e32 vcc, 0, v[86:87]
	v_not_b32_e32 v3, v87
	v_lshlrev_b32_e32 v87, 24, v0
	v_ashrrev_i32_e32 v3, 31, v3
	v_not_b32_e32 v0, v87
	v_and_b32_e32 v1, v1, v8
	v_xor_b32_e32 v8, vcc_hi, v3
	v_xor_b32_e32 v3, vcc_lo, v3
	v_cmp_gt_i64_e32 vcc, 0, v[86:87]
	v_ashrrev_i32_e32 v0, 31, v0
	v_and_b32_e32 v2, v2, v3
	v_xor_b32_e32 v3, vcc_hi, v0
	v_xor_b32_e32 v0, vcc_lo, v0
	v_and_b32_e32 v1, v1, v8
	v_and_b32_e32 v0, v2, v0
	;; [unrolled: 1-line block ×3, first 2 shown]
	v_mbcnt_lo_u32_b32 v2, v0, 0
	v_mbcnt_hi_u32_b32 v8, v1, v2
	v_cmp_eq_u32_e32 vcc, 0, v8
	v_cmp_ne_u64_e64 s[4:5], 0, v[0:1]
	s_and_b64 s[60:61], s[4:5], vcc
	; wave barrier
	s_and_saveexec_b64 s[4:5], s[60:61]
	s_cbranch_execz .LBB191_39
; %bb.38:                               ;   in Loop: Header=BB191_35 Depth=1
	v_bcnt_u32_b32 v0, v0, 0
	v_bcnt_u32_b32 v0, v1, v0
	s_waitcnt lgkmcnt(0)
	v_add_u32_e32 v0, v6, v0
	ds_write_b32 v7, v0
.LBB191_39:                             ;   in Loop: Header=BB191_35 Depth=1
	s_or_b64 exec, exec, s[4:5]
	v_cmp_ne_u64_e32 vcc, s[48:49], v[98:99]
	v_cndmask_b32_e32 v1, v125, v99, vcc
	v_cndmask_b32_e32 v0, 0, v98, vcc
	v_lshrrev_b64 v[0:1], s54, v[0:1]
	v_and_b32_e32 v0, s59, v0
	v_lshlrev_b32_e32 v1, 2, v0
	v_add_lshl_u32 v1, v1, v127, 2
	; wave barrier
	v_add_u32_e32 v10, 16, v1
	ds_read_b32 v9, v1 offset:16
	v_and_b32_e32 v1, 1, v0
	v_add_co_u32_e32 v2, vcc, -1, v1
	v_addc_co_u32_e64 v3, s[4:5], 0, -1, vcc
	v_cmp_ne_u32_e32 vcc, 0, v1
	v_lshlrev_b32_e32 v87, 30, v0
	v_xor_b32_e32 v1, vcc_hi, v3
	v_not_b32_e32 v3, v87
	v_xor_b32_e32 v2, vcc_lo, v2
	v_cmp_gt_i64_e32 vcc, 0, v[86:87]
	v_ashrrev_i32_e32 v3, 31, v3
	v_and_b32_e32 v2, exec_lo, v2
	v_xor_b32_e32 v11, vcc_hi, v3
	v_xor_b32_e32 v3, vcc_lo, v3
	v_lshlrev_b32_e32 v87, 29, v0
	v_and_b32_e32 v2, v2, v3
	v_not_b32_e32 v3, v87
	v_and_b32_e32 v1, exec_hi, v1
	v_cmp_gt_i64_e32 vcc, 0, v[86:87]
	v_ashrrev_i32_e32 v3, 31, v3
	v_and_b32_e32 v1, v1, v11
	v_xor_b32_e32 v11, vcc_hi, v3
	v_xor_b32_e32 v3, vcc_lo, v3
	v_lshlrev_b32_e32 v87, 28, v0
	v_and_b32_e32 v2, v2, v3
	v_not_b32_e32 v3, v87
	v_cmp_gt_i64_e32 vcc, 0, v[86:87]
	v_ashrrev_i32_e32 v3, 31, v3
	v_and_b32_e32 v1, v1, v11
	v_xor_b32_e32 v11, vcc_hi, v3
	v_xor_b32_e32 v3, vcc_lo, v3
	v_lshlrev_b32_e32 v87, 27, v0
	v_and_b32_e32 v2, v2, v3
	v_not_b32_e32 v3, v87
	;; [unrolled: 8-line block ×3, first 2 shown]
	v_cmp_gt_i64_e32 vcc, 0, v[86:87]
	v_ashrrev_i32_e32 v3, 31, v3
	v_and_b32_e32 v1, v1, v11
	v_xor_b32_e32 v11, vcc_hi, v3
	v_xor_b32_e32 v3, vcc_lo, v3
	v_lshlrev_b32_e32 v87, 25, v0
	v_and_b32_e32 v2, v2, v3
	v_cmp_gt_i64_e32 vcc, 0, v[86:87]
	v_not_b32_e32 v3, v87
	v_lshlrev_b32_e32 v87, 24, v0
	v_ashrrev_i32_e32 v3, 31, v3
	v_not_b32_e32 v0, v87
	v_and_b32_e32 v1, v1, v11
	v_xor_b32_e32 v11, vcc_hi, v3
	v_xor_b32_e32 v3, vcc_lo, v3
	v_cmp_gt_i64_e32 vcc, 0, v[86:87]
	v_ashrrev_i32_e32 v0, 31, v0
	v_and_b32_e32 v2, v2, v3
	v_xor_b32_e32 v3, vcc_hi, v0
	v_xor_b32_e32 v0, vcc_lo, v0
	v_and_b32_e32 v1, v1, v11
	v_and_b32_e32 v0, v2, v0
	;; [unrolled: 1-line block ×3, first 2 shown]
	v_mbcnt_lo_u32_b32 v2, v0, 0
	v_mbcnt_hi_u32_b32 v11, v1, v2
	v_cmp_eq_u32_e32 vcc, 0, v11
	v_cmp_ne_u64_e64 s[4:5], 0, v[0:1]
	s_and_b64 s[60:61], s[4:5], vcc
	; wave barrier
	s_and_saveexec_b64 s[4:5], s[60:61]
	s_cbranch_execz .LBB191_41
; %bb.40:                               ;   in Loop: Header=BB191_35 Depth=1
	v_bcnt_u32_b32 v0, v0, 0
	v_bcnt_u32_b32 v0, v1, v0
	s_waitcnt lgkmcnt(0)
	v_add_u32_e32 v0, v9, v0
	ds_write_b32 v10, v0
.LBB191_41:                             ;   in Loop: Header=BB191_35 Depth=1
	s_or_b64 exec, exec, s[4:5]
	v_cmp_ne_u64_e32 vcc, s[48:49], v[96:97]
	v_cndmask_b32_e32 v1, v125, v97, vcc
	v_cndmask_b32_e32 v0, 0, v96, vcc
	v_lshrrev_b64 v[0:1], s54, v[0:1]
	v_and_b32_e32 v0, s59, v0
	v_lshlrev_b32_e32 v1, 2, v0
	v_add_lshl_u32 v1, v1, v127, 2
	; wave barrier
	v_add_u32_e32 v13, 16, v1
	ds_read_b32 v12, v1 offset:16
	v_and_b32_e32 v1, 1, v0
	v_add_co_u32_e32 v2, vcc, -1, v1
	v_addc_co_u32_e64 v3, s[4:5], 0, -1, vcc
	v_cmp_ne_u32_e32 vcc, 0, v1
	v_lshlrev_b32_e32 v87, 30, v0
	v_xor_b32_e32 v1, vcc_hi, v3
	v_not_b32_e32 v3, v87
	v_xor_b32_e32 v2, vcc_lo, v2
	v_cmp_gt_i64_e32 vcc, 0, v[86:87]
	v_ashrrev_i32_e32 v3, 31, v3
	v_and_b32_e32 v2, exec_lo, v2
	v_xor_b32_e32 v14, vcc_hi, v3
	v_xor_b32_e32 v3, vcc_lo, v3
	v_lshlrev_b32_e32 v87, 29, v0
	v_and_b32_e32 v2, v2, v3
	v_not_b32_e32 v3, v87
	v_and_b32_e32 v1, exec_hi, v1
	v_cmp_gt_i64_e32 vcc, 0, v[86:87]
	v_ashrrev_i32_e32 v3, 31, v3
	v_and_b32_e32 v1, v1, v14
	v_xor_b32_e32 v14, vcc_hi, v3
	v_xor_b32_e32 v3, vcc_lo, v3
	v_lshlrev_b32_e32 v87, 28, v0
	v_and_b32_e32 v2, v2, v3
	v_not_b32_e32 v3, v87
	v_cmp_gt_i64_e32 vcc, 0, v[86:87]
	v_ashrrev_i32_e32 v3, 31, v3
	v_and_b32_e32 v1, v1, v14
	v_xor_b32_e32 v14, vcc_hi, v3
	v_xor_b32_e32 v3, vcc_lo, v3
	v_lshlrev_b32_e32 v87, 27, v0
	v_and_b32_e32 v2, v2, v3
	v_not_b32_e32 v3, v87
	;; [unrolled: 8-line block ×3, first 2 shown]
	v_cmp_gt_i64_e32 vcc, 0, v[86:87]
	v_ashrrev_i32_e32 v3, 31, v3
	v_and_b32_e32 v1, v1, v14
	v_xor_b32_e32 v14, vcc_hi, v3
	v_xor_b32_e32 v3, vcc_lo, v3
	v_lshlrev_b32_e32 v87, 25, v0
	v_and_b32_e32 v2, v2, v3
	v_cmp_gt_i64_e32 vcc, 0, v[86:87]
	v_not_b32_e32 v3, v87
	v_lshlrev_b32_e32 v87, 24, v0
	v_ashrrev_i32_e32 v3, 31, v3
	v_not_b32_e32 v0, v87
	v_and_b32_e32 v1, v1, v14
	v_xor_b32_e32 v14, vcc_hi, v3
	v_xor_b32_e32 v3, vcc_lo, v3
	v_cmp_gt_i64_e32 vcc, 0, v[86:87]
	v_ashrrev_i32_e32 v0, 31, v0
	v_and_b32_e32 v2, v2, v3
	v_xor_b32_e32 v3, vcc_hi, v0
	v_xor_b32_e32 v0, vcc_lo, v0
	v_and_b32_e32 v1, v1, v14
	v_and_b32_e32 v0, v2, v0
	;; [unrolled: 1-line block ×3, first 2 shown]
	v_mbcnt_lo_u32_b32 v2, v0, 0
	v_mbcnt_hi_u32_b32 v14, v1, v2
	v_cmp_eq_u32_e32 vcc, 0, v14
	v_cmp_ne_u64_e64 s[4:5], 0, v[0:1]
	s_and_b64 s[60:61], s[4:5], vcc
	; wave barrier
	s_and_saveexec_b64 s[4:5], s[60:61]
	s_cbranch_execz .LBB191_43
; %bb.42:                               ;   in Loop: Header=BB191_35 Depth=1
	v_bcnt_u32_b32 v0, v0, 0
	v_bcnt_u32_b32 v0, v1, v0
	s_waitcnt lgkmcnt(0)
	v_add_u32_e32 v0, v12, v0
	ds_write_b32 v13, v0
.LBB191_43:                             ;   in Loop: Header=BB191_35 Depth=1
	s_or_b64 exec, exec, s[4:5]
	v_cmp_ne_u64_e32 vcc, s[48:49], v[94:95]
	v_cndmask_b32_e32 v1, v125, v95, vcc
	v_cndmask_b32_e32 v0, 0, v94, vcc
	v_lshrrev_b64 v[0:1], s54, v[0:1]
	v_and_b32_e32 v0, s59, v0
	v_lshlrev_b32_e32 v1, 2, v0
	v_add_lshl_u32 v1, v1, v127, 2
	; wave barrier
	v_add_u32_e32 v50, 16, v1
	ds_read_b32 v15, v1 offset:16
	v_and_b32_e32 v1, 1, v0
	v_add_co_u32_e32 v2, vcc, -1, v1
	v_addc_co_u32_e64 v3, s[4:5], 0, -1, vcc
	v_cmp_ne_u32_e32 vcc, 0, v1
	v_lshlrev_b32_e32 v87, 30, v0
	v_xor_b32_e32 v1, vcc_hi, v3
	v_not_b32_e32 v3, v87
	v_xor_b32_e32 v2, vcc_lo, v2
	v_cmp_gt_i64_e32 vcc, 0, v[86:87]
	v_ashrrev_i32_e32 v3, 31, v3
	v_and_b32_e32 v2, exec_lo, v2
	v_xor_b32_e32 v51, vcc_hi, v3
	v_xor_b32_e32 v3, vcc_lo, v3
	v_lshlrev_b32_e32 v87, 29, v0
	v_and_b32_e32 v2, v2, v3
	v_not_b32_e32 v3, v87
	v_and_b32_e32 v1, exec_hi, v1
	v_cmp_gt_i64_e32 vcc, 0, v[86:87]
	v_ashrrev_i32_e32 v3, 31, v3
	v_and_b32_e32 v1, v1, v51
	v_xor_b32_e32 v51, vcc_hi, v3
	v_xor_b32_e32 v3, vcc_lo, v3
	v_lshlrev_b32_e32 v87, 28, v0
	v_and_b32_e32 v2, v2, v3
	v_not_b32_e32 v3, v87
	v_cmp_gt_i64_e32 vcc, 0, v[86:87]
	v_ashrrev_i32_e32 v3, 31, v3
	v_and_b32_e32 v1, v1, v51
	v_xor_b32_e32 v51, vcc_hi, v3
	v_xor_b32_e32 v3, vcc_lo, v3
	v_lshlrev_b32_e32 v87, 27, v0
	v_and_b32_e32 v2, v2, v3
	v_not_b32_e32 v3, v87
	;; [unrolled: 8-line block ×3, first 2 shown]
	v_cmp_gt_i64_e32 vcc, 0, v[86:87]
	v_ashrrev_i32_e32 v3, 31, v3
	v_and_b32_e32 v1, v1, v51
	v_xor_b32_e32 v51, vcc_hi, v3
	v_xor_b32_e32 v3, vcc_lo, v3
	v_lshlrev_b32_e32 v87, 25, v0
	v_and_b32_e32 v2, v2, v3
	v_cmp_gt_i64_e32 vcc, 0, v[86:87]
	v_not_b32_e32 v3, v87
	v_lshlrev_b32_e32 v87, 24, v0
	v_ashrrev_i32_e32 v3, 31, v3
	v_not_b32_e32 v0, v87
	v_and_b32_e32 v1, v1, v51
	v_xor_b32_e32 v51, vcc_hi, v3
	v_xor_b32_e32 v3, vcc_lo, v3
	v_cmp_gt_i64_e32 vcc, 0, v[86:87]
	v_ashrrev_i32_e32 v0, 31, v0
	v_and_b32_e32 v2, v2, v3
	v_xor_b32_e32 v3, vcc_hi, v0
	v_xor_b32_e32 v0, vcc_lo, v0
	v_and_b32_e32 v1, v1, v51
	v_and_b32_e32 v0, v2, v0
	;; [unrolled: 1-line block ×3, first 2 shown]
	v_mbcnt_lo_u32_b32 v2, v0, 0
	v_mbcnt_hi_u32_b32 v51, v1, v2
	v_cmp_eq_u32_e32 vcc, 0, v51
	v_cmp_ne_u64_e64 s[4:5], 0, v[0:1]
	s_and_b64 s[60:61], s[4:5], vcc
	; wave barrier
	s_and_saveexec_b64 s[4:5], s[60:61]
	s_cbranch_execz .LBB191_45
; %bb.44:                               ;   in Loop: Header=BB191_35 Depth=1
	v_bcnt_u32_b32 v0, v0, 0
	v_bcnt_u32_b32 v0, v1, v0
	s_waitcnt lgkmcnt(0)
	v_add_u32_e32 v0, v15, v0
	ds_write_b32 v50, v0
.LBB191_45:                             ;   in Loop: Header=BB191_35 Depth=1
	s_or_b64 exec, exec, s[4:5]
	v_cmp_ne_u64_e32 vcc, s[48:49], v[92:93]
	v_cndmask_b32_e32 v1, v125, v93, vcc
	v_cndmask_b32_e32 v0, 0, v92, vcc
	v_lshrrev_b64 v[0:1], s54, v[0:1]
	v_and_b32_e32 v0, s59, v0
	v_lshlrev_b32_e32 v1, 2, v0
	v_add_lshl_u32 v1, v1, v127, 2
	; wave barrier
	v_add_u32_e32 v53, 16, v1
	ds_read_b32 v52, v1 offset:16
	v_and_b32_e32 v1, 1, v0
	v_add_co_u32_e32 v2, vcc, -1, v1
	v_addc_co_u32_e64 v3, s[4:5], 0, -1, vcc
	v_cmp_ne_u32_e32 vcc, 0, v1
	v_lshlrev_b32_e32 v87, 30, v0
	v_xor_b32_e32 v1, vcc_hi, v3
	v_not_b32_e32 v3, v87
	v_xor_b32_e32 v2, vcc_lo, v2
	v_cmp_gt_i64_e32 vcc, 0, v[86:87]
	v_ashrrev_i32_e32 v3, 31, v3
	v_and_b32_e32 v2, exec_lo, v2
	v_xor_b32_e32 v54, vcc_hi, v3
	v_xor_b32_e32 v3, vcc_lo, v3
	v_lshlrev_b32_e32 v87, 29, v0
	v_and_b32_e32 v2, v2, v3
	v_not_b32_e32 v3, v87
	v_and_b32_e32 v1, exec_hi, v1
	v_cmp_gt_i64_e32 vcc, 0, v[86:87]
	v_ashrrev_i32_e32 v3, 31, v3
	v_and_b32_e32 v1, v1, v54
	v_xor_b32_e32 v54, vcc_hi, v3
	v_xor_b32_e32 v3, vcc_lo, v3
	v_lshlrev_b32_e32 v87, 28, v0
	v_and_b32_e32 v2, v2, v3
	v_not_b32_e32 v3, v87
	v_cmp_gt_i64_e32 vcc, 0, v[86:87]
	v_ashrrev_i32_e32 v3, 31, v3
	v_and_b32_e32 v1, v1, v54
	v_xor_b32_e32 v54, vcc_hi, v3
	v_xor_b32_e32 v3, vcc_lo, v3
	v_lshlrev_b32_e32 v87, 27, v0
	v_and_b32_e32 v2, v2, v3
	v_not_b32_e32 v3, v87
	;; [unrolled: 8-line block ×3, first 2 shown]
	v_cmp_gt_i64_e32 vcc, 0, v[86:87]
	v_ashrrev_i32_e32 v3, 31, v3
	v_and_b32_e32 v1, v1, v54
	v_xor_b32_e32 v54, vcc_hi, v3
	v_xor_b32_e32 v3, vcc_lo, v3
	v_lshlrev_b32_e32 v87, 25, v0
	v_and_b32_e32 v2, v2, v3
	v_cmp_gt_i64_e32 vcc, 0, v[86:87]
	v_not_b32_e32 v3, v87
	v_lshlrev_b32_e32 v87, 24, v0
	v_ashrrev_i32_e32 v3, 31, v3
	v_not_b32_e32 v0, v87
	v_and_b32_e32 v1, v1, v54
	v_xor_b32_e32 v54, vcc_hi, v3
	v_xor_b32_e32 v3, vcc_lo, v3
	v_cmp_gt_i64_e32 vcc, 0, v[86:87]
	v_ashrrev_i32_e32 v0, 31, v0
	v_and_b32_e32 v2, v2, v3
	v_xor_b32_e32 v3, vcc_hi, v0
	v_xor_b32_e32 v0, vcc_lo, v0
	v_and_b32_e32 v1, v1, v54
	v_and_b32_e32 v0, v2, v0
	;; [unrolled: 1-line block ×3, first 2 shown]
	v_mbcnt_lo_u32_b32 v2, v0, 0
	v_mbcnt_hi_u32_b32 v54, v1, v2
	v_cmp_eq_u32_e32 vcc, 0, v54
	v_cmp_ne_u64_e64 s[4:5], 0, v[0:1]
	s_and_b64 s[60:61], s[4:5], vcc
	; wave barrier
	s_and_saveexec_b64 s[4:5], s[60:61]
	s_cbranch_execz .LBB191_47
; %bb.46:                               ;   in Loop: Header=BB191_35 Depth=1
	v_bcnt_u32_b32 v0, v0, 0
	v_bcnt_u32_b32 v0, v1, v0
	s_waitcnt lgkmcnt(0)
	v_add_u32_e32 v0, v52, v0
	ds_write_b32 v53, v0
.LBB191_47:                             ;   in Loop: Header=BB191_35 Depth=1
	s_or_b64 exec, exec, s[4:5]
	v_cmp_ne_u64_e32 vcc, s[48:49], v[90:91]
	v_cndmask_b32_e32 v1, v125, v91, vcc
	v_cndmask_b32_e32 v0, 0, v90, vcc
	v_lshrrev_b64 v[0:1], s54, v[0:1]
	v_and_b32_e32 v0, s59, v0
	v_lshlrev_b32_e32 v1, 2, v0
	v_add_lshl_u32 v1, v1, v127, 2
	; wave barrier
	v_add_u32_e32 v56, 16, v1
	ds_read_b32 v55, v1 offset:16
	v_and_b32_e32 v1, 1, v0
	v_add_co_u32_e32 v2, vcc, -1, v1
	v_addc_co_u32_e64 v3, s[4:5], 0, -1, vcc
	v_cmp_ne_u32_e32 vcc, 0, v1
	v_lshlrev_b32_e32 v87, 30, v0
	v_xor_b32_e32 v1, vcc_hi, v3
	v_not_b32_e32 v3, v87
	v_xor_b32_e32 v2, vcc_lo, v2
	v_cmp_gt_i64_e32 vcc, 0, v[86:87]
	v_ashrrev_i32_e32 v3, 31, v3
	v_and_b32_e32 v2, exec_lo, v2
	v_xor_b32_e32 v57, vcc_hi, v3
	v_xor_b32_e32 v3, vcc_lo, v3
	v_lshlrev_b32_e32 v87, 29, v0
	v_and_b32_e32 v2, v2, v3
	v_not_b32_e32 v3, v87
	v_and_b32_e32 v1, exec_hi, v1
	v_cmp_gt_i64_e32 vcc, 0, v[86:87]
	v_ashrrev_i32_e32 v3, 31, v3
	v_and_b32_e32 v1, v1, v57
	v_xor_b32_e32 v57, vcc_hi, v3
	v_xor_b32_e32 v3, vcc_lo, v3
	v_lshlrev_b32_e32 v87, 28, v0
	v_and_b32_e32 v2, v2, v3
	v_not_b32_e32 v3, v87
	v_cmp_gt_i64_e32 vcc, 0, v[86:87]
	v_ashrrev_i32_e32 v3, 31, v3
	v_and_b32_e32 v1, v1, v57
	v_xor_b32_e32 v57, vcc_hi, v3
	v_xor_b32_e32 v3, vcc_lo, v3
	v_lshlrev_b32_e32 v87, 27, v0
	v_and_b32_e32 v2, v2, v3
	v_not_b32_e32 v3, v87
	;; [unrolled: 8-line block ×3, first 2 shown]
	v_cmp_gt_i64_e32 vcc, 0, v[86:87]
	v_ashrrev_i32_e32 v3, 31, v3
	v_and_b32_e32 v1, v1, v57
	v_xor_b32_e32 v57, vcc_hi, v3
	v_xor_b32_e32 v3, vcc_lo, v3
	v_lshlrev_b32_e32 v87, 25, v0
	v_and_b32_e32 v2, v2, v3
	v_cmp_gt_i64_e32 vcc, 0, v[86:87]
	v_not_b32_e32 v3, v87
	v_lshlrev_b32_e32 v87, 24, v0
	v_ashrrev_i32_e32 v3, 31, v3
	v_not_b32_e32 v0, v87
	v_and_b32_e32 v1, v1, v57
	v_xor_b32_e32 v57, vcc_hi, v3
	v_xor_b32_e32 v3, vcc_lo, v3
	v_cmp_gt_i64_e32 vcc, 0, v[86:87]
	v_ashrrev_i32_e32 v0, 31, v0
	v_and_b32_e32 v2, v2, v3
	v_xor_b32_e32 v3, vcc_hi, v0
	v_xor_b32_e32 v0, vcc_lo, v0
	v_and_b32_e32 v1, v1, v57
	v_and_b32_e32 v0, v2, v0
	;; [unrolled: 1-line block ×3, first 2 shown]
	v_mbcnt_lo_u32_b32 v2, v0, 0
	v_mbcnt_hi_u32_b32 v57, v1, v2
	v_cmp_eq_u32_e32 vcc, 0, v57
	v_cmp_ne_u64_e64 s[4:5], 0, v[0:1]
	s_and_b64 s[60:61], s[4:5], vcc
	; wave barrier
	s_and_saveexec_b64 s[4:5], s[60:61]
	s_cbranch_execz .LBB191_49
; %bb.48:                               ;   in Loop: Header=BB191_35 Depth=1
	v_bcnt_u32_b32 v0, v0, 0
	v_bcnt_u32_b32 v0, v1, v0
	s_waitcnt lgkmcnt(0)
	v_add_u32_e32 v0, v55, v0
	ds_write_b32 v56, v0
.LBB191_49:                             ;   in Loop: Header=BB191_35 Depth=1
	s_or_b64 exec, exec, s[4:5]
	v_cmp_ne_u64_e32 vcc, s[48:49], v[88:89]
	v_cndmask_b32_e32 v1, v125, v89, vcc
	v_cndmask_b32_e32 v0, 0, v88, vcc
	v_lshrrev_b64 v[0:1], s54, v[0:1]
	v_and_b32_e32 v0, s59, v0
	v_lshlrev_b32_e32 v1, 2, v0
	v_add_lshl_u32 v1, v1, v127, 2
	; wave barrier
	v_add_u32_e32 v59, 16, v1
	ds_read_b32 v58, v1 offset:16
	v_and_b32_e32 v1, 1, v0
	v_add_co_u32_e32 v2, vcc, -1, v1
	v_addc_co_u32_e64 v3, s[4:5], 0, -1, vcc
	v_cmp_ne_u32_e32 vcc, 0, v1
	v_lshlrev_b32_e32 v87, 30, v0
	v_xor_b32_e32 v1, vcc_hi, v3
	v_not_b32_e32 v3, v87
	v_xor_b32_e32 v2, vcc_lo, v2
	v_cmp_gt_i64_e32 vcc, 0, v[86:87]
	v_ashrrev_i32_e32 v3, 31, v3
	v_and_b32_e32 v2, exec_lo, v2
	v_xor_b32_e32 v60, vcc_hi, v3
	v_xor_b32_e32 v3, vcc_lo, v3
	v_lshlrev_b32_e32 v87, 29, v0
	v_and_b32_e32 v2, v2, v3
	v_not_b32_e32 v3, v87
	v_and_b32_e32 v1, exec_hi, v1
	v_cmp_gt_i64_e32 vcc, 0, v[86:87]
	v_ashrrev_i32_e32 v3, 31, v3
	v_and_b32_e32 v1, v1, v60
	v_xor_b32_e32 v60, vcc_hi, v3
	v_xor_b32_e32 v3, vcc_lo, v3
	v_lshlrev_b32_e32 v87, 28, v0
	v_and_b32_e32 v2, v2, v3
	v_not_b32_e32 v3, v87
	v_cmp_gt_i64_e32 vcc, 0, v[86:87]
	v_ashrrev_i32_e32 v3, 31, v3
	v_and_b32_e32 v1, v1, v60
	v_xor_b32_e32 v60, vcc_hi, v3
	v_xor_b32_e32 v3, vcc_lo, v3
	v_lshlrev_b32_e32 v87, 27, v0
	v_and_b32_e32 v2, v2, v3
	v_not_b32_e32 v3, v87
	;; [unrolled: 8-line block ×3, first 2 shown]
	v_cmp_gt_i64_e32 vcc, 0, v[86:87]
	v_ashrrev_i32_e32 v3, 31, v3
	v_and_b32_e32 v1, v1, v60
	v_xor_b32_e32 v60, vcc_hi, v3
	v_xor_b32_e32 v3, vcc_lo, v3
	v_lshlrev_b32_e32 v87, 25, v0
	v_and_b32_e32 v2, v2, v3
	v_cmp_gt_i64_e32 vcc, 0, v[86:87]
	v_not_b32_e32 v3, v87
	v_lshlrev_b32_e32 v87, 24, v0
	v_ashrrev_i32_e32 v3, 31, v3
	v_not_b32_e32 v0, v87
	v_and_b32_e32 v1, v1, v60
	v_xor_b32_e32 v60, vcc_hi, v3
	v_xor_b32_e32 v3, vcc_lo, v3
	v_cmp_gt_i64_e32 vcc, 0, v[86:87]
	v_ashrrev_i32_e32 v0, 31, v0
	v_and_b32_e32 v2, v2, v3
	v_xor_b32_e32 v3, vcc_hi, v0
	v_xor_b32_e32 v0, vcc_lo, v0
	v_and_b32_e32 v1, v1, v60
	v_and_b32_e32 v0, v2, v0
	;; [unrolled: 1-line block ×3, first 2 shown]
	v_mbcnt_lo_u32_b32 v2, v0, 0
	v_mbcnt_hi_u32_b32 v60, v1, v2
	v_cmp_eq_u32_e32 vcc, 0, v60
	v_cmp_ne_u64_e64 s[4:5], 0, v[0:1]
	s_and_b64 s[60:61], s[4:5], vcc
	; wave barrier
	s_and_saveexec_b64 s[4:5], s[60:61]
	s_cbranch_execz .LBB191_51
; %bb.50:                               ;   in Loop: Header=BB191_35 Depth=1
	v_bcnt_u32_b32 v0, v0, 0
	v_bcnt_u32_b32 v0, v1, v0
	s_waitcnt lgkmcnt(0)
	v_add_u32_e32 v0, v58, v0
	ds_write_b32 v59, v0
.LBB191_51:                             ;   in Loop: Header=BB191_35 Depth=1
	s_or_b64 exec, exec, s[4:5]
	; wave barrier
	s_waitcnt lgkmcnt(0)
	s_barrier
	ds_read2_b32 v[2:3], v112 offset0:4 offset1:5
	ds_read2_b32 v[0:1], v126 offset0:2 offset1:3
	s_waitcnt lgkmcnt(1)
	v_add_u32_e32 v61, v3, v2
	s_waitcnt lgkmcnt(0)
	v_add3_u32 v1, v61, v0, v1
	s_nop 1
	v_mov_b32_dpp v61, v1 row_shr:1 row_mask:0xf bank_mask:0xf
	v_cndmask_b32_e64 v61, v61, 0, s[22:23]
	v_add_u32_e32 v1, v61, v1
	s_nop 1
	v_mov_b32_dpp v61, v1 row_shr:2 row_mask:0xf bank_mask:0xf
	v_cndmask_b32_e64 v61, 0, v61, s[24:25]
	v_add_u32_e32 v1, v1, v61
	;; [unrolled: 4-line block ×4, first 2 shown]
	s_nop 1
	v_mov_b32_dpp v61, v1 row_bcast:15 row_mask:0xf bank_mask:0xf
	v_cndmask_b32_e64 v61, v61, 0, s[30:31]
	v_add_u32_e32 v1, v1, v61
	s_nop 1
	v_mov_b32_dpp v61, v1 row_bcast:31 row_mask:0xf bank_mask:0xf
	v_cndmask_b32_e64 v61, 0, v61, s[34:35]
	v_add_u32_e32 v1, v1, v61
	s_and_saveexec_b64 s[4:5], s[36:37]
	s_cbranch_execz .LBB191_53
; %bb.52:                               ;   in Loop: Header=BB191_35 Depth=1
	ds_write_b32 v129, v1
.LBB191_53:                             ;   in Loop: Header=BB191_35 Depth=1
	s_or_b64 exec, exec, s[4:5]
	s_waitcnt lgkmcnt(0)
	s_barrier
	s_and_saveexec_b64 s[4:5], s[16:17]
	s_cbranch_execz .LBB191_55
; %bb.54:                               ;   in Loop: Header=BB191_35 Depth=1
	ds_read_b32 v61, v69
	s_waitcnt lgkmcnt(0)
	s_nop 0
	v_mov_b32_dpp v62, v61 row_shr:1 row_mask:0xf bank_mask:0xf
	v_cndmask_b32_e64 v62, v62, 0, s[40:41]
	v_add_u32_e32 v61, v62, v61
	s_nop 1
	v_mov_b32_dpp v62, v61 row_shr:2 row_mask:0xf bank_mask:0xf
	v_cndmask_b32_e64 v62, 0, v62, s[42:43]
	v_add_u32_e32 v61, v61, v62
	ds_write_b32 v69, v61
.LBB191_55:                             ;   in Loop: Header=BB191_35 Depth=1
	s_or_b64 exec, exec, s[4:5]
	v_mov_b32_e32 v61, 0
	s_waitcnt lgkmcnt(0)
	s_barrier
	s_and_saveexec_b64 s[4:5], s[18:19]
	s_cbranch_execz .LBB191_57
; %bb.56:                               ;   in Loop: Header=BB191_35 Depth=1
	ds_read_b32 v61, v130
.LBB191_57:                             ;   in Loop: Header=BB191_35 Depth=1
	s_or_b64 exec, exec, s[4:5]
	s_waitcnt lgkmcnt(0)
	v_add_u32_e32 v1, v61, v1
	ds_bpermute_b32 v1, v128, v1
	s_cmp_gt_u32 s54, 55
	s_waitcnt lgkmcnt(0)
	v_cndmask_b32_e64 v1, v1, v61, s[38:39]
	v_cndmask_b32_e64 v1, v1, 0, s[20:21]
	v_add_u32_e32 v2, v1, v2
	v_add_u32_e32 v3, v2, v3
	;; [unrolled: 1-line block ×3, first 2 shown]
	ds_write2_b32 v112, v1, v2 offset0:4 offset1:5
	ds_write2_b32 v126, v3, v0 offset0:2 offset1:3
	s_waitcnt lgkmcnt(0)
	s_barrier
	ds_read_b32 v0, v4
	ds_read_b32 v1, v7
	;; [unrolled: 1-line block ×8, first 2 shown]
	s_waitcnt lgkmcnt(7)
	v_add_u32_e32 v138, v0, v5
	s_waitcnt lgkmcnt(6)
	v_add3_u32 v137, v8, v6, v1
	s_waitcnt lgkmcnt(5)
	v_add3_u32 v136, v11, v9, v2
	;; [unrolled: 2-line block ×7, first 2 shown]
	s_cbranch_scc0 .LBB191_34
; %bb.58:
                                        ; implicit-def: $vgpr14_vgpr15
                                        ; implicit-def: $vgpr10_vgpr11
                                        ; implicit-def: $vgpr6_vgpr7
                                        ; implicit-def: $vgpr2_vgpr3
                                        ; implicit-def: $vgpr64_vgpr65
                                        ; implicit-def: $vgpr60_vgpr61
                                        ; implicit-def: $vgpr56_vgpr57
                                        ; implicit-def: $vgpr52_vgpr53
                                        ; implicit-def: $sgpr54_sgpr55
                                        ; implicit-def: $sgpr58
.LBB191_59:
	v_lshlrev_b32_e32 v50, 3, v138
	v_lshlrev_b32_e32 v51, 3, v137
	;; [unrolled: 1-line block ×9, first 2 shown]
	s_barrier
	ds_write_b64 v50, v[102:103]
	ds_write_b64 v51, v[100:101]
	;; [unrolled: 1-line block ×8, first 2 shown]
	s_waitcnt lgkmcnt(0)
	s_barrier
	ds_read2_b64 v[0:3], v62 offset1:1
	ds_read2_b64 v[4:7], v62 offset0:2 offset1:3
	ds_read2_b64 v[8:11], v62 offset0:4 offset1:5
	;; [unrolled: 1-line block ×3, first 2 shown]
	s_waitcnt lgkmcnt(0)
	s_barrier
	ds_write_b64 v50, v[84:85]
	ds_write_b64 v51, v[82:83]
	ds_write_b64 v52, v[80:81]
	ds_write_b64 v53, v[78:79]
	ds_write_b64 v54, v[76:77]
	ds_write_b64 v55, v[74:75]
	ds_write_b64 v56, v[72:73]
	ds_write_b64 v57, v[16:17]
	v_ashrrev_i32_e32 v72, 31, v1
	v_not_b32_e32 v72, v72
	v_cmp_lt_i64_e32 vcc, -1, v[0:1]
	v_xor_b32_e32 v0, v72, v0
	v_ashrrev_i32_e32 v72, 31, v3
	v_bfrev_b32_e32 v16, 1
	v_not_b32_e32 v72, v72
	v_cndmask_b32_e64 v17, v16, -1, vcc
	v_cmp_lt_i64_e32 vcc, -1, v[2:3]
	v_xor_b32_e32 v2, v72, v2
	v_ashrrev_i32_e32 v72, 31, v5
	v_not_b32_e32 v72, v72
	v_xor_b32_e32 v1, v17, v1
	v_cndmask_b32_e64 v17, v16, -1, vcc
	v_cmp_lt_i64_e32 vcc, -1, v[4:5]
	v_xor_b32_e32 v4, v72, v4
	v_ashrrev_i32_e32 v72, 31, v7
	s_waitcnt lgkmcnt(0)
	s_barrier
	ds_read2_b64 v[50:53], v62 offset1:1
	ds_read2_b64 v[54:57], v62 offset0:2 offset1:3
	ds_read2_b64 v[58:61], v62 offset0:4 offset1:5
	;; [unrolled: 1-line block ×3, first 2 shown]
	v_xor_b32_e32 v3, v17, v3
	v_cndmask_b32_e64 v17, v16, -1, vcc
	v_cmp_lt_i64_e32 vcc, -1, v[6:7]
	v_not_b32_e32 v72, v72
	v_xor_b32_e32 v5, v17, v5
	v_cndmask_b32_e64 v17, v16, -1, vcc
	v_xor_b32_e32 v6, v72, v6
	v_cmp_lt_i64_e32 vcc, -1, v[8:9]
	v_ashrrev_i32_e32 v72, 31, v9
	v_xor_b32_e32 v7, v17, v7
	v_cndmask_b32_e64 v17, v16, -1, vcc
	v_not_b32_e32 v72, v72
	v_cmp_lt_i64_e32 vcc, -1, v[10:11]
	v_xor_b32_e32 v9, v17, v9
	v_xor_b32_e32 v8, v72, v8
	v_cndmask_b32_e64 v17, v16, -1, vcc
	v_ashrrev_i32_e32 v72, 31, v11
	v_cmp_lt_i64_e32 vcc, -1, v[12:13]
	v_not_b32_e32 v72, v72
	v_xor_b32_e32 v11, v17, v11
	v_cndmask_b32_e64 v17, v16, -1, vcc
	v_xor_b32_e32 v10, v72, v10
	v_ashrrev_i32_e32 v72, 31, v13
	v_xor_b32_e32 v13, v17, v13
	v_cmp_lt_i64_e32 vcc, -1, v[14:15]
	v_ashrrev_i32_e32 v17, 31, v15
	v_not_b32_e32 v72, v72
	v_cndmask_b32_e64 v16, v16, -1, vcc
	v_not_b32_e32 v17, v17
	v_xor_b32_e32 v12, v72, v12
	v_xor_b32_e32 v15, v16, v15
	;; [unrolled: 1-line block ×3, first 2 shown]
	s_branch .LBB191_95
.LBB191_60:
	v_mov_b32_e32 v69, 0
	v_lshlrev_b64 v[2:3], 3, v[68:69]
	v_mov_b32_e32 v4, s56
	v_add_co_u32_e32 v2, vcc, s51, v2
	v_addc_co_u32_e32 v3, vcc, v4, v3, vcc
	global_load_dwordx2 v[2:3], v[2:3], off
	v_mov_b32_e32 v4, v69
	v_mov_b32_e32 v5, v69
	;; [unrolled: 1-line block ×14, first 2 shown]
	s_or_b64 exec, exec, s[4:5]
	s_and_saveexec_b64 s[4:5], s[2:3]
	s_cbranch_execz .LBB191_25
.LBB191_61:
	v_mul_lo_u32 v4, v1, s46
	v_mov_b32_e32 v5, 0
	v_lshlrev_b64 v[4:5], 3, v[4:5]
	v_mov_b32_e32 v1, s56
	v_add_co_u32_e32 v4, vcc, s51, v4
	v_addc_co_u32_e32 v5, vcc, v1, v5, vcc
	global_load_dwordx2 v[4:5], v[4:5], off
	s_or_b64 exec, exec, s[4:5]
	s_and_saveexec_b64 s[4:5], s[44:45]
	s_cbranch_execz .LBB191_26
.LBB191_62:
	v_mul_lo_u32 v6, v34, s46
	v_mov_b32_e32 v7, 0
	v_lshlrev_b64 v[6:7], 3, v[6:7]
	v_mov_b32_e32 v1, s56
	v_add_co_u32_e32 v6, vcc, s51, v6
	v_addc_co_u32_e32 v7, vcc, v1, v7, vcc
	global_load_dwordx2 v[6:7], v[6:7], off
	s_or_b64 exec, exec, s[4:5]
	s_and_saveexec_b64 s[4:5], s[6:7]
	s_cbranch_execz .LBB191_27
.LBB191_63:
	v_mul_lo_u32 v8, v35, s46
	v_mov_b32_e32 v9, 0
	v_lshlrev_b64 v[8:9], 3, v[8:9]
	v_mov_b32_e32 v1, s56
	v_add_co_u32_e32 v8, vcc, s51, v8
	v_addc_co_u32_e32 v9, vcc, v1, v9, vcc
	global_load_dwordx2 v[8:9], v[8:9], off
	s_or_b64 exec, exec, s[4:5]
	s_and_saveexec_b64 s[4:5], s[8:9]
	s_cbranch_execz .LBB191_28
.LBB191_64:
	v_mul_lo_u32 v10, v36, s46
	v_mov_b32_e32 v11, 0
	v_lshlrev_b64 v[10:11], 3, v[10:11]
	v_mov_b32_e32 v1, s56
	v_add_co_u32_e32 v10, vcc, s51, v10
	v_addc_co_u32_e32 v11, vcc, v1, v11, vcc
	global_load_dwordx2 v[10:11], v[10:11], off
	s_or_b64 exec, exec, s[4:5]
	s_and_saveexec_b64 s[4:5], s[10:11]
	s_cbranch_execz .LBB191_29
.LBB191_65:
	v_mul_lo_u32 v12, v37, s46
	v_mov_b32_e32 v13, 0
	v_lshlrev_b64 v[12:13], 3, v[12:13]
	v_mov_b32_e32 v1, s56
	v_add_co_u32_e32 v12, vcc, s51, v12
	v_addc_co_u32_e32 v13, vcc, v1, v13, vcc
	global_load_dwordx2 v[12:13], v[12:13], off
	s_or_b64 exec, exec, s[4:5]
	s_and_saveexec_b64 s[4:5], s[12:13]
	s_cbranch_execz .LBB191_30
.LBB191_66:
	v_mul_lo_u32 v14, v38, s46
	v_mov_b32_e32 v15, 0
	v_lshlrev_b64 v[14:15], 3, v[14:15]
	v_mov_b32_e32 v1, s56
	v_add_co_u32_e32 v14, vcc, s51, v14
	v_addc_co_u32_e32 v15, vcc, v1, v15, vcc
	global_load_dwordx2 v[14:15], v[14:15], off
	s_or_b64 exec, exec, s[4:5]
	s_xor_b64 s[4:5], s[34:35], -1
	s_and_saveexec_b64 s[16:17], s[14:15]
	s_cbranch_execnz .LBB191_31
	s_branch .LBB191_32
.LBB191_67:
                                        ; implicit-def: $vgpr64_vgpr65
                                        ; implicit-def: $vgpr60_vgpr61
                                        ; implicit-def: $vgpr56_vgpr57
                                        ; implicit-def: $vgpr52_vgpr53
                                        ; implicit-def: $vgpr0_vgpr1_vgpr2_vgpr3_vgpr4_vgpr5_vgpr6_vgpr7_vgpr8_vgpr9_vgpr10_vgpr11_vgpr12_vgpr13_vgpr14_vgpr15
	s_cbranch_execz .LBB191_95
; %bb.68:
	v_bfrev_b32_e32 v72, -2
	v_cmp_gt_i64_e32 vcc, 0, v[30:31]
	v_cndmask_b32_e64 v0, v72, 0, vcc
	v_not_b32_e32 v2, v124
	v_cmp_gt_i64_e32 vcc, 0, v[32:33]
	v_xor_b32_e32 v1, v0, v31
	v_xor_b32_e32 v0, v2, v30
	v_cndmask_b32_e64 v2, v72, 0, vcc
	v_not_b32_e32 v4, v123
	v_cmp_gt_i64_e32 vcc, 0, v[26:27]
	v_xor_b32_e32 v3, v2, v33
	v_xor_b32_e32 v2, v4, v32
	;; [unrolled: 5-line block ×7, first 2 shown]
	v_cndmask_b32_e64 v14, v72, 0, vcc
	v_not_b32_e32 v16, v117
	s_waitcnt lgkmcnt(3)
	v_mbcnt_hi_u32_b32 v50, -1, v116
	v_and_b32_e32 v51, 0x3c0, v70
	v_xor_b32_e32 v15, v14, v21
	v_xor_b32_e32 v14, v16, v20
	v_add_lshl_u32 v16, v50, v51, 6
	v_and_b32_e32 v52, 0x1e00, v67
	ds_write2_b64 v16, v[0:1], v[2:3] offset1:1
	ds_write2_b64 v16, v[4:5], v[6:7] offset0:2 offset1:3
	ds_write2_b64 v16, v[8:9], v[10:11] offset0:4 offset1:5
	;; [unrolled: 1-line block ×3, first 2 shown]
	v_or_b32_e32 v0, v50, v52
	v_lshlrev_b32_e32 v28, 3, v0
	; wave barrier
	ds_read2st64_b64 v[0:3], v28 offset1:1
	ds_read2st64_b64 v[4:7], v28 offset0:2 offset1:3
	ds_read2st64_b64 v[8:11], v28 offset0:4 offset1:5
	;; [unrolled: 1-line block ×3, first 2 shown]
	; wave barrier
	ds_write2_b64 v16, v[46:47], v[48:49] offset1:1
	ds_write2_b64 v16, v[42:43], v[44:45] offset0:2 offset1:3
	ds_write2_b64 v16, v[38:39], v[40:41] offset0:4 offset1:5
	;; [unrolled: 1-line block ×3, first 2 shown]
	; wave barrier
	ds_read2st64_b64 v[16:19], v28 offset1:1
	ds_read2st64_b64 v[20:23], v28 offset0:2 offset1:3
	ds_read2st64_b64 v[24:27], v28 offset0:4 offset1:5
	;; [unrolled: 1-line block ×3, first 2 shown]
	s_waitcnt lgkmcnt(0)
	s_barrier
	s_load_dword s16, s[52:53], 0xc
	s_getpc_b64 s[4:5]
	s_add_u32 s4, s4, _ZN7rocprim17ROCPRIM_400000_NS16block_radix_sortIdLj256ELj8ElLj1ELj1ELj0ELNS0_26block_radix_rank_algorithmE1ELNS0_18block_padding_hintE2ELNS0_4arch9wavefront6targetE1EE19radix_bits_per_passE@rel32@lo+4
	s_addc_u32 s5, s5, _ZN7rocprim17ROCPRIM_400000_NS16block_radix_sortIdLj256ELj8ElLj1ELj1ELj0ELNS0_26block_radix_rank_algorithmE1ELNS0_18block_padding_hintE2ELNS0_4arch9wavefront6targetE1EE19radix_bits_per_passE@rel32@hi+12
	s_load_dword s54, s[4:5], 0x0
	s_mov_b32 s52, 0
	v_cmp_gt_u32_e64 s[30:31], 4, v70
	s_waitcnt lgkmcnt(0)
	s_lshr_b32 s4, s16, 16
	s_and_b32 s5, s16, 0xffff
	v_mad_u32_u24 v32, v115, s4, v114
	v_mad_u64_u32 v[32:33], s[4:5], v32, s5, v[70:71]
	v_lshrrev_b32_e32 v74, 6, v32
	v_and_b32_e32 v32, 15, v50
	v_cmp_eq_u32_e64 s[16:17], 0, v32
	v_cmp_lt_u32_e64 s[18:19], 1, v32
	v_cmp_lt_u32_e64 s[20:21], 3, v32
	;; [unrolled: 1-line block ×3, first 2 shown]
	v_and_b32_e32 v32, 16, v50
	v_cmp_eq_u32_e64 s[24:25], 0, v32
	v_min_u32_e32 v32, 0xc0, v51
	v_or_b32_e32 v32, 63, v32
	v_cmp_eq_u32_e64 s[28:29], v32, v70
	v_add_u32_e32 v32, -1, v50
	v_and_b32_e32 v33, 64, v50
	v_cmp_lt_i32_e32 vcc, v32, v33
	v_cndmask_b32_e32 v32, v32, v50, vcc
	v_lshlrev_b32_e32 v75, 2, v32
	v_and_b32_e32 v32, 3, v50
	v_cmp_lt_u32_e64 s[34:35], 63, v70
	v_cmp_eq_u32_e64 s[38:39], 0, v70
	v_and_b32_e32 v70, 60, v113
	v_cmp_eq_u32_e64 s[40:41], 0, v32
	v_cmp_lt_u32_e64 s[42:43], 1, v32
	v_and_or_b32 v32, v50, 63, v52
	s_mov_b64 s[48:49], 0
	s_brev_b32 s53, 1
	v_add_u32_e32 v73, 16, v112
	v_cmp_lt_u32_e64 s[26:27], 31, v50
	s_mov_b32 s55, 64
	v_cmp_eq_u32_e64 s[36:37], 0, v50
	v_add_u32_e32 v76, -4, v70
	v_lshlrev_b32_e32 v77, 3, v32
	v_mov_b32_e32 v48, 0
	s_branch .LBB191_70
.LBB191_69:                             ;   in Loop: Header=BB191_70 Depth=1
	v_lshlrev_b32_e32 v16, 3, v84
	v_lshlrev_b32_e32 v17, 3, v83
	;; [unrolled: 1-line block ×8, first 2 shown]
	s_barrier
	ds_write_b64 v16, v[64:65]
	ds_write_b64 v17, v[62:63]
	;; [unrolled: 1-line block ×8, first 2 shown]
	s_waitcnt lgkmcnt(0)
	s_barrier
	ds_read2st64_b64 v[0:3], v77 offset1:1
	ds_read2st64_b64 v[4:7], v77 offset0:2 offset1:3
	ds_read2st64_b64 v[8:11], v77 offset0:4 offset1:5
	;; [unrolled: 1-line block ×3, first 2 shown]
	s_waitcnt lgkmcnt(0)
	s_barrier
	ds_write_b64 v16, v[46:47]
	ds_write_b64 v17, v[44:45]
	;; [unrolled: 1-line block ×8, first 2 shown]
	s_waitcnt lgkmcnt(0)
	s_barrier
	ds_read2st64_b64 v[16:19], v77 offset1:1
	ds_read2st64_b64 v[20:23], v77 offset0:2 offset1:3
	ds_read2st64_b64 v[24:27], v77 offset0:4 offset1:5
	;; [unrolled: 1-line block ×3, first 2 shown]
	s_add_u32 s48, s48, 8
	s_addc_u32 s49, s49, 0
	s_add_i32 s55, s55, -8
	s_waitcnt lgkmcnt(0)
	s_barrier
	s_cbranch_execz .LBB191_94
.LBB191_70:                             ; =>This Inner Loop Header: Depth=1
	v_pk_mov_b32 v[64:65], v[0:1], v[0:1] op_sel:[0,1]
	s_min_u32 s4, s54, s55
	v_cmp_ne_u64_e32 vcc, s[52:53], v[64:65]
	s_lshl_b32 s4, -1, s4
	v_cndmask_b32_e32 v1, v72, v65, vcc
	v_cndmask_b32_e32 v0, -1, v64, vcc
	s_not_b32 s57, s4
	v_lshrrev_b64 v[0:1], s48, v[0:1]
	v_and_b32_e32 v0, s57, v0
	v_lshl_add_u32 v1, v0, 2, v74
	v_pk_mov_b32 v[60:61], v[4:5], v[4:5] op_sel:[0,1]
	v_lshl_add_u32 v4, v1, 2, 16
	v_and_b32_e32 v1, 1, v0
	v_pk_mov_b32 v[62:63], v[2:3], v[2:3] op_sel:[0,1]
	v_add_co_u32_e32 v2, vcc, -1, v1
	v_addc_co_u32_e64 v3, s[4:5], 0, -1, vcc
	v_cmp_ne_u32_e32 vcc, 0, v1
	v_lshlrev_b32_e32 v49, 30, v0
	v_xor_b32_e32 v1, vcc_hi, v3
	v_not_b32_e32 v3, v49
	v_xor_b32_e32 v2, vcc_lo, v2
	v_cmp_gt_i64_e32 vcc, 0, v[48:49]
	v_ashrrev_i32_e32 v3, 31, v3
	v_and_b32_e32 v2, exec_lo, v2
	v_xor_b32_e32 v5, vcc_hi, v3
	v_xor_b32_e32 v3, vcc_lo, v3
	v_lshlrev_b32_e32 v49, 29, v0
	v_and_b32_e32 v2, v2, v3
	v_not_b32_e32 v3, v49
	v_and_b32_e32 v1, exec_hi, v1
	v_cmp_gt_i64_e32 vcc, 0, v[48:49]
	v_ashrrev_i32_e32 v3, 31, v3
	v_and_b32_e32 v1, v1, v5
	v_xor_b32_e32 v5, vcc_hi, v3
	v_xor_b32_e32 v3, vcc_lo, v3
	v_lshlrev_b32_e32 v49, 28, v0
	v_and_b32_e32 v2, v2, v3
	v_not_b32_e32 v3, v49
	v_cmp_gt_i64_e32 vcc, 0, v[48:49]
	v_ashrrev_i32_e32 v3, 31, v3
	v_and_b32_e32 v1, v1, v5
	v_xor_b32_e32 v5, vcc_hi, v3
	v_xor_b32_e32 v3, vcc_lo, v3
	v_lshlrev_b32_e32 v49, 27, v0
	v_and_b32_e32 v2, v2, v3
	v_not_b32_e32 v3, v49
	;; [unrolled: 8-line block ×3, first 2 shown]
	v_cmp_gt_i64_e32 vcc, 0, v[48:49]
	v_ashrrev_i32_e32 v3, 31, v3
	v_and_b32_e32 v1, v1, v5
	v_xor_b32_e32 v5, vcc_hi, v3
	v_xor_b32_e32 v3, vcc_lo, v3
	v_lshlrev_b32_e32 v49, 25, v0
	v_and_b32_e32 v2, v2, v3
	v_cmp_gt_i64_e32 vcc, 0, v[48:49]
	v_not_b32_e32 v3, v49
	v_lshlrev_b32_e32 v49, 24, v0
	v_ashrrev_i32_e32 v3, 31, v3
	v_not_b32_e32 v0, v49
	v_and_b32_e32 v1, v1, v5
	v_xor_b32_e32 v5, vcc_hi, v3
	v_xor_b32_e32 v3, vcc_lo, v3
	v_cmp_gt_i64_e32 vcc, 0, v[48:49]
	v_ashrrev_i32_e32 v0, 31, v0
	v_and_b32_e32 v2, v2, v3
	v_xor_b32_e32 v3, vcc_hi, v0
	v_xor_b32_e32 v0, vcc_lo, v0
	v_and_b32_e32 v1, v1, v5
	v_and_b32_e32 v0, v2, v0
	;; [unrolled: 1-line block ×3, first 2 shown]
	v_mbcnt_lo_u32_b32 v2, v0, 0
	v_mbcnt_hi_u32_b32 v5, v1, v2
	v_cmp_eq_u32_e32 vcc, 0, v5
	v_cmp_ne_u64_e64 s[4:5], 0, v[0:1]
	v_pk_mov_b32 v[50:51], v[14:15], v[14:15] op_sel:[0,1]
	v_pk_mov_b32 v[52:53], v[12:13], v[12:13] op_sel:[0,1]
	;; [unrolled: 1-line block ×13, first 2 shown]
	s_and_b64 s[58:59], s[4:5], vcc
	ds_write2_b32 v112, v48, v48 offset0:4 offset1:5
	ds_write2_b32 v73, v48, v48 offset0:2 offset1:3
	s_waitcnt lgkmcnt(0)
	s_barrier
	s_waitcnt lgkmcnt(0)
	; wave barrier
	s_and_saveexec_b64 s[4:5], s[58:59]
	s_cbranch_execz .LBB191_72
; %bb.71:                               ;   in Loop: Header=BB191_70 Depth=1
	v_bcnt_u32_b32 v0, v0, 0
	v_bcnt_u32_b32 v0, v1, v0
	ds_write_b32 v4, v0
.LBB191_72:                             ;   in Loop: Header=BB191_70 Depth=1
	s_or_b64 exec, exec, s[4:5]
	v_cmp_ne_u64_e32 vcc, s[52:53], v[62:63]
	v_cndmask_b32_e32 v1, v72, v63, vcc
	v_cndmask_b32_e32 v0, -1, v62, vcc
	v_lshrrev_b64 v[0:1], s48, v[0:1]
	v_and_b32_e32 v0, s57, v0
	v_lshlrev_b32_e32 v1, 2, v0
	v_add_lshl_u32 v1, v1, v74, 2
	; wave barrier
	v_add_u32_e32 v7, 16, v1
	ds_read_b32 v6, v1 offset:16
	v_and_b32_e32 v1, 1, v0
	v_add_co_u32_e32 v2, vcc, -1, v1
	v_addc_co_u32_e64 v3, s[4:5], 0, -1, vcc
	v_cmp_ne_u32_e32 vcc, 0, v1
	v_lshlrev_b32_e32 v49, 30, v0
	v_xor_b32_e32 v1, vcc_hi, v3
	v_not_b32_e32 v3, v49
	v_xor_b32_e32 v2, vcc_lo, v2
	v_cmp_gt_i64_e32 vcc, 0, v[48:49]
	v_ashrrev_i32_e32 v3, 31, v3
	v_and_b32_e32 v2, exec_lo, v2
	v_xor_b32_e32 v8, vcc_hi, v3
	v_xor_b32_e32 v3, vcc_lo, v3
	v_lshlrev_b32_e32 v49, 29, v0
	v_and_b32_e32 v2, v2, v3
	v_not_b32_e32 v3, v49
	v_and_b32_e32 v1, exec_hi, v1
	v_cmp_gt_i64_e32 vcc, 0, v[48:49]
	v_ashrrev_i32_e32 v3, 31, v3
	v_and_b32_e32 v1, v1, v8
	v_xor_b32_e32 v8, vcc_hi, v3
	v_xor_b32_e32 v3, vcc_lo, v3
	v_lshlrev_b32_e32 v49, 28, v0
	v_and_b32_e32 v2, v2, v3
	v_not_b32_e32 v3, v49
	v_cmp_gt_i64_e32 vcc, 0, v[48:49]
	v_ashrrev_i32_e32 v3, 31, v3
	v_and_b32_e32 v1, v1, v8
	v_xor_b32_e32 v8, vcc_hi, v3
	v_xor_b32_e32 v3, vcc_lo, v3
	v_lshlrev_b32_e32 v49, 27, v0
	v_and_b32_e32 v2, v2, v3
	v_not_b32_e32 v3, v49
	;; [unrolled: 8-line block ×3, first 2 shown]
	v_cmp_gt_i64_e32 vcc, 0, v[48:49]
	v_ashrrev_i32_e32 v3, 31, v3
	v_and_b32_e32 v1, v1, v8
	v_xor_b32_e32 v8, vcc_hi, v3
	v_xor_b32_e32 v3, vcc_lo, v3
	v_lshlrev_b32_e32 v49, 25, v0
	v_and_b32_e32 v2, v2, v3
	v_cmp_gt_i64_e32 vcc, 0, v[48:49]
	v_not_b32_e32 v3, v49
	v_lshlrev_b32_e32 v49, 24, v0
	v_ashrrev_i32_e32 v3, 31, v3
	v_not_b32_e32 v0, v49
	v_and_b32_e32 v1, v1, v8
	v_xor_b32_e32 v8, vcc_hi, v3
	v_xor_b32_e32 v3, vcc_lo, v3
	v_cmp_gt_i64_e32 vcc, 0, v[48:49]
	v_ashrrev_i32_e32 v0, 31, v0
	v_and_b32_e32 v2, v2, v3
	v_xor_b32_e32 v3, vcc_hi, v0
	v_xor_b32_e32 v0, vcc_lo, v0
	v_and_b32_e32 v1, v1, v8
	v_and_b32_e32 v0, v2, v0
	;; [unrolled: 1-line block ×3, first 2 shown]
	v_mbcnt_lo_u32_b32 v2, v0, 0
	v_mbcnt_hi_u32_b32 v8, v1, v2
	v_cmp_eq_u32_e32 vcc, 0, v8
	v_cmp_ne_u64_e64 s[4:5], 0, v[0:1]
	s_and_b64 s[58:59], s[4:5], vcc
	; wave barrier
	s_and_saveexec_b64 s[4:5], s[58:59]
	s_cbranch_execz .LBB191_74
; %bb.73:                               ;   in Loop: Header=BB191_70 Depth=1
	v_bcnt_u32_b32 v0, v0, 0
	v_bcnt_u32_b32 v0, v1, v0
	s_waitcnt lgkmcnt(0)
	v_add_u32_e32 v0, v6, v0
	ds_write_b32 v7, v0
.LBB191_74:                             ;   in Loop: Header=BB191_70 Depth=1
	s_or_b64 exec, exec, s[4:5]
	v_cmp_ne_u64_e32 vcc, s[52:53], v[60:61]
	v_cndmask_b32_e32 v1, v72, v61, vcc
	v_cndmask_b32_e32 v0, -1, v60, vcc
	v_lshrrev_b64 v[0:1], s48, v[0:1]
	v_and_b32_e32 v0, s57, v0
	v_lshlrev_b32_e32 v1, 2, v0
	v_add_lshl_u32 v1, v1, v74, 2
	; wave barrier
	v_add_u32_e32 v10, 16, v1
	ds_read_b32 v9, v1 offset:16
	v_and_b32_e32 v1, 1, v0
	v_add_co_u32_e32 v2, vcc, -1, v1
	v_addc_co_u32_e64 v3, s[4:5], 0, -1, vcc
	v_cmp_ne_u32_e32 vcc, 0, v1
	v_lshlrev_b32_e32 v49, 30, v0
	v_xor_b32_e32 v1, vcc_hi, v3
	v_not_b32_e32 v3, v49
	v_xor_b32_e32 v2, vcc_lo, v2
	v_cmp_gt_i64_e32 vcc, 0, v[48:49]
	v_ashrrev_i32_e32 v3, 31, v3
	v_and_b32_e32 v2, exec_lo, v2
	v_xor_b32_e32 v11, vcc_hi, v3
	v_xor_b32_e32 v3, vcc_lo, v3
	v_lshlrev_b32_e32 v49, 29, v0
	v_and_b32_e32 v2, v2, v3
	v_not_b32_e32 v3, v49
	v_and_b32_e32 v1, exec_hi, v1
	v_cmp_gt_i64_e32 vcc, 0, v[48:49]
	v_ashrrev_i32_e32 v3, 31, v3
	v_and_b32_e32 v1, v1, v11
	v_xor_b32_e32 v11, vcc_hi, v3
	v_xor_b32_e32 v3, vcc_lo, v3
	v_lshlrev_b32_e32 v49, 28, v0
	v_and_b32_e32 v2, v2, v3
	v_not_b32_e32 v3, v49
	v_cmp_gt_i64_e32 vcc, 0, v[48:49]
	v_ashrrev_i32_e32 v3, 31, v3
	v_and_b32_e32 v1, v1, v11
	v_xor_b32_e32 v11, vcc_hi, v3
	v_xor_b32_e32 v3, vcc_lo, v3
	v_lshlrev_b32_e32 v49, 27, v0
	v_and_b32_e32 v2, v2, v3
	v_not_b32_e32 v3, v49
	;; [unrolled: 8-line block ×3, first 2 shown]
	v_cmp_gt_i64_e32 vcc, 0, v[48:49]
	v_ashrrev_i32_e32 v3, 31, v3
	v_and_b32_e32 v1, v1, v11
	v_xor_b32_e32 v11, vcc_hi, v3
	v_xor_b32_e32 v3, vcc_lo, v3
	v_lshlrev_b32_e32 v49, 25, v0
	v_and_b32_e32 v2, v2, v3
	v_cmp_gt_i64_e32 vcc, 0, v[48:49]
	v_not_b32_e32 v3, v49
	v_lshlrev_b32_e32 v49, 24, v0
	v_ashrrev_i32_e32 v3, 31, v3
	v_not_b32_e32 v0, v49
	v_and_b32_e32 v1, v1, v11
	v_xor_b32_e32 v11, vcc_hi, v3
	v_xor_b32_e32 v3, vcc_lo, v3
	v_cmp_gt_i64_e32 vcc, 0, v[48:49]
	v_ashrrev_i32_e32 v0, 31, v0
	v_and_b32_e32 v2, v2, v3
	v_xor_b32_e32 v3, vcc_hi, v0
	v_xor_b32_e32 v0, vcc_lo, v0
	v_and_b32_e32 v1, v1, v11
	v_and_b32_e32 v0, v2, v0
	;; [unrolled: 1-line block ×3, first 2 shown]
	v_mbcnt_lo_u32_b32 v2, v0, 0
	v_mbcnt_hi_u32_b32 v11, v1, v2
	v_cmp_eq_u32_e32 vcc, 0, v11
	v_cmp_ne_u64_e64 s[4:5], 0, v[0:1]
	s_and_b64 s[58:59], s[4:5], vcc
	; wave barrier
	s_and_saveexec_b64 s[4:5], s[58:59]
	s_cbranch_execz .LBB191_76
; %bb.75:                               ;   in Loop: Header=BB191_70 Depth=1
	v_bcnt_u32_b32 v0, v0, 0
	v_bcnt_u32_b32 v0, v1, v0
	s_waitcnt lgkmcnt(0)
	v_add_u32_e32 v0, v9, v0
	ds_write_b32 v10, v0
.LBB191_76:                             ;   in Loop: Header=BB191_70 Depth=1
	s_or_b64 exec, exec, s[4:5]
	v_cmp_ne_u64_e32 vcc, s[52:53], v[58:59]
	v_cndmask_b32_e32 v1, v72, v59, vcc
	v_cndmask_b32_e32 v0, -1, v58, vcc
	v_lshrrev_b64 v[0:1], s48, v[0:1]
	v_and_b32_e32 v0, s57, v0
	v_lshlrev_b32_e32 v1, 2, v0
	v_add_lshl_u32 v1, v1, v74, 2
	; wave barrier
	v_add_u32_e32 v13, 16, v1
	ds_read_b32 v12, v1 offset:16
	v_and_b32_e32 v1, 1, v0
	v_add_co_u32_e32 v2, vcc, -1, v1
	v_addc_co_u32_e64 v3, s[4:5], 0, -1, vcc
	v_cmp_ne_u32_e32 vcc, 0, v1
	v_lshlrev_b32_e32 v49, 30, v0
	v_xor_b32_e32 v1, vcc_hi, v3
	v_not_b32_e32 v3, v49
	v_xor_b32_e32 v2, vcc_lo, v2
	v_cmp_gt_i64_e32 vcc, 0, v[48:49]
	v_ashrrev_i32_e32 v3, 31, v3
	v_and_b32_e32 v2, exec_lo, v2
	v_xor_b32_e32 v14, vcc_hi, v3
	v_xor_b32_e32 v3, vcc_lo, v3
	v_lshlrev_b32_e32 v49, 29, v0
	v_and_b32_e32 v2, v2, v3
	v_not_b32_e32 v3, v49
	v_and_b32_e32 v1, exec_hi, v1
	v_cmp_gt_i64_e32 vcc, 0, v[48:49]
	v_ashrrev_i32_e32 v3, 31, v3
	v_and_b32_e32 v1, v1, v14
	v_xor_b32_e32 v14, vcc_hi, v3
	v_xor_b32_e32 v3, vcc_lo, v3
	v_lshlrev_b32_e32 v49, 28, v0
	v_and_b32_e32 v2, v2, v3
	v_not_b32_e32 v3, v49
	v_cmp_gt_i64_e32 vcc, 0, v[48:49]
	v_ashrrev_i32_e32 v3, 31, v3
	v_and_b32_e32 v1, v1, v14
	v_xor_b32_e32 v14, vcc_hi, v3
	v_xor_b32_e32 v3, vcc_lo, v3
	v_lshlrev_b32_e32 v49, 27, v0
	v_and_b32_e32 v2, v2, v3
	v_not_b32_e32 v3, v49
	;; [unrolled: 8-line block ×3, first 2 shown]
	v_cmp_gt_i64_e32 vcc, 0, v[48:49]
	v_ashrrev_i32_e32 v3, 31, v3
	v_and_b32_e32 v1, v1, v14
	v_xor_b32_e32 v14, vcc_hi, v3
	v_xor_b32_e32 v3, vcc_lo, v3
	v_lshlrev_b32_e32 v49, 25, v0
	v_and_b32_e32 v2, v2, v3
	v_cmp_gt_i64_e32 vcc, 0, v[48:49]
	v_not_b32_e32 v3, v49
	v_lshlrev_b32_e32 v49, 24, v0
	v_ashrrev_i32_e32 v3, 31, v3
	v_not_b32_e32 v0, v49
	v_and_b32_e32 v1, v1, v14
	v_xor_b32_e32 v14, vcc_hi, v3
	v_xor_b32_e32 v3, vcc_lo, v3
	v_cmp_gt_i64_e32 vcc, 0, v[48:49]
	v_ashrrev_i32_e32 v0, 31, v0
	v_and_b32_e32 v2, v2, v3
	v_xor_b32_e32 v3, vcc_hi, v0
	v_xor_b32_e32 v0, vcc_lo, v0
	v_and_b32_e32 v1, v1, v14
	v_and_b32_e32 v0, v2, v0
	v_and_b32_e32 v1, v1, v3
	v_mbcnt_lo_u32_b32 v2, v0, 0
	v_mbcnt_hi_u32_b32 v14, v1, v2
	v_cmp_eq_u32_e32 vcc, 0, v14
	v_cmp_ne_u64_e64 s[4:5], 0, v[0:1]
	s_and_b64 s[58:59], s[4:5], vcc
	; wave barrier
	s_and_saveexec_b64 s[4:5], s[58:59]
	s_cbranch_execz .LBB191_78
; %bb.77:                               ;   in Loop: Header=BB191_70 Depth=1
	v_bcnt_u32_b32 v0, v0, 0
	v_bcnt_u32_b32 v0, v1, v0
	s_waitcnt lgkmcnt(0)
	v_add_u32_e32 v0, v12, v0
	ds_write_b32 v13, v0
.LBB191_78:                             ;   in Loop: Header=BB191_70 Depth=1
	s_or_b64 exec, exec, s[4:5]
	v_cmp_ne_u64_e32 vcc, s[52:53], v[56:57]
	v_cndmask_b32_e32 v1, v72, v57, vcc
	v_cndmask_b32_e32 v0, -1, v56, vcc
	v_lshrrev_b64 v[0:1], s48, v[0:1]
	v_and_b32_e32 v0, s57, v0
	v_lshlrev_b32_e32 v1, 2, v0
	v_add_lshl_u32 v1, v1, v74, 2
	; wave barrier
	v_add_u32_e32 v16, 16, v1
	ds_read_b32 v15, v1 offset:16
	v_and_b32_e32 v1, 1, v0
	v_add_co_u32_e32 v2, vcc, -1, v1
	v_addc_co_u32_e64 v3, s[4:5], 0, -1, vcc
	v_cmp_ne_u32_e32 vcc, 0, v1
	v_lshlrev_b32_e32 v49, 30, v0
	v_xor_b32_e32 v1, vcc_hi, v3
	v_not_b32_e32 v3, v49
	v_xor_b32_e32 v2, vcc_lo, v2
	v_cmp_gt_i64_e32 vcc, 0, v[48:49]
	v_ashrrev_i32_e32 v3, 31, v3
	v_and_b32_e32 v2, exec_lo, v2
	v_xor_b32_e32 v17, vcc_hi, v3
	v_xor_b32_e32 v3, vcc_lo, v3
	v_lshlrev_b32_e32 v49, 29, v0
	v_and_b32_e32 v2, v2, v3
	v_not_b32_e32 v3, v49
	v_and_b32_e32 v1, exec_hi, v1
	v_cmp_gt_i64_e32 vcc, 0, v[48:49]
	v_ashrrev_i32_e32 v3, 31, v3
	v_and_b32_e32 v1, v1, v17
	v_xor_b32_e32 v17, vcc_hi, v3
	v_xor_b32_e32 v3, vcc_lo, v3
	v_lshlrev_b32_e32 v49, 28, v0
	v_and_b32_e32 v2, v2, v3
	v_not_b32_e32 v3, v49
	v_cmp_gt_i64_e32 vcc, 0, v[48:49]
	v_ashrrev_i32_e32 v3, 31, v3
	v_and_b32_e32 v1, v1, v17
	v_xor_b32_e32 v17, vcc_hi, v3
	v_xor_b32_e32 v3, vcc_lo, v3
	v_lshlrev_b32_e32 v49, 27, v0
	v_and_b32_e32 v2, v2, v3
	v_not_b32_e32 v3, v49
	;; [unrolled: 8-line block ×3, first 2 shown]
	v_cmp_gt_i64_e32 vcc, 0, v[48:49]
	v_ashrrev_i32_e32 v3, 31, v3
	v_and_b32_e32 v1, v1, v17
	v_xor_b32_e32 v17, vcc_hi, v3
	v_xor_b32_e32 v3, vcc_lo, v3
	v_lshlrev_b32_e32 v49, 25, v0
	v_and_b32_e32 v2, v2, v3
	v_cmp_gt_i64_e32 vcc, 0, v[48:49]
	v_not_b32_e32 v3, v49
	v_lshlrev_b32_e32 v49, 24, v0
	v_ashrrev_i32_e32 v3, 31, v3
	v_not_b32_e32 v0, v49
	v_and_b32_e32 v1, v1, v17
	v_xor_b32_e32 v17, vcc_hi, v3
	v_xor_b32_e32 v3, vcc_lo, v3
	v_cmp_gt_i64_e32 vcc, 0, v[48:49]
	v_ashrrev_i32_e32 v0, 31, v0
	v_and_b32_e32 v2, v2, v3
	v_xor_b32_e32 v3, vcc_hi, v0
	v_xor_b32_e32 v0, vcc_lo, v0
	v_and_b32_e32 v1, v1, v17
	v_and_b32_e32 v0, v2, v0
	;; [unrolled: 1-line block ×3, first 2 shown]
	v_mbcnt_lo_u32_b32 v2, v0, 0
	v_mbcnt_hi_u32_b32 v17, v1, v2
	v_cmp_eq_u32_e32 vcc, 0, v17
	v_cmp_ne_u64_e64 s[4:5], 0, v[0:1]
	s_and_b64 s[58:59], s[4:5], vcc
	; wave barrier
	s_and_saveexec_b64 s[4:5], s[58:59]
	s_cbranch_execz .LBB191_80
; %bb.79:                               ;   in Loop: Header=BB191_70 Depth=1
	v_bcnt_u32_b32 v0, v0, 0
	v_bcnt_u32_b32 v0, v1, v0
	s_waitcnt lgkmcnt(0)
	v_add_u32_e32 v0, v15, v0
	ds_write_b32 v16, v0
.LBB191_80:                             ;   in Loop: Header=BB191_70 Depth=1
	s_or_b64 exec, exec, s[4:5]
	v_cmp_ne_u64_e32 vcc, s[52:53], v[54:55]
	v_cndmask_b32_e32 v1, v72, v55, vcc
	v_cndmask_b32_e32 v0, -1, v54, vcc
	v_lshrrev_b64 v[0:1], s48, v[0:1]
	v_and_b32_e32 v0, s57, v0
	v_lshlrev_b32_e32 v1, 2, v0
	v_add_lshl_u32 v1, v1, v74, 2
	; wave barrier
	v_add_u32_e32 v19, 16, v1
	ds_read_b32 v18, v1 offset:16
	v_and_b32_e32 v1, 1, v0
	v_add_co_u32_e32 v2, vcc, -1, v1
	v_addc_co_u32_e64 v3, s[4:5], 0, -1, vcc
	v_cmp_ne_u32_e32 vcc, 0, v1
	v_lshlrev_b32_e32 v49, 30, v0
	v_xor_b32_e32 v1, vcc_hi, v3
	v_not_b32_e32 v3, v49
	v_xor_b32_e32 v2, vcc_lo, v2
	v_cmp_gt_i64_e32 vcc, 0, v[48:49]
	v_ashrrev_i32_e32 v3, 31, v3
	v_and_b32_e32 v2, exec_lo, v2
	v_xor_b32_e32 v20, vcc_hi, v3
	v_xor_b32_e32 v3, vcc_lo, v3
	v_lshlrev_b32_e32 v49, 29, v0
	v_and_b32_e32 v2, v2, v3
	v_not_b32_e32 v3, v49
	v_and_b32_e32 v1, exec_hi, v1
	v_cmp_gt_i64_e32 vcc, 0, v[48:49]
	v_ashrrev_i32_e32 v3, 31, v3
	v_and_b32_e32 v1, v1, v20
	v_xor_b32_e32 v20, vcc_hi, v3
	v_xor_b32_e32 v3, vcc_lo, v3
	v_lshlrev_b32_e32 v49, 28, v0
	v_and_b32_e32 v2, v2, v3
	v_not_b32_e32 v3, v49
	v_cmp_gt_i64_e32 vcc, 0, v[48:49]
	v_ashrrev_i32_e32 v3, 31, v3
	v_and_b32_e32 v1, v1, v20
	v_xor_b32_e32 v20, vcc_hi, v3
	v_xor_b32_e32 v3, vcc_lo, v3
	v_lshlrev_b32_e32 v49, 27, v0
	v_and_b32_e32 v2, v2, v3
	v_not_b32_e32 v3, v49
	;; [unrolled: 8-line block ×3, first 2 shown]
	v_cmp_gt_i64_e32 vcc, 0, v[48:49]
	v_ashrrev_i32_e32 v3, 31, v3
	v_and_b32_e32 v1, v1, v20
	v_xor_b32_e32 v20, vcc_hi, v3
	v_xor_b32_e32 v3, vcc_lo, v3
	v_lshlrev_b32_e32 v49, 25, v0
	v_and_b32_e32 v2, v2, v3
	v_cmp_gt_i64_e32 vcc, 0, v[48:49]
	v_not_b32_e32 v3, v49
	v_lshlrev_b32_e32 v49, 24, v0
	v_ashrrev_i32_e32 v3, 31, v3
	v_not_b32_e32 v0, v49
	v_and_b32_e32 v1, v1, v20
	v_xor_b32_e32 v20, vcc_hi, v3
	v_xor_b32_e32 v3, vcc_lo, v3
	v_cmp_gt_i64_e32 vcc, 0, v[48:49]
	v_ashrrev_i32_e32 v0, 31, v0
	v_and_b32_e32 v2, v2, v3
	v_xor_b32_e32 v3, vcc_hi, v0
	v_xor_b32_e32 v0, vcc_lo, v0
	v_and_b32_e32 v1, v1, v20
	v_and_b32_e32 v0, v2, v0
	;; [unrolled: 1-line block ×3, first 2 shown]
	v_mbcnt_lo_u32_b32 v2, v0, 0
	v_mbcnt_hi_u32_b32 v20, v1, v2
	v_cmp_eq_u32_e32 vcc, 0, v20
	v_cmp_ne_u64_e64 s[4:5], 0, v[0:1]
	s_and_b64 s[58:59], s[4:5], vcc
	; wave barrier
	s_and_saveexec_b64 s[4:5], s[58:59]
	s_cbranch_execz .LBB191_82
; %bb.81:                               ;   in Loop: Header=BB191_70 Depth=1
	v_bcnt_u32_b32 v0, v0, 0
	v_bcnt_u32_b32 v0, v1, v0
	s_waitcnt lgkmcnt(0)
	v_add_u32_e32 v0, v18, v0
	ds_write_b32 v19, v0
.LBB191_82:                             ;   in Loop: Header=BB191_70 Depth=1
	s_or_b64 exec, exec, s[4:5]
	v_cmp_ne_u64_e32 vcc, s[52:53], v[52:53]
	v_cndmask_b32_e32 v1, v72, v53, vcc
	v_cndmask_b32_e32 v0, -1, v52, vcc
	v_lshrrev_b64 v[0:1], s48, v[0:1]
	v_and_b32_e32 v0, s57, v0
	v_lshlrev_b32_e32 v1, 2, v0
	v_add_lshl_u32 v1, v1, v74, 2
	; wave barrier
	v_add_u32_e32 v22, 16, v1
	ds_read_b32 v21, v1 offset:16
	v_and_b32_e32 v1, 1, v0
	v_add_co_u32_e32 v2, vcc, -1, v1
	v_addc_co_u32_e64 v3, s[4:5], 0, -1, vcc
	v_cmp_ne_u32_e32 vcc, 0, v1
	v_lshlrev_b32_e32 v49, 30, v0
	v_xor_b32_e32 v1, vcc_hi, v3
	v_not_b32_e32 v3, v49
	v_xor_b32_e32 v2, vcc_lo, v2
	v_cmp_gt_i64_e32 vcc, 0, v[48:49]
	v_ashrrev_i32_e32 v3, 31, v3
	v_and_b32_e32 v2, exec_lo, v2
	v_xor_b32_e32 v23, vcc_hi, v3
	v_xor_b32_e32 v3, vcc_lo, v3
	v_lshlrev_b32_e32 v49, 29, v0
	v_and_b32_e32 v2, v2, v3
	v_not_b32_e32 v3, v49
	v_and_b32_e32 v1, exec_hi, v1
	v_cmp_gt_i64_e32 vcc, 0, v[48:49]
	v_ashrrev_i32_e32 v3, 31, v3
	v_and_b32_e32 v1, v1, v23
	v_xor_b32_e32 v23, vcc_hi, v3
	v_xor_b32_e32 v3, vcc_lo, v3
	v_lshlrev_b32_e32 v49, 28, v0
	v_and_b32_e32 v2, v2, v3
	v_not_b32_e32 v3, v49
	v_cmp_gt_i64_e32 vcc, 0, v[48:49]
	v_ashrrev_i32_e32 v3, 31, v3
	v_and_b32_e32 v1, v1, v23
	v_xor_b32_e32 v23, vcc_hi, v3
	v_xor_b32_e32 v3, vcc_lo, v3
	v_lshlrev_b32_e32 v49, 27, v0
	v_and_b32_e32 v2, v2, v3
	v_not_b32_e32 v3, v49
	;; [unrolled: 8-line block ×3, first 2 shown]
	v_cmp_gt_i64_e32 vcc, 0, v[48:49]
	v_ashrrev_i32_e32 v3, 31, v3
	v_and_b32_e32 v1, v1, v23
	v_xor_b32_e32 v23, vcc_hi, v3
	v_xor_b32_e32 v3, vcc_lo, v3
	v_lshlrev_b32_e32 v49, 25, v0
	v_and_b32_e32 v2, v2, v3
	v_cmp_gt_i64_e32 vcc, 0, v[48:49]
	v_not_b32_e32 v3, v49
	v_lshlrev_b32_e32 v49, 24, v0
	v_ashrrev_i32_e32 v3, 31, v3
	v_not_b32_e32 v0, v49
	v_and_b32_e32 v1, v1, v23
	v_xor_b32_e32 v23, vcc_hi, v3
	v_xor_b32_e32 v3, vcc_lo, v3
	v_cmp_gt_i64_e32 vcc, 0, v[48:49]
	v_ashrrev_i32_e32 v0, 31, v0
	v_and_b32_e32 v2, v2, v3
	v_xor_b32_e32 v3, vcc_hi, v0
	v_xor_b32_e32 v0, vcc_lo, v0
	v_and_b32_e32 v1, v1, v23
	v_and_b32_e32 v0, v2, v0
	;; [unrolled: 1-line block ×3, first 2 shown]
	v_mbcnt_lo_u32_b32 v2, v0, 0
	v_mbcnt_hi_u32_b32 v23, v1, v2
	v_cmp_eq_u32_e32 vcc, 0, v23
	v_cmp_ne_u64_e64 s[4:5], 0, v[0:1]
	s_and_b64 s[58:59], s[4:5], vcc
	; wave barrier
	s_and_saveexec_b64 s[4:5], s[58:59]
	s_cbranch_execz .LBB191_84
; %bb.83:                               ;   in Loop: Header=BB191_70 Depth=1
	v_bcnt_u32_b32 v0, v0, 0
	v_bcnt_u32_b32 v0, v1, v0
	s_waitcnt lgkmcnt(0)
	v_add_u32_e32 v0, v21, v0
	ds_write_b32 v22, v0
.LBB191_84:                             ;   in Loop: Header=BB191_70 Depth=1
	s_or_b64 exec, exec, s[4:5]
	v_cmp_ne_u64_e32 vcc, s[52:53], v[50:51]
	v_cndmask_b32_e32 v1, v72, v51, vcc
	v_cndmask_b32_e32 v0, -1, v50, vcc
	v_lshrrev_b64 v[0:1], s48, v[0:1]
	v_and_b32_e32 v0, s57, v0
	v_lshlrev_b32_e32 v1, 2, v0
	v_add_lshl_u32 v1, v1, v74, 2
	; wave barrier
	v_add_u32_e32 v25, 16, v1
	ds_read_b32 v24, v1 offset:16
	v_and_b32_e32 v1, 1, v0
	v_add_co_u32_e32 v2, vcc, -1, v1
	v_addc_co_u32_e64 v3, s[4:5], 0, -1, vcc
	v_cmp_ne_u32_e32 vcc, 0, v1
	v_lshlrev_b32_e32 v49, 30, v0
	v_xor_b32_e32 v1, vcc_hi, v3
	v_not_b32_e32 v3, v49
	v_xor_b32_e32 v2, vcc_lo, v2
	v_cmp_gt_i64_e32 vcc, 0, v[48:49]
	v_ashrrev_i32_e32 v3, 31, v3
	v_and_b32_e32 v2, exec_lo, v2
	v_xor_b32_e32 v26, vcc_hi, v3
	v_xor_b32_e32 v3, vcc_lo, v3
	v_lshlrev_b32_e32 v49, 29, v0
	v_and_b32_e32 v2, v2, v3
	v_not_b32_e32 v3, v49
	v_and_b32_e32 v1, exec_hi, v1
	v_cmp_gt_i64_e32 vcc, 0, v[48:49]
	v_ashrrev_i32_e32 v3, 31, v3
	v_and_b32_e32 v1, v1, v26
	v_xor_b32_e32 v26, vcc_hi, v3
	v_xor_b32_e32 v3, vcc_lo, v3
	v_lshlrev_b32_e32 v49, 28, v0
	v_and_b32_e32 v2, v2, v3
	v_not_b32_e32 v3, v49
	v_cmp_gt_i64_e32 vcc, 0, v[48:49]
	v_ashrrev_i32_e32 v3, 31, v3
	v_and_b32_e32 v1, v1, v26
	v_xor_b32_e32 v26, vcc_hi, v3
	v_xor_b32_e32 v3, vcc_lo, v3
	v_lshlrev_b32_e32 v49, 27, v0
	v_and_b32_e32 v2, v2, v3
	v_not_b32_e32 v3, v49
	;; [unrolled: 8-line block ×3, first 2 shown]
	v_cmp_gt_i64_e32 vcc, 0, v[48:49]
	v_ashrrev_i32_e32 v3, 31, v3
	v_and_b32_e32 v1, v1, v26
	v_xor_b32_e32 v26, vcc_hi, v3
	v_xor_b32_e32 v3, vcc_lo, v3
	v_lshlrev_b32_e32 v49, 25, v0
	v_and_b32_e32 v2, v2, v3
	v_cmp_gt_i64_e32 vcc, 0, v[48:49]
	v_not_b32_e32 v3, v49
	v_lshlrev_b32_e32 v49, 24, v0
	v_ashrrev_i32_e32 v3, 31, v3
	v_not_b32_e32 v0, v49
	v_and_b32_e32 v1, v1, v26
	v_xor_b32_e32 v26, vcc_hi, v3
	v_xor_b32_e32 v3, vcc_lo, v3
	v_cmp_gt_i64_e32 vcc, 0, v[48:49]
	v_ashrrev_i32_e32 v0, 31, v0
	v_and_b32_e32 v2, v2, v3
	v_xor_b32_e32 v3, vcc_hi, v0
	v_xor_b32_e32 v0, vcc_lo, v0
	v_and_b32_e32 v1, v1, v26
	v_and_b32_e32 v0, v2, v0
	;; [unrolled: 1-line block ×3, first 2 shown]
	v_mbcnt_lo_u32_b32 v2, v0, 0
	v_mbcnt_hi_u32_b32 v26, v1, v2
	v_cmp_eq_u32_e32 vcc, 0, v26
	v_cmp_ne_u64_e64 s[4:5], 0, v[0:1]
	s_and_b64 s[58:59], s[4:5], vcc
	; wave barrier
	s_and_saveexec_b64 s[4:5], s[58:59]
	s_cbranch_execz .LBB191_86
; %bb.85:                               ;   in Loop: Header=BB191_70 Depth=1
	v_bcnt_u32_b32 v0, v0, 0
	v_bcnt_u32_b32 v0, v1, v0
	s_waitcnt lgkmcnt(0)
	v_add_u32_e32 v0, v24, v0
	ds_write_b32 v25, v0
.LBB191_86:                             ;   in Loop: Header=BB191_70 Depth=1
	s_or_b64 exec, exec, s[4:5]
	; wave barrier
	s_waitcnt lgkmcnt(0)
	s_barrier
	ds_read2_b32 v[2:3], v112 offset0:4 offset1:5
	ds_read2_b32 v[0:1], v73 offset0:2 offset1:3
	s_waitcnt lgkmcnt(1)
	v_add_u32_e32 v27, v3, v2
	s_waitcnt lgkmcnt(0)
	v_add3_u32 v1, v27, v0, v1
	s_nop 1
	v_mov_b32_dpp v27, v1 row_shr:1 row_mask:0xf bank_mask:0xf
	v_cndmask_b32_e64 v27, v27, 0, s[16:17]
	v_add_u32_e32 v1, v27, v1
	s_nop 1
	v_mov_b32_dpp v27, v1 row_shr:2 row_mask:0xf bank_mask:0xf
	v_cndmask_b32_e64 v27, 0, v27, s[18:19]
	v_add_u32_e32 v1, v1, v27
	;; [unrolled: 4-line block ×4, first 2 shown]
	s_nop 1
	v_mov_b32_dpp v27, v1 row_bcast:15 row_mask:0xf bank_mask:0xf
	v_cndmask_b32_e64 v27, v27, 0, s[24:25]
	v_add_u32_e32 v1, v1, v27
	s_nop 1
	v_mov_b32_dpp v27, v1 row_bcast:31 row_mask:0xf bank_mask:0xf
	v_cndmask_b32_e64 v27, 0, v27, s[26:27]
	v_add_u32_e32 v1, v1, v27
	s_and_saveexec_b64 s[4:5], s[28:29]
	s_cbranch_execz .LBB191_88
; %bb.87:                               ;   in Loop: Header=BB191_70 Depth=1
	ds_write_b32 v70, v1
.LBB191_88:                             ;   in Loop: Header=BB191_70 Depth=1
	s_or_b64 exec, exec, s[4:5]
	s_waitcnt lgkmcnt(0)
	s_barrier
	s_and_saveexec_b64 s[4:5], s[30:31]
	s_cbranch_execz .LBB191_90
; %bb.89:                               ;   in Loop: Header=BB191_70 Depth=1
	ds_read_b32 v27, v69
	s_waitcnt lgkmcnt(0)
	s_nop 0
	v_mov_b32_dpp v28, v27 row_shr:1 row_mask:0xf bank_mask:0xf
	v_cndmask_b32_e64 v28, v28, 0, s[40:41]
	v_add_u32_e32 v27, v28, v27
	s_nop 1
	v_mov_b32_dpp v28, v27 row_shr:2 row_mask:0xf bank_mask:0xf
	v_cndmask_b32_e64 v28, 0, v28, s[42:43]
	v_add_u32_e32 v27, v27, v28
	ds_write_b32 v69, v27
.LBB191_90:                             ;   in Loop: Header=BB191_70 Depth=1
	s_or_b64 exec, exec, s[4:5]
	v_mov_b32_e32 v27, 0
	s_waitcnt lgkmcnt(0)
	s_barrier
	s_and_saveexec_b64 s[4:5], s[34:35]
	s_cbranch_execz .LBB191_92
; %bb.91:                               ;   in Loop: Header=BB191_70 Depth=1
	ds_read_b32 v27, v76
.LBB191_92:                             ;   in Loop: Header=BB191_70 Depth=1
	s_or_b64 exec, exec, s[4:5]
	s_waitcnt lgkmcnt(0)
	v_add_u32_e32 v1, v27, v1
	ds_bpermute_b32 v1, v75, v1
	s_cmp_gt_u32 s48, 55
	s_waitcnt lgkmcnt(0)
	v_cndmask_b32_e64 v1, v1, v27, s[36:37]
	v_cndmask_b32_e64 v1, v1, 0, s[38:39]
	v_add_u32_e32 v2, v1, v2
	v_add_u32_e32 v3, v2, v3
	;; [unrolled: 1-line block ×3, first 2 shown]
	ds_write2_b32 v112, v1, v2 offset0:4 offset1:5
	ds_write2_b32 v73, v3, v0 offset0:2 offset1:3
	s_waitcnt lgkmcnt(0)
	s_barrier
	ds_read_b32 v0, v4
	ds_read_b32 v1, v7
	;; [unrolled: 1-line block ×8, first 2 shown]
	s_waitcnt lgkmcnt(7)
	v_add_u32_e32 v84, v0, v5
	s_waitcnt lgkmcnt(6)
	v_add3_u32 v83, v8, v6, v1
	s_waitcnt lgkmcnt(5)
	v_add3_u32 v82, v11, v9, v2
	;; [unrolled: 2-line block ×7, first 2 shown]
	s_cbranch_scc0 .LBB191_69
; %bb.93:
                                        ; implicit-def: $vgpr14_vgpr15
                                        ; implicit-def: $vgpr10_vgpr11
                                        ; implicit-def: $vgpr6_vgpr7
                                        ; implicit-def: $vgpr2_vgpr3
                                        ; implicit-def: $vgpr30_vgpr31
                                        ; implicit-def: $vgpr26_vgpr27
                                        ; implicit-def: $vgpr22_vgpr23
                                        ; implicit-def: $vgpr18_vgpr19
                                        ; implicit-def: $sgpr48_sgpr49
                                        ; implicit-def: $sgpr55
.LBB191_94:
	v_lshlrev_b32_e32 v16, 3, v84
	v_lshlrev_b32_e32 v17, 3, v83
	;; [unrolled: 1-line block ×9, first 2 shown]
	s_barrier
	ds_write_b64 v16, v[64:65]
	ds_write_b64 v17, v[62:63]
	;; [unrolled: 1-line block ×8, first 2 shown]
	s_waitcnt lgkmcnt(0)
	s_barrier
	ds_read2_b64 v[0:3], v24 offset1:1
	ds_read2_b64 v[4:7], v24 offset0:2 offset1:3
	ds_read2_b64 v[8:11], v24 offset0:4 offset1:5
	;; [unrolled: 1-line block ×3, first 2 shown]
	s_waitcnt lgkmcnt(0)
	s_barrier
	ds_write_b64 v16, v[46:47]
	ds_write_b64 v17, v[44:45]
	;; [unrolled: 1-line block ×8, first 2 shown]
	v_ashrrev_i32_e32 v18, 31, v1
	v_not_b32_e32 v18, v18
	v_cmp_gt_i64_e32 vcc, 0, v[0:1]
	v_xor_b32_e32 v0, v18, v0
	v_ashrrev_i32_e32 v18, 31, v3
	v_bfrev_b32_e32 v16, -2
	v_not_b32_e32 v18, v18
	v_cndmask_b32_e64 v17, v16, 0, vcc
	v_cmp_gt_i64_e32 vcc, 0, v[2:3]
	v_xor_b32_e32 v2, v18, v2
	v_ashrrev_i32_e32 v18, 31, v5
	v_not_b32_e32 v18, v18
	v_xor_b32_e32 v1, v17, v1
	v_cndmask_b32_e64 v17, v16, 0, vcc
	v_cmp_gt_i64_e32 vcc, 0, v[4:5]
	v_xor_b32_e32 v4, v18, v4
	v_ashrrev_i32_e32 v18, 31, v7
	s_waitcnt lgkmcnt(0)
	s_barrier
	ds_read2_b64 v[50:53], v24 offset1:1
	ds_read2_b64 v[54:57], v24 offset0:2 offset1:3
	ds_read2_b64 v[58:61], v24 offset0:4 offset1:5
	;; [unrolled: 1-line block ×3, first 2 shown]
	v_xor_b32_e32 v3, v17, v3
	v_cndmask_b32_e64 v17, v16, 0, vcc
	v_cmp_gt_i64_e32 vcc, 0, v[6:7]
	v_not_b32_e32 v18, v18
	v_xor_b32_e32 v5, v17, v5
	v_cndmask_b32_e64 v17, v16, 0, vcc
	v_xor_b32_e32 v6, v18, v6
	v_cmp_gt_i64_e32 vcc, 0, v[8:9]
	v_ashrrev_i32_e32 v18, 31, v9
	v_xor_b32_e32 v7, v17, v7
	v_cndmask_b32_e64 v17, v16, 0, vcc
	v_not_b32_e32 v18, v18
	v_cmp_gt_i64_e32 vcc, 0, v[10:11]
	v_xor_b32_e32 v9, v17, v9
	v_xor_b32_e32 v8, v18, v8
	v_cndmask_b32_e64 v17, v16, 0, vcc
	v_ashrrev_i32_e32 v18, 31, v11
	v_cmp_gt_i64_e32 vcc, 0, v[12:13]
	v_not_b32_e32 v18, v18
	v_xor_b32_e32 v11, v17, v11
	v_cndmask_b32_e64 v17, v16, 0, vcc
	v_xor_b32_e32 v10, v18, v10
	v_ashrrev_i32_e32 v18, 31, v13
	v_xor_b32_e32 v13, v17, v13
	v_cmp_gt_i64_e32 vcc, 0, v[14:15]
	v_ashrrev_i32_e32 v17, 31, v15
	v_not_b32_e32 v18, v18
	v_cndmask_b32_e64 v16, v16, 0, vcc
	v_not_b32_e32 v17, v17
	v_xor_b32_e32 v12, v18, v12
	v_xor_b32_e32 v15, v16, v15
	;; [unrolled: 1-line block ×3, first 2 shown]
.LBB191_95:
	s_waitcnt lgkmcnt(0)
	s_barrier
	ds_write2_b64 v111, v[0:1], v[2:3] offset1:1
	ds_write2_b64 v111, v[4:5], v[6:7] offset0:2 offset1:3
	ds_write2_b64 v111, v[8:9], v[10:11] offset0:4 offset1:5
	;; [unrolled: 1-line block ×3, first 2 shown]
	s_waitcnt lgkmcnt(0)
	s_barrier
	ds_read_b64 v[14:15], v104 offset:2048
	ds_read_b64 v[12:13], v105 offset:4096
	;; [unrolled: 1-line block ×7, first 2 shown]
	v_mov_b32_e32 v67, 0
	v_lshlrev_b64 v[2:3], 3, v[66:67]
	v_mov_b32_e32 v16, s47
	v_add_co_u32_e32 v2, vcc, s33, v2
	v_addc_co_u32_e32 v3, vcc, v16, v3, vcc
	s_and_saveexec_b64 s[4:5], s[0:1]
	s_cbranch_execnz .LBB191_114
; %bb.96:
	s_or_b64 exec, exec, s[4:5]
	s_and_saveexec_b64 s[4:5], s[2:3]
	s_cbranch_execnz .LBB191_115
.LBB191_97:
	s_or_b64 exec, exec, s[4:5]
	s_and_saveexec_b64 s[4:5], s[44:45]
	s_cbranch_execnz .LBB191_116
.LBB191_98:
	s_or_b64 exec, exec, s[4:5]
	s_and_saveexec_b64 s[4:5], s[6:7]
	s_cbranch_execnz .LBB191_117
.LBB191_99:
	s_or_b64 exec, exec, s[4:5]
	s_and_saveexec_b64 s[4:5], s[8:9]
	s_cbranch_execnz .LBB191_118
.LBB191_100:
	s_or_b64 exec, exec, s[4:5]
	s_and_saveexec_b64 s[4:5], s[10:11]
	s_cbranch_execnz .LBB191_119
.LBB191_101:
	s_or_b64 exec, exec, s[4:5]
	s_and_saveexec_b64 s[4:5], s[12:13]
	s_cbranch_execnz .LBB191_120
.LBB191_102:
	s_or_b64 exec, exec, s[4:5]
	s_and_saveexec_b64 s[4:5], s[14:15]
	s_cbranch_execz .LBB191_104
.LBB191_103:
	s_mul_i32 s16, s50, 0x700
	s_mov_b32 s17, 0
	s_lshl_b64 s[16:17], s[16:17], 3
	s_waitcnt lgkmcnt(1)
	v_mov_b32_e32 v4, s17
	v_add_co_u32_e32 v2, vcc, s16, v2
	v_addc_co_u32_e32 v3, vcc, v3, v4, vcc
	s_waitcnt lgkmcnt(0)
	global_store_dwordx2 v[2:3], v[0:1], off
.LBB191_104:
	s_or_b64 exec, exec, s[4:5]
	s_waitcnt lgkmcnt(0)
	s_barrier
	ds_write2_b64 v111, v[50:51], v[52:53] offset1:1
	ds_write2_b64 v111, v[54:55], v[56:57] offset0:2 offset1:3
	ds_write2_b64 v111, v[58:59], v[60:61] offset0:4 offset1:5
	ds_write2_b64 v111, v[62:63], v[64:65] offset0:6 offset1:7
	s_waitcnt lgkmcnt(0)
	s_barrier
	ds_read_b64 v[14:15], v104 offset:2048
	ds_read_b64 v[12:13], v105 offset:4096
	;; [unrolled: 1-line block ×7, first 2 shown]
	v_mov_b32_e32 v69, 0
	v_lshlrev_b64 v[2:3], 3, v[68:69]
	v_mov_b32_e32 v16, s56
	v_add_co_u32_e32 v2, vcc, s51, v2
	v_addc_co_u32_e32 v3, vcc, v16, v3, vcc
	s_and_saveexec_b64 s[4:5], s[0:1]
	s_cbranch_execnz .LBB191_121
; %bb.105:
	s_or_b64 exec, exec, s[4:5]
	s_and_saveexec_b64 s[0:1], s[2:3]
	s_cbranch_execnz .LBB191_122
.LBB191_106:
	s_or_b64 exec, exec, s[0:1]
	s_and_saveexec_b64 s[0:1], s[44:45]
	s_cbranch_execnz .LBB191_123
.LBB191_107:
	s_or_b64 exec, exec, s[0:1]
	s_and_saveexec_b64 s[0:1], s[6:7]
	s_cbranch_execnz .LBB191_124
.LBB191_108:
	s_or_b64 exec, exec, s[0:1]
	s_and_saveexec_b64 s[0:1], s[8:9]
	s_cbranch_execnz .LBB191_125
.LBB191_109:
	s_or_b64 exec, exec, s[0:1]
	s_and_saveexec_b64 s[0:1], s[10:11]
	s_cbranch_execnz .LBB191_126
.LBB191_110:
	s_or_b64 exec, exec, s[0:1]
	s_and_saveexec_b64 s[0:1], s[12:13]
	s_cbranch_execnz .LBB191_127
.LBB191_111:
	s_or_b64 exec, exec, s[0:1]
	s_and_saveexec_b64 s[0:1], s[14:15]
	s_cbranch_execz .LBB191_113
.LBB191_112:
	s_mul_i32 s0, s46, 0x700
	s_mov_b32 s1, 0
	s_lshl_b64 s[0:1], s[0:1], 3
	s_waitcnt lgkmcnt(1)
	v_mov_b32_e32 v4, s1
	v_add_co_u32_e32 v2, vcc, s0, v2
	v_addc_co_u32_e32 v3, vcc, v3, v4, vcc
	s_waitcnt lgkmcnt(0)
	global_store_dwordx2 v[2:3], v[0:1], off
.LBB191_113:
	s_endpgm
.LBB191_114:
	ds_read_b64 v[16:17], v71
	s_waitcnt lgkmcnt(0)
	global_store_dwordx2 v[2:3], v[16:17], off
	s_or_b64 exec, exec, s[4:5]
	s_and_saveexec_b64 s[4:5], s[2:3]
	s_cbranch_execz .LBB191_97
.LBB191_115:
	s_lshl_b32 s16, s50, 8
	s_mov_b32 s17, 0
	s_lshl_b64 s[16:17], s[16:17], 3
	v_mov_b32_e32 v17, s17
	v_add_co_u32_e32 v16, vcc, s16, v2
	v_addc_co_u32_e32 v17, vcc, v3, v17, vcc
	s_waitcnt lgkmcnt(6)
	global_store_dwordx2 v[16:17], v[14:15], off
	s_or_b64 exec, exec, s[4:5]
	s_and_saveexec_b64 s[4:5], s[44:45]
	s_cbranch_execz .LBB191_98
.LBB191_116:
	s_lshl_b32 s16, s50, 9
	s_mov_b32 s17, 0
	s_lshl_b64 s[16:17], s[16:17], 3
	s_waitcnt lgkmcnt(6)
	v_mov_b32_e32 v15, s17
	v_add_co_u32_e32 v14, vcc, s16, v2
	v_addc_co_u32_e32 v15, vcc, v3, v15, vcc
	s_waitcnt lgkmcnt(5)
	global_store_dwordx2 v[14:15], v[12:13], off
	s_or_b64 exec, exec, s[4:5]
	s_and_saveexec_b64 s[4:5], s[6:7]
	s_cbranch_execz .LBB191_99
.LBB191_117:
	s_mul_i32 s16, s50, 0x300
	s_mov_b32 s17, 0
	s_lshl_b64 s[16:17], s[16:17], 3
	s_waitcnt lgkmcnt(5)
	v_mov_b32_e32 v13, s17
	v_add_co_u32_e32 v12, vcc, s16, v2
	v_addc_co_u32_e32 v13, vcc, v3, v13, vcc
	s_waitcnt lgkmcnt(4)
	global_store_dwordx2 v[12:13], v[10:11], off
	s_or_b64 exec, exec, s[4:5]
	s_and_saveexec_b64 s[4:5], s[8:9]
	s_cbranch_execz .LBB191_100
.LBB191_118:
	s_lshl_b32 s16, s50, 10
	s_mov_b32 s17, 0
	s_lshl_b64 s[16:17], s[16:17], 3
	s_waitcnt lgkmcnt(4)
	v_mov_b32_e32 v11, s17
	v_add_co_u32_e32 v10, vcc, s16, v2
	v_addc_co_u32_e32 v11, vcc, v3, v11, vcc
	s_waitcnt lgkmcnt(3)
	global_store_dwordx2 v[10:11], v[8:9], off
	s_or_b64 exec, exec, s[4:5]
	s_and_saveexec_b64 s[4:5], s[10:11]
	s_cbranch_execz .LBB191_101
.LBB191_119:
	s_mul_i32 s16, s50, 0x500
	s_mov_b32 s17, 0
	s_lshl_b64 s[16:17], s[16:17], 3
	s_waitcnt lgkmcnt(3)
	v_mov_b32_e32 v9, s17
	v_add_co_u32_e32 v8, vcc, s16, v2
	v_addc_co_u32_e32 v9, vcc, v3, v9, vcc
	s_waitcnt lgkmcnt(2)
	global_store_dwordx2 v[8:9], v[6:7], off
	s_or_b64 exec, exec, s[4:5]
	s_and_saveexec_b64 s[4:5], s[12:13]
	s_cbranch_execz .LBB191_102
.LBB191_120:
	s_mul_i32 s16, s50, 0x600
	s_mov_b32 s17, 0
	s_lshl_b64 s[16:17], s[16:17], 3
	s_waitcnt lgkmcnt(2)
	v_mov_b32_e32 v7, s17
	v_add_co_u32_e32 v6, vcc, s16, v2
	v_addc_co_u32_e32 v7, vcc, v3, v7, vcc
	s_waitcnt lgkmcnt(1)
	global_store_dwordx2 v[6:7], v[4:5], off
	s_or_b64 exec, exec, s[4:5]
	s_and_saveexec_b64 s[4:5], s[14:15]
	s_cbranch_execnz .LBB191_103
	s_branch .LBB191_104
.LBB191_121:
	ds_read_b64 v[16:17], v71
	s_waitcnt lgkmcnt(0)
	global_store_dwordx2 v[2:3], v[16:17], off
	s_or_b64 exec, exec, s[4:5]
	s_and_saveexec_b64 s[0:1], s[2:3]
	s_cbranch_execz .LBB191_106
.LBB191_122:
	s_lshl_b32 s2, s46, 8
	s_mov_b32 s3, 0
	s_lshl_b64 s[2:3], s[2:3], 3
	v_mov_b32_e32 v17, s3
	v_add_co_u32_e32 v16, vcc, s2, v2
	v_addc_co_u32_e32 v17, vcc, v3, v17, vcc
	s_waitcnt lgkmcnt(6)
	global_store_dwordx2 v[16:17], v[14:15], off
	s_or_b64 exec, exec, s[0:1]
	s_and_saveexec_b64 s[0:1], s[44:45]
	s_cbranch_execz .LBB191_107
.LBB191_123:
	s_lshl_b32 s2, s46, 9
	s_mov_b32 s3, 0
	s_lshl_b64 s[2:3], s[2:3], 3
	s_waitcnt lgkmcnt(6)
	v_mov_b32_e32 v15, s3
	v_add_co_u32_e32 v14, vcc, s2, v2
	v_addc_co_u32_e32 v15, vcc, v3, v15, vcc
	s_waitcnt lgkmcnt(5)
	global_store_dwordx2 v[14:15], v[12:13], off
	s_or_b64 exec, exec, s[0:1]
	s_and_saveexec_b64 s[0:1], s[6:7]
	s_cbranch_execz .LBB191_108
.LBB191_124:
	s_mul_i32 s2, s46, 0x300
	s_mov_b32 s3, 0
	s_lshl_b64 s[2:3], s[2:3], 3
	s_waitcnt lgkmcnt(5)
	v_mov_b32_e32 v13, s3
	v_add_co_u32_e32 v12, vcc, s2, v2
	v_addc_co_u32_e32 v13, vcc, v3, v13, vcc
	s_waitcnt lgkmcnt(4)
	global_store_dwordx2 v[12:13], v[10:11], off
	s_or_b64 exec, exec, s[0:1]
	s_and_saveexec_b64 s[0:1], s[8:9]
	s_cbranch_execz .LBB191_109
.LBB191_125:
	s_lshl_b32 s2, s46, 10
	s_mov_b32 s3, 0
	s_lshl_b64 s[2:3], s[2:3], 3
	s_waitcnt lgkmcnt(4)
	v_mov_b32_e32 v11, s3
	v_add_co_u32_e32 v10, vcc, s2, v2
	v_addc_co_u32_e32 v11, vcc, v3, v11, vcc
	s_waitcnt lgkmcnt(3)
	global_store_dwordx2 v[10:11], v[8:9], off
	s_or_b64 exec, exec, s[0:1]
	s_and_saveexec_b64 s[0:1], s[10:11]
	s_cbranch_execz .LBB191_110
.LBB191_126:
	s_mul_i32 s2, s46, 0x500
	s_mov_b32 s3, 0
	s_lshl_b64 s[2:3], s[2:3], 3
	s_waitcnt lgkmcnt(3)
	v_mov_b32_e32 v9, s3
	v_add_co_u32_e32 v8, vcc, s2, v2
	v_addc_co_u32_e32 v9, vcc, v3, v9, vcc
	s_waitcnt lgkmcnt(2)
	global_store_dwordx2 v[8:9], v[6:7], off
	s_or_b64 exec, exec, s[0:1]
	s_and_saveexec_b64 s[0:1], s[12:13]
	s_cbranch_execz .LBB191_111
.LBB191_127:
	s_mul_i32 s2, s46, 0x600
	s_mov_b32 s3, 0
	s_lshl_b64 s[2:3], s[2:3], 3
	s_waitcnt lgkmcnt(2)
	v_mov_b32_e32 v7, s3
	v_add_co_u32_e32 v6, vcc, s2, v2
	v_addc_co_u32_e32 v7, vcc, v3, v7, vcc
	s_waitcnt lgkmcnt(1)
	global_store_dwordx2 v[6:7], v[4:5], off
	s_or_b64 exec, exec, s[0:1]
	s_and_saveexec_b64 s[0:1], s[14:15]
	s_cbranch_execnz .LBB191_112
	s_branch .LBB191_113
	.section	.rodata,"a",@progbits
	.p2align	6, 0x0
	.amdhsa_kernel _ZN2at6native18radixSortKVInPlaceILin1ELin1ELi256ELi8EdljEEvNS_4cuda6detail10TensorInfoIT3_T5_EES6_S6_S6_NS4_IT4_S6_EES6_b
		.amdhsa_group_segment_fixed_size 16896
		.amdhsa_private_segment_fixed_size 0
		.amdhsa_kernarg_size 712
		.amdhsa_user_sgpr_count 6
		.amdhsa_user_sgpr_private_segment_buffer 1
		.amdhsa_user_sgpr_dispatch_ptr 0
		.amdhsa_user_sgpr_queue_ptr 0
		.amdhsa_user_sgpr_kernarg_segment_ptr 1
		.amdhsa_user_sgpr_dispatch_id 0
		.amdhsa_user_sgpr_flat_scratch_init 0
		.amdhsa_user_sgpr_kernarg_preload_length 0
		.amdhsa_user_sgpr_kernarg_preload_offset 0
		.amdhsa_user_sgpr_private_segment_size 0
		.amdhsa_uses_dynamic_stack 0
		.amdhsa_system_sgpr_private_segment_wavefront_offset 0
		.amdhsa_system_sgpr_workgroup_id_x 1
		.amdhsa_system_sgpr_workgroup_id_y 1
		.amdhsa_system_sgpr_workgroup_id_z 1
		.amdhsa_system_sgpr_workgroup_info 0
		.amdhsa_system_vgpr_workitem_id 2
		.amdhsa_next_free_vgpr 139
		.amdhsa_next_free_sgpr 62
		.amdhsa_accum_offset 140
		.amdhsa_reserve_vcc 1
		.amdhsa_reserve_flat_scratch 0
		.amdhsa_float_round_mode_32 0
		.amdhsa_float_round_mode_16_64 0
		.amdhsa_float_denorm_mode_32 3
		.amdhsa_float_denorm_mode_16_64 3
		.amdhsa_dx10_clamp 1
		.amdhsa_ieee_mode 1
		.amdhsa_fp16_overflow 0
		.amdhsa_tg_split 0
		.amdhsa_exception_fp_ieee_invalid_op 0
		.amdhsa_exception_fp_denorm_src 0
		.amdhsa_exception_fp_ieee_div_zero 0
		.amdhsa_exception_fp_ieee_overflow 0
		.amdhsa_exception_fp_ieee_underflow 0
		.amdhsa_exception_fp_ieee_inexact 0
		.amdhsa_exception_int_div_zero 0
	.end_amdhsa_kernel
	.section	.text._ZN2at6native18radixSortKVInPlaceILin1ELin1ELi256ELi8EdljEEvNS_4cuda6detail10TensorInfoIT3_T5_EES6_S6_S6_NS4_IT4_S6_EES6_b,"axG",@progbits,_ZN2at6native18radixSortKVInPlaceILin1ELin1ELi256ELi8EdljEEvNS_4cuda6detail10TensorInfoIT3_T5_EES6_S6_S6_NS4_IT4_S6_EES6_b,comdat
.Lfunc_end191:
	.size	_ZN2at6native18radixSortKVInPlaceILin1ELin1ELi256ELi8EdljEEvNS_4cuda6detail10TensorInfoIT3_T5_EES6_S6_S6_NS4_IT4_S6_EES6_b, .Lfunc_end191-_ZN2at6native18radixSortKVInPlaceILin1ELin1ELi256ELi8EdljEEvNS_4cuda6detail10TensorInfoIT3_T5_EES6_S6_S6_NS4_IT4_S6_EES6_b
                                        ; -- End function
	.section	.AMDGPU.csdata,"",@progbits
; Kernel info:
; codeLenInByte = 14008
; NumSgprs: 66
; NumVgprs: 139
; NumAgprs: 0
; TotalNumVgprs: 139
; ScratchSize: 0
; MemoryBound: 0
; FloatMode: 240
; IeeeMode: 1
; LDSByteSize: 16896 bytes/workgroup (compile time only)
; SGPRBlocks: 8
; VGPRBlocks: 17
; NumSGPRsForWavesPerEU: 66
; NumVGPRsForWavesPerEU: 139
; AccumOffset: 140
; Occupancy: 3
; WaveLimiterHint : 1
; COMPUTE_PGM_RSRC2:SCRATCH_EN: 0
; COMPUTE_PGM_RSRC2:USER_SGPR: 6
; COMPUTE_PGM_RSRC2:TRAP_HANDLER: 0
; COMPUTE_PGM_RSRC2:TGID_X_EN: 1
; COMPUTE_PGM_RSRC2:TGID_Y_EN: 1
; COMPUTE_PGM_RSRC2:TGID_Z_EN: 1
; COMPUTE_PGM_RSRC2:TIDIG_COMP_CNT: 2
; COMPUTE_PGM_RSRC3_GFX90A:ACCUM_OFFSET: 34
; COMPUTE_PGM_RSRC3_GFX90A:TG_SPLIT: 0
	.section	.text._ZN2at6native18radixSortKVInPlaceILin1ELin1ELi128ELi8EdljEEvNS_4cuda6detail10TensorInfoIT3_T5_EES6_S6_S6_NS4_IT4_S6_EES6_b,"axG",@progbits,_ZN2at6native18radixSortKVInPlaceILin1ELin1ELi128ELi8EdljEEvNS_4cuda6detail10TensorInfoIT3_T5_EES6_S6_S6_NS4_IT4_S6_EES6_b,comdat
	.protected	_ZN2at6native18radixSortKVInPlaceILin1ELin1ELi128ELi8EdljEEvNS_4cuda6detail10TensorInfoIT3_T5_EES6_S6_S6_NS4_IT4_S6_EES6_b ; -- Begin function _ZN2at6native18radixSortKVInPlaceILin1ELin1ELi128ELi8EdljEEvNS_4cuda6detail10TensorInfoIT3_T5_EES6_S6_S6_NS4_IT4_S6_EES6_b
	.globl	_ZN2at6native18radixSortKVInPlaceILin1ELin1ELi128ELi8EdljEEvNS_4cuda6detail10TensorInfoIT3_T5_EES6_S6_S6_NS4_IT4_S6_EES6_b
	.p2align	8
	.type	_ZN2at6native18radixSortKVInPlaceILin1ELin1ELi128ELi8EdljEEvNS_4cuda6detail10TensorInfoIT3_T5_EES6_S6_S6_NS4_IT4_S6_EES6_b,@function
_ZN2at6native18radixSortKVInPlaceILin1ELin1ELi128ELi8EdljEEvNS_4cuda6detail10TensorInfoIT3_T5_EES6_S6_S6_NS4_IT4_S6_EES6_b: ; @_ZN2at6native18radixSortKVInPlaceILin1ELin1ELi128ELi8EdljEEvNS_4cuda6detail10TensorInfoIT3_T5_EES6_S6_S6_NS4_IT4_S6_EES6_b
; %bb.0:
	s_load_dwordx2 s[0:1], s[4:5], 0x1c8
	s_load_dwordx4 s[44:47], s[4:5], 0xd8
	s_add_u32 s50, s4, 0x1c8
	s_addc_u32 s51, s5, 0
	s_waitcnt lgkmcnt(0)
	s_mul_i32 s1, s1, s8
	s_add_i32 s1, s1, s7
	s_mul_i32 s0, s1, s0
	s_add_i32 s26, s0, s6
	s_cmp_ge_u32 s26, s44
	s_cbranch_scc1 .LBB192_113
; %bb.1:
	s_load_dword s2, s[4:5], 0xd0
	s_mov_b32 s1, 0
	s_mov_b32 s0, s26
	s_waitcnt lgkmcnt(0)
	s_cmp_lt_i32 s2, 2
	s_cbranch_scc1 .LBB192_4
; %bb.2:
	s_add_i32 s0, s2, -1
	s_add_i32 s6, s2, 1
	s_lshl_b64 s[2:3], s[0:1], 2
	s_add_u32 s0, s2, s4
	s_addc_u32 s3, s3, s5
	s_add_u32 s2, s0, 8
	s_addc_u32 s3, s3, 0
	s_mov_b32 s0, s26
.LBB192_3:                              ; =>This Inner Loop Header: Depth=1
	s_load_dword s7, s[2:3], 0x0
	s_load_dword s9, s[2:3], 0x64
	s_mov_b32 s8, s0
	s_waitcnt lgkmcnt(0)
	v_cvt_f32_u32_e32 v1, s7
	s_sub_i32 s0, 0, s7
	v_rcp_iflag_f32_e32 v1, v1
	v_mul_f32_e32 v1, 0x4f7ffffe, v1
	v_cvt_u32_f32_e32 v1, v1
	v_readfirstlane_b32 s10, v1
	s_mul_i32 s0, s0, s10
	s_mul_hi_u32 s0, s10, s0
	s_add_i32 s10, s10, s0
	s_mul_hi_u32 s0, s8, s10
	s_mul_i32 s10, s0, s7
	s_sub_i32 s10, s8, s10
	s_add_i32 s11, s0, 1
	s_sub_i32 s12, s10, s7
	s_cmp_ge_u32 s10, s7
	s_cselect_b32 s0, s11, s0
	s_cselect_b32 s10, s12, s10
	s_add_i32 s11, s0, 1
	s_cmp_ge_u32 s10, s7
	s_cselect_b32 s0, s11, s0
	s_mul_i32 s7, s0, s7
	s_sub_i32 s7, s8, s7
	s_mul_i32 s7, s9, s7
	s_add_i32 s6, s6, -1
	s_add_i32 s1, s7, s1
	s_add_u32 s2, s2, -4
	s_addc_u32 s3, s3, -1
	s_cmp_gt_u32 s6, 2
	s_cbranch_scc1 .LBB192_3
.LBB192_4:
	s_load_dword s2, s[4:5], 0x1b8
	s_mov_b32 s25, 0
	s_waitcnt lgkmcnt(0)
	s_cmp_lt_i32 s2, 2
	s_cbranch_scc1 .LBB192_7
; %bb.5:
	s_add_i32 s24, s2, -1
	s_add_i32 s6, s2, 1
	s_lshl_b64 s[2:3], s[24:25], 2
	s_add_u32 s2, s2, s4
	s_addc_u32 s3, s3, s5
	s_add_u32 s2, s2, 0xf0
	s_addc_u32 s3, s3, 0
.LBB192_6:                              ; =>This Inner Loop Header: Depth=1
	s_load_dword s7, s[2:3], 0x0
	s_load_dword s9, s[2:3], 0x64
	s_mov_b32 s8, s26
	s_waitcnt lgkmcnt(0)
	v_cvt_f32_u32_e32 v1, s7
	s_sub_i32 s10, 0, s7
	v_rcp_iflag_f32_e32 v1, v1
	v_mul_f32_e32 v1, 0x4f7ffffe, v1
	v_cvt_u32_f32_e32 v1, v1
	v_readfirstlane_b32 s11, v1
	s_mul_i32 s10, s10, s11
	s_mul_hi_u32 s10, s11, s10
	s_add_i32 s11, s11, s10
	s_mul_hi_u32 s10, s26, s11
	s_mul_i32 s11, s10, s7
	s_sub_i32 s11, s26, s11
	s_add_i32 s12, s10, 1
	s_sub_i32 s13, s11, s7
	s_cmp_ge_u32 s11, s7
	s_cselect_b32 s10, s12, s10
	s_cselect_b32 s11, s13, s11
	s_add_i32 s12, s10, 1
	s_cmp_ge_u32 s11, s7
	s_cselect_b32 s26, s12, s10
	s_mul_i32 s7, s26, s7
	s_sub_i32 s7, s8, s7
	s_mul_i32 s7, s9, s7
	s_add_i32 s6, s6, -1
	s_add_i32 s25, s7, s25
	s_add_u32 s2, s2, -4
	s_addc_u32 s3, s3, -1
	s_cmp_gt_u32 s6, 2
	s_cbranch_scc1 .LBB192_6
.LBB192_7:
	s_load_dword s2, s[4:5], 0x6c
	s_load_dwordx2 s[48:49], s[4:5], 0x1c0
	s_mov_b32 s8, -1
	v_and_b32_e32 v70, 0x3ff, v0
	s_mov_b32 s10, s8
	s_waitcnt lgkmcnt(0)
	s_mul_i32 s0, s2, s0
	s_load_dwordx2 s[2:3], s[4:5], 0x0
	s_add_i32 s0, s0, s1
	s_bitcmp1_b32 s49, 0
	s_cselect_b64 s[34:35], -1, 0
	s_and_b64 s[6:7], s[34:35], exec
	s_mov_b32 s1, 0
	s_cselect_b32 s9, -1, 0x7fffffff
	s_lshl_b64 s[0:1], s[0:1], 3
	s_waitcnt lgkmcnt(0)
	s_add_u32 s33, s2, s0
	s_mov_b32 s11, s9
	s_mov_b32 s12, s8
	;; [unrolled: 1-line block ×13, first 2 shown]
	v_pk_mov_b32 v[2:3], s[8:9], s[8:9] op_sel:[0,1]
	s_addc_u32 s47, s3, s1
	v_cmp_gt_u32_e64 s[0:1], s45, v70
	v_pk_mov_b32 v[4:5], s[10:11], s[10:11] op_sel:[0,1]
	v_pk_mov_b32 v[6:7], s[12:13], s[12:13] op_sel:[0,1]
	;; [unrolled: 1-line block ×8, first 2 shown]
	v_mul_lo_u32 v66, v70, s46
	s_and_saveexec_b64 s[2:3], s[0:1]
	s_cbranch_execz .LBB192_9
; %bb.8:
	v_mov_b32_e32 v67, 0
	v_lshlrev_b64 v[2:3], 3, v[66:67]
	v_mov_b32_e32 v1, s47
	v_add_co_u32_e32 v2, vcc, s33, v2
	v_addc_co_u32_e32 v3, vcc, v1, v3, vcc
	global_load_dwordx2 v[18:19], v[2:3], off
	v_pk_mov_b32 v[2:3], s[8:9], s[8:9] op_sel:[0,1]
	v_pk_mov_b32 v[4:5], s[10:11], s[10:11] op_sel:[0,1]
	;; [unrolled: 1-line block ×8, first 2 shown]
.LBB192_9:
	s_or_b64 exec, exec, s[2:3]
	v_add_u32_e32 v1, 0x80, v70
	v_cmp_gt_u32_e64 s[2:3], s45, v1
	s_and_saveexec_b64 s[6:7], s[2:3]
	s_cbranch_execz .LBB192_11
; %bb.10:
	v_mul_lo_u32 v2, v1, s46
	v_mov_b32_e32 v3, 0
	v_lshlrev_b64 v[2:3], 3, v[2:3]
	v_mov_b32_e32 v4, s47
	v_add_co_u32_e32 v2, vcc, s33, v2
	v_addc_co_u32_e32 v3, vcc, v4, v3, vcc
	global_load_dwordx2 v[4:5], v[2:3], off
.LBB192_11:
	s_or_b64 exec, exec, s[6:7]
	v_add_u32_e32 v34, 0x100, v70
	v_cmp_gt_u32_e64 s[42:43], s45, v34
	s_and_saveexec_b64 s[6:7], s[42:43]
	s_cbranch_execz .LBB192_13
; %bb.12:
	v_mul_lo_u32 v2, v34, s46
	v_mov_b32_e32 v3, 0
	v_lshlrev_b64 v[2:3], 3, v[2:3]
	v_mov_b32_e32 v6, s47
	v_add_co_u32_e32 v2, vcc, s33, v2
	v_addc_co_u32_e32 v3, vcc, v6, v3, vcc
	global_load_dwordx2 v[6:7], v[2:3], off
.LBB192_13:
	;; [unrolled: 14-line block ×5, first 2 shown]
	s_or_b64 exec, exec, s[12:13]
	s_load_dwordx2 s[18:19], s[4:5], 0xe8
	v_add_u32_e32 v38, 0x300, v70
	v_cmp_gt_u32_e64 s[12:13], s45, v38
	s_and_saveexec_b64 s[14:15], s[12:13]
	s_cbranch_execz .LBB192_21
; %bb.20:
	v_mul_lo_u32 v2, v38, s46
	v_mov_b32_e32 v3, 0
	v_lshlrev_b64 v[2:3], 3, v[2:3]
	v_mov_b32_e32 v14, s47
	v_add_co_u32_e32 v2, vcc, s33, v2
	v_addc_co_u32_e32 v3, vcc, v14, v3, vcc
	global_load_dwordx2 v[14:15], v[2:3], off
.LBB192_21:
	s_or_b64 exec, exec, s[14:15]
	s_load_dword s16, s[4:5], 0x154
	v_add_u32_e32 v39, 0x380, v70
	v_cmp_gt_u32_e64 s[14:15], s45, v39
	s_and_saveexec_b64 s[4:5], s[14:15]
	s_cbranch_execz .LBB192_23
; %bb.22:
	v_mul_lo_u32 v2, v39, s46
	v_mov_b32_e32 v3, 0
	v_lshlrev_b64 v[2:3], 3, v[2:3]
	v_mov_b32_e32 v16, s47
	v_add_co_u32_e32 v2, vcc, s33, v2
	v_addc_co_u32_e32 v3, vcc, v16, v3, vcc
	global_load_dwordx2 v[16:17], v[2:3], off
.LBB192_23:
	s_or_b64 exec, exec, s[4:5]
	v_lshrrev_b32_e32 v2, 5, v70
	v_add_lshl_u32 v71, v2, v70, 3
	v_lshrrev_b32_e32 v2, 5, v1
	v_add_lshl_u32 v104, v2, v70, 3
	;; [unrolled: 2-line block ×8, first 2 shown]
	v_lshlrev_b32_e32 v67, 3, v70
	v_lshrrev_b32_e32 v2, 2, v70
	v_add_lshl_u32 v111, v2, v67, 3
	s_waitcnt vmcnt(0)
	ds_write_b64 v71, v[18:19]
	ds_write_b64 v104, v[4:5] offset:1024
	ds_write_b64 v105, v[6:7] offset:2048
	;; [unrolled: 1-line block ×7, first 2 shown]
	s_waitcnt lgkmcnt(0)
	s_barrier
	ds_read2_b64 v[30:33], v111 offset1:1
	ds_read2_b64 v[26:29], v111 offset0:2 offset1:3
	ds_read2_b64 v[22:25], v111 offset0:4 offset1:5
	;; [unrolled: 1-line block ×3, first 2 shown]
	s_mul_i32 s4, s16, s26
	s_add_i32 s16, s4, s25
	s_mov_b32 s17, 0
	s_lshl_b64 s[4:5], s[16:17], 3
	s_add_u32 s49, s18, s4
	s_mov_b32 s16, s17
	s_addc_u32 s54, s19, s5
	s_mov_b32 s18, s17
	s_mov_b32 s19, s17
	;; [unrolled: 1-line block ×14, first 2 shown]
	v_pk_mov_b32 v[2:3], s[16:17], s[16:17] op_sel:[0,1]
	v_pk_mov_b32 v[4:5], s[18:19], s[18:19] op_sel:[0,1]
	;; [unrolled: 1-line block ×8, first 2 shown]
	v_pk_mov_b32 v[2:3], 0, 0
	v_mul_lo_u32 v68, v70, s48
	s_waitcnt lgkmcnt(0)
	s_barrier
	s_and_saveexec_b64 s[4:5], s[0:1]
	s_cbranch_execnz .LBB192_60
; %bb.24:
	s_or_b64 exec, exec, s[4:5]
	s_and_saveexec_b64 s[4:5], s[2:3]
	s_cbranch_execnz .LBB192_61
.LBB192_25:
	s_or_b64 exec, exec, s[4:5]
	s_and_saveexec_b64 s[4:5], s[42:43]
	s_cbranch_execnz .LBB192_62
.LBB192_26:
	s_or_b64 exec, exec, s[4:5]
	s_and_saveexec_b64 s[4:5], s[6:7]
	s_cbranch_execnz .LBB192_63
.LBB192_27:
	s_or_b64 exec, exec, s[4:5]
	s_and_saveexec_b64 s[4:5], s[8:9]
	s_cbranch_execnz .LBB192_64
.LBB192_28:
	s_or_b64 exec, exec, s[4:5]
	s_and_saveexec_b64 s[4:5], s[10:11]
	s_cbranch_execnz .LBB192_65
.LBB192_29:
	s_or_b64 exec, exec, s[4:5]
	s_and_saveexec_b64 s[4:5], s[12:13]
	s_cbranch_execnz .LBB192_66
.LBB192_30:
	s_or_b64 exec, exec, s[4:5]
	s_xor_b64 s[4:5], s[34:35], -1
	s_and_saveexec_b64 s[16:17], s[14:15]
	s_cbranch_execz .LBB192_32
.LBB192_31:
	v_mul_lo_u32 v16, v39, s48
	v_mov_b32_e32 v17, 0
	v_lshlrev_b64 v[16:17], 3, v[16:17]
	v_mov_b32_e32 v1, s54
	v_add_co_u32_e32 v16, vcc, s49, v16
	v_addc_co_u32_e32 v17, vcc, v1, v17, vcc
	global_load_dwordx2 v[16:17], v[16:17], off
.LBB192_32:
	s_or_b64 exec, exec, s[16:17]
	s_waitcnt vmcnt(0)
	ds_write_b64 v71, v[2:3]
	ds_write_b64 v104, v[4:5] offset:1024
	ds_write_b64 v105, v[6:7] offset:2048
	;; [unrolled: 1-line block ×7, first 2 shown]
	s_waitcnt lgkmcnt(0)
	s_barrier
	ds_read2_b64 v[46:49], v111 offset1:1
	ds_read2_b64 v[42:45], v111 offset0:2 offset1:3
	ds_read2_b64 v[38:41], v111 offset0:4 offset1:5
	;; [unrolled: 1-line block ×3, first 2 shown]
	s_and_b64 vcc, exec, s[4:5]
	v_bfe_u32 v114, v0, 10, 10
	v_bfe_u32 v115, v0, 20, 10
	v_ashrrev_i32_e32 v124, 31, v31
	v_ashrrev_i32_e32 v123, 31, v33
	;; [unrolled: 1-line block ×8, first 2 shown]
	v_mbcnt_lo_u32_b32 v116, -1, 0
	v_lshlrev_b32_e32 v69, 2, v70
	v_lshlrev_b32_e32 v112, 4, v70
	v_cmp_gt_u32_e64 s[16:17], 2, v70
	v_cmp_lt_u32_e64 s[18:19], 63, v70
	v_cmp_eq_u32_e64 s[20:21], 0, v70
	v_lshrrev_b32_e32 v113, 4, v70
	s_waitcnt lgkmcnt(0)
	s_barrier
	s_cbranch_vccz .LBB192_67
; %bb.33:
	v_bfrev_b32_e32 v125, 1
	v_cmp_lt_i64_e32 vcc, -1, v[30:31]
	v_cndmask_b32_e32 v0, -1, v125, vcc
	v_cmp_lt_i64_e32 vcc, -1, v[32:33]
	v_cndmask_b32_e32 v2, -1, v125, vcc
	v_cmp_lt_i64_e32 vcc, -1, v[26:27]
	v_cndmask_b32_e32 v4, -1, v125, vcc
	v_cmp_lt_i64_e32 vcc, -1, v[28:29]
	v_cndmask_b32_e32 v6, -1, v125, vcc
	v_cmp_lt_i64_e32 vcc, -1, v[22:23]
	v_cndmask_b32_e32 v8, -1, v125, vcc
	v_cmp_lt_i64_e32 vcc, -1, v[24:25]
	v_cndmask_b32_e32 v10, -1, v125, vcc
	v_cmp_lt_i64_e32 vcc, -1, v[18:19]
	v_cndmask_b32_e32 v12, -1, v125, vcc
	v_cmp_lt_i64_e32 vcc, -1, v[20:21]
	v_mbcnt_hi_u32_b32 v72, -1, v116
	v_and_b32_e32 v73, 0x3c0, v70
	v_xor_b32_e32 v1, v0, v31
	v_xor_b32_e32 v0, v124, v30
	;; [unrolled: 1-line block ×4, first 2 shown]
	v_cndmask_b32_e32 v14, -1, v125, vcc
	v_add_lshl_u32 v16, v72, v73, 6
	v_and_b32_e32 v74, 0x1e00, v67
	v_xor_b32_e32 v5, v4, v27
	v_xor_b32_e32 v4, v122, v26
	;; [unrolled: 1-line block ×12, first 2 shown]
	ds_write2_b64 v16, v[0:1], v[2:3] offset1:1
	ds_write2_b64 v16, v[4:5], v[6:7] offset0:2 offset1:3
	ds_write2_b64 v16, v[8:9], v[10:11] offset0:4 offset1:5
	;; [unrolled: 1-line block ×3, first 2 shown]
	v_or_b32_e32 v0, v72, v74
	v_lshlrev_b32_e32 v17, 3, v0
	; wave barrier
	ds_read2st64_b64 v[0:3], v17 offset1:1
	ds_read2st64_b64 v[4:7], v17 offset0:2 offset1:3
	ds_read2st64_b64 v[8:11], v17 offset0:4 offset1:5
	ds_read2st64_b64 v[12:15], v17 offset0:6 offset1:7
	; wave barrier
	ds_write2_b64 v16, v[46:47], v[48:49] offset1:1
	ds_write2_b64 v16, v[42:43], v[44:45] offset0:2 offset1:3
	ds_write2_b64 v16, v[38:39], v[40:41] offset0:4 offset1:5
	ds_write2_b64 v16, v[34:35], v[36:37] offset0:6 offset1:7
	; wave barrier
	ds_read2st64_b64 v[50:53], v17 offset1:1
	ds_read2st64_b64 v[54:57], v17 offset0:2 offset1:3
	ds_read2st64_b64 v[58:61], v17 offset0:4 offset1:5
	ds_read2st64_b64 v[62:65], v17 offset0:6 offset1:7
	s_waitcnt lgkmcnt(0)
	s_barrier
	s_load_dword s22, s[50:51], 0xc
	s_getpc_b64 s[4:5]
	s_add_u32 s4, s4, _ZN7rocprim17ROCPRIM_400000_NS16block_radix_sortIdLj128ELj8ElLj1ELj1ELj0ELNS0_26block_radix_rank_algorithmE1ELNS0_18block_padding_hintE2ELNS0_4arch9wavefront6targetE1EE19radix_bits_per_passE@rel32@lo+4
	s_addc_u32 s5, s5, _ZN7rocprim17ROCPRIM_400000_NS16block_radix_sortIdLj128ELj8ElLj1ELj1ELj0ELNS0_26block_radix_rank_algorithmE1ELNS0_18block_padding_hintE2ELNS0_4arch9wavefront6targetE1EE19radix_bits_per_passE@rel32@hi+12
	s_load_dword s55, s[4:5], 0x0
	s_mov_b32 s44, -1
	v_and_b32_e32 v129, 60, v113
	s_waitcnt lgkmcnt(0)
	s_lshr_b32 s4, s22, 16
	s_and_b32 s5, s22, 0xffff
	v_mad_u32_u24 v16, v115, s4, v114
	v_mad_u64_u32 v[16:17], s[4:5], v16, s5, v[70:71]
	v_lshrrev_b32_e32 v127, 6, v16
	v_and_b32_e32 v16, 15, v72
	v_cmp_eq_u32_e64 s[22:23], 0, v16
	v_cmp_lt_u32_e64 s[24:25], 1, v16
	v_cmp_lt_u32_e64 s[26:27], 3, v16
	;; [unrolled: 1-line block ×3, first 2 shown]
	v_and_b32_e32 v16, 16, v72
	v_cmp_eq_u32_e64 s[30:31], 0, v16
	v_min_u32_e32 v16, 64, v73
	v_or_b32_e32 v16, 63, v16
	v_cmp_eq_u32_e64 s[36:37], v16, v70
	v_add_u32_e32 v16, -1, v72
	v_and_b32_e32 v17, 64, v72
	v_cmp_lt_i32_e32 vcc, v16, v17
	v_cndmask_b32_e32 v16, v16, v72, vcc
	v_lshlrev_b32_e32 v128, 2, v16
	v_and_b32_e32 v16, 1, v72
	v_cmp_eq_u32_e64 s[40:41], 0, v16
	v_and_or_b32 v16, v72, 63, v74
	s_brev_b32 s45, -2
	v_or_b32_e32 v126, 8, v112
	v_cmp_lt_u32_e64 s[34:35], 31, v72
	s_mov_b32 s56, 64
	v_cmp_eq_u32_e64 s[38:39], 0, v72
	v_add_u32_e32 v130, -4, v129
	v_lshlrev_b32_e32 v131, 3, v16
	s_mov_b64 s[52:53], 0
	v_mov_b32_e32 v86, 0
	s_branch .LBB192_35
.LBB192_34:                             ;   in Loop: Header=BB192_35 Depth=1
	v_lshlrev_b32_e32 v50, 3, v138
	v_lshlrev_b32_e32 v51, 3, v137
	v_lshlrev_b32_e32 v52, 3, v136
	v_lshlrev_b32_e32 v53, 3, v135
	v_lshlrev_b32_e32 v54, 3, v134
	v_lshlrev_b32_e32 v55, 3, v132
	v_lshlrev_b32_e32 v56, 3, v87
	v_lshlrev_b32_e32 v57, 3, v133
	s_barrier
	ds_write_b64 v50, v[102:103]
	ds_write_b64 v51, v[100:101]
	;; [unrolled: 1-line block ×8, first 2 shown]
	s_waitcnt lgkmcnt(0)
	s_barrier
	ds_read2st64_b64 v[0:3], v131 offset1:1
	ds_read2st64_b64 v[4:7], v131 offset0:2 offset1:3
	ds_read2st64_b64 v[8:11], v131 offset0:4 offset1:5
	;; [unrolled: 1-line block ×3, first 2 shown]
	s_waitcnt lgkmcnt(0)
	s_barrier
	ds_write_b64 v50, v[84:85]
	ds_write_b64 v51, v[82:83]
	;; [unrolled: 1-line block ×8, first 2 shown]
	s_waitcnt lgkmcnt(0)
	s_barrier
	ds_read2st64_b64 v[50:53], v131 offset1:1
	ds_read2st64_b64 v[54:57], v131 offset0:2 offset1:3
	ds_read2st64_b64 v[58:61], v131 offset0:4 offset1:5
	;; [unrolled: 1-line block ×3, first 2 shown]
	s_add_u32 s52, s52, 8
	s_addc_u32 s53, s53, 0
	s_add_i32 s56, s56, -8
	s_waitcnt lgkmcnt(0)
	s_barrier
	s_cbranch_execz .LBB192_59
.LBB192_35:                             ; =>This Inner Loop Header: Depth=1
	v_pk_mov_b32 v[102:103], v[0:1], v[0:1] op_sel:[0,1]
	s_min_u32 s4, s55, s56
	v_cmp_ne_u64_e32 vcc, s[44:45], v[102:103]
	s_lshl_b32 s4, -1, s4
	v_cndmask_b32_e32 v1, v125, v103, vcc
	v_cndmask_b32_e32 v0, 0, v102, vcc
	s_not_b32 s57, s4
	v_lshrrev_b64 v[0:1], s52, v[0:1]
	v_and_b32_e32 v0, s57, v0
	v_lshl_add_u32 v1, v0, 1, v127
	v_pk_mov_b32 v[98:99], v[4:5], v[4:5] op_sel:[0,1]
	v_lshl_add_u32 v4, v1, 2, 8
	v_and_b32_e32 v1, 1, v0
	v_pk_mov_b32 v[100:101], v[2:3], v[2:3] op_sel:[0,1]
	v_add_co_u32_e32 v2, vcc, -1, v1
	v_addc_co_u32_e64 v3, s[4:5], 0, -1, vcc
	v_cmp_ne_u32_e32 vcc, 0, v1
	v_lshlrev_b32_e32 v87, 30, v0
	v_xor_b32_e32 v1, vcc_hi, v3
	v_not_b32_e32 v3, v87
	v_xor_b32_e32 v2, vcc_lo, v2
	v_cmp_gt_i64_e32 vcc, 0, v[86:87]
	v_ashrrev_i32_e32 v3, 31, v3
	v_and_b32_e32 v2, exec_lo, v2
	v_xor_b32_e32 v5, vcc_hi, v3
	v_xor_b32_e32 v3, vcc_lo, v3
	v_lshlrev_b32_e32 v87, 29, v0
	v_and_b32_e32 v2, v2, v3
	v_not_b32_e32 v3, v87
	v_and_b32_e32 v1, exec_hi, v1
	v_cmp_gt_i64_e32 vcc, 0, v[86:87]
	v_ashrrev_i32_e32 v3, 31, v3
	v_and_b32_e32 v1, v1, v5
	v_xor_b32_e32 v5, vcc_hi, v3
	v_xor_b32_e32 v3, vcc_lo, v3
	v_lshlrev_b32_e32 v87, 28, v0
	v_and_b32_e32 v2, v2, v3
	v_not_b32_e32 v3, v87
	v_cmp_gt_i64_e32 vcc, 0, v[86:87]
	v_ashrrev_i32_e32 v3, 31, v3
	v_and_b32_e32 v1, v1, v5
	v_xor_b32_e32 v5, vcc_hi, v3
	v_xor_b32_e32 v3, vcc_lo, v3
	v_lshlrev_b32_e32 v87, 27, v0
	v_and_b32_e32 v2, v2, v3
	v_not_b32_e32 v3, v87
	;; [unrolled: 8-line block ×3, first 2 shown]
	v_cmp_gt_i64_e32 vcc, 0, v[86:87]
	v_ashrrev_i32_e32 v3, 31, v3
	v_and_b32_e32 v1, v1, v5
	v_xor_b32_e32 v5, vcc_hi, v3
	v_xor_b32_e32 v3, vcc_lo, v3
	v_lshlrev_b32_e32 v87, 25, v0
	v_and_b32_e32 v2, v2, v3
	v_cmp_gt_i64_e32 vcc, 0, v[86:87]
	v_not_b32_e32 v3, v87
	v_lshlrev_b32_e32 v87, 24, v0
	v_ashrrev_i32_e32 v3, 31, v3
	v_not_b32_e32 v0, v87
	v_and_b32_e32 v1, v1, v5
	v_xor_b32_e32 v5, vcc_hi, v3
	v_xor_b32_e32 v3, vcc_lo, v3
	v_cmp_gt_i64_e32 vcc, 0, v[86:87]
	v_ashrrev_i32_e32 v0, 31, v0
	v_and_b32_e32 v2, v2, v3
	v_xor_b32_e32 v3, vcc_hi, v0
	v_xor_b32_e32 v0, vcc_lo, v0
	v_and_b32_e32 v1, v1, v5
	v_and_b32_e32 v0, v2, v0
	;; [unrolled: 1-line block ×3, first 2 shown]
	v_mbcnt_lo_u32_b32 v2, v0, 0
	v_mbcnt_hi_u32_b32 v5, v1, v2
	v_cmp_eq_u32_e32 vcc, 0, v5
	v_cmp_ne_u64_e64 s[4:5], 0, v[0:1]
	v_pk_mov_b32 v[88:89], v[14:15], v[14:15] op_sel:[0,1]
	v_pk_mov_b32 v[90:91], v[12:13], v[12:13] op_sel:[0,1]
	;; [unrolled: 1-line block ×13, first 2 shown]
	s_and_b64 s[58:59], s[4:5], vcc
	ds_write2_b32 v112, v86, v86 offset0:2 offset1:3
	ds_write2_b32 v126, v86, v86 offset0:2 offset1:3
	s_waitcnt lgkmcnt(0)
	s_barrier
	s_waitcnt lgkmcnt(0)
	; wave barrier
	s_and_saveexec_b64 s[4:5], s[58:59]
	s_cbranch_execz .LBB192_37
; %bb.36:                               ;   in Loop: Header=BB192_35 Depth=1
	v_bcnt_u32_b32 v0, v0, 0
	v_bcnt_u32_b32 v0, v1, v0
	ds_write_b32 v4, v0
.LBB192_37:                             ;   in Loop: Header=BB192_35 Depth=1
	s_or_b64 exec, exec, s[4:5]
	v_cmp_ne_u64_e32 vcc, s[44:45], v[100:101]
	v_cndmask_b32_e32 v1, v125, v101, vcc
	v_cndmask_b32_e32 v0, 0, v100, vcc
	v_lshrrev_b64 v[0:1], s52, v[0:1]
	v_and_b32_e32 v0, s57, v0
	v_lshlrev_b32_e32 v1, 1, v0
	v_add_lshl_u32 v1, v1, v127, 2
	; wave barrier
	v_add_u32_e32 v7, 8, v1
	ds_read_b32 v6, v1 offset:8
	v_and_b32_e32 v1, 1, v0
	v_add_co_u32_e32 v2, vcc, -1, v1
	v_addc_co_u32_e64 v3, s[4:5], 0, -1, vcc
	v_cmp_ne_u32_e32 vcc, 0, v1
	v_lshlrev_b32_e32 v87, 30, v0
	v_xor_b32_e32 v1, vcc_hi, v3
	v_not_b32_e32 v3, v87
	v_xor_b32_e32 v2, vcc_lo, v2
	v_cmp_gt_i64_e32 vcc, 0, v[86:87]
	v_ashrrev_i32_e32 v3, 31, v3
	v_and_b32_e32 v2, exec_lo, v2
	v_xor_b32_e32 v8, vcc_hi, v3
	v_xor_b32_e32 v3, vcc_lo, v3
	v_lshlrev_b32_e32 v87, 29, v0
	v_and_b32_e32 v2, v2, v3
	v_not_b32_e32 v3, v87
	v_and_b32_e32 v1, exec_hi, v1
	v_cmp_gt_i64_e32 vcc, 0, v[86:87]
	v_ashrrev_i32_e32 v3, 31, v3
	v_and_b32_e32 v1, v1, v8
	v_xor_b32_e32 v8, vcc_hi, v3
	v_xor_b32_e32 v3, vcc_lo, v3
	v_lshlrev_b32_e32 v87, 28, v0
	v_and_b32_e32 v2, v2, v3
	v_not_b32_e32 v3, v87
	v_cmp_gt_i64_e32 vcc, 0, v[86:87]
	v_ashrrev_i32_e32 v3, 31, v3
	v_and_b32_e32 v1, v1, v8
	v_xor_b32_e32 v8, vcc_hi, v3
	v_xor_b32_e32 v3, vcc_lo, v3
	v_lshlrev_b32_e32 v87, 27, v0
	v_and_b32_e32 v2, v2, v3
	v_not_b32_e32 v3, v87
	;; [unrolled: 8-line block ×3, first 2 shown]
	v_cmp_gt_i64_e32 vcc, 0, v[86:87]
	v_ashrrev_i32_e32 v3, 31, v3
	v_and_b32_e32 v1, v1, v8
	v_xor_b32_e32 v8, vcc_hi, v3
	v_xor_b32_e32 v3, vcc_lo, v3
	v_lshlrev_b32_e32 v87, 25, v0
	v_and_b32_e32 v2, v2, v3
	v_cmp_gt_i64_e32 vcc, 0, v[86:87]
	v_not_b32_e32 v3, v87
	v_lshlrev_b32_e32 v87, 24, v0
	v_ashrrev_i32_e32 v3, 31, v3
	v_not_b32_e32 v0, v87
	v_and_b32_e32 v1, v1, v8
	v_xor_b32_e32 v8, vcc_hi, v3
	v_xor_b32_e32 v3, vcc_lo, v3
	v_cmp_gt_i64_e32 vcc, 0, v[86:87]
	v_ashrrev_i32_e32 v0, 31, v0
	v_and_b32_e32 v2, v2, v3
	v_xor_b32_e32 v3, vcc_hi, v0
	v_xor_b32_e32 v0, vcc_lo, v0
	v_and_b32_e32 v1, v1, v8
	v_and_b32_e32 v0, v2, v0
	;; [unrolled: 1-line block ×3, first 2 shown]
	v_mbcnt_lo_u32_b32 v2, v0, 0
	v_mbcnt_hi_u32_b32 v8, v1, v2
	v_cmp_eq_u32_e32 vcc, 0, v8
	v_cmp_ne_u64_e64 s[4:5], 0, v[0:1]
	s_and_b64 s[58:59], s[4:5], vcc
	; wave barrier
	s_and_saveexec_b64 s[4:5], s[58:59]
	s_cbranch_execz .LBB192_39
; %bb.38:                               ;   in Loop: Header=BB192_35 Depth=1
	v_bcnt_u32_b32 v0, v0, 0
	v_bcnt_u32_b32 v0, v1, v0
	s_waitcnt lgkmcnt(0)
	v_add_u32_e32 v0, v6, v0
	ds_write_b32 v7, v0
.LBB192_39:                             ;   in Loop: Header=BB192_35 Depth=1
	s_or_b64 exec, exec, s[4:5]
	v_cmp_ne_u64_e32 vcc, s[44:45], v[98:99]
	v_cndmask_b32_e32 v1, v125, v99, vcc
	v_cndmask_b32_e32 v0, 0, v98, vcc
	v_lshrrev_b64 v[0:1], s52, v[0:1]
	v_and_b32_e32 v0, s57, v0
	v_lshlrev_b32_e32 v1, 1, v0
	v_add_lshl_u32 v1, v1, v127, 2
	; wave barrier
	v_add_u32_e32 v10, 8, v1
	ds_read_b32 v9, v1 offset:8
	v_and_b32_e32 v1, 1, v0
	v_add_co_u32_e32 v2, vcc, -1, v1
	v_addc_co_u32_e64 v3, s[4:5], 0, -1, vcc
	v_cmp_ne_u32_e32 vcc, 0, v1
	v_lshlrev_b32_e32 v87, 30, v0
	v_xor_b32_e32 v1, vcc_hi, v3
	v_not_b32_e32 v3, v87
	v_xor_b32_e32 v2, vcc_lo, v2
	v_cmp_gt_i64_e32 vcc, 0, v[86:87]
	v_ashrrev_i32_e32 v3, 31, v3
	v_and_b32_e32 v2, exec_lo, v2
	v_xor_b32_e32 v11, vcc_hi, v3
	v_xor_b32_e32 v3, vcc_lo, v3
	v_lshlrev_b32_e32 v87, 29, v0
	v_and_b32_e32 v2, v2, v3
	v_not_b32_e32 v3, v87
	v_and_b32_e32 v1, exec_hi, v1
	v_cmp_gt_i64_e32 vcc, 0, v[86:87]
	v_ashrrev_i32_e32 v3, 31, v3
	v_and_b32_e32 v1, v1, v11
	v_xor_b32_e32 v11, vcc_hi, v3
	v_xor_b32_e32 v3, vcc_lo, v3
	v_lshlrev_b32_e32 v87, 28, v0
	v_and_b32_e32 v2, v2, v3
	v_not_b32_e32 v3, v87
	v_cmp_gt_i64_e32 vcc, 0, v[86:87]
	v_ashrrev_i32_e32 v3, 31, v3
	v_and_b32_e32 v1, v1, v11
	v_xor_b32_e32 v11, vcc_hi, v3
	v_xor_b32_e32 v3, vcc_lo, v3
	v_lshlrev_b32_e32 v87, 27, v0
	v_and_b32_e32 v2, v2, v3
	v_not_b32_e32 v3, v87
	v_cmp_gt_i64_e32 vcc, 0, v[86:87]
	v_ashrrev_i32_e32 v3, 31, v3
	v_and_b32_e32 v1, v1, v11
	v_xor_b32_e32 v11, vcc_hi, v3
	v_xor_b32_e32 v3, vcc_lo, v3
	v_lshlrev_b32_e32 v87, 26, v0
	v_and_b32_e32 v2, v2, v3
	v_not_b32_e32 v3, v87
	v_cmp_gt_i64_e32 vcc, 0, v[86:87]
	v_ashrrev_i32_e32 v3, 31, v3
	v_and_b32_e32 v1, v1, v11
	v_xor_b32_e32 v11, vcc_hi, v3
	v_xor_b32_e32 v3, vcc_lo, v3
	v_lshlrev_b32_e32 v87, 25, v0
	v_and_b32_e32 v2, v2, v3
	v_cmp_gt_i64_e32 vcc, 0, v[86:87]
	v_not_b32_e32 v3, v87
	v_lshlrev_b32_e32 v87, 24, v0
	v_ashrrev_i32_e32 v3, 31, v3
	v_not_b32_e32 v0, v87
	v_and_b32_e32 v1, v1, v11
	v_xor_b32_e32 v11, vcc_hi, v3
	v_xor_b32_e32 v3, vcc_lo, v3
	v_cmp_gt_i64_e32 vcc, 0, v[86:87]
	v_ashrrev_i32_e32 v0, 31, v0
	v_and_b32_e32 v2, v2, v3
	v_xor_b32_e32 v3, vcc_hi, v0
	v_xor_b32_e32 v0, vcc_lo, v0
	v_and_b32_e32 v1, v1, v11
	v_and_b32_e32 v0, v2, v0
	;; [unrolled: 1-line block ×3, first 2 shown]
	v_mbcnt_lo_u32_b32 v2, v0, 0
	v_mbcnt_hi_u32_b32 v11, v1, v2
	v_cmp_eq_u32_e32 vcc, 0, v11
	v_cmp_ne_u64_e64 s[4:5], 0, v[0:1]
	s_and_b64 s[58:59], s[4:5], vcc
	; wave barrier
	s_and_saveexec_b64 s[4:5], s[58:59]
	s_cbranch_execz .LBB192_41
; %bb.40:                               ;   in Loop: Header=BB192_35 Depth=1
	v_bcnt_u32_b32 v0, v0, 0
	v_bcnt_u32_b32 v0, v1, v0
	s_waitcnt lgkmcnt(0)
	v_add_u32_e32 v0, v9, v0
	ds_write_b32 v10, v0
.LBB192_41:                             ;   in Loop: Header=BB192_35 Depth=1
	s_or_b64 exec, exec, s[4:5]
	v_cmp_ne_u64_e32 vcc, s[44:45], v[96:97]
	v_cndmask_b32_e32 v1, v125, v97, vcc
	v_cndmask_b32_e32 v0, 0, v96, vcc
	v_lshrrev_b64 v[0:1], s52, v[0:1]
	v_and_b32_e32 v0, s57, v0
	v_lshlrev_b32_e32 v1, 1, v0
	v_add_lshl_u32 v1, v1, v127, 2
	; wave barrier
	v_add_u32_e32 v13, 8, v1
	ds_read_b32 v12, v1 offset:8
	v_and_b32_e32 v1, 1, v0
	v_add_co_u32_e32 v2, vcc, -1, v1
	v_addc_co_u32_e64 v3, s[4:5], 0, -1, vcc
	v_cmp_ne_u32_e32 vcc, 0, v1
	v_lshlrev_b32_e32 v87, 30, v0
	v_xor_b32_e32 v1, vcc_hi, v3
	v_not_b32_e32 v3, v87
	v_xor_b32_e32 v2, vcc_lo, v2
	v_cmp_gt_i64_e32 vcc, 0, v[86:87]
	v_ashrrev_i32_e32 v3, 31, v3
	v_and_b32_e32 v2, exec_lo, v2
	v_xor_b32_e32 v14, vcc_hi, v3
	v_xor_b32_e32 v3, vcc_lo, v3
	v_lshlrev_b32_e32 v87, 29, v0
	v_and_b32_e32 v2, v2, v3
	v_not_b32_e32 v3, v87
	v_and_b32_e32 v1, exec_hi, v1
	v_cmp_gt_i64_e32 vcc, 0, v[86:87]
	v_ashrrev_i32_e32 v3, 31, v3
	v_and_b32_e32 v1, v1, v14
	v_xor_b32_e32 v14, vcc_hi, v3
	v_xor_b32_e32 v3, vcc_lo, v3
	v_lshlrev_b32_e32 v87, 28, v0
	v_and_b32_e32 v2, v2, v3
	v_not_b32_e32 v3, v87
	v_cmp_gt_i64_e32 vcc, 0, v[86:87]
	v_ashrrev_i32_e32 v3, 31, v3
	v_and_b32_e32 v1, v1, v14
	v_xor_b32_e32 v14, vcc_hi, v3
	v_xor_b32_e32 v3, vcc_lo, v3
	v_lshlrev_b32_e32 v87, 27, v0
	v_and_b32_e32 v2, v2, v3
	v_not_b32_e32 v3, v87
	;; [unrolled: 8-line block ×3, first 2 shown]
	v_cmp_gt_i64_e32 vcc, 0, v[86:87]
	v_ashrrev_i32_e32 v3, 31, v3
	v_and_b32_e32 v1, v1, v14
	v_xor_b32_e32 v14, vcc_hi, v3
	v_xor_b32_e32 v3, vcc_lo, v3
	v_lshlrev_b32_e32 v87, 25, v0
	v_and_b32_e32 v2, v2, v3
	v_cmp_gt_i64_e32 vcc, 0, v[86:87]
	v_not_b32_e32 v3, v87
	v_lshlrev_b32_e32 v87, 24, v0
	v_ashrrev_i32_e32 v3, 31, v3
	v_not_b32_e32 v0, v87
	v_and_b32_e32 v1, v1, v14
	v_xor_b32_e32 v14, vcc_hi, v3
	v_xor_b32_e32 v3, vcc_lo, v3
	v_cmp_gt_i64_e32 vcc, 0, v[86:87]
	v_ashrrev_i32_e32 v0, 31, v0
	v_and_b32_e32 v2, v2, v3
	v_xor_b32_e32 v3, vcc_hi, v0
	v_xor_b32_e32 v0, vcc_lo, v0
	v_and_b32_e32 v1, v1, v14
	v_and_b32_e32 v0, v2, v0
	;; [unrolled: 1-line block ×3, first 2 shown]
	v_mbcnt_lo_u32_b32 v2, v0, 0
	v_mbcnt_hi_u32_b32 v14, v1, v2
	v_cmp_eq_u32_e32 vcc, 0, v14
	v_cmp_ne_u64_e64 s[4:5], 0, v[0:1]
	s_and_b64 s[58:59], s[4:5], vcc
	; wave barrier
	s_and_saveexec_b64 s[4:5], s[58:59]
	s_cbranch_execz .LBB192_43
; %bb.42:                               ;   in Loop: Header=BB192_35 Depth=1
	v_bcnt_u32_b32 v0, v0, 0
	v_bcnt_u32_b32 v0, v1, v0
	s_waitcnt lgkmcnt(0)
	v_add_u32_e32 v0, v12, v0
	ds_write_b32 v13, v0
.LBB192_43:                             ;   in Loop: Header=BB192_35 Depth=1
	s_or_b64 exec, exec, s[4:5]
	v_cmp_ne_u64_e32 vcc, s[44:45], v[94:95]
	v_cndmask_b32_e32 v1, v125, v95, vcc
	v_cndmask_b32_e32 v0, 0, v94, vcc
	v_lshrrev_b64 v[0:1], s52, v[0:1]
	v_and_b32_e32 v0, s57, v0
	v_lshlrev_b32_e32 v1, 1, v0
	v_add_lshl_u32 v1, v1, v127, 2
	; wave barrier
	v_add_u32_e32 v50, 8, v1
	ds_read_b32 v15, v1 offset:8
	v_and_b32_e32 v1, 1, v0
	v_add_co_u32_e32 v2, vcc, -1, v1
	v_addc_co_u32_e64 v3, s[4:5], 0, -1, vcc
	v_cmp_ne_u32_e32 vcc, 0, v1
	v_lshlrev_b32_e32 v87, 30, v0
	v_xor_b32_e32 v1, vcc_hi, v3
	v_not_b32_e32 v3, v87
	v_xor_b32_e32 v2, vcc_lo, v2
	v_cmp_gt_i64_e32 vcc, 0, v[86:87]
	v_ashrrev_i32_e32 v3, 31, v3
	v_and_b32_e32 v2, exec_lo, v2
	v_xor_b32_e32 v51, vcc_hi, v3
	v_xor_b32_e32 v3, vcc_lo, v3
	v_lshlrev_b32_e32 v87, 29, v0
	v_and_b32_e32 v2, v2, v3
	v_not_b32_e32 v3, v87
	v_and_b32_e32 v1, exec_hi, v1
	v_cmp_gt_i64_e32 vcc, 0, v[86:87]
	v_ashrrev_i32_e32 v3, 31, v3
	v_and_b32_e32 v1, v1, v51
	v_xor_b32_e32 v51, vcc_hi, v3
	v_xor_b32_e32 v3, vcc_lo, v3
	v_lshlrev_b32_e32 v87, 28, v0
	v_and_b32_e32 v2, v2, v3
	v_not_b32_e32 v3, v87
	v_cmp_gt_i64_e32 vcc, 0, v[86:87]
	v_ashrrev_i32_e32 v3, 31, v3
	v_and_b32_e32 v1, v1, v51
	v_xor_b32_e32 v51, vcc_hi, v3
	v_xor_b32_e32 v3, vcc_lo, v3
	v_lshlrev_b32_e32 v87, 27, v0
	v_and_b32_e32 v2, v2, v3
	v_not_b32_e32 v3, v87
	;; [unrolled: 8-line block ×3, first 2 shown]
	v_cmp_gt_i64_e32 vcc, 0, v[86:87]
	v_ashrrev_i32_e32 v3, 31, v3
	v_and_b32_e32 v1, v1, v51
	v_xor_b32_e32 v51, vcc_hi, v3
	v_xor_b32_e32 v3, vcc_lo, v3
	v_lshlrev_b32_e32 v87, 25, v0
	v_and_b32_e32 v2, v2, v3
	v_cmp_gt_i64_e32 vcc, 0, v[86:87]
	v_not_b32_e32 v3, v87
	v_lshlrev_b32_e32 v87, 24, v0
	v_ashrrev_i32_e32 v3, 31, v3
	v_not_b32_e32 v0, v87
	v_and_b32_e32 v1, v1, v51
	v_xor_b32_e32 v51, vcc_hi, v3
	v_xor_b32_e32 v3, vcc_lo, v3
	v_cmp_gt_i64_e32 vcc, 0, v[86:87]
	v_ashrrev_i32_e32 v0, 31, v0
	v_and_b32_e32 v2, v2, v3
	v_xor_b32_e32 v3, vcc_hi, v0
	v_xor_b32_e32 v0, vcc_lo, v0
	v_and_b32_e32 v1, v1, v51
	v_and_b32_e32 v0, v2, v0
	;; [unrolled: 1-line block ×3, first 2 shown]
	v_mbcnt_lo_u32_b32 v2, v0, 0
	v_mbcnt_hi_u32_b32 v51, v1, v2
	v_cmp_eq_u32_e32 vcc, 0, v51
	v_cmp_ne_u64_e64 s[4:5], 0, v[0:1]
	s_and_b64 s[58:59], s[4:5], vcc
	; wave barrier
	s_and_saveexec_b64 s[4:5], s[58:59]
	s_cbranch_execz .LBB192_45
; %bb.44:                               ;   in Loop: Header=BB192_35 Depth=1
	v_bcnt_u32_b32 v0, v0, 0
	v_bcnt_u32_b32 v0, v1, v0
	s_waitcnt lgkmcnt(0)
	v_add_u32_e32 v0, v15, v0
	ds_write_b32 v50, v0
.LBB192_45:                             ;   in Loop: Header=BB192_35 Depth=1
	s_or_b64 exec, exec, s[4:5]
	v_cmp_ne_u64_e32 vcc, s[44:45], v[92:93]
	v_cndmask_b32_e32 v1, v125, v93, vcc
	v_cndmask_b32_e32 v0, 0, v92, vcc
	v_lshrrev_b64 v[0:1], s52, v[0:1]
	v_and_b32_e32 v0, s57, v0
	v_lshlrev_b32_e32 v1, 1, v0
	v_add_lshl_u32 v1, v1, v127, 2
	; wave barrier
	v_add_u32_e32 v53, 8, v1
	ds_read_b32 v52, v1 offset:8
	v_and_b32_e32 v1, 1, v0
	v_add_co_u32_e32 v2, vcc, -1, v1
	v_addc_co_u32_e64 v3, s[4:5], 0, -1, vcc
	v_cmp_ne_u32_e32 vcc, 0, v1
	v_lshlrev_b32_e32 v87, 30, v0
	v_xor_b32_e32 v1, vcc_hi, v3
	v_not_b32_e32 v3, v87
	v_xor_b32_e32 v2, vcc_lo, v2
	v_cmp_gt_i64_e32 vcc, 0, v[86:87]
	v_ashrrev_i32_e32 v3, 31, v3
	v_and_b32_e32 v2, exec_lo, v2
	v_xor_b32_e32 v54, vcc_hi, v3
	v_xor_b32_e32 v3, vcc_lo, v3
	v_lshlrev_b32_e32 v87, 29, v0
	v_and_b32_e32 v2, v2, v3
	v_not_b32_e32 v3, v87
	v_and_b32_e32 v1, exec_hi, v1
	v_cmp_gt_i64_e32 vcc, 0, v[86:87]
	v_ashrrev_i32_e32 v3, 31, v3
	v_and_b32_e32 v1, v1, v54
	v_xor_b32_e32 v54, vcc_hi, v3
	v_xor_b32_e32 v3, vcc_lo, v3
	v_lshlrev_b32_e32 v87, 28, v0
	v_and_b32_e32 v2, v2, v3
	v_not_b32_e32 v3, v87
	v_cmp_gt_i64_e32 vcc, 0, v[86:87]
	v_ashrrev_i32_e32 v3, 31, v3
	v_and_b32_e32 v1, v1, v54
	v_xor_b32_e32 v54, vcc_hi, v3
	v_xor_b32_e32 v3, vcc_lo, v3
	v_lshlrev_b32_e32 v87, 27, v0
	v_and_b32_e32 v2, v2, v3
	v_not_b32_e32 v3, v87
	;; [unrolled: 8-line block ×3, first 2 shown]
	v_cmp_gt_i64_e32 vcc, 0, v[86:87]
	v_ashrrev_i32_e32 v3, 31, v3
	v_and_b32_e32 v1, v1, v54
	v_xor_b32_e32 v54, vcc_hi, v3
	v_xor_b32_e32 v3, vcc_lo, v3
	v_lshlrev_b32_e32 v87, 25, v0
	v_and_b32_e32 v2, v2, v3
	v_cmp_gt_i64_e32 vcc, 0, v[86:87]
	v_not_b32_e32 v3, v87
	v_lshlrev_b32_e32 v87, 24, v0
	v_ashrrev_i32_e32 v3, 31, v3
	v_not_b32_e32 v0, v87
	v_and_b32_e32 v1, v1, v54
	v_xor_b32_e32 v54, vcc_hi, v3
	v_xor_b32_e32 v3, vcc_lo, v3
	v_cmp_gt_i64_e32 vcc, 0, v[86:87]
	v_ashrrev_i32_e32 v0, 31, v0
	v_and_b32_e32 v2, v2, v3
	v_xor_b32_e32 v3, vcc_hi, v0
	v_xor_b32_e32 v0, vcc_lo, v0
	v_and_b32_e32 v1, v1, v54
	v_and_b32_e32 v0, v2, v0
	;; [unrolled: 1-line block ×3, first 2 shown]
	v_mbcnt_lo_u32_b32 v2, v0, 0
	v_mbcnt_hi_u32_b32 v54, v1, v2
	v_cmp_eq_u32_e32 vcc, 0, v54
	v_cmp_ne_u64_e64 s[4:5], 0, v[0:1]
	s_and_b64 s[58:59], s[4:5], vcc
	; wave barrier
	s_and_saveexec_b64 s[4:5], s[58:59]
	s_cbranch_execz .LBB192_47
; %bb.46:                               ;   in Loop: Header=BB192_35 Depth=1
	v_bcnt_u32_b32 v0, v0, 0
	v_bcnt_u32_b32 v0, v1, v0
	s_waitcnt lgkmcnt(0)
	v_add_u32_e32 v0, v52, v0
	ds_write_b32 v53, v0
.LBB192_47:                             ;   in Loop: Header=BB192_35 Depth=1
	s_or_b64 exec, exec, s[4:5]
	v_cmp_ne_u64_e32 vcc, s[44:45], v[90:91]
	v_cndmask_b32_e32 v1, v125, v91, vcc
	v_cndmask_b32_e32 v0, 0, v90, vcc
	v_lshrrev_b64 v[0:1], s52, v[0:1]
	v_and_b32_e32 v0, s57, v0
	v_lshlrev_b32_e32 v1, 1, v0
	v_add_lshl_u32 v1, v1, v127, 2
	; wave barrier
	v_add_u32_e32 v56, 8, v1
	ds_read_b32 v55, v1 offset:8
	v_and_b32_e32 v1, 1, v0
	v_add_co_u32_e32 v2, vcc, -1, v1
	v_addc_co_u32_e64 v3, s[4:5], 0, -1, vcc
	v_cmp_ne_u32_e32 vcc, 0, v1
	v_lshlrev_b32_e32 v87, 30, v0
	v_xor_b32_e32 v1, vcc_hi, v3
	v_not_b32_e32 v3, v87
	v_xor_b32_e32 v2, vcc_lo, v2
	v_cmp_gt_i64_e32 vcc, 0, v[86:87]
	v_ashrrev_i32_e32 v3, 31, v3
	v_and_b32_e32 v2, exec_lo, v2
	v_xor_b32_e32 v57, vcc_hi, v3
	v_xor_b32_e32 v3, vcc_lo, v3
	v_lshlrev_b32_e32 v87, 29, v0
	v_and_b32_e32 v2, v2, v3
	v_not_b32_e32 v3, v87
	v_and_b32_e32 v1, exec_hi, v1
	v_cmp_gt_i64_e32 vcc, 0, v[86:87]
	v_ashrrev_i32_e32 v3, 31, v3
	v_and_b32_e32 v1, v1, v57
	v_xor_b32_e32 v57, vcc_hi, v3
	v_xor_b32_e32 v3, vcc_lo, v3
	v_lshlrev_b32_e32 v87, 28, v0
	v_and_b32_e32 v2, v2, v3
	v_not_b32_e32 v3, v87
	v_cmp_gt_i64_e32 vcc, 0, v[86:87]
	v_ashrrev_i32_e32 v3, 31, v3
	v_and_b32_e32 v1, v1, v57
	v_xor_b32_e32 v57, vcc_hi, v3
	v_xor_b32_e32 v3, vcc_lo, v3
	v_lshlrev_b32_e32 v87, 27, v0
	v_and_b32_e32 v2, v2, v3
	v_not_b32_e32 v3, v87
	;; [unrolled: 8-line block ×3, first 2 shown]
	v_cmp_gt_i64_e32 vcc, 0, v[86:87]
	v_ashrrev_i32_e32 v3, 31, v3
	v_and_b32_e32 v1, v1, v57
	v_xor_b32_e32 v57, vcc_hi, v3
	v_xor_b32_e32 v3, vcc_lo, v3
	v_lshlrev_b32_e32 v87, 25, v0
	v_and_b32_e32 v2, v2, v3
	v_cmp_gt_i64_e32 vcc, 0, v[86:87]
	v_not_b32_e32 v3, v87
	v_lshlrev_b32_e32 v87, 24, v0
	v_ashrrev_i32_e32 v3, 31, v3
	v_not_b32_e32 v0, v87
	v_and_b32_e32 v1, v1, v57
	v_xor_b32_e32 v57, vcc_hi, v3
	v_xor_b32_e32 v3, vcc_lo, v3
	v_cmp_gt_i64_e32 vcc, 0, v[86:87]
	v_ashrrev_i32_e32 v0, 31, v0
	v_and_b32_e32 v2, v2, v3
	v_xor_b32_e32 v3, vcc_hi, v0
	v_xor_b32_e32 v0, vcc_lo, v0
	v_and_b32_e32 v1, v1, v57
	v_and_b32_e32 v0, v2, v0
	;; [unrolled: 1-line block ×3, first 2 shown]
	v_mbcnt_lo_u32_b32 v2, v0, 0
	v_mbcnt_hi_u32_b32 v57, v1, v2
	v_cmp_eq_u32_e32 vcc, 0, v57
	v_cmp_ne_u64_e64 s[4:5], 0, v[0:1]
	s_and_b64 s[58:59], s[4:5], vcc
	; wave barrier
	s_and_saveexec_b64 s[4:5], s[58:59]
	s_cbranch_execz .LBB192_49
; %bb.48:                               ;   in Loop: Header=BB192_35 Depth=1
	v_bcnt_u32_b32 v0, v0, 0
	v_bcnt_u32_b32 v0, v1, v0
	s_waitcnt lgkmcnt(0)
	v_add_u32_e32 v0, v55, v0
	ds_write_b32 v56, v0
.LBB192_49:                             ;   in Loop: Header=BB192_35 Depth=1
	s_or_b64 exec, exec, s[4:5]
	v_cmp_ne_u64_e32 vcc, s[44:45], v[88:89]
	v_cndmask_b32_e32 v1, v125, v89, vcc
	v_cndmask_b32_e32 v0, 0, v88, vcc
	v_lshrrev_b64 v[0:1], s52, v[0:1]
	v_and_b32_e32 v0, s57, v0
	v_lshlrev_b32_e32 v1, 1, v0
	v_add_lshl_u32 v1, v1, v127, 2
	; wave barrier
	v_add_u32_e32 v59, 8, v1
	ds_read_b32 v58, v1 offset:8
	v_and_b32_e32 v1, 1, v0
	v_add_co_u32_e32 v2, vcc, -1, v1
	v_addc_co_u32_e64 v3, s[4:5], 0, -1, vcc
	v_cmp_ne_u32_e32 vcc, 0, v1
	v_lshlrev_b32_e32 v87, 30, v0
	v_xor_b32_e32 v1, vcc_hi, v3
	v_not_b32_e32 v3, v87
	v_xor_b32_e32 v2, vcc_lo, v2
	v_cmp_gt_i64_e32 vcc, 0, v[86:87]
	v_ashrrev_i32_e32 v3, 31, v3
	v_and_b32_e32 v2, exec_lo, v2
	v_xor_b32_e32 v60, vcc_hi, v3
	v_xor_b32_e32 v3, vcc_lo, v3
	v_lshlrev_b32_e32 v87, 29, v0
	v_and_b32_e32 v2, v2, v3
	v_not_b32_e32 v3, v87
	v_and_b32_e32 v1, exec_hi, v1
	v_cmp_gt_i64_e32 vcc, 0, v[86:87]
	v_ashrrev_i32_e32 v3, 31, v3
	v_and_b32_e32 v1, v1, v60
	v_xor_b32_e32 v60, vcc_hi, v3
	v_xor_b32_e32 v3, vcc_lo, v3
	v_lshlrev_b32_e32 v87, 28, v0
	v_and_b32_e32 v2, v2, v3
	v_not_b32_e32 v3, v87
	v_cmp_gt_i64_e32 vcc, 0, v[86:87]
	v_ashrrev_i32_e32 v3, 31, v3
	v_and_b32_e32 v1, v1, v60
	v_xor_b32_e32 v60, vcc_hi, v3
	v_xor_b32_e32 v3, vcc_lo, v3
	v_lshlrev_b32_e32 v87, 27, v0
	v_and_b32_e32 v2, v2, v3
	v_not_b32_e32 v3, v87
	;; [unrolled: 8-line block ×3, first 2 shown]
	v_cmp_gt_i64_e32 vcc, 0, v[86:87]
	v_ashrrev_i32_e32 v3, 31, v3
	v_and_b32_e32 v1, v1, v60
	v_xor_b32_e32 v60, vcc_hi, v3
	v_xor_b32_e32 v3, vcc_lo, v3
	v_lshlrev_b32_e32 v87, 25, v0
	v_and_b32_e32 v2, v2, v3
	v_cmp_gt_i64_e32 vcc, 0, v[86:87]
	v_not_b32_e32 v3, v87
	v_lshlrev_b32_e32 v87, 24, v0
	v_ashrrev_i32_e32 v3, 31, v3
	v_not_b32_e32 v0, v87
	v_and_b32_e32 v1, v1, v60
	v_xor_b32_e32 v60, vcc_hi, v3
	v_xor_b32_e32 v3, vcc_lo, v3
	v_cmp_gt_i64_e32 vcc, 0, v[86:87]
	v_ashrrev_i32_e32 v0, 31, v0
	v_and_b32_e32 v2, v2, v3
	v_xor_b32_e32 v3, vcc_hi, v0
	v_xor_b32_e32 v0, vcc_lo, v0
	v_and_b32_e32 v1, v1, v60
	v_and_b32_e32 v0, v2, v0
	;; [unrolled: 1-line block ×3, first 2 shown]
	v_mbcnt_lo_u32_b32 v2, v0, 0
	v_mbcnt_hi_u32_b32 v60, v1, v2
	v_cmp_eq_u32_e32 vcc, 0, v60
	v_cmp_ne_u64_e64 s[4:5], 0, v[0:1]
	s_and_b64 s[58:59], s[4:5], vcc
	; wave barrier
	s_and_saveexec_b64 s[4:5], s[58:59]
	s_cbranch_execz .LBB192_51
; %bb.50:                               ;   in Loop: Header=BB192_35 Depth=1
	v_bcnt_u32_b32 v0, v0, 0
	v_bcnt_u32_b32 v0, v1, v0
	s_waitcnt lgkmcnt(0)
	v_add_u32_e32 v0, v58, v0
	ds_write_b32 v59, v0
.LBB192_51:                             ;   in Loop: Header=BB192_35 Depth=1
	s_or_b64 exec, exec, s[4:5]
	; wave barrier
	s_waitcnt lgkmcnt(0)
	s_barrier
	ds_read2_b32 v[2:3], v112 offset0:2 offset1:3
	ds_read2_b32 v[0:1], v126 offset0:2 offset1:3
	s_waitcnt lgkmcnt(1)
	v_add_u32_e32 v61, v3, v2
	s_waitcnt lgkmcnt(0)
	v_add3_u32 v1, v61, v0, v1
	s_nop 1
	v_mov_b32_dpp v61, v1 row_shr:1 row_mask:0xf bank_mask:0xf
	v_cndmask_b32_e64 v61, v61, 0, s[22:23]
	v_add_u32_e32 v1, v61, v1
	s_nop 1
	v_mov_b32_dpp v61, v1 row_shr:2 row_mask:0xf bank_mask:0xf
	v_cndmask_b32_e64 v61, 0, v61, s[24:25]
	v_add_u32_e32 v1, v1, v61
	;; [unrolled: 4-line block ×4, first 2 shown]
	s_nop 1
	v_mov_b32_dpp v61, v1 row_bcast:15 row_mask:0xf bank_mask:0xf
	v_cndmask_b32_e64 v61, v61, 0, s[30:31]
	v_add_u32_e32 v1, v1, v61
	s_nop 1
	v_mov_b32_dpp v61, v1 row_bcast:31 row_mask:0xf bank_mask:0xf
	v_cndmask_b32_e64 v61, 0, v61, s[34:35]
	v_add_u32_e32 v1, v1, v61
	s_and_saveexec_b64 s[4:5], s[36:37]
	s_cbranch_execz .LBB192_53
; %bb.52:                               ;   in Loop: Header=BB192_35 Depth=1
	ds_write_b32 v129, v1
.LBB192_53:                             ;   in Loop: Header=BB192_35 Depth=1
	s_or_b64 exec, exec, s[4:5]
	s_waitcnt lgkmcnt(0)
	s_barrier
	s_and_saveexec_b64 s[4:5], s[16:17]
	s_cbranch_execz .LBB192_55
; %bb.54:                               ;   in Loop: Header=BB192_35 Depth=1
	ds_read_b32 v61, v69
	s_waitcnt lgkmcnt(0)
	s_nop 0
	v_mov_b32_dpp v62, v61 row_shr:1 row_mask:0xf bank_mask:0xf
	v_cndmask_b32_e64 v62, v62, 0, s[40:41]
	v_add_u32_e32 v61, v62, v61
	ds_write_b32 v69, v61
.LBB192_55:                             ;   in Loop: Header=BB192_35 Depth=1
	s_or_b64 exec, exec, s[4:5]
	v_mov_b32_e32 v61, 0
	s_waitcnt lgkmcnt(0)
	s_barrier
	s_and_saveexec_b64 s[4:5], s[18:19]
	s_cbranch_execz .LBB192_57
; %bb.56:                               ;   in Loop: Header=BB192_35 Depth=1
	ds_read_b32 v61, v130
.LBB192_57:                             ;   in Loop: Header=BB192_35 Depth=1
	s_or_b64 exec, exec, s[4:5]
	s_waitcnt lgkmcnt(0)
	v_add_u32_e32 v1, v61, v1
	ds_bpermute_b32 v1, v128, v1
	s_cmp_gt_u32 s52, 55
	s_waitcnt lgkmcnt(0)
	v_cndmask_b32_e64 v1, v1, v61, s[38:39]
	v_cndmask_b32_e64 v1, v1, 0, s[20:21]
	v_add_u32_e32 v2, v1, v2
	v_add_u32_e32 v3, v2, v3
	;; [unrolled: 1-line block ×3, first 2 shown]
	ds_write2_b32 v112, v1, v2 offset0:2 offset1:3
	ds_write2_b32 v126, v3, v0 offset0:2 offset1:3
	s_waitcnt lgkmcnt(0)
	s_barrier
	ds_read_b32 v0, v4
	ds_read_b32 v1, v7
	ds_read_b32 v2, v10
	ds_read_b32 v3, v13
	ds_read_b32 v4, v50
	ds_read_b32 v7, v53
	ds_read_b32 v10, v56
	ds_read_b32 v13, v59
	s_waitcnt lgkmcnt(7)
	v_add_u32_e32 v138, v0, v5
	s_waitcnt lgkmcnt(6)
	v_add3_u32 v137, v8, v6, v1
	s_waitcnt lgkmcnt(5)
	v_add3_u32 v136, v11, v9, v2
	;; [unrolled: 2-line block ×7, first 2 shown]
	s_cbranch_scc0 .LBB192_34
; %bb.58:
                                        ; implicit-def: $vgpr14_vgpr15
                                        ; implicit-def: $vgpr10_vgpr11
                                        ; implicit-def: $vgpr6_vgpr7
                                        ; implicit-def: $vgpr2_vgpr3
                                        ; implicit-def: $vgpr64_vgpr65
                                        ; implicit-def: $vgpr60_vgpr61
                                        ; implicit-def: $vgpr56_vgpr57
                                        ; implicit-def: $vgpr52_vgpr53
                                        ; implicit-def: $sgpr52_sgpr53
                                        ; implicit-def: $sgpr56
.LBB192_59:
	v_lshlrev_b32_e32 v50, 3, v138
	v_lshlrev_b32_e32 v51, 3, v137
	v_lshlrev_b32_e32 v52, 3, v136
	v_lshlrev_b32_e32 v53, 3, v135
	v_lshlrev_b32_e32 v54, 3, v134
	v_lshlrev_b32_e32 v55, 3, v132
	v_lshlrev_b32_e32 v56, 3, v87
	v_lshlrev_b32_e32 v57, 3, v133
	v_lshlrev_b32_e32 v62, 3, v67
	s_barrier
	ds_write_b64 v50, v[102:103]
	ds_write_b64 v51, v[100:101]
	;; [unrolled: 1-line block ×8, first 2 shown]
	s_waitcnt lgkmcnt(0)
	s_barrier
	ds_read2_b64 v[0:3], v62 offset1:1
	ds_read2_b64 v[4:7], v62 offset0:2 offset1:3
	ds_read2_b64 v[8:11], v62 offset0:4 offset1:5
	ds_read2_b64 v[12:15], v62 offset0:6 offset1:7
	s_waitcnt lgkmcnt(0)
	s_barrier
	ds_write_b64 v50, v[84:85]
	ds_write_b64 v51, v[82:83]
	;; [unrolled: 1-line block ×8, first 2 shown]
	v_ashrrev_i32_e32 v72, 31, v1
	v_not_b32_e32 v72, v72
	v_cmp_lt_i64_e32 vcc, -1, v[0:1]
	v_xor_b32_e32 v0, v72, v0
	v_ashrrev_i32_e32 v72, 31, v3
	v_bfrev_b32_e32 v16, 1
	v_not_b32_e32 v72, v72
	v_cndmask_b32_e64 v17, v16, -1, vcc
	v_cmp_lt_i64_e32 vcc, -1, v[2:3]
	v_xor_b32_e32 v2, v72, v2
	v_ashrrev_i32_e32 v72, 31, v5
	v_not_b32_e32 v72, v72
	v_xor_b32_e32 v1, v17, v1
	v_cndmask_b32_e64 v17, v16, -1, vcc
	v_cmp_lt_i64_e32 vcc, -1, v[4:5]
	v_xor_b32_e32 v4, v72, v4
	v_ashrrev_i32_e32 v72, 31, v7
	s_waitcnt lgkmcnt(0)
	s_barrier
	ds_read2_b64 v[50:53], v62 offset1:1
	ds_read2_b64 v[54:57], v62 offset0:2 offset1:3
	ds_read2_b64 v[58:61], v62 offset0:4 offset1:5
	;; [unrolled: 1-line block ×3, first 2 shown]
	v_xor_b32_e32 v3, v17, v3
	v_cndmask_b32_e64 v17, v16, -1, vcc
	v_cmp_lt_i64_e32 vcc, -1, v[6:7]
	v_not_b32_e32 v72, v72
	v_xor_b32_e32 v5, v17, v5
	v_cndmask_b32_e64 v17, v16, -1, vcc
	v_xor_b32_e32 v6, v72, v6
	v_cmp_lt_i64_e32 vcc, -1, v[8:9]
	v_ashrrev_i32_e32 v72, 31, v9
	v_xor_b32_e32 v7, v17, v7
	v_cndmask_b32_e64 v17, v16, -1, vcc
	v_not_b32_e32 v72, v72
	v_cmp_lt_i64_e32 vcc, -1, v[10:11]
	v_xor_b32_e32 v9, v17, v9
	v_xor_b32_e32 v8, v72, v8
	v_cndmask_b32_e64 v17, v16, -1, vcc
	v_ashrrev_i32_e32 v72, 31, v11
	v_cmp_lt_i64_e32 vcc, -1, v[12:13]
	v_not_b32_e32 v72, v72
	v_xor_b32_e32 v11, v17, v11
	v_cndmask_b32_e64 v17, v16, -1, vcc
	v_xor_b32_e32 v10, v72, v10
	v_ashrrev_i32_e32 v72, 31, v13
	v_xor_b32_e32 v13, v17, v13
	v_cmp_lt_i64_e32 vcc, -1, v[14:15]
	v_ashrrev_i32_e32 v17, 31, v15
	v_not_b32_e32 v72, v72
	v_cndmask_b32_e64 v16, v16, -1, vcc
	v_not_b32_e32 v17, v17
	v_xor_b32_e32 v12, v72, v12
	v_xor_b32_e32 v15, v16, v15
	;; [unrolled: 1-line block ×3, first 2 shown]
	s_branch .LBB192_95
.LBB192_60:
	v_mov_b32_e32 v69, 0
	v_lshlrev_b64 v[2:3], 3, v[68:69]
	v_mov_b32_e32 v4, s54
	v_add_co_u32_e32 v2, vcc, s49, v2
	v_addc_co_u32_e32 v3, vcc, v4, v3, vcc
	global_load_dwordx2 v[2:3], v[2:3], off
	v_mov_b32_e32 v4, v69
	v_mov_b32_e32 v5, v69
	;; [unrolled: 1-line block ×14, first 2 shown]
	s_or_b64 exec, exec, s[4:5]
	s_and_saveexec_b64 s[4:5], s[2:3]
	s_cbranch_execz .LBB192_25
.LBB192_61:
	v_mul_lo_u32 v4, v1, s48
	v_mov_b32_e32 v5, 0
	v_lshlrev_b64 v[4:5], 3, v[4:5]
	v_mov_b32_e32 v1, s54
	v_add_co_u32_e32 v4, vcc, s49, v4
	v_addc_co_u32_e32 v5, vcc, v1, v5, vcc
	global_load_dwordx2 v[4:5], v[4:5], off
	s_or_b64 exec, exec, s[4:5]
	s_and_saveexec_b64 s[4:5], s[42:43]
	s_cbranch_execz .LBB192_26
.LBB192_62:
	v_mul_lo_u32 v6, v34, s48
	v_mov_b32_e32 v7, 0
	v_lshlrev_b64 v[6:7], 3, v[6:7]
	v_mov_b32_e32 v1, s54
	v_add_co_u32_e32 v6, vcc, s49, v6
	v_addc_co_u32_e32 v7, vcc, v1, v7, vcc
	global_load_dwordx2 v[6:7], v[6:7], off
	s_or_b64 exec, exec, s[4:5]
	s_and_saveexec_b64 s[4:5], s[6:7]
	s_cbranch_execz .LBB192_27
.LBB192_63:
	v_mul_lo_u32 v8, v35, s48
	v_mov_b32_e32 v9, 0
	v_lshlrev_b64 v[8:9], 3, v[8:9]
	v_mov_b32_e32 v1, s54
	v_add_co_u32_e32 v8, vcc, s49, v8
	v_addc_co_u32_e32 v9, vcc, v1, v9, vcc
	global_load_dwordx2 v[8:9], v[8:9], off
	s_or_b64 exec, exec, s[4:5]
	s_and_saveexec_b64 s[4:5], s[8:9]
	s_cbranch_execz .LBB192_28
.LBB192_64:
	v_mul_lo_u32 v10, v36, s48
	v_mov_b32_e32 v11, 0
	v_lshlrev_b64 v[10:11], 3, v[10:11]
	v_mov_b32_e32 v1, s54
	v_add_co_u32_e32 v10, vcc, s49, v10
	v_addc_co_u32_e32 v11, vcc, v1, v11, vcc
	global_load_dwordx2 v[10:11], v[10:11], off
	s_or_b64 exec, exec, s[4:5]
	s_and_saveexec_b64 s[4:5], s[10:11]
	s_cbranch_execz .LBB192_29
.LBB192_65:
	v_mul_lo_u32 v12, v37, s48
	v_mov_b32_e32 v13, 0
	v_lshlrev_b64 v[12:13], 3, v[12:13]
	v_mov_b32_e32 v1, s54
	v_add_co_u32_e32 v12, vcc, s49, v12
	v_addc_co_u32_e32 v13, vcc, v1, v13, vcc
	global_load_dwordx2 v[12:13], v[12:13], off
	s_or_b64 exec, exec, s[4:5]
	s_and_saveexec_b64 s[4:5], s[12:13]
	s_cbranch_execz .LBB192_30
.LBB192_66:
	v_mul_lo_u32 v14, v38, s48
	v_mov_b32_e32 v15, 0
	v_lshlrev_b64 v[14:15], 3, v[14:15]
	v_mov_b32_e32 v1, s54
	v_add_co_u32_e32 v14, vcc, s49, v14
	v_addc_co_u32_e32 v15, vcc, v1, v15, vcc
	global_load_dwordx2 v[14:15], v[14:15], off
	s_or_b64 exec, exec, s[4:5]
	s_xor_b64 s[4:5], s[34:35], -1
	s_and_saveexec_b64 s[16:17], s[14:15]
	s_cbranch_execnz .LBB192_31
	s_branch .LBB192_32
.LBB192_67:
                                        ; implicit-def: $vgpr64_vgpr65
                                        ; implicit-def: $vgpr60_vgpr61
                                        ; implicit-def: $vgpr56_vgpr57
                                        ; implicit-def: $vgpr52_vgpr53
                                        ; implicit-def: $vgpr0_vgpr1_vgpr2_vgpr3_vgpr4_vgpr5_vgpr6_vgpr7_vgpr8_vgpr9_vgpr10_vgpr11_vgpr12_vgpr13_vgpr14_vgpr15
	s_cbranch_execz .LBB192_95
; %bb.68:
	v_bfrev_b32_e32 v72, -2
	v_cmp_gt_i64_e32 vcc, 0, v[30:31]
	v_cndmask_b32_e64 v0, v72, 0, vcc
	v_not_b32_e32 v2, v124
	v_cmp_gt_i64_e32 vcc, 0, v[32:33]
	v_xor_b32_e32 v1, v0, v31
	v_xor_b32_e32 v0, v2, v30
	v_cndmask_b32_e64 v2, v72, 0, vcc
	v_not_b32_e32 v4, v123
	v_cmp_gt_i64_e32 vcc, 0, v[26:27]
	v_xor_b32_e32 v3, v2, v33
	v_xor_b32_e32 v2, v4, v32
	;; [unrolled: 5-line block ×7, first 2 shown]
	v_cndmask_b32_e64 v14, v72, 0, vcc
	v_not_b32_e32 v16, v117
	s_waitcnt lgkmcnt(3)
	v_mbcnt_hi_u32_b32 v50, -1, v116
	v_and_b32_e32 v51, 0x3c0, v70
	v_xor_b32_e32 v15, v14, v21
	v_xor_b32_e32 v14, v16, v20
	v_add_lshl_u32 v16, v50, v51, 6
	v_and_b32_e32 v52, 0x1e00, v67
	ds_write2_b64 v16, v[0:1], v[2:3] offset1:1
	ds_write2_b64 v16, v[4:5], v[6:7] offset0:2 offset1:3
	ds_write2_b64 v16, v[8:9], v[10:11] offset0:4 offset1:5
	ds_write2_b64 v16, v[12:13], v[14:15] offset0:6 offset1:7
	v_or_b32_e32 v0, v50, v52
	v_lshlrev_b32_e32 v28, 3, v0
	; wave barrier
	ds_read2st64_b64 v[0:3], v28 offset1:1
	ds_read2st64_b64 v[4:7], v28 offset0:2 offset1:3
	ds_read2st64_b64 v[8:11], v28 offset0:4 offset1:5
	;; [unrolled: 1-line block ×3, first 2 shown]
	; wave barrier
	ds_write2_b64 v16, v[46:47], v[48:49] offset1:1
	ds_write2_b64 v16, v[42:43], v[44:45] offset0:2 offset1:3
	ds_write2_b64 v16, v[38:39], v[40:41] offset0:4 offset1:5
	;; [unrolled: 1-line block ×3, first 2 shown]
	; wave barrier
	ds_read2st64_b64 v[16:19], v28 offset1:1
	ds_read2st64_b64 v[20:23], v28 offset0:2 offset1:3
	ds_read2st64_b64 v[24:27], v28 offset0:4 offset1:5
	ds_read2st64_b64 v[28:31], v28 offset0:6 offset1:7
	s_waitcnt lgkmcnt(0)
	s_barrier
	s_load_dword s16, s[50:51], 0xc
	s_getpc_b64 s[4:5]
	s_add_u32 s4, s4, _ZN7rocprim17ROCPRIM_400000_NS16block_radix_sortIdLj128ELj8ElLj1ELj1ELj0ELNS0_26block_radix_rank_algorithmE1ELNS0_18block_padding_hintE2ELNS0_4arch9wavefront6targetE1EE19radix_bits_per_passE@rel32@lo+4
	s_addc_u32 s5, s5, _ZN7rocprim17ROCPRIM_400000_NS16block_radix_sortIdLj128ELj8ElLj1ELj1ELj0ELNS0_26block_radix_rank_algorithmE1ELNS0_18block_padding_hintE2ELNS0_4arch9wavefront6targetE1EE19radix_bits_per_passE@rel32@hi+12
	s_load_dword s52, s[4:5], 0x0
	s_mov_b32 s50, 0
	v_cmp_gt_u32_e64 s[30:31], 2, v70
	s_waitcnt lgkmcnt(0)
	s_lshr_b32 s4, s16, 16
	s_and_b32 s5, s16, 0xffff
	v_mad_u32_u24 v32, v115, s4, v114
	v_mad_u64_u32 v[32:33], s[4:5], v32, s5, v[70:71]
	v_lshrrev_b32_e32 v74, 6, v32
	v_and_b32_e32 v32, 15, v50
	v_cmp_eq_u32_e64 s[16:17], 0, v32
	v_cmp_lt_u32_e64 s[18:19], 1, v32
	v_cmp_lt_u32_e64 s[20:21], 3, v32
	;; [unrolled: 1-line block ×3, first 2 shown]
	v_and_b32_e32 v32, 16, v50
	v_cmp_eq_u32_e64 s[24:25], 0, v32
	v_min_u32_e32 v32, 64, v51
	v_or_b32_e32 v32, 63, v32
	v_cmp_eq_u32_e64 s[28:29], v32, v70
	v_add_u32_e32 v32, -1, v50
	v_and_b32_e32 v33, 64, v50
	v_cmp_lt_i32_e32 vcc, v32, v33
	v_cndmask_b32_e32 v32, v32, v50, vcc
	v_lshlrev_b32_e32 v75, 2, v32
	v_and_b32_e32 v32, 1, v50
	v_cmp_lt_u32_e64 s[34:35], 63, v70
	v_cmp_eq_u32_e64 s[38:39], 0, v70
	v_and_b32_e32 v70, 60, v113
	v_cmp_eq_u32_e64 s[40:41], 0, v32
	v_and_or_b32 v32, v50, 63, v52
	s_mov_b64 s[44:45], 0
	s_brev_b32 s51, 1
	v_or_b32_e32 v73, 8, v112
	v_cmp_lt_u32_e64 s[26:27], 31, v50
	s_mov_b32 s53, 64
	v_cmp_eq_u32_e64 s[36:37], 0, v50
	v_add_u32_e32 v76, -4, v70
	v_lshlrev_b32_e32 v77, 3, v32
	v_mov_b32_e32 v48, 0
	s_branch .LBB192_70
.LBB192_69:                             ;   in Loop: Header=BB192_70 Depth=1
	v_lshlrev_b32_e32 v16, 3, v84
	v_lshlrev_b32_e32 v17, 3, v83
	;; [unrolled: 1-line block ×8, first 2 shown]
	s_barrier
	ds_write_b64 v16, v[64:65]
	ds_write_b64 v17, v[62:63]
	;; [unrolled: 1-line block ×8, first 2 shown]
	s_waitcnt lgkmcnt(0)
	s_barrier
	ds_read2st64_b64 v[0:3], v77 offset1:1
	ds_read2st64_b64 v[4:7], v77 offset0:2 offset1:3
	ds_read2st64_b64 v[8:11], v77 offset0:4 offset1:5
	;; [unrolled: 1-line block ×3, first 2 shown]
	s_waitcnt lgkmcnt(0)
	s_barrier
	ds_write_b64 v16, v[46:47]
	ds_write_b64 v17, v[44:45]
	ds_write_b64 v18, v[42:43]
	ds_write_b64 v19, v[40:41]
	ds_write_b64 v20, v[38:39]
	ds_write_b64 v21, v[36:37]
	ds_write_b64 v22, v[34:35]
	ds_write_b64 v23, v[32:33]
	s_waitcnt lgkmcnt(0)
	s_barrier
	ds_read2st64_b64 v[16:19], v77 offset1:1
	ds_read2st64_b64 v[20:23], v77 offset0:2 offset1:3
	ds_read2st64_b64 v[24:27], v77 offset0:4 offset1:5
	;; [unrolled: 1-line block ×3, first 2 shown]
	s_add_u32 s44, s44, 8
	s_addc_u32 s45, s45, 0
	s_add_i32 s53, s53, -8
	s_waitcnt lgkmcnt(0)
	s_barrier
	s_cbranch_execz .LBB192_94
.LBB192_70:                             ; =>This Inner Loop Header: Depth=1
	v_pk_mov_b32 v[64:65], v[0:1], v[0:1] op_sel:[0,1]
	s_min_u32 s4, s52, s53
	v_cmp_ne_u64_e32 vcc, s[50:51], v[64:65]
	s_lshl_b32 s4, -1, s4
	v_cndmask_b32_e32 v1, v72, v65, vcc
	v_cndmask_b32_e32 v0, -1, v64, vcc
	s_not_b32 s55, s4
	v_lshrrev_b64 v[0:1], s44, v[0:1]
	v_and_b32_e32 v0, s55, v0
	v_lshl_add_u32 v1, v0, 1, v74
	v_pk_mov_b32 v[60:61], v[4:5], v[4:5] op_sel:[0,1]
	v_lshl_add_u32 v4, v1, 2, 8
	v_and_b32_e32 v1, 1, v0
	v_pk_mov_b32 v[62:63], v[2:3], v[2:3] op_sel:[0,1]
	v_add_co_u32_e32 v2, vcc, -1, v1
	v_addc_co_u32_e64 v3, s[4:5], 0, -1, vcc
	v_cmp_ne_u32_e32 vcc, 0, v1
	v_lshlrev_b32_e32 v49, 30, v0
	v_xor_b32_e32 v1, vcc_hi, v3
	v_not_b32_e32 v3, v49
	v_xor_b32_e32 v2, vcc_lo, v2
	v_cmp_gt_i64_e32 vcc, 0, v[48:49]
	v_ashrrev_i32_e32 v3, 31, v3
	v_and_b32_e32 v2, exec_lo, v2
	v_xor_b32_e32 v5, vcc_hi, v3
	v_xor_b32_e32 v3, vcc_lo, v3
	v_lshlrev_b32_e32 v49, 29, v0
	v_and_b32_e32 v2, v2, v3
	v_not_b32_e32 v3, v49
	v_and_b32_e32 v1, exec_hi, v1
	v_cmp_gt_i64_e32 vcc, 0, v[48:49]
	v_ashrrev_i32_e32 v3, 31, v3
	v_and_b32_e32 v1, v1, v5
	v_xor_b32_e32 v5, vcc_hi, v3
	v_xor_b32_e32 v3, vcc_lo, v3
	v_lshlrev_b32_e32 v49, 28, v0
	v_and_b32_e32 v2, v2, v3
	v_not_b32_e32 v3, v49
	v_cmp_gt_i64_e32 vcc, 0, v[48:49]
	v_ashrrev_i32_e32 v3, 31, v3
	v_and_b32_e32 v1, v1, v5
	v_xor_b32_e32 v5, vcc_hi, v3
	v_xor_b32_e32 v3, vcc_lo, v3
	v_lshlrev_b32_e32 v49, 27, v0
	v_and_b32_e32 v2, v2, v3
	v_not_b32_e32 v3, v49
	;; [unrolled: 8-line block ×3, first 2 shown]
	v_cmp_gt_i64_e32 vcc, 0, v[48:49]
	v_ashrrev_i32_e32 v3, 31, v3
	v_and_b32_e32 v1, v1, v5
	v_xor_b32_e32 v5, vcc_hi, v3
	v_xor_b32_e32 v3, vcc_lo, v3
	v_lshlrev_b32_e32 v49, 25, v0
	v_and_b32_e32 v2, v2, v3
	v_cmp_gt_i64_e32 vcc, 0, v[48:49]
	v_not_b32_e32 v3, v49
	v_lshlrev_b32_e32 v49, 24, v0
	v_ashrrev_i32_e32 v3, 31, v3
	v_not_b32_e32 v0, v49
	v_and_b32_e32 v1, v1, v5
	v_xor_b32_e32 v5, vcc_hi, v3
	v_xor_b32_e32 v3, vcc_lo, v3
	v_cmp_gt_i64_e32 vcc, 0, v[48:49]
	v_ashrrev_i32_e32 v0, 31, v0
	v_and_b32_e32 v2, v2, v3
	v_xor_b32_e32 v3, vcc_hi, v0
	v_xor_b32_e32 v0, vcc_lo, v0
	v_and_b32_e32 v1, v1, v5
	v_and_b32_e32 v0, v2, v0
	v_and_b32_e32 v1, v1, v3
	v_mbcnt_lo_u32_b32 v2, v0, 0
	v_mbcnt_hi_u32_b32 v5, v1, v2
	v_cmp_eq_u32_e32 vcc, 0, v5
	v_cmp_ne_u64_e64 s[4:5], 0, v[0:1]
	v_pk_mov_b32 v[50:51], v[14:15], v[14:15] op_sel:[0,1]
	v_pk_mov_b32 v[52:53], v[12:13], v[12:13] op_sel:[0,1]
	;; [unrolled: 1-line block ×13, first 2 shown]
	s_and_b64 s[56:57], s[4:5], vcc
	ds_write2_b32 v112, v48, v48 offset0:2 offset1:3
	ds_write2_b32 v73, v48, v48 offset0:2 offset1:3
	s_waitcnt lgkmcnt(0)
	s_barrier
	s_waitcnt lgkmcnt(0)
	; wave barrier
	s_and_saveexec_b64 s[4:5], s[56:57]
	s_cbranch_execz .LBB192_72
; %bb.71:                               ;   in Loop: Header=BB192_70 Depth=1
	v_bcnt_u32_b32 v0, v0, 0
	v_bcnt_u32_b32 v0, v1, v0
	ds_write_b32 v4, v0
.LBB192_72:                             ;   in Loop: Header=BB192_70 Depth=1
	s_or_b64 exec, exec, s[4:5]
	v_cmp_ne_u64_e32 vcc, s[50:51], v[62:63]
	v_cndmask_b32_e32 v1, v72, v63, vcc
	v_cndmask_b32_e32 v0, -1, v62, vcc
	v_lshrrev_b64 v[0:1], s44, v[0:1]
	v_and_b32_e32 v0, s55, v0
	v_lshlrev_b32_e32 v1, 1, v0
	v_add_lshl_u32 v1, v1, v74, 2
	; wave barrier
	v_add_u32_e32 v7, 8, v1
	ds_read_b32 v6, v1 offset:8
	v_and_b32_e32 v1, 1, v0
	v_add_co_u32_e32 v2, vcc, -1, v1
	v_addc_co_u32_e64 v3, s[4:5], 0, -1, vcc
	v_cmp_ne_u32_e32 vcc, 0, v1
	v_lshlrev_b32_e32 v49, 30, v0
	v_xor_b32_e32 v1, vcc_hi, v3
	v_not_b32_e32 v3, v49
	v_xor_b32_e32 v2, vcc_lo, v2
	v_cmp_gt_i64_e32 vcc, 0, v[48:49]
	v_ashrrev_i32_e32 v3, 31, v3
	v_and_b32_e32 v2, exec_lo, v2
	v_xor_b32_e32 v8, vcc_hi, v3
	v_xor_b32_e32 v3, vcc_lo, v3
	v_lshlrev_b32_e32 v49, 29, v0
	v_and_b32_e32 v2, v2, v3
	v_not_b32_e32 v3, v49
	v_and_b32_e32 v1, exec_hi, v1
	v_cmp_gt_i64_e32 vcc, 0, v[48:49]
	v_ashrrev_i32_e32 v3, 31, v3
	v_and_b32_e32 v1, v1, v8
	v_xor_b32_e32 v8, vcc_hi, v3
	v_xor_b32_e32 v3, vcc_lo, v3
	v_lshlrev_b32_e32 v49, 28, v0
	v_and_b32_e32 v2, v2, v3
	v_not_b32_e32 v3, v49
	v_cmp_gt_i64_e32 vcc, 0, v[48:49]
	v_ashrrev_i32_e32 v3, 31, v3
	v_and_b32_e32 v1, v1, v8
	v_xor_b32_e32 v8, vcc_hi, v3
	v_xor_b32_e32 v3, vcc_lo, v3
	v_lshlrev_b32_e32 v49, 27, v0
	v_and_b32_e32 v2, v2, v3
	v_not_b32_e32 v3, v49
	;; [unrolled: 8-line block ×3, first 2 shown]
	v_cmp_gt_i64_e32 vcc, 0, v[48:49]
	v_ashrrev_i32_e32 v3, 31, v3
	v_and_b32_e32 v1, v1, v8
	v_xor_b32_e32 v8, vcc_hi, v3
	v_xor_b32_e32 v3, vcc_lo, v3
	v_lshlrev_b32_e32 v49, 25, v0
	v_and_b32_e32 v2, v2, v3
	v_cmp_gt_i64_e32 vcc, 0, v[48:49]
	v_not_b32_e32 v3, v49
	v_lshlrev_b32_e32 v49, 24, v0
	v_ashrrev_i32_e32 v3, 31, v3
	v_not_b32_e32 v0, v49
	v_and_b32_e32 v1, v1, v8
	v_xor_b32_e32 v8, vcc_hi, v3
	v_xor_b32_e32 v3, vcc_lo, v3
	v_cmp_gt_i64_e32 vcc, 0, v[48:49]
	v_ashrrev_i32_e32 v0, 31, v0
	v_and_b32_e32 v2, v2, v3
	v_xor_b32_e32 v3, vcc_hi, v0
	v_xor_b32_e32 v0, vcc_lo, v0
	v_and_b32_e32 v1, v1, v8
	v_and_b32_e32 v0, v2, v0
	;; [unrolled: 1-line block ×3, first 2 shown]
	v_mbcnt_lo_u32_b32 v2, v0, 0
	v_mbcnt_hi_u32_b32 v8, v1, v2
	v_cmp_eq_u32_e32 vcc, 0, v8
	v_cmp_ne_u64_e64 s[4:5], 0, v[0:1]
	s_and_b64 s[56:57], s[4:5], vcc
	; wave barrier
	s_and_saveexec_b64 s[4:5], s[56:57]
	s_cbranch_execz .LBB192_74
; %bb.73:                               ;   in Loop: Header=BB192_70 Depth=1
	v_bcnt_u32_b32 v0, v0, 0
	v_bcnt_u32_b32 v0, v1, v0
	s_waitcnt lgkmcnt(0)
	v_add_u32_e32 v0, v6, v0
	ds_write_b32 v7, v0
.LBB192_74:                             ;   in Loop: Header=BB192_70 Depth=1
	s_or_b64 exec, exec, s[4:5]
	v_cmp_ne_u64_e32 vcc, s[50:51], v[60:61]
	v_cndmask_b32_e32 v1, v72, v61, vcc
	v_cndmask_b32_e32 v0, -1, v60, vcc
	v_lshrrev_b64 v[0:1], s44, v[0:1]
	v_and_b32_e32 v0, s55, v0
	v_lshlrev_b32_e32 v1, 1, v0
	v_add_lshl_u32 v1, v1, v74, 2
	; wave barrier
	v_add_u32_e32 v10, 8, v1
	ds_read_b32 v9, v1 offset:8
	v_and_b32_e32 v1, 1, v0
	v_add_co_u32_e32 v2, vcc, -1, v1
	v_addc_co_u32_e64 v3, s[4:5], 0, -1, vcc
	v_cmp_ne_u32_e32 vcc, 0, v1
	v_lshlrev_b32_e32 v49, 30, v0
	v_xor_b32_e32 v1, vcc_hi, v3
	v_not_b32_e32 v3, v49
	v_xor_b32_e32 v2, vcc_lo, v2
	v_cmp_gt_i64_e32 vcc, 0, v[48:49]
	v_ashrrev_i32_e32 v3, 31, v3
	v_and_b32_e32 v2, exec_lo, v2
	v_xor_b32_e32 v11, vcc_hi, v3
	v_xor_b32_e32 v3, vcc_lo, v3
	v_lshlrev_b32_e32 v49, 29, v0
	v_and_b32_e32 v2, v2, v3
	v_not_b32_e32 v3, v49
	v_and_b32_e32 v1, exec_hi, v1
	v_cmp_gt_i64_e32 vcc, 0, v[48:49]
	v_ashrrev_i32_e32 v3, 31, v3
	v_and_b32_e32 v1, v1, v11
	v_xor_b32_e32 v11, vcc_hi, v3
	v_xor_b32_e32 v3, vcc_lo, v3
	v_lshlrev_b32_e32 v49, 28, v0
	v_and_b32_e32 v2, v2, v3
	v_not_b32_e32 v3, v49
	v_cmp_gt_i64_e32 vcc, 0, v[48:49]
	v_ashrrev_i32_e32 v3, 31, v3
	v_and_b32_e32 v1, v1, v11
	v_xor_b32_e32 v11, vcc_hi, v3
	v_xor_b32_e32 v3, vcc_lo, v3
	v_lshlrev_b32_e32 v49, 27, v0
	v_and_b32_e32 v2, v2, v3
	v_not_b32_e32 v3, v49
	v_cmp_gt_i64_e32 vcc, 0, v[48:49]
	v_ashrrev_i32_e32 v3, 31, v3
	v_and_b32_e32 v1, v1, v11
	v_xor_b32_e32 v11, vcc_hi, v3
	v_xor_b32_e32 v3, vcc_lo, v3
	v_lshlrev_b32_e32 v49, 26, v0
	v_and_b32_e32 v2, v2, v3
	v_not_b32_e32 v3, v49
	v_cmp_gt_i64_e32 vcc, 0, v[48:49]
	v_ashrrev_i32_e32 v3, 31, v3
	v_and_b32_e32 v1, v1, v11
	v_xor_b32_e32 v11, vcc_hi, v3
	v_xor_b32_e32 v3, vcc_lo, v3
	v_lshlrev_b32_e32 v49, 25, v0
	v_and_b32_e32 v2, v2, v3
	v_cmp_gt_i64_e32 vcc, 0, v[48:49]
	v_not_b32_e32 v3, v49
	v_lshlrev_b32_e32 v49, 24, v0
	v_ashrrev_i32_e32 v3, 31, v3
	v_not_b32_e32 v0, v49
	v_and_b32_e32 v1, v1, v11
	v_xor_b32_e32 v11, vcc_hi, v3
	v_xor_b32_e32 v3, vcc_lo, v3
	v_cmp_gt_i64_e32 vcc, 0, v[48:49]
	v_ashrrev_i32_e32 v0, 31, v0
	v_and_b32_e32 v2, v2, v3
	v_xor_b32_e32 v3, vcc_hi, v0
	v_xor_b32_e32 v0, vcc_lo, v0
	v_and_b32_e32 v1, v1, v11
	v_and_b32_e32 v0, v2, v0
	;; [unrolled: 1-line block ×3, first 2 shown]
	v_mbcnt_lo_u32_b32 v2, v0, 0
	v_mbcnt_hi_u32_b32 v11, v1, v2
	v_cmp_eq_u32_e32 vcc, 0, v11
	v_cmp_ne_u64_e64 s[4:5], 0, v[0:1]
	s_and_b64 s[56:57], s[4:5], vcc
	; wave barrier
	s_and_saveexec_b64 s[4:5], s[56:57]
	s_cbranch_execz .LBB192_76
; %bb.75:                               ;   in Loop: Header=BB192_70 Depth=1
	v_bcnt_u32_b32 v0, v0, 0
	v_bcnt_u32_b32 v0, v1, v0
	s_waitcnt lgkmcnt(0)
	v_add_u32_e32 v0, v9, v0
	ds_write_b32 v10, v0
.LBB192_76:                             ;   in Loop: Header=BB192_70 Depth=1
	s_or_b64 exec, exec, s[4:5]
	v_cmp_ne_u64_e32 vcc, s[50:51], v[58:59]
	v_cndmask_b32_e32 v1, v72, v59, vcc
	v_cndmask_b32_e32 v0, -1, v58, vcc
	v_lshrrev_b64 v[0:1], s44, v[0:1]
	v_and_b32_e32 v0, s55, v0
	v_lshlrev_b32_e32 v1, 1, v0
	v_add_lshl_u32 v1, v1, v74, 2
	; wave barrier
	v_add_u32_e32 v13, 8, v1
	ds_read_b32 v12, v1 offset:8
	v_and_b32_e32 v1, 1, v0
	v_add_co_u32_e32 v2, vcc, -1, v1
	v_addc_co_u32_e64 v3, s[4:5], 0, -1, vcc
	v_cmp_ne_u32_e32 vcc, 0, v1
	v_lshlrev_b32_e32 v49, 30, v0
	v_xor_b32_e32 v1, vcc_hi, v3
	v_not_b32_e32 v3, v49
	v_xor_b32_e32 v2, vcc_lo, v2
	v_cmp_gt_i64_e32 vcc, 0, v[48:49]
	v_ashrrev_i32_e32 v3, 31, v3
	v_and_b32_e32 v2, exec_lo, v2
	v_xor_b32_e32 v14, vcc_hi, v3
	v_xor_b32_e32 v3, vcc_lo, v3
	v_lshlrev_b32_e32 v49, 29, v0
	v_and_b32_e32 v2, v2, v3
	v_not_b32_e32 v3, v49
	v_and_b32_e32 v1, exec_hi, v1
	v_cmp_gt_i64_e32 vcc, 0, v[48:49]
	v_ashrrev_i32_e32 v3, 31, v3
	v_and_b32_e32 v1, v1, v14
	v_xor_b32_e32 v14, vcc_hi, v3
	v_xor_b32_e32 v3, vcc_lo, v3
	v_lshlrev_b32_e32 v49, 28, v0
	v_and_b32_e32 v2, v2, v3
	v_not_b32_e32 v3, v49
	v_cmp_gt_i64_e32 vcc, 0, v[48:49]
	v_ashrrev_i32_e32 v3, 31, v3
	v_and_b32_e32 v1, v1, v14
	v_xor_b32_e32 v14, vcc_hi, v3
	v_xor_b32_e32 v3, vcc_lo, v3
	v_lshlrev_b32_e32 v49, 27, v0
	v_and_b32_e32 v2, v2, v3
	v_not_b32_e32 v3, v49
	;; [unrolled: 8-line block ×3, first 2 shown]
	v_cmp_gt_i64_e32 vcc, 0, v[48:49]
	v_ashrrev_i32_e32 v3, 31, v3
	v_and_b32_e32 v1, v1, v14
	v_xor_b32_e32 v14, vcc_hi, v3
	v_xor_b32_e32 v3, vcc_lo, v3
	v_lshlrev_b32_e32 v49, 25, v0
	v_and_b32_e32 v2, v2, v3
	v_cmp_gt_i64_e32 vcc, 0, v[48:49]
	v_not_b32_e32 v3, v49
	v_lshlrev_b32_e32 v49, 24, v0
	v_ashrrev_i32_e32 v3, 31, v3
	v_not_b32_e32 v0, v49
	v_and_b32_e32 v1, v1, v14
	v_xor_b32_e32 v14, vcc_hi, v3
	v_xor_b32_e32 v3, vcc_lo, v3
	v_cmp_gt_i64_e32 vcc, 0, v[48:49]
	v_ashrrev_i32_e32 v0, 31, v0
	v_and_b32_e32 v2, v2, v3
	v_xor_b32_e32 v3, vcc_hi, v0
	v_xor_b32_e32 v0, vcc_lo, v0
	v_and_b32_e32 v1, v1, v14
	v_and_b32_e32 v0, v2, v0
	;; [unrolled: 1-line block ×3, first 2 shown]
	v_mbcnt_lo_u32_b32 v2, v0, 0
	v_mbcnt_hi_u32_b32 v14, v1, v2
	v_cmp_eq_u32_e32 vcc, 0, v14
	v_cmp_ne_u64_e64 s[4:5], 0, v[0:1]
	s_and_b64 s[56:57], s[4:5], vcc
	; wave barrier
	s_and_saveexec_b64 s[4:5], s[56:57]
	s_cbranch_execz .LBB192_78
; %bb.77:                               ;   in Loop: Header=BB192_70 Depth=1
	v_bcnt_u32_b32 v0, v0, 0
	v_bcnt_u32_b32 v0, v1, v0
	s_waitcnt lgkmcnt(0)
	v_add_u32_e32 v0, v12, v0
	ds_write_b32 v13, v0
.LBB192_78:                             ;   in Loop: Header=BB192_70 Depth=1
	s_or_b64 exec, exec, s[4:5]
	v_cmp_ne_u64_e32 vcc, s[50:51], v[56:57]
	v_cndmask_b32_e32 v1, v72, v57, vcc
	v_cndmask_b32_e32 v0, -1, v56, vcc
	v_lshrrev_b64 v[0:1], s44, v[0:1]
	v_and_b32_e32 v0, s55, v0
	v_lshlrev_b32_e32 v1, 1, v0
	v_add_lshl_u32 v1, v1, v74, 2
	; wave barrier
	v_add_u32_e32 v16, 8, v1
	ds_read_b32 v15, v1 offset:8
	v_and_b32_e32 v1, 1, v0
	v_add_co_u32_e32 v2, vcc, -1, v1
	v_addc_co_u32_e64 v3, s[4:5], 0, -1, vcc
	v_cmp_ne_u32_e32 vcc, 0, v1
	v_lshlrev_b32_e32 v49, 30, v0
	v_xor_b32_e32 v1, vcc_hi, v3
	v_not_b32_e32 v3, v49
	v_xor_b32_e32 v2, vcc_lo, v2
	v_cmp_gt_i64_e32 vcc, 0, v[48:49]
	v_ashrrev_i32_e32 v3, 31, v3
	v_and_b32_e32 v2, exec_lo, v2
	v_xor_b32_e32 v17, vcc_hi, v3
	v_xor_b32_e32 v3, vcc_lo, v3
	v_lshlrev_b32_e32 v49, 29, v0
	v_and_b32_e32 v2, v2, v3
	v_not_b32_e32 v3, v49
	v_and_b32_e32 v1, exec_hi, v1
	v_cmp_gt_i64_e32 vcc, 0, v[48:49]
	v_ashrrev_i32_e32 v3, 31, v3
	v_and_b32_e32 v1, v1, v17
	v_xor_b32_e32 v17, vcc_hi, v3
	v_xor_b32_e32 v3, vcc_lo, v3
	v_lshlrev_b32_e32 v49, 28, v0
	v_and_b32_e32 v2, v2, v3
	v_not_b32_e32 v3, v49
	v_cmp_gt_i64_e32 vcc, 0, v[48:49]
	v_ashrrev_i32_e32 v3, 31, v3
	v_and_b32_e32 v1, v1, v17
	v_xor_b32_e32 v17, vcc_hi, v3
	v_xor_b32_e32 v3, vcc_lo, v3
	v_lshlrev_b32_e32 v49, 27, v0
	v_and_b32_e32 v2, v2, v3
	v_not_b32_e32 v3, v49
	;; [unrolled: 8-line block ×3, first 2 shown]
	v_cmp_gt_i64_e32 vcc, 0, v[48:49]
	v_ashrrev_i32_e32 v3, 31, v3
	v_and_b32_e32 v1, v1, v17
	v_xor_b32_e32 v17, vcc_hi, v3
	v_xor_b32_e32 v3, vcc_lo, v3
	v_lshlrev_b32_e32 v49, 25, v0
	v_and_b32_e32 v2, v2, v3
	v_cmp_gt_i64_e32 vcc, 0, v[48:49]
	v_not_b32_e32 v3, v49
	v_lshlrev_b32_e32 v49, 24, v0
	v_ashrrev_i32_e32 v3, 31, v3
	v_not_b32_e32 v0, v49
	v_and_b32_e32 v1, v1, v17
	v_xor_b32_e32 v17, vcc_hi, v3
	v_xor_b32_e32 v3, vcc_lo, v3
	v_cmp_gt_i64_e32 vcc, 0, v[48:49]
	v_ashrrev_i32_e32 v0, 31, v0
	v_and_b32_e32 v2, v2, v3
	v_xor_b32_e32 v3, vcc_hi, v0
	v_xor_b32_e32 v0, vcc_lo, v0
	v_and_b32_e32 v1, v1, v17
	v_and_b32_e32 v0, v2, v0
	v_and_b32_e32 v1, v1, v3
	v_mbcnt_lo_u32_b32 v2, v0, 0
	v_mbcnt_hi_u32_b32 v17, v1, v2
	v_cmp_eq_u32_e32 vcc, 0, v17
	v_cmp_ne_u64_e64 s[4:5], 0, v[0:1]
	s_and_b64 s[56:57], s[4:5], vcc
	; wave barrier
	s_and_saveexec_b64 s[4:5], s[56:57]
	s_cbranch_execz .LBB192_80
; %bb.79:                               ;   in Loop: Header=BB192_70 Depth=1
	v_bcnt_u32_b32 v0, v0, 0
	v_bcnt_u32_b32 v0, v1, v0
	s_waitcnt lgkmcnt(0)
	v_add_u32_e32 v0, v15, v0
	ds_write_b32 v16, v0
.LBB192_80:                             ;   in Loop: Header=BB192_70 Depth=1
	s_or_b64 exec, exec, s[4:5]
	v_cmp_ne_u64_e32 vcc, s[50:51], v[54:55]
	v_cndmask_b32_e32 v1, v72, v55, vcc
	v_cndmask_b32_e32 v0, -1, v54, vcc
	v_lshrrev_b64 v[0:1], s44, v[0:1]
	v_and_b32_e32 v0, s55, v0
	v_lshlrev_b32_e32 v1, 1, v0
	v_add_lshl_u32 v1, v1, v74, 2
	; wave barrier
	v_add_u32_e32 v19, 8, v1
	ds_read_b32 v18, v1 offset:8
	v_and_b32_e32 v1, 1, v0
	v_add_co_u32_e32 v2, vcc, -1, v1
	v_addc_co_u32_e64 v3, s[4:5], 0, -1, vcc
	v_cmp_ne_u32_e32 vcc, 0, v1
	v_lshlrev_b32_e32 v49, 30, v0
	v_xor_b32_e32 v1, vcc_hi, v3
	v_not_b32_e32 v3, v49
	v_xor_b32_e32 v2, vcc_lo, v2
	v_cmp_gt_i64_e32 vcc, 0, v[48:49]
	v_ashrrev_i32_e32 v3, 31, v3
	v_and_b32_e32 v2, exec_lo, v2
	v_xor_b32_e32 v20, vcc_hi, v3
	v_xor_b32_e32 v3, vcc_lo, v3
	v_lshlrev_b32_e32 v49, 29, v0
	v_and_b32_e32 v2, v2, v3
	v_not_b32_e32 v3, v49
	v_and_b32_e32 v1, exec_hi, v1
	v_cmp_gt_i64_e32 vcc, 0, v[48:49]
	v_ashrrev_i32_e32 v3, 31, v3
	v_and_b32_e32 v1, v1, v20
	v_xor_b32_e32 v20, vcc_hi, v3
	v_xor_b32_e32 v3, vcc_lo, v3
	v_lshlrev_b32_e32 v49, 28, v0
	v_and_b32_e32 v2, v2, v3
	v_not_b32_e32 v3, v49
	v_cmp_gt_i64_e32 vcc, 0, v[48:49]
	v_ashrrev_i32_e32 v3, 31, v3
	v_and_b32_e32 v1, v1, v20
	v_xor_b32_e32 v20, vcc_hi, v3
	v_xor_b32_e32 v3, vcc_lo, v3
	v_lshlrev_b32_e32 v49, 27, v0
	v_and_b32_e32 v2, v2, v3
	v_not_b32_e32 v3, v49
	;; [unrolled: 8-line block ×3, first 2 shown]
	v_cmp_gt_i64_e32 vcc, 0, v[48:49]
	v_ashrrev_i32_e32 v3, 31, v3
	v_and_b32_e32 v1, v1, v20
	v_xor_b32_e32 v20, vcc_hi, v3
	v_xor_b32_e32 v3, vcc_lo, v3
	v_lshlrev_b32_e32 v49, 25, v0
	v_and_b32_e32 v2, v2, v3
	v_cmp_gt_i64_e32 vcc, 0, v[48:49]
	v_not_b32_e32 v3, v49
	v_lshlrev_b32_e32 v49, 24, v0
	v_ashrrev_i32_e32 v3, 31, v3
	v_not_b32_e32 v0, v49
	v_and_b32_e32 v1, v1, v20
	v_xor_b32_e32 v20, vcc_hi, v3
	v_xor_b32_e32 v3, vcc_lo, v3
	v_cmp_gt_i64_e32 vcc, 0, v[48:49]
	v_ashrrev_i32_e32 v0, 31, v0
	v_and_b32_e32 v2, v2, v3
	v_xor_b32_e32 v3, vcc_hi, v0
	v_xor_b32_e32 v0, vcc_lo, v0
	v_and_b32_e32 v1, v1, v20
	v_and_b32_e32 v0, v2, v0
	;; [unrolled: 1-line block ×3, first 2 shown]
	v_mbcnt_lo_u32_b32 v2, v0, 0
	v_mbcnt_hi_u32_b32 v20, v1, v2
	v_cmp_eq_u32_e32 vcc, 0, v20
	v_cmp_ne_u64_e64 s[4:5], 0, v[0:1]
	s_and_b64 s[56:57], s[4:5], vcc
	; wave barrier
	s_and_saveexec_b64 s[4:5], s[56:57]
	s_cbranch_execz .LBB192_82
; %bb.81:                               ;   in Loop: Header=BB192_70 Depth=1
	v_bcnt_u32_b32 v0, v0, 0
	v_bcnt_u32_b32 v0, v1, v0
	s_waitcnt lgkmcnt(0)
	v_add_u32_e32 v0, v18, v0
	ds_write_b32 v19, v0
.LBB192_82:                             ;   in Loop: Header=BB192_70 Depth=1
	s_or_b64 exec, exec, s[4:5]
	v_cmp_ne_u64_e32 vcc, s[50:51], v[52:53]
	v_cndmask_b32_e32 v1, v72, v53, vcc
	v_cndmask_b32_e32 v0, -1, v52, vcc
	v_lshrrev_b64 v[0:1], s44, v[0:1]
	v_and_b32_e32 v0, s55, v0
	v_lshlrev_b32_e32 v1, 1, v0
	v_add_lshl_u32 v1, v1, v74, 2
	; wave barrier
	v_add_u32_e32 v22, 8, v1
	ds_read_b32 v21, v1 offset:8
	v_and_b32_e32 v1, 1, v0
	v_add_co_u32_e32 v2, vcc, -1, v1
	v_addc_co_u32_e64 v3, s[4:5], 0, -1, vcc
	v_cmp_ne_u32_e32 vcc, 0, v1
	v_lshlrev_b32_e32 v49, 30, v0
	v_xor_b32_e32 v1, vcc_hi, v3
	v_not_b32_e32 v3, v49
	v_xor_b32_e32 v2, vcc_lo, v2
	v_cmp_gt_i64_e32 vcc, 0, v[48:49]
	v_ashrrev_i32_e32 v3, 31, v3
	v_and_b32_e32 v2, exec_lo, v2
	v_xor_b32_e32 v23, vcc_hi, v3
	v_xor_b32_e32 v3, vcc_lo, v3
	v_lshlrev_b32_e32 v49, 29, v0
	v_and_b32_e32 v2, v2, v3
	v_not_b32_e32 v3, v49
	v_and_b32_e32 v1, exec_hi, v1
	v_cmp_gt_i64_e32 vcc, 0, v[48:49]
	v_ashrrev_i32_e32 v3, 31, v3
	v_and_b32_e32 v1, v1, v23
	v_xor_b32_e32 v23, vcc_hi, v3
	v_xor_b32_e32 v3, vcc_lo, v3
	v_lshlrev_b32_e32 v49, 28, v0
	v_and_b32_e32 v2, v2, v3
	v_not_b32_e32 v3, v49
	v_cmp_gt_i64_e32 vcc, 0, v[48:49]
	v_ashrrev_i32_e32 v3, 31, v3
	v_and_b32_e32 v1, v1, v23
	v_xor_b32_e32 v23, vcc_hi, v3
	v_xor_b32_e32 v3, vcc_lo, v3
	v_lshlrev_b32_e32 v49, 27, v0
	v_and_b32_e32 v2, v2, v3
	v_not_b32_e32 v3, v49
	;; [unrolled: 8-line block ×3, first 2 shown]
	v_cmp_gt_i64_e32 vcc, 0, v[48:49]
	v_ashrrev_i32_e32 v3, 31, v3
	v_and_b32_e32 v1, v1, v23
	v_xor_b32_e32 v23, vcc_hi, v3
	v_xor_b32_e32 v3, vcc_lo, v3
	v_lshlrev_b32_e32 v49, 25, v0
	v_and_b32_e32 v2, v2, v3
	v_cmp_gt_i64_e32 vcc, 0, v[48:49]
	v_not_b32_e32 v3, v49
	v_lshlrev_b32_e32 v49, 24, v0
	v_ashrrev_i32_e32 v3, 31, v3
	v_not_b32_e32 v0, v49
	v_and_b32_e32 v1, v1, v23
	v_xor_b32_e32 v23, vcc_hi, v3
	v_xor_b32_e32 v3, vcc_lo, v3
	v_cmp_gt_i64_e32 vcc, 0, v[48:49]
	v_ashrrev_i32_e32 v0, 31, v0
	v_and_b32_e32 v2, v2, v3
	v_xor_b32_e32 v3, vcc_hi, v0
	v_xor_b32_e32 v0, vcc_lo, v0
	v_and_b32_e32 v1, v1, v23
	v_and_b32_e32 v0, v2, v0
	;; [unrolled: 1-line block ×3, first 2 shown]
	v_mbcnt_lo_u32_b32 v2, v0, 0
	v_mbcnt_hi_u32_b32 v23, v1, v2
	v_cmp_eq_u32_e32 vcc, 0, v23
	v_cmp_ne_u64_e64 s[4:5], 0, v[0:1]
	s_and_b64 s[56:57], s[4:5], vcc
	; wave barrier
	s_and_saveexec_b64 s[4:5], s[56:57]
	s_cbranch_execz .LBB192_84
; %bb.83:                               ;   in Loop: Header=BB192_70 Depth=1
	v_bcnt_u32_b32 v0, v0, 0
	v_bcnt_u32_b32 v0, v1, v0
	s_waitcnt lgkmcnt(0)
	v_add_u32_e32 v0, v21, v0
	ds_write_b32 v22, v0
.LBB192_84:                             ;   in Loop: Header=BB192_70 Depth=1
	s_or_b64 exec, exec, s[4:5]
	v_cmp_ne_u64_e32 vcc, s[50:51], v[50:51]
	v_cndmask_b32_e32 v1, v72, v51, vcc
	v_cndmask_b32_e32 v0, -1, v50, vcc
	v_lshrrev_b64 v[0:1], s44, v[0:1]
	v_and_b32_e32 v0, s55, v0
	v_lshlrev_b32_e32 v1, 1, v0
	v_add_lshl_u32 v1, v1, v74, 2
	; wave barrier
	v_add_u32_e32 v25, 8, v1
	ds_read_b32 v24, v1 offset:8
	v_and_b32_e32 v1, 1, v0
	v_add_co_u32_e32 v2, vcc, -1, v1
	v_addc_co_u32_e64 v3, s[4:5], 0, -1, vcc
	v_cmp_ne_u32_e32 vcc, 0, v1
	v_lshlrev_b32_e32 v49, 30, v0
	v_xor_b32_e32 v1, vcc_hi, v3
	v_not_b32_e32 v3, v49
	v_xor_b32_e32 v2, vcc_lo, v2
	v_cmp_gt_i64_e32 vcc, 0, v[48:49]
	v_ashrrev_i32_e32 v3, 31, v3
	v_and_b32_e32 v2, exec_lo, v2
	v_xor_b32_e32 v26, vcc_hi, v3
	v_xor_b32_e32 v3, vcc_lo, v3
	v_lshlrev_b32_e32 v49, 29, v0
	v_and_b32_e32 v2, v2, v3
	v_not_b32_e32 v3, v49
	v_and_b32_e32 v1, exec_hi, v1
	v_cmp_gt_i64_e32 vcc, 0, v[48:49]
	v_ashrrev_i32_e32 v3, 31, v3
	v_and_b32_e32 v1, v1, v26
	v_xor_b32_e32 v26, vcc_hi, v3
	v_xor_b32_e32 v3, vcc_lo, v3
	v_lshlrev_b32_e32 v49, 28, v0
	v_and_b32_e32 v2, v2, v3
	v_not_b32_e32 v3, v49
	v_cmp_gt_i64_e32 vcc, 0, v[48:49]
	v_ashrrev_i32_e32 v3, 31, v3
	v_and_b32_e32 v1, v1, v26
	v_xor_b32_e32 v26, vcc_hi, v3
	v_xor_b32_e32 v3, vcc_lo, v3
	v_lshlrev_b32_e32 v49, 27, v0
	v_and_b32_e32 v2, v2, v3
	v_not_b32_e32 v3, v49
	;; [unrolled: 8-line block ×3, first 2 shown]
	v_cmp_gt_i64_e32 vcc, 0, v[48:49]
	v_ashrrev_i32_e32 v3, 31, v3
	v_and_b32_e32 v1, v1, v26
	v_xor_b32_e32 v26, vcc_hi, v3
	v_xor_b32_e32 v3, vcc_lo, v3
	v_lshlrev_b32_e32 v49, 25, v0
	v_and_b32_e32 v2, v2, v3
	v_cmp_gt_i64_e32 vcc, 0, v[48:49]
	v_not_b32_e32 v3, v49
	v_lshlrev_b32_e32 v49, 24, v0
	v_ashrrev_i32_e32 v3, 31, v3
	v_not_b32_e32 v0, v49
	v_and_b32_e32 v1, v1, v26
	v_xor_b32_e32 v26, vcc_hi, v3
	v_xor_b32_e32 v3, vcc_lo, v3
	v_cmp_gt_i64_e32 vcc, 0, v[48:49]
	v_ashrrev_i32_e32 v0, 31, v0
	v_and_b32_e32 v2, v2, v3
	v_xor_b32_e32 v3, vcc_hi, v0
	v_xor_b32_e32 v0, vcc_lo, v0
	v_and_b32_e32 v1, v1, v26
	v_and_b32_e32 v0, v2, v0
	;; [unrolled: 1-line block ×3, first 2 shown]
	v_mbcnt_lo_u32_b32 v2, v0, 0
	v_mbcnt_hi_u32_b32 v26, v1, v2
	v_cmp_eq_u32_e32 vcc, 0, v26
	v_cmp_ne_u64_e64 s[4:5], 0, v[0:1]
	s_and_b64 s[56:57], s[4:5], vcc
	; wave barrier
	s_and_saveexec_b64 s[4:5], s[56:57]
	s_cbranch_execz .LBB192_86
; %bb.85:                               ;   in Loop: Header=BB192_70 Depth=1
	v_bcnt_u32_b32 v0, v0, 0
	v_bcnt_u32_b32 v0, v1, v0
	s_waitcnt lgkmcnt(0)
	v_add_u32_e32 v0, v24, v0
	ds_write_b32 v25, v0
.LBB192_86:                             ;   in Loop: Header=BB192_70 Depth=1
	s_or_b64 exec, exec, s[4:5]
	; wave barrier
	s_waitcnt lgkmcnt(0)
	s_barrier
	ds_read2_b32 v[2:3], v112 offset0:2 offset1:3
	ds_read2_b32 v[0:1], v73 offset0:2 offset1:3
	s_waitcnt lgkmcnt(1)
	v_add_u32_e32 v27, v3, v2
	s_waitcnt lgkmcnt(0)
	v_add3_u32 v1, v27, v0, v1
	s_nop 1
	v_mov_b32_dpp v27, v1 row_shr:1 row_mask:0xf bank_mask:0xf
	v_cndmask_b32_e64 v27, v27, 0, s[16:17]
	v_add_u32_e32 v1, v27, v1
	s_nop 1
	v_mov_b32_dpp v27, v1 row_shr:2 row_mask:0xf bank_mask:0xf
	v_cndmask_b32_e64 v27, 0, v27, s[18:19]
	v_add_u32_e32 v1, v1, v27
	s_nop 1
	v_mov_b32_dpp v27, v1 row_shr:4 row_mask:0xf bank_mask:0xf
	v_cndmask_b32_e64 v27, 0, v27, s[20:21]
	v_add_u32_e32 v1, v1, v27
	s_nop 1
	v_mov_b32_dpp v27, v1 row_shr:8 row_mask:0xf bank_mask:0xf
	v_cndmask_b32_e64 v27, 0, v27, s[22:23]
	v_add_u32_e32 v1, v1, v27
	s_nop 1
	v_mov_b32_dpp v27, v1 row_bcast:15 row_mask:0xf bank_mask:0xf
	v_cndmask_b32_e64 v27, v27, 0, s[24:25]
	v_add_u32_e32 v1, v1, v27
	s_nop 1
	v_mov_b32_dpp v27, v1 row_bcast:31 row_mask:0xf bank_mask:0xf
	v_cndmask_b32_e64 v27, 0, v27, s[26:27]
	v_add_u32_e32 v1, v1, v27
	s_and_saveexec_b64 s[4:5], s[28:29]
	s_cbranch_execz .LBB192_88
; %bb.87:                               ;   in Loop: Header=BB192_70 Depth=1
	ds_write_b32 v70, v1
.LBB192_88:                             ;   in Loop: Header=BB192_70 Depth=1
	s_or_b64 exec, exec, s[4:5]
	s_waitcnt lgkmcnt(0)
	s_barrier
	s_and_saveexec_b64 s[4:5], s[30:31]
	s_cbranch_execz .LBB192_90
; %bb.89:                               ;   in Loop: Header=BB192_70 Depth=1
	ds_read_b32 v27, v69
	s_waitcnt lgkmcnt(0)
	s_nop 0
	v_mov_b32_dpp v28, v27 row_shr:1 row_mask:0xf bank_mask:0xf
	v_cndmask_b32_e64 v28, v28, 0, s[40:41]
	v_add_u32_e32 v27, v28, v27
	ds_write_b32 v69, v27
.LBB192_90:                             ;   in Loop: Header=BB192_70 Depth=1
	s_or_b64 exec, exec, s[4:5]
	v_mov_b32_e32 v27, 0
	s_waitcnt lgkmcnt(0)
	s_barrier
	s_and_saveexec_b64 s[4:5], s[34:35]
	s_cbranch_execz .LBB192_92
; %bb.91:                               ;   in Loop: Header=BB192_70 Depth=1
	ds_read_b32 v27, v76
.LBB192_92:                             ;   in Loop: Header=BB192_70 Depth=1
	s_or_b64 exec, exec, s[4:5]
	s_waitcnt lgkmcnt(0)
	v_add_u32_e32 v1, v27, v1
	ds_bpermute_b32 v1, v75, v1
	s_cmp_gt_u32 s44, 55
	s_waitcnt lgkmcnt(0)
	v_cndmask_b32_e64 v1, v1, v27, s[36:37]
	v_cndmask_b32_e64 v1, v1, 0, s[38:39]
	v_add_u32_e32 v2, v1, v2
	v_add_u32_e32 v3, v2, v3
	v_add_u32_e32 v0, v3, v0
	ds_write2_b32 v112, v1, v2 offset0:2 offset1:3
	ds_write2_b32 v73, v3, v0 offset0:2 offset1:3
	s_waitcnt lgkmcnt(0)
	s_barrier
	ds_read_b32 v0, v4
	ds_read_b32 v1, v7
	;; [unrolled: 1-line block ×8, first 2 shown]
	s_waitcnt lgkmcnt(7)
	v_add_u32_e32 v84, v0, v5
	s_waitcnt lgkmcnt(6)
	v_add3_u32 v83, v8, v6, v1
	s_waitcnt lgkmcnt(5)
	v_add3_u32 v82, v11, v9, v2
	s_waitcnt lgkmcnt(4)
	v_add3_u32 v81, v14, v12, v3
	s_waitcnt lgkmcnt(3)
	v_add3_u32 v80, v17, v15, v4
	s_waitcnt lgkmcnt(2)
	v_add3_u32 v78, v20, v18, v7
	s_waitcnt lgkmcnt(1)
	v_add3_u32 v49, v23, v21, v10
	s_waitcnt lgkmcnt(0)
	v_add3_u32 v79, v26, v24, v13
	s_cbranch_scc0 .LBB192_69
; %bb.93:
                                        ; implicit-def: $vgpr14_vgpr15
                                        ; implicit-def: $vgpr10_vgpr11
                                        ; implicit-def: $vgpr6_vgpr7
                                        ; implicit-def: $vgpr2_vgpr3
                                        ; implicit-def: $vgpr30_vgpr31
                                        ; implicit-def: $vgpr26_vgpr27
                                        ; implicit-def: $vgpr22_vgpr23
                                        ; implicit-def: $vgpr18_vgpr19
                                        ; implicit-def: $sgpr44_sgpr45
                                        ; implicit-def: $sgpr53
.LBB192_94:
	v_lshlrev_b32_e32 v16, 3, v84
	v_lshlrev_b32_e32 v17, 3, v83
	;; [unrolled: 1-line block ×9, first 2 shown]
	s_barrier
	ds_write_b64 v16, v[64:65]
	ds_write_b64 v17, v[62:63]
	;; [unrolled: 1-line block ×8, first 2 shown]
	s_waitcnt lgkmcnt(0)
	s_barrier
	ds_read2_b64 v[0:3], v24 offset1:1
	ds_read2_b64 v[4:7], v24 offset0:2 offset1:3
	ds_read2_b64 v[8:11], v24 offset0:4 offset1:5
	;; [unrolled: 1-line block ×3, first 2 shown]
	s_waitcnt lgkmcnt(0)
	s_barrier
	ds_write_b64 v16, v[46:47]
	ds_write_b64 v17, v[44:45]
	;; [unrolled: 1-line block ×8, first 2 shown]
	v_ashrrev_i32_e32 v18, 31, v1
	v_not_b32_e32 v18, v18
	v_cmp_gt_i64_e32 vcc, 0, v[0:1]
	v_xor_b32_e32 v0, v18, v0
	v_ashrrev_i32_e32 v18, 31, v3
	v_bfrev_b32_e32 v16, -2
	v_not_b32_e32 v18, v18
	v_cndmask_b32_e64 v17, v16, 0, vcc
	v_cmp_gt_i64_e32 vcc, 0, v[2:3]
	v_xor_b32_e32 v2, v18, v2
	v_ashrrev_i32_e32 v18, 31, v5
	v_not_b32_e32 v18, v18
	v_xor_b32_e32 v1, v17, v1
	v_cndmask_b32_e64 v17, v16, 0, vcc
	v_cmp_gt_i64_e32 vcc, 0, v[4:5]
	v_xor_b32_e32 v4, v18, v4
	v_ashrrev_i32_e32 v18, 31, v7
	s_waitcnt lgkmcnt(0)
	s_barrier
	ds_read2_b64 v[50:53], v24 offset1:1
	ds_read2_b64 v[54:57], v24 offset0:2 offset1:3
	ds_read2_b64 v[58:61], v24 offset0:4 offset1:5
	;; [unrolled: 1-line block ×3, first 2 shown]
	v_xor_b32_e32 v3, v17, v3
	v_cndmask_b32_e64 v17, v16, 0, vcc
	v_cmp_gt_i64_e32 vcc, 0, v[6:7]
	v_not_b32_e32 v18, v18
	v_xor_b32_e32 v5, v17, v5
	v_cndmask_b32_e64 v17, v16, 0, vcc
	v_xor_b32_e32 v6, v18, v6
	v_cmp_gt_i64_e32 vcc, 0, v[8:9]
	v_ashrrev_i32_e32 v18, 31, v9
	v_xor_b32_e32 v7, v17, v7
	v_cndmask_b32_e64 v17, v16, 0, vcc
	v_not_b32_e32 v18, v18
	v_cmp_gt_i64_e32 vcc, 0, v[10:11]
	v_xor_b32_e32 v9, v17, v9
	v_xor_b32_e32 v8, v18, v8
	v_cndmask_b32_e64 v17, v16, 0, vcc
	v_ashrrev_i32_e32 v18, 31, v11
	v_cmp_gt_i64_e32 vcc, 0, v[12:13]
	v_not_b32_e32 v18, v18
	v_xor_b32_e32 v11, v17, v11
	v_cndmask_b32_e64 v17, v16, 0, vcc
	v_xor_b32_e32 v10, v18, v10
	v_ashrrev_i32_e32 v18, 31, v13
	v_xor_b32_e32 v13, v17, v13
	v_cmp_gt_i64_e32 vcc, 0, v[14:15]
	v_ashrrev_i32_e32 v17, 31, v15
	v_not_b32_e32 v18, v18
	v_cndmask_b32_e64 v16, v16, 0, vcc
	v_not_b32_e32 v17, v17
	v_xor_b32_e32 v12, v18, v12
	v_xor_b32_e32 v15, v16, v15
	;; [unrolled: 1-line block ×3, first 2 shown]
.LBB192_95:
	s_waitcnt lgkmcnt(0)
	s_barrier
	ds_write2_b64 v111, v[0:1], v[2:3] offset1:1
	ds_write2_b64 v111, v[4:5], v[6:7] offset0:2 offset1:3
	ds_write2_b64 v111, v[8:9], v[10:11] offset0:4 offset1:5
	;; [unrolled: 1-line block ×3, first 2 shown]
	s_waitcnt lgkmcnt(0)
	s_barrier
	ds_read_b64 v[14:15], v104 offset:1024
	ds_read_b64 v[12:13], v105 offset:2048
	;; [unrolled: 1-line block ×7, first 2 shown]
	v_mov_b32_e32 v67, 0
	v_lshlrev_b64 v[2:3], 3, v[66:67]
	v_mov_b32_e32 v16, s47
	v_add_co_u32_e32 v2, vcc, s33, v2
	v_addc_co_u32_e32 v3, vcc, v16, v3, vcc
	s_and_saveexec_b64 s[4:5], s[0:1]
	s_cbranch_execnz .LBB192_114
; %bb.96:
	s_or_b64 exec, exec, s[4:5]
	s_and_saveexec_b64 s[4:5], s[2:3]
	s_cbranch_execnz .LBB192_115
.LBB192_97:
	s_or_b64 exec, exec, s[4:5]
	s_and_saveexec_b64 s[4:5], s[42:43]
	s_cbranch_execnz .LBB192_116
.LBB192_98:
	s_or_b64 exec, exec, s[4:5]
	s_and_saveexec_b64 s[4:5], s[6:7]
	s_cbranch_execnz .LBB192_117
.LBB192_99:
	s_or_b64 exec, exec, s[4:5]
	s_and_saveexec_b64 s[4:5], s[8:9]
	s_cbranch_execnz .LBB192_118
.LBB192_100:
	s_or_b64 exec, exec, s[4:5]
	s_and_saveexec_b64 s[4:5], s[10:11]
	s_cbranch_execnz .LBB192_119
.LBB192_101:
	s_or_b64 exec, exec, s[4:5]
	s_and_saveexec_b64 s[4:5], s[12:13]
	s_cbranch_execnz .LBB192_120
.LBB192_102:
	s_or_b64 exec, exec, s[4:5]
	s_and_saveexec_b64 s[4:5], s[14:15]
	s_cbranch_execz .LBB192_104
.LBB192_103:
	s_mul_i32 s16, s46, 0x380
	s_mov_b32 s17, 0
	s_lshl_b64 s[16:17], s[16:17], 3
	s_waitcnt lgkmcnt(1)
	v_mov_b32_e32 v4, s17
	v_add_co_u32_e32 v2, vcc, s16, v2
	v_addc_co_u32_e32 v3, vcc, v3, v4, vcc
	s_waitcnt lgkmcnt(0)
	global_store_dwordx2 v[2:3], v[0:1], off
.LBB192_104:
	s_or_b64 exec, exec, s[4:5]
	s_waitcnt lgkmcnt(0)
	s_barrier
	ds_write2_b64 v111, v[50:51], v[52:53] offset1:1
	ds_write2_b64 v111, v[54:55], v[56:57] offset0:2 offset1:3
	ds_write2_b64 v111, v[58:59], v[60:61] offset0:4 offset1:5
	;; [unrolled: 1-line block ×3, first 2 shown]
	s_waitcnt lgkmcnt(0)
	s_barrier
	ds_read_b64 v[14:15], v104 offset:1024
	ds_read_b64 v[12:13], v105 offset:2048
	;; [unrolled: 1-line block ×7, first 2 shown]
	v_mov_b32_e32 v69, 0
	v_lshlrev_b64 v[2:3], 3, v[68:69]
	v_mov_b32_e32 v16, s54
	v_add_co_u32_e32 v2, vcc, s49, v2
	v_addc_co_u32_e32 v3, vcc, v16, v3, vcc
	s_and_saveexec_b64 s[4:5], s[0:1]
	s_cbranch_execnz .LBB192_121
; %bb.105:
	s_or_b64 exec, exec, s[4:5]
	s_and_saveexec_b64 s[0:1], s[2:3]
	s_cbranch_execnz .LBB192_122
.LBB192_106:
	s_or_b64 exec, exec, s[0:1]
	s_and_saveexec_b64 s[0:1], s[42:43]
	s_cbranch_execnz .LBB192_123
.LBB192_107:
	s_or_b64 exec, exec, s[0:1]
	s_and_saveexec_b64 s[0:1], s[6:7]
	s_cbranch_execnz .LBB192_124
.LBB192_108:
	s_or_b64 exec, exec, s[0:1]
	s_and_saveexec_b64 s[0:1], s[8:9]
	s_cbranch_execnz .LBB192_125
.LBB192_109:
	s_or_b64 exec, exec, s[0:1]
	s_and_saveexec_b64 s[0:1], s[10:11]
	s_cbranch_execnz .LBB192_126
.LBB192_110:
	s_or_b64 exec, exec, s[0:1]
	s_and_saveexec_b64 s[0:1], s[12:13]
	s_cbranch_execnz .LBB192_127
.LBB192_111:
	s_or_b64 exec, exec, s[0:1]
	s_and_saveexec_b64 s[0:1], s[14:15]
	s_cbranch_execz .LBB192_113
.LBB192_112:
	s_mul_i32 s0, s48, 0x380
	s_mov_b32 s1, 0
	s_lshl_b64 s[0:1], s[0:1], 3
	s_waitcnt lgkmcnt(1)
	v_mov_b32_e32 v4, s1
	v_add_co_u32_e32 v2, vcc, s0, v2
	v_addc_co_u32_e32 v3, vcc, v3, v4, vcc
	s_waitcnt lgkmcnt(0)
	global_store_dwordx2 v[2:3], v[0:1], off
.LBB192_113:
	s_endpgm
.LBB192_114:
	ds_read_b64 v[16:17], v71
	s_waitcnt lgkmcnt(0)
	global_store_dwordx2 v[2:3], v[16:17], off
	s_or_b64 exec, exec, s[4:5]
	s_and_saveexec_b64 s[4:5], s[2:3]
	s_cbranch_execz .LBB192_97
.LBB192_115:
	s_lshl_b32 s16, s46, 7
	s_mov_b32 s17, 0
	s_lshl_b64 s[16:17], s[16:17], 3
	v_mov_b32_e32 v17, s17
	v_add_co_u32_e32 v16, vcc, s16, v2
	v_addc_co_u32_e32 v17, vcc, v3, v17, vcc
	s_waitcnt lgkmcnt(6)
	global_store_dwordx2 v[16:17], v[14:15], off
	s_or_b64 exec, exec, s[4:5]
	s_and_saveexec_b64 s[4:5], s[42:43]
	s_cbranch_execz .LBB192_98
.LBB192_116:
	s_lshl_b32 s16, s46, 8
	s_mov_b32 s17, 0
	s_lshl_b64 s[16:17], s[16:17], 3
	s_waitcnt lgkmcnt(6)
	v_mov_b32_e32 v15, s17
	v_add_co_u32_e32 v14, vcc, s16, v2
	v_addc_co_u32_e32 v15, vcc, v3, v15, vcc
	s_waitcnt lgkmcnt(5)
	global_store_dwordx2 v[14:15], v[12:13], off
	s_or_b64 exec, exec, s[4:5]
	s_and_saveexec_b64 s[4:5], s[6:7]
	s_cbranch_execz .LBB192_99
.LBB192_117:
	s_mul_i32 s16, s46, 0x180
	s_mov_b32 s17, 0
	s_lshl_b64 s[16:17], s[16:17], 3
	s_waitcnt lgkmcnt(5)
	v_mov_b32_e32 v13, s17
	v_add_co_u32_e32 v12, vcc, s16, v2
	v_addc_co_u32_e32 v13, vcc, v3, v13, vcc
	s_waitcnt lgkmcnt(4)
	global_store_dwordx2 v[12:13], v[10:11], off
	s_or_b64 exec, exec, s[4:5]
	s_and_saveexec_b64 s[4:5], s[8:9]
	s_cbranch_execz .LBB192_100
.LBB192_118:
	s_lshl_b32 s16, s46, 9
	s_mov_b32 s17, 0
	s_lshl_b64 s[16:17], s[16:17], 3
	s_waitcnt lgkmcnt(4)
	v_mov_b32_e32 v11, s17
	v_add_co_u32_e32 v10, vcc, s16, v2
	v_addc_co_u32_e32 v11, vcc, v3, v11, vcc
	s_waitcnt lgkmcnt(3)
	global_store_dwordx2 v[10:11], v[8:9], off
	s_or_b64 exec, exec, s[4:5]
	s_and_saveexec_b64 s[4:5], s[10:11]
	s_cbranch_execz .LBB192_101
.LBB192_119:
	s_mul_i32 s16, s46, 0x280
	s_mov_b32 s17, 0
	s_lshl_b64 s[16:17], s[16:17], 3
	s_waitcnt lgkmcnt(3)
	v_mov_b32_e32 v9, s17
	v_add_co_u32_e32 v8, vcc, s16, v2
	v_addc_co_u32_e32 v9, vcc, v3, v9, vcc
	s_waitcnt lgkmcnt(2)
	global_store_dwordx2 v[8:9], v[6:7], off
	s_or_b64 exec, exec, s[4:5]
	s_and_saveexec_b64 s[4:5], s[12:13]
	s_cbranch_execz .LBB192_102
.LBB192_120:
	s_mul_i32 s16, s46, 0x300
	s_mov_b32 s17, 0
	s_lshl_b64 s[16:17], s[16:17], 3
	s_waitcnt lgkmcnt(2)
	v_mov_b32_e32 v7, s17
	v_add_co_u32_e32 v6, vcc, s16, v2
	v_addc_co_u32_e32 v7, vcc, v3, v7, vcc
	s_waitcnt lgkmcnt(1)
	global_store_dwordx2 v[6:7], v[4:5], off
	s_or_b64 exec, exec, s[4:5]
	s_and_saveexec_b64 s[4:5], s[14:15]
	s_cbranch_execnz .LBB192_103
	s_branch .LBB192_104
.LBB192_121:
	ds_read_b64 v[16:17], v71
	s_waitcnt lgkmcnt(0)
	global_store_dwordx2 v[2:3], v[16:17], off
	s_or_b64 exec, exec, s[4:5]
	s_and_saveexec_b64 s[0:1], s[2:3]
	s_cbranch_execz .LBB192_106
.LBB192_122:
	s_lshl_b32 s2, s48, 7
	s_mov_b32 s3, 0
	s_lshl_b64 s[2:3], s[2:3], 3
	v_mov_b32_e32 v17, s3
	v_add_co_u32_e32 v16, vcc, s2, v2
	v_addc_co_u32_e32 v17, vcc, v3, v17, vcc
	s_waitcnt lgkmcnt(6)
	global_store_dwordx2 v[16:17], v[14:15], off
	s_or_b64 exec, exec, s[0:1]
	s_and_saveexec_b64 s[0:1], s[42:43]
	s_cbranch_execz .LBB192_107
.LBB192_123:
	s_lshl_b32 s2, s48, 8
	s_mov_b32 s3, 0
	s_lshl_b64 s[2:3], s[2:3], 3
	s_waitcnt lgkmcnt(6)
	v_mov_b32_e32 v15, s3
	v_add_co_u32_e32 v14, vcc, s2, v2
	v_addc_co_u32_e32 v15, vcc, v3, v15, vcc
	s_waitcnt lgkmcnt(5)
	global_store_dwordx2 v[14:15], v[12:13], off
	s_or_b64 exec, exec, s[0:1]
	s_and_saveexec_b64 s[0:1], s[6:7]
	s_cbranch_execz .LBB192_108
.LBB192_124:
	s_mul_i32 s2, s48, 0x180
	s_mov_b32 s3, 0
	s_lshl_b64 s[2:3], s[2:3], 3
	s_waitcnt lgkmcnt(5)
	v_mov_b32_e32 v13, s3
	v_add_co_u32_e32 v12, vcc, s2, v2
	v_addc_co_u32_e32 v13, vcc, v3, v13, vcc
	s_waitcnt lgkmcnt(4)
	global_store_dwordx2 v[12:13], v[10:11], off
	s_or_b64 exec, exec, s[0:1]
	s_and_saveexec_b64 s[0:1], s[8:9]
	s_cbranch_execz .LBB192_109
.LBB192_125:
	s_lshl_b32 s2, s48, 9
	s_mov_b32 s3, 0
	s_lshl_b64 s[2:3], s[2:3], 3
	s_waitcnt lgkmcnt(4)
	v_mov_b32_e32 v11, s3
	v_add_co_u32_e32 v10, vcc, s2, v2
	v_addc_co_u32_e32 v11, vcc, v3, v11, vcc
	s_waitcnt lgkmcnt(3)
	global_store_dwordx2 v[10:11], v[8:9], off
	s_or_b64 exec, exec, s[0:1]
	s_and_saveexec_b64 s[0:1], s[10:11]
	s_cbranch_execz .LBB192_110
.LBB192_126:
	s_mul_i32 s2, s48, 0x280
	s_mov_b32 s3, 0
	s_lshl_b64 s[2:3], s[2:3], 3
	s_waitcnt lgkmcnt(3)
	v_mov_b32_e32 v9, s3
	v_add_co_u32_e32 v8, vcc, s2, v2
	v_addc_co_u32_e32 v9, vcc, v3, v9, vcc
	s_waitcnt lgkmcnt(2)
	global_store_dwordx2 v[8:9], v[6:7], off
	s_or_b64 exec, exec, s[0:1]
	s_and_saveexec_b64 s[0:1], s[12:13]
	s_cbranch_execz .LBB192_111
.LBB192_127:
	s_mul_i32 s2, s48, 0x300
	s_mov_b32 s3, 0
	s_lshl_b64 s[2:3], s[2:3], 3
	s_waitcnt lgkmcnt(2)
	v_mov_b32_e32 v7, s3
	v_add_co_u32_e32 v6, vcc, s2, v2
	v_addc_co_u32_e32 v7, vcc, v3, v7, vcc
	s_waitcnt lgkmcnt(1)
	global_store_dwordx2 v[6:7], v[4:5], off
	s_or_b64 exec, exec, s[0:1]
	s_and_saveexec_b64 s[0:1], s[14:15]
	s_cbranch_execnz .LBB192_112
	s_branch .LBB192_113
	.section	.rodata,"a",@progbits
	.p2align	6, 0x0
	.amdhsa_kernel _ZN2at6native18radixSortKVInPlaceILin1ELin1ELi128ELi8EdljEEvNS_4cuda6detail10TensorInfoIT3_T5_EES6_S6_S6_NS4_IT4_S6_EES6_b
		.amdhsa_group_segment_fixed_size 8448
		.amdhsa_private_segment_fixed_size 0
		.amdhsa_kernarg_size 712
		.amdhsa_user_sgpr_count 6
		.amdhsa_user_sgpr_private_segment_buffer 1
		.amdhsa_user_sgpr_dispatch_ptr 0
		.amdhsa_user_sgpr_queue_ptr 0
		.amdhsa_user_sgpr_kernarg_segment_ptr 1
		.amdhsa_user_sgpr_dispatch_id 0
		.amdhsa_user_sgpr_flat_scratch_init 0
		.amdhsa_user_sgpr_kernarg_preload_length 0
		.amdhsa_user_sgpr_kernarg_preload_offset 0
		.amdhsa_user_sgpr_private_segment_size 0
		.amdhsa_uses_dynamic_stack 0
		.amdhsa_system_sgpr_private_segment_wavefront_offset 0
		.amdhsa_system_sgpr_workgroup_id_x 1
		.amdhsa_system_sgpr_workgroup_id_y 1
		.amdhsa_system_sgpr_workgroup_id_z 1
		.amdhsa_system_sgpr_workgroup_info 0
		.amdhsa_system_vgpr_workitem_id 2
		.amdhsa_next_free_vgpr 139
		.amdhsa_next_free_sgpr 60
		.amdhsa_accum_offset 140
		.amdhsa_reserve_vcc 1
		.amdhsa_reserve_flat_scratch 0
		.amdhsa_float_round_mode_32 0
		.amdhsa_float_round_mode_16_64 0
		.amdhsa_float_denorm_mode_32 3
		.amdhsa_float_denorm_mode_16_64 3
		.amdhsa_dx10_clamp 1
		.amdhsa_ieee_mode 1
		.amdhsa_fp16_overflow 0
		.amdhsa_tg_split 0
		.amdhsa_exception_fp_ieee_invalid_op 0
		.amdhsa_exception_fp_denorm_src 0
		.amdhsa_exception_fp_ieee_div_zero 0
		.amdhsa_exception_fp_ieee_overflow 0
		.amdhsa_exception_fp_ieee_underflow 0
		.amdhsa_exception_fp_ieee_inexact 0
		.amdhsa_exception_int_div_zero 0
	.end_amdhsa_kernel
	.section	.text._ZN2at6native18radixSortKVInPlaceILin1ELin1ELi128ELi8EdljEEvNS_4cuda6detail10TensorInfoIT3_T5_EES6_S6_S6_NS4_IT4_S6_EES6_b,"axG",@progbits,_ZN2at6native18radixSortKVInPlaceILin1ELin1ELi128ELi8EdljEEvNS_4cuda6detail10TensorInfoIT3_T5_EES6_S6_S6_NS4_IT4_S6_EES6_b,comdat
.Lfunc_end192:
	.size	_ZN2at6native18radixSortKVInPlaceILin1ELin1ELi128ELi8EdljEEvNS_4cuda6detail10TensorInfoIT3_T5_EES6_S6_S6_NS4_IT4_S6_EES6_b, .Lfunc_end192-_ZN2at6native18radixSortKVInPlaceILin1ELin1ELi128ELi8EdljEEvNS_4cuda6detail10TensorInfoIT3_T5_EES6_S6_S6_NS4_IT4_S6_EES6_b
                                        ; -- End function
	.section	.AMDGPU.csdata,"",@progbits
; Kernel info:
; codeLenInByte = 13936
; NumSgprs: 64
; NumVgprs: 139
; NumAgprs: 0
; TotalNumVgprs: 139
; ScratchSize: 0
; MemoryBound: 0
; FloatMode: 240
; IeeeMode: 1
; LDSByteSize: 8448 bytes/workgroup (compile time only)
; SGPRBlocks: 7
; VGPRBlocks: 17
; NumSGPRsForWavesPerEU: 64
; NumVGPRsForWavesPerEU: 139
; AccumOffset: 140
; Occupancy: 3
; WaveLimiterHint : 1
; COMPUTE_PGM_RSRC2:SCRATCH_EN: 0
; COMPUTE_PGM_RSRC2:USER_SGPR: 6
; COMPUTE_PGM_RSRC2:TRAP_HANDLER: 0
; COMPUTE_PGM_RSRC2:TGID_X_EN: 1
; COMPUTE_PGM_RSRC2:TGID_Y_EN: 1
; COMPUTE_PGM_RSRC2:TGID_Z_EN: 1
; COMPUTE_PGM_RSRC2:TIDIG_COMP_CNT: 2
; COMPUTE_PGM_RSRC3_GFX90A:ACCUM_OFFSET: 34
; COMPUTE_PGM_RSRC3_GFX90A:TG_SPLIT: 0
	.section	.text._ZN2at6native18radixSortKVInPlaceILin1ELin1ELi32ELi4EdljEEvNS_4cuda6detail10TensorInfoIT3_T5_EES6_S6_S6_NS4_IT4_S6_EES6_b,"axG",@progbits,_ZN2at6native18radixSortKVInPlaceILin1ELin1ELi32ELi4EdljEEvNS_4cuda6detail10TensorInfoIT3_T5_EES6_S6_S6_NS4_IT4_S6_EES6_b,comdat
	.protected	_ZN2at6native18radixSortKVInPlaceILin1ELin1ELi32ELi4EdljEEvNS_4cuda6detail10TensorInfoIT3_T5_EES6_S6_S6_NS4_IT4_S6_EES6_b ; -- Begin function _ZN2at6native18radixSortKVInPlaceILin1ELin1ELi32ELi4EdljEEvNS_4cuda6detail10TensorInfoIT3_T5_EES6_S6_S6_NS4_IT4_S6_EES6_b
	.globl	_ZN2at6native18radixSortKVInPlaceILin1ELin1ELi32ELi4EdljEEvNS_4cuda6detail10TensorInfoIT3_T5_EES6_S6_S6_NS4_IT4_S6_EES6_b
	.p2align	8
	.type	_ZN2at6native18radixSortKVInPlaceILin1ELin1ELi32ELi4EdljEEvNS_4cuda6detail10TensorInfoIT3_T5_EES6_S6_S6_NS4_IT4_S6_EES6_b,@function
_ZN2at6native18radixSortKVInPlaceILin1ELin1ELi32ELi4EdljEEvNS_4cuda6detail10TensorInfoIT3_T5_EES6_S6_S6_NS4_IT4_S6_EES6_b: ; @_ZN2at6native18radixSortKVInPlaceILin1ELin1ELi32ELi4EdljEEvNS_4cuda6detail10TensorInfoIT3_T5_EES6_S6_S6_NS4_IT4_S6_EES6_b
; %bb.0:
	s_load_dwordx2 s[0:1], s[4:5], 0x1c8
	s_load_dwordx4 s[28:31], s[4:5], 0xd8
	s_waitcnt lgkmcnt(0)
	s_mul_i32 s1, s1, s8
	s_add_i32 s1, s1, s7
	s_mul_i32 s0, s1, s0
	s_add_i32 s20, s0, s6
	s_cmp_ge_u32 s20, s28
	s_cbranch_scc1 .LBB193_63
; %bb.1:
	s_load_dword s2, s[4:5], 0xd0
	s_mov_b32 s1, 0
	s_mov_b32 s0, s20
	s_waitcnt lgkmcnt(0)
	s_cmp_lt_i32 s2, 2
	s_cbranch_scc1 .LBB193_4
; %bb.2:
	s_add_i32 s0, s2, -1
	s_add_i32 s6, s2, 1
	s_lshl_b64 s[2:3], s[0:1], 2
	s_add_u32 s0, s2, s4
	s_addc_u32 s3, s3, s5
	s_add_u32 s2, s0, 8
	s_addc_u32 s3, s3, 0
	s_mov_b32 s0, s20
.LBB193_3:                              ; =>This Inner Loop Header: Depth=1
	s_load_dword s7, s[2:3], 0x0
	s_load_dword s9, s[2:3], 0x64
	s_mov_b32 s8, s0
	s_waitcnt lgkmcnt(0)
	v_cvt_f32_u32_e32 v1, s7
	s_sub_i32 s0, 0, s7
	v_rcp_iflag_f32_e32 v1, v1
	v_mul_f32_e32 v1, 0x4f7ffffe, v1
	v_cvt_u32_f32_e32 v1, v1
	v_readfirstlane_b32 s10, v1
	s_mul_i32 s0, s0, s10
	s_mul_hi_u32 s0, s10, s0
	s_add_i32 s10, s10, s0
	s_mul_hi_u32 s0, s8, s10
	s_mul_i32 s10, s0, s7
	s_sub_i32 s10, s8, s10
	s_add_i32 s11, s0, 1
	s_sub_i32 s12, s10, s7
	s_cmp_ge_u32 s10, s7
	s_cselect_b32 s0, s11, s0
	s_cselect_b32 s10, s12, s10
	s_add_i32 s11, s0, 1
	s_cmp_ge_u32 s10, s7
	s_cselect_b32 s0, s11, s0
	s_mul_i32 s7, s0, s7
	s_sub_i32 s7, s8, s7
	s_mul_i32 s7, s9, s7
	s_add_i32 s6, s6, -1
	s_add_i32 s1, s7, s1
	s_add_u32 s2, s2, -4
	s_addc_u32 s3, s3, -1
	s_cmp_gt_u32 s6, 2
	s_cbranch_scc1 .LBB193_3
.LBB193_4:
	s_load_dword s2, s[4:5], 0x1b8
	s_mov_b32 s19, 0
	s_waitcnt lgkmcnt(0)
	s_cmp_lt_i32 s2, 2
	s_cbranch_scc1 .LBB193_7
; %bb.5:
	s_add_i32 s18, s2, -1
	s_add_i32 s6, s2, 1
	s_lshl_b64 s[2:3], s[18:19], 2
	s_add_u32 s2, s2, s4
	s_addc_u32 s3, s3, s5
	s_add_u32 s2, s2, 0xf0
	s_addc_u32 s3, s3, 0
.LBB193_6:                              ; =>This Inner Loop Header: Depth=1
	s_load_dword s7, s[2:3], 0x0
	s_load_dword s9, s[2:3], 0x64
	s_mov_b32 s8, s20
	s_waitcnt lgkmcnt(0)
	v_cvt_f32_u32_e32 v1, s7
	s_sub_i32 s10, 0, s7
	v_rcp_iflag_f32_e32 v1, v1
	v_mul_f32_e32 v1, 0x4f7ffffe, v1
	v_cvt_u32_f32_e32 v1, v1
	v_readfirstlane_b32 s11, v1
	s_mul_i32 s10, s10, s11
	s_mul_hi_u32 s10, s11, s10
	s_add_i32 s11, s11, s10
	s_mul_hi_u32 s10, s20, s11
	s_mul_i32 s11, s10, s7
	s_sub_i32 s11, s20, s11
	s_add_i32 s12, s10, 1
	s_sub_i32 s13, s11, s7
	s_cmp_ge_u32 s11, s7
	s_cselect_b32 s10, s12, s10
	s_cselect_b32 s11, s13, s11
	s_add_i32 s12, s10, 1
	s_cmp_ge_u32 s11, s7
	s_cselect_b32 s20, s12, s10
	s_mul_i32 s7, s20, s7
	s_sub_i32 s7, s8, s7
	s_mul_i32 s7, s9, s7
	s_add_i32 s6, s6, -1
	s_add_i32 s19, s7, s19
	s_add_u32 s2, s2, -4
	s_addc_u32 s3, s3, -1
	s_cmp_gt_u32 s6, 2
	s_cbranch_scc1 .LBB193_6
.LBB193_7:
	s_load_dword s2, s[4:5], 0x6c
	s_load_dwordx2 s[26:27], s[4:5], 0x1c0
	s_mov_b32 s8, -1
	s_mov_b32 s10, s8
	s_mov_b32 s12, s8
	s_waitcnt lgkmcnt(0)
	s_mul_i32 s0, s2, s0
	s_load_dwordx2 s[2:3], s[4:5], 0x0
	s_add_i32 s0, s0, s1
	s_bitcmp1_b32 s27, 0
	s_cselect_b64 s[16:17], -1, 0
	s_and_b64 s[6:7], s[16:17], exec
	s_mov_b32 s1, 0
	s_cselect_b32 s9, -1, 0x7fffffff
	s_lshl_b64 s[0:1], s[0:1], 3
	s_waitcnt lgkmcnt(0)
	s_add_u32 s27, s2, s0
	s_mov_b32 s11, s9
	s_mov_b32 s13, s9
	;; [unrolled: 1-line block ×4, first 2 shown]
	v_pk_mov_b32 v[2:3], s[8:9], s[8:9] op_sel:[0,1]
	s_addc_u32 s31, s3, s1
	v_cmp_gt_u32_e64 s[0:1], s29, v0
	v_pk_mov_b32 v[4:5], s[10:11], s[10:11] op_sel:[0,1]
	v_pk_mov_b32 v[6:7], s[12:13], s[12:13] op_sel:[0,1]
	;; [unrolled: 1-line block ×4, first 2 shown]
	v_mul_lo_u32 v34, v0, s30
	s_and_saveexec_b64 s[2:3], s[0:1]
	s_cbranch_execz .LBB193_9
; %bb.8:
	v_mov_b32_e32 v35, 0
	v_lshlrev_b64 v[2:3], 3, v[34:35]
	v_mov_b32_e32 v1, s31
	v_add_co_u32_e32 v2, vcc, s27, v2
	v_addc_co_u32_e32 v3, vcc, v1, v3, vcc
	global_load_dwordx2 v[10:11], v[2:3], off
	v_pk_mov_b32 v[2:3], s[8:9], s[8:9] op_sel:[0,1]
	v_pk_mov_b32 v[4:5], s[10:11], s[10:11] op_sel:[0,1]
	;; [unrolled: 1-line block ×4, first 2 shown]
.LBB193_9:
	s_or_b64 exec, exec, s[2:3]
	v_or_b32_e32 v1, 32, v0
	v_cmp_gt_u32_e64 s[2:3], s29, v1
	s_and_saveexec_b64 s[6:7], s[2:3]
	s_cbranch_execz .LBB193_11
; %bb.10:
	v_mul_lo_u32 v2, v1, s30
	v_mov_b32_e32 v3, 0
	v_lshlrev_b64 v[2:3], 3, v[2:3]
	v_mov_b32_e32 v4, s31
	v_add_co_u32_e32 v2, vcc, s27, v2
	v_addc_co_u32_e32 v3, vcc, v4, v3, vcc
	global_load_dwordx2 v[4:5], v[2:3], off
.LBB193_11:
	s_or_b64 exec, exec, s[6:7]
	s_load_dwordx2 s[10:11], s[4:5], 0xe8
	v_or_b32_e32 v18, 64, v0
	v_cmp_gt_u32_e64 s[24:25], s29, v18
	s_and_saveexec_b64 s[6:7], s[24:25]
	s_cbranch_execz .LBB193_13
; %bb.12:
	v_mul_lo_u32 v2, v18, s30
	v_mov_b32_e32 v3, 0
	v_lshlrev_b64 v[2:3], 3, v[2:3]
	v_mov_b32_e32 v6, s31
	v_add_co_u32_e32 v2, vcc, s27, v2
	v_addc_co_u32_e32 v3, vcc, v6, v3, vcc
	global_load_dwordx2 v[6:7], v[2:3], off
.LBB193_13:
	s_or_b64 exec, exec, s[6:7]
	s_load_dword s8, s[4:5], 0x154
	v_or_b32_e32 v19, 0x60, v0
	v_cmp_gt_u32_e64 s[6:7], s29, v19
	s_and_saveexec_b64 s[4:5], s[6:7]
	s_cbranch_execz .LBB193_15
; %bb.14:
	v_mul_lo_u32 v2, v19, s30
	v_mov_b32_e32 v3, 0
	v_lshlrev_b64 v[2:3], 3, v[2:3]
	v_mov_b32_e32 v8, s31
	v_add_co_u32_e32 v2, vcc, s27, v2
	v_addc_co_u32_e32 v3, vcc, v8, v3, vcc
	global_load_dwordx2 v[8:9], v[2:3], off
.LBB193_15:
	s_or_b64 exec, exec, s[4:5]
	v_lshrrev_b32_e32 v2, 5, v1
	v_add_lshl_u32 v55, v2, v0, 3
	v_lshrrev_b32_e32 v2, 5, v18
	v_add_lshl_u32 v56, v2, v0, 3
	;; [unrolled: 2-line block ×3, first 2 shown]
	v_lshlrev_b32_e32 v26, 2, v0
	v_lshrrev_b32_e32 v2, 3, v0
	v_or_b32_e32 v2, v2, v26
	s_waitcnt lgkmcnt(0)
	s_mul_i32 s4, s8, s20
	v_lshlrev_b32_e32 v54, 3, v0
	v_lshlrev_b32_e32 v58, 3, v2
	s_add_i32 s8, s4, s19
	s_mov_b32 s9, 0
	s_waitcnt vmcnt(0)
	ds_write_b64 v54, v[10:11]
	ds_write_b64 v55, v[4:5] offset:256
	ds_write_b64 v56, v[6:7] offset:512
	;; [unrolled: 1-line block ×3, first 2 shown]
	s_waitcnt lgkmcnt(0)
	; wave barrier
	s_waitcnt lgkmcnt(0)
	ds_read2_b64 v[14:17], v58 offset1:1
	ds_read2_b64 v[10:13], v58 offset0:2 offset1:3
	s_lshl_b64 s[4:5], s[8:9], 3
	s_add_u32 s33, s10, s4
	s_mov_b32 s8, s9
	s_addc_u32 s40, s11, s5
	s_mov_b32 s10, s9
	s_mov_b32 s11, s9
	;; [unrolled: 1-line block ×6, first 2 shown]
	v_pk_mov_b32 v[2:3], s[8:9], s[8:9] op_sel:[0,1]
	v_pk_mov_b32 v[4:5], s[10:11], s[10:11] op_sel:[0,1]
	;; [unrolled: 1-line block ×4, first 2 shown]
	v_pk_mov_b32 v[2:3], 0, 0
	v_mul_lo_u32 v36, v0, s26
	s_waitcnt lgkmcnt(0)
	; wave barrier
	s_waitcnt lgkmcnt(0)
	s_and_saveexec_b64 s[4:5], s[0:1]
	s_cbranch_execnz .LBB193_35
; %bb.16:
	s_or_b64 exec, exec, s[4:5]
	s_and_saveexec_b64 s[4:5], s[2:3]
	s_cbranch_execnz .LBB193_36
.LBB193_17:
	s_or_b64 exec, exec, s[4:5]
	s_and_saveexec_b64 s[4:5], s[24:25]
	s_cbranch_execnz .LBB193_37
.LBB193_18:
	s_or_b64 exec, exec, s[4:5]
	s_xor_b64 s[28:29], s[16:17], -1
	s_and_saveexec_b64 s[4:5], s[6:7]
	s_cbranch_execz .LBB193_20
.LBB193_19:
	v_mul_lo_u32 v8, v19, s26
	v_mov_b32_e32 v9, 0
	v_lshlrev_b64 v[8:9], 3, v[8:9]
	v_mov_b32_e32 v18, s40
	v_add_co_u32_e32 v8, vcc, s33, v8
	v_addc_co_u32_e32 v9, vcc, v18, v9, vcc
	global_load_dwordx2 v[8:9], v[8:9], off
.LBB193_20:
	s_or_b64 exec, exec, s[4:5]
	s_waitcnt vmcnt(0)
	ds_write_b64 v54, v[2:3]
	ds_write_b64 v55, v[4:5] offset:256
	ds_write_b64 v56, v[6:7] offset:512
	;; [unrolled: 1-line block ×3, first 2 shown]
	v_mbcnt_lo_u32_b32 v2, -1, 0
	v_mbcnt_hi_u32_b32 v2, -1, v2
	s_getpc_b64 s[4:5]
	s_add_u32 s4, s4, _ZN7rocprim17ROCPRIM_400000_NS16block_radix_sortIdLj32ELj4ElLj1ELj1ELj0ELNS0_26block_radix_rank_algorithmE1ELNS0_18block_padding_hintE2ELNS0_4arch9wavefront6targetE1EE19radix_bits_per_passE@rel32@lo+4
	s_addc_u32 s5, s5, _ZN7rocprim17ROCPRIM_400000_NS16block_radix_sortIdLj32ELj4ElLj1ELj1ELj0ELNS0_26block_radix_rank_algorithmE1ELNS0_18block_padding_hintE2ELNS0_4arch9wavefront6targetE1EE19radix_bits_per_passE@rel32@hi+12
	v_and_b32_e32 v3, 15, v2
	s_waitcnt lgkmcnt(0)
	; wave barrier
	s_waitcnt lgkmcnt(0)
	ds_read2_b64 v[18:21], v58 offset1:1
	ds_read2_b64 v[22:25], v58 offset0:2 offset1:3
	s_load_dword s41, s[4:5], 0x0
	v_cmp_eq_u32_e64 s[10:11], 0, v3
	v_cmp_lt_u32_e64 s[12:13], 1, v3
	v_cmp_lt_u32_e64 s[14:15], 3, v3
	;; [unrolled: 1-line block ×3, first 2 shown]
	v_and_b32_e32 v3, 16, v2
	v_cmp_eq_u32_e64 s[18:19], 0, v3
	v_add_u32_e32 v3, -1, v2
	v_and_b32_e32 v4, 0x60, v2
	v_cmp_lt_i32_e32 vcc, v3, v4
	s_movk_i32 s4, 0x100
	v_cndmask_b32_e32 v3, v3, v2, vcc
	v_cmp_gt_u32_e64 s[8:9], s4, v0
	v_lshlrev_b32_e32 v37, 5, v0
	s_mov_b32 s42, 0
	s_mov_b32 s4, -1
	v_cmp_eq_u32_e64 s[20:21], 31, v0
	v_lshlrev_b32_e32 v59, 2, v3
	v_cmp_eq_u32_e64 s[22:23], 0, v2
	v_lshlrev_b32_e32 v35, 3, v26
	s_and_b64 vcc, exec, s[28:29]
	v_ashrrev_i32_e32 v64, 31, v15
	v_ashrrev_i32_e32 v63, 31, v17
	;; [unrolled: 1-line block ×4, first 2 shown]
	v_add_u32_e64 v60, 7, 2
	s_waitcnt lgkmcnt(0)
	; wave barrier
	s_waitcnt lgkmcnt(0)
	s_cbranch_vccz .LBB193_38
; %bb.21:
	v_bfrev_b32_e32 v65, 1
	v_cmp_lt_i64_e32 vcc, -1, v[14:15]
	v_cndmask_b32_e32 v2, -1, v65, vcc
	v_cmp_lt_i64_e32 vcc, -1, v[16:17]
	v_cndmask_b32_e32 v4, -1, v65, vcc
	;; [unrolled: 2-line block ×4, first 2 shown]
	v_xor_b32_e32 v3, v2, v15
	v_xor_b32_e32 v2, v64, v14
	;; [unrolled: 1-line block ×8, first 2 shown]
	v_and_b32_e32 v66, 14, v60
	v_mov_b32_e32 v67, 0
	s_brev_b32 s5, -2
	s_movk_i32 s43, 0xe0
	v_pk_mov_b32 v[26:27], v[18:19], v[18:19] op_sel:[0,1]
	v_pk_mov_b32 v[28:29], v[20:21], v[20:21] op_sel:[0,1]
	;; [unrolled: 1-line block ×4, first 2 shown]
	s_branch .LBB193_23
.LBB193_22:                             ;   in Loop: Header=BB193_23 Depth=1
	v_lshlrev_b32_e32 v26, 3, v71
	v_lshlrev_b32_e32 v27, 3, v69
	;; [unrolled: 1-line block ×4, first 2 shown]
	s_waitcnt lgkmcnt(0)
	; wave barrier
	ds_write_b64 v26, v[52:53]
	ds_write_b64 v27, v[50:51]
	;; [unrolled: 1-line block ×4, first 2 shown]
	s_waitcnt lgkmcnt(0)
	; wave barrier
	s_waitcnt lgkmcnt(0)
	ds_read2_b64 v[2:5], v35 offset1:1
	ds_read2_b64 v[6:9], v35 offset0:2 offset1:3
	s_waitcnt lgkmcnt(0)
	; wave barrier
	s_waitcnt lgkmcnt(0)
	ds_write_b64 v26, v[44:45]
	ds_write_b64 v27, v[42:43]
	;; [unrolled: 1-line block ×4, first 2 shown]
	s_waitcnt lgkmcnt(0)
	; wave barrier
	s_waitcnt lgkmcnt(0)
	ds_read2_b64 v[26:29], v35 offset1:1
	ds_read2_b64 v[30:33], v35 offset0:2 offset1:3
	s_add_i32 s42, s42, 4
	s_waitcnt lgkmcnt(0)
	; wave barrier
	s_waitcnt lgkmcnt(0)
	s_cbranch_execz .LBB193_34
.LBB193_23:                             ; =>This Loop Header: Depth=1
                                        ;     Child Loop BB193_26 Depth 2
	v_pk_mov_b32 v[46:47], v[8:9], v[8:9] op_sel:[0,1]
	v_pk_mov_b32 v[48:49], v[6:7], v[6:7] op_sel:[0,1]
	;; [unrolled: 1-line block ×8, first 2 shown]
	s_and_saveexec_b64 s[28:29], s[8:9]
	s_cbranch_execz .LBB193_30
; %bb.24:                               ;   in Loop: Header=BB193_23 Depth=1
	s_mov_b32 s44, 0
	s_mov_b64 s[34:35], 0
	v_pk_mov_b32 v[2:3], v[0:1], v[0:1] op_sel:[0,1]
	s_branch .LBB193_26
.LBB193_25:                             ;   in Loop: Header=BB193_26 Depth=2
	s_or_b64 exec, exec, s[38:39]
	s_add_i32 s44, s44, 2
	v_cmp_eq_u32_e32 vcc, s44, v66
	v_add_u32_e32 v3, 64, v3
	s_or_b64 s[34:35], vcc, s[34:35]
	v_add_u32_e32 v2, 64, v2
	s_andn2_b64 exec, exec, s[34:35]
	s_cbranch_execz .LBB193_30
.LBB193_26:                             ;   Parent Loop BB193_23 Depth=1
                                        ; =>  This Inner Loop Header: Depth=2
	s_or_b32 s36, s44, 1
	v_cmp_le_u32_e64 s[36:37], s36, 7
	v_cmp_le_u32_e64 s[46:47], s44, 7
	s_and_saveexec_b64 s[38:39], s[46:47]
	s_cbranch_execz .LBB193_28
; %bb.27:                               ;   in Loop: Header=BB193_26 Depth=2
	v_lshlrev_b32_e32 v4, 2, v2
	ds_write_b32 v4, v67
.LBB193_28:                             ;   in Loop: Header=BB193_26 Depth=2
	s_or_b64 exec, exec, s[38:39]
	s_and_saveexec_b64 s[38:39], s[36:37]
	s_cbranch_execz .LBB193_25
; %bb.29:                               ;   in Loop: Header=BB193_26 Depth=2
	v_lshlrev_b32_e32 v4, 2, v3
	ds_write_b32 v4, v67
	s_branch .LBB193_25
.LBB193_30:                             ;   in Loop: Header=BB193_23 Depth=1
	s_or_b64 exec, exec, s[28:29]
	s_sub_i32 s28, 64, s42
	s_min_u32 s28, s41, s28
	v_cmp_ne_u64_e32 vcc, s[4:5], v[52:53]
	s_lshl_b32 s28, -1, s28
	v_cndmask_b32_e32 v3, v65, v53, vcc
	v_cndmask_b32_e32 v2, 0, v52, vcc
	s_not_b32 s28, s28
	v_lshrrev_b64 v[2:3], s42, v[2:3]
	v_and_b32_e32 v2, s28, v2
	v_lshrrev_b32_e32 v3, 3, v2
	v_lshlrev_b32_e32 v2, 5, v2
	v_and_or_b32 v2, v2, s43, v0
	v_lshlrev_b32_e32 v2, 1, v2
	v_add_lshl_u32 v27, v2, v3, 1
	ds_read_u16 v26, v27
	v_cmp_ne_u64_e32 vcc, s[4:5], v[50:51]
	v_cndmask_b32_e32 v3, v65, v51, vcc
	s_waitcnt lgkmcnt(0)
	v_add_u16_e32 v2, 1, v26
	ds_write_b16 v27, v2
	v_cndmask_b32_e32 v2, 0, v50, vcc
	v_lshrrev_b64 v[2:3], s42, v[2:3]
	v_and_b32_e32 v2, s28, v2
	v_lshrrev_b32_e32 v3, 3, v2
	v_lshlrev_b32_e32 v2, 5, v2
	v_and_or_b32 v2, v2, s43, v0
	v_lshlrev_b32_e32 v2, 1, v2
	v_add_lshl_u32 v29, v2, v3, 1
	ds_read_u16 v28, v29
	v_cmp_ne_u64_e32 vcc, s[4:5], v[48:49]
	v_cndmask_b32_e32 v3, v65, v49, vcc
	s_waitcnt lgkmcnt(0)
	v_add_u16_e32 v2, 1, v28
	ds_write_b16 v29, v2
	v_cndmask_b32_e32 v2, 0, v48, vcc
	;; [unrolled: 14-line block ×3, first 2 shown]
	v_lshrrev_b64 v[2:3], s42, v[2:3]
	v_and_b32_e32 v2, s28, v2
	v_lshrrev_b32_e32 v3, 3, v2
	v_lshlrev_b32_e32 v2, 5, v2
	v_and_or_b32 v2, v2, s43, v0
	v_lshlrev_b32_e32 v2, 1, v2
	v_add_lshl_u32 v33, v2, v3, 1
	ds_read_u16 v32, v33
	s_waitcnt lgkmcnt(0)
	v_add_u16_e32 v2, 1, v32
	ds_write_b16 v33, v2
	s_waitcnt lgkmcnt(0)
	; wave barrier
	s_waitcnt lgkmcnt(0)
	ds_read2_b32 v[8:9], v37 offset1:1
	ds_read2_b32 v[6:7], v37 offset0:2 offset1:3
	ds_read2_b32 v[2:3], v37 offset0:4 offset1:5
	ds_read2_b32 v[4:5], v37 offset0:6 offset1:7
	s_waitcnt lgkmcnt(3)
	v_add_u32_e32 v68, v9, v8
	s_waitcnt lgkmcnt(2)
	v_add3_u32 v68, v68, v6, v7
	s_waitcnt lgkmcnt(1)
	v_add3_u32 v68, v68, v2, v3
	;; [unrolled: 2-line block ×3, first 2 shown]
	s_nop 1
	v_mov_b32_dpp v68, v5 row_shr:1 row_mask:0xf bank_mask:0xf
	v_cndmask_b32_e64 v68, v68, 0, s[10:11]
	v_add_u32_e32 v5, v68, v5
	s_nop 1
	v_mov_b32_dpp v68, v5 row_shr:2 row_mask:0xf bank_mask:0xf
	v_cndmask_b32_e64 v68, 0, v68, s[12:13]
	v_add_u32_e32 v5, v5, v68
	;; [unrolled: 4-line block ×4, first 2 shown]
	s_nop 1
	v_mov_b32_dpp v68, v5 row_bcast:15 row_mask:0xf bank_mask:0xf
	v_cndmask_b32_e64 v68, v68, 0, s[18:19]
	v_add_u32_e32 v5, v5, v68
	s_and_saveexec_b64 s[28:29], s[20:21]
	s_cbranch_execz .LBB193_32
; %bb.31:                               ;   in Loop: Header=BB193_23 Depth=1
	ds_write_b32 v67, v5 offset:1024
.LBB193_32:                             ;   in Loop: Header=BB193_23 Depth=1
	s_or_b64 exec, exec, s[28:29]
	ds_bpermute_b32 v5, v59, v5
	s_waitcnt lgkmcnt(0)
	; wave barrier
	s_waitcnt lgkmcnt(0)
	ds_read_b32 v68, v67 offset:1024
	s_cmp_gt_u32 s42, 59
	v_cndmask_b32_e64 v5, v5, 0, s[22:23]
	s_waitcnt lgkmcnt(0)
	v_lshl_add_u32 v5, v68, 16, v5
	v_add_u32_e32 v8, v5, v8
	v_add_u32_e32 v9, v8, v9
	ds_write2_b32 v37, v5, v8 offset1:1
	v_add_u32_e32 v5, v9, v6
	v_add_u32_e32 v6, v5, v7
	;; [unrolled: 1-line block ×5, first 2 shown]
	ds_write2_b32 v37, v9, v5 offset0:2 offset1:3
	ds_write2_b32 v37, v6, v2 offset0:4 offset1:5
	;; [unrolled: 1-line block ×3, first 2 shown]
	s_waitcnt lgkmcnt(0)
	; wave barrier
	s_waitcnt lgkmcnt(0)
	ds_read_u16 v2, v27
	ds_read_u16 v3, v29
	;; [unrolled: 1-line block ×4, first 2 shown]
	s_waitcnt lgkmcnt(3)
	v_add_u32_sdwa v71, v2, v26 dst_sel:DWORD dst_unused:UNUSED_PAD src0_sel:DWORD src1_sel:WORD_0
	s_waitcnt lgkmcnt(2)
	v_add_u32_sdwa v69, v3, v28 dst_sel:DWORD dst_unused:UNUSED_PAD src0_sel:DWORD src1_sel:WORD_0
	;; [unrolled: 2-line block ×4, first 2 shown]
	s_cbranch_scc0 .LBB193_22
; %bb.33:
                                        ; implicit-def: $vgpr8_vgpr9
                                        ; implicit-def: $vgpr4_vgpr5
                                        ; implicit-def: $vgpr32_vgpr33
                                        ; implicit-def: $vgpr28_vgpr29
                                        ; implicit-def: $sgpr42
.LBB193_34:
	v_lshlrev_b32_e32 v26, 3, v71
	v_lshlrev_b32_e32 v27, 3, v69
	;; [unrolled: 1-line block ×4, first 2 shown]
	s_waitcnt lgkmcnt(0)
	; wave barrier
	ds_write_b64 v26, v[52:53]
	ds_write_b64 v27, v[50:51]
	;; [unrolled: 1-line block ×4, first 2 shown]
	s_waitcnt lgkmcnt(0)
	; wave barrier
	s_waitcnt lgkmcnt(0)
	ds_read2_b64 v[2:5], v35 offset1:1
	ds_read2_b64 v[6:9], v35 offset0:2 offset1:3
	s_waitcnt lgkmcnt(0)
	; wave barrier
	s_waitcnt lgkmcnt(0)
	ds_write_b64 v26, v[44:45]
	ds_write_b64 v27, v[42:43]
	;; [unrolled: 1-line block ×4, first 2 shown]
	v_bfrev_b32_e32 v38, 1
	v_cmp_lt_i64_e32 vcc, -1, v[2:3]
	v_ashrrev_i32_e32 v40, 31, v3
	s_waitcnt lgkmcnt(0)
	; wave barrier
	s_waitcnt lgkmcnt(0)
	ds_read2_b64 v[26:29], v35 offset1:1
	ds_read2_b64 v[30:33], v35 offset0:2 offset1:3
	v_cndmask_b32_e64 v39, v38, -1, vcc
	v_not_b32_e32 v40, v40
	v_cmp_lt_i64_e32 vcc, -1, v[4:5]
	v_xor_b32_e32 v3, v39, v3
	v_xor_b32_e32 v2, v40, v2
	v_cndmask_b32_e64 v39, v38, -1, vcc
	v_ashrrev_i32_e32 v40, 31, v5
	v_cmp_lt_i64_e32 vcc, -1, v[6:7]
	v_not_b32_e32 v40, v40
	v_xor_b32_e32 v5, v39, v5
	v_cndmask_b32_e64 v39, v38, -1, vcc
	v_xor_b32_e32 v4, v40, v4
	v_ashrrev_i32_e32 v40, 31, v7
	v_xor_b32_e32 v7, v39, v7
	v_cmp_lt_i64_e32 vcc, -1, v[8:9]
	v_ashrrev_i32_e32 v39, 31, v9
	v_not_b32_e32 v40, v40
	v_cndmask_b32_e64 v38, v38, -1, vcc
	v_not_b32_e32 v39, v39
	v_xor_b32_e32 v6, v40, v6
	v_xor_b32_e32 v9, v38, v9
	;; [unrolled: 1-line block ×3, first 2 shown]
	s_branch .LBB193_53
.LBB193_35:
	v_mov_b32_e32 v37, 0
	v_lshlrev_b64 v[2:3], 3, v[36:37]
	v_mov_b32_e32 v4, s40
	v_add_co_u32_e32 v2, vcc, s33, v2
	v_addc_co_u32_e32 v3, vcc, v4, v3, vcc
	global_load_dwordx2 v[2:3], v[2:3], off
	v_mov_b32_e32 v4, v37
	v_mov_b32_e32 v5, v37
	;; [unrolled: 1-line block ×6, first 2 shown]
	s_or_b64 exec, exec, s[4:5]
	s_and_saveexec_b64 s[4:5], s[2:3]
	s_cbranch_execz .LBB193_17
.LBB193_36:
	v_mul_lo_u32 v4, v1, s26
	v_mov_b32_e32 v5, 0
	v_lshlrev_b64 v[4:5], 3, v[4:5]
	v_mov_b32_e32 v20, s40
	v_add_co_u32_e32 v4, vcc, s33, v4
	v_addc_co_u32_e32 v5, vcc, v20, v5, vcc
	global_load_dwordx2 v[4:5], v[4:5], off
	s_or_b64 exec, exec, s[4:5]
	s_and_saveexec_b64 s[4:5], s[24:25]
	s_cbranch_execz .LBB193_18
.LBB193_37:
	v_mul_lo_u32 v6, v18, s26
	v_mov_b32_e32 v7, 0
	v_lshlrev_b64 v[6:7], 3, v[6:7]
	v_mov_b32_e32 v18, s40
	v_add_co_u32_e32 v6, vcc, s33, v6
	v_addc_co_u32_e32 v7, vcc, v18, v7, vcc
	global_load_dwordx2 v[6:7], v[6:7], off
	s_or_b64 exec, exec, s[4:5]
	s_xor_b64 s[28:29], s[16:17], -1
	s_and_saveexec_b64 s[4:5], s[6:7]
	s_cbranch_execnz .LBB193_19
	s_branch .LBB193_20
.LBB193_38:
                                        ; implicit-def: $vgpr32_vgpr33
                                        ; implicit-def: $vgpr28_vgpr29
                                        ; implicit-def: $vgpr2_vgpr3_vgpr4_vgpr5_vgpr6_vgpr7_vgpr8_vgpr9
	s_cbranch_execz .LBB193_53
; %bb.39:
	v_bfrev_b32_e32 v38, -2
	v_cmp_gt_i64_e32 vcc, 0, v[14:15]
	v_cndmask_b32_e64 v2, v38, 0, vcc
	v_not_b32_e32 v4, v64
	v_cmp_gt_i64_e32 vcc, 0, v[16:17]
	v_xor_b32_e32 v3, v2, v15
	v_xor_b32_e32 v2, v4, v14
	v_cndmask_b32_e64 v4, v38, 0, vcc
	v_not_b32_e32 v6, v63
	v_cmp_gt_i64_e32 vcc, 0, v[10:11]
	v_xor_b32_e32 v5, v4, v17
	v_xor_b32_e32 v4, v6, v16
	v_cndmask_b32_e64 v6, v38, 0, vcc
	v_not_b32_e32 v8, v62
	v_cmp_gt_i64_e32 vcc, 0, v[12:13]
	s_mov_b32 s4, 0
	v_xor_b32_e32 v7, v6, v11
	v_xor_b32_e32 v6, v8, v10
	v_cndmask_b32_e64 v8, v38, 0, vcc
	v_not_b32_e32 v10, v61
	s_brev_b32 s5, 1
	v_xor_b32_e32 v9, v8, v13
	v_xor_b32_e32 v8, v10, v12
	v_and_b32_e32 v39, 14, v60
	v_mov_b32_e32 v40, 0
	s_movk_i32 s42, 0xe0
	s_mov_b32 s43, s4
	s_branch .LBB193_41
.LBB193_40:                             ;   in Loop: Header=BB193_41 Depth=1
	v_lshlrev_b32_e32 v18, 3, v44
	v_lshlrev_b32_e32 v19, 3, v42
	;; [unrolled: 1-line block ×4, first 2 shown]
	s_waitcnt lgkmcnt(0)
	; wave barrier
	ds_write_b64 v18, v[32:33]
	ds_write_b64 v19, v[30:31]
	;; [unrolled: 1-line block ×4, first 2 shown]
	s_waitcnt lgkmcnt(0)
	; wave barrier
	s_waitcnt lgkmcnt(0)
	ds_read2_b64 v[2:5], v35 offset1:1
	ds_read2_b64 v[6:9], v35 offset0:2 offset1:3
	s_waitcnt lgkmcnt(0)
	; wave barrier
	s_waitcnt lgkmcnt(0)
	ds_write_b64 v18, v[16:17]
	ds_write_b64 v19, v[14:15]
	ds_write_b64 v20, v[12:13]
	ds_write_b64 v21, v[10:11]
	s_waitcnt lgkmcnt(0)
	; wave barrier
	s_waitcnt lgkmcnt(0)
	ds_read2_b64 v[18:21], v35 offset1:1
	ds_read2_b64 v[22:25], v35 offset0:2 offset1:3
	s_add_i32 s43, s43, 4
	s_waitcnt lgkmcnt(0)
	; wave barrier
	s_waitcnt lgkmcnt(0)
	s_cbranch_execz .LBB193_52
.LBB193_41:                             ; =>This Loop Header: Depth=1
                                        ;     Child Loop BB193_44 Depth 2
	s_waitcnt lgkmcnt(1)
	v_pk_mov_b32 v[26:27], v[8:9], v[8:9] op_sel:[0,1]
	v_pk_mov_b32 v[28:29], v[6:7], v[6:7] op_sel:[0,1]
	s_waitcnt lgkmcnt(0)
	v_pk_mov_b32 v[30:31], v[4:5], v[4:5] op_sel:[0,1]
	v_pk_mov_b32 v[32:33], v[2:3], v[2:3] op_sel:[0,1]
	;; [unrolled: 1-line block ×6, first 2 shown]
	s_and_saveexec_b64 s[28:29], s[8:9]
	s_cbranch_execz .LBB193_48
; %bb.42:                               ;   in Loop: Header=BB193_41 Depth=1
	s_mov_b32 s44, 0
	s_mov_b64 s[34:35], 0
	v_pk_mov_b32 v[2:3], v[0:1], v[0:1] op_sel:[0,1]
	s_branch .LBB193_44
.LBB193_43:                             ;   in Loop: Header=BB193_44 Depth=2
	s_or_b64 exec, exec, s[38:39]
	s_add_i32 s44, s44, 2
	v_cmp_eq_u32_e32 vcc, s44, v39
	v_add_u32_e32 v3, 64, v3
	s_or_b64 s[34:35], vcc, s[34:35]
	v_add_u32_e32 v2, 64, v2
	s_andn2_b64 exec, exec, s[34:35]
	s_cbranch_execz .LBB193_48
.LBB193_44:                             ;   Parent Loop BB193_41 Depth=1
                                        ; =>  This Inner Loop Header: Depth=2
	s_or_b32 s36, s44, 1
	v_cmp_le_u32_e64 s[36:37], s36, 7
	v_cmp_le_u32_e64 s[46:47], s44, 7
	s_and_saveexec_b64 s[38:39], s[46:47]
	s_cbranch_execz .LBB193_46
; %bb.45:                               ;   in Loop: Header=BB193_44 Depth=2
	v_lshlrev_b32_e32 v4, 2, v2
	ds_write_b32 v4, v40
.LBB193_46:                             ;   in Loop: Header=BB193_44 Depth=2
	s_or_b64 exec, exec, s[38:39]
	s_and_saveexec_b64 s[38:39], s[36:37]
	s_cbranch_execz .LBB193_43
; %bb.47:                               ;   in Loop: Header=BB193_44 Depth=2
	v_lshlrev_b32_e32 v4, 2, v3
	ds_write_b32 v4, v40
	s_branch .LBB193_43
.LBB193_48:                             ;   in Loop: Header=BB193_41 Depth=1
	s_or_b64 exec, exec, s[28:29]
	s_sub_i32 s28, 64, s43
	s_min_u32 s28, s41, s28
	v_cmp_ne_u64_e32 vcc, s[4:5], v[32:33]
	s_lshl_b32 s28, -1, s28
	v_cndmask_b32_e32 v3, v38, v33, vcc
	v_cndmask_b32_e32 v2, -1, v32, vcc
	s_not_b32 s28, s28
	v_lshrrev_b64 v[2:3], s43, v[2:3]
	v_and_b32_e32 v2, s28, v2
	v_lshrrev_b32_e32 v3, 3, v2
	v_lshlrev_b32_e32 v2, 5, v2
	v_and_or_b32 v2, v2, s42, v0
	v_lshlrev_b32_e32 v2, 1, v2
	v_add_lshl_u32 v19, v2, v3, 1
	ds_read_u16 v18, v19
	v_cmp_ne_u64_e32 vcc, s[4:5], v[30:31]
	v_cndmask_b32_e32 v3, v38, v31, vcc
	s_waitcnt lgkmcnt(0)
	v_add_u16_e32 v2, 1, v18
	ds_write_b16 v19, v2
	v_cndmask_b32_e32 v2, -1, v30, vcc
	v_lshrrev_b64 v[2:3], s43, v[2:3]
	v_and_b32_e32 v2, s28, v2
	v_lshrrev_b32_e32 v3, 3, v2
	v_lshlrev_b32_e32 v2, 5, v2
	v_and_or_b32 v2, v2, s42, v0
	v_lshlrev_b32_e32 v2, 1, v2
	v_add_lshl_u32 v21, v2, v3, 1
	ds_read_u16 v20, v21
	v_cmp_ne_u64_e32 vcc, s[4:5], v[28:29]
	v_cndmask_b32_e32 v3, v38, v29, vcc
	s_waitcnt lgkmcnt(0)
	v_add_u16_e32 v2, 1, v20
	ds_write_b16 v21, v2
	v_cndmask_b32_e32 v2, -1, v28, vcc
	;; [unrolled: 14-line block ×3, first 2 shown]
	v_lshrrev_b64 v[2:3], s43, v[2:3]
	v_and_b32_e32 v2, s28, v2
	v_lshrrev_b32_e32 v3, 3, v2
	v_lshlrev_b32_e32 v2, 5, v2
	v_and_or_b32 v2, v2, s42, v0
	v_lshlrev_b32_e32 v2, 1, v2
	v_add_lshl_u32 v25, v2, v3, 1
	ds_read_u16 v24, v25
	s_waitcnt lgkmcnt(0)
	v_add_u16_e32 v2, 1, v24
	ds_write_b16 v25, v2
	s_waitcnt lgkmcnt(0)
	; wave barrier
	s_waitcnt lgkmcnt(0)
	ds_read2_b32 v[8:9], v37 offset1:1
	ds_read2_b32 v[6:7], v37 offset0:2 offset1:3
	ds_read2_b32 v[2:3], v37 offset0:4 offset1:5
	;; [unrolled: 1-line block ×3, first 2 shown]
	s_waitcnt lgkmcnt(3)
	v_add_u32_e32 v41, v9, v8
	s_waitcnt lgkmcnt(2)
	v_add3_u32 v41, v41, v6, v7
	s_waitcnt lgkmcnt(1)
	v_add3_u32 v41, v41, v2, v3
	;; [unrolled: 2-line block ×3, first 2 shown]
	s_nop 1
	v_mov_b32_dpp v41, v5 row_shr:1 row_mask:0xf bank_mask:0xf
	v_cndmask_b32_e64 v41, v41, 0, s[10:11]
	v_add_u32_e32 v5, v41, v5
	s_nop 1
	v_mov_b32_dpp v41, v5 row_shr:2 row_mask:0xf bank_mask:0xf
	v_cndmask_b32_e64 v41, 0, v41, s[12:13]
	v_add_u32_e32 v5, v5, v41
	;; [unrolled: 4-line block ×4, first 2 shown]
	s_nop 1
	v_mov_b32_dpp v41, v5 row_bcast:15 row_mask:0xf bank_mask:0xf
	v_cndmask_b32_e64 v41, v41, 0, s[18:19]
	v_add_u32_e32 v5, v5, v41
	s_and_saveexec_b64 s[28:29], s[20:21]
	s_cbranch_execz .LBB193_50
; %bb.49:                               ;   in Loop: Header=BB193_41 Depth=1
	ds_write_b32 v40, v5 offset:1024
.LBB193_50:                             ;   in Loop: Header=BB193_41 Depth=1
	s_or_b64 exec, exec, s[28:29]
	ds_bpermute_b32 v5, v59, v5
	s_waitcnt lgkmcnt(0)
	; wave barrier
	s_waitcnt lgkmcnt(0)
	ds_read_b32 v41, v40 offset:1024
	s_cmp_gt_u32 s43, 59
	v_cndmask_b32_e64 v5, v5, 0, s[22:23]
	s_waitcnt lgkmcnt(0)
	v_lshl_add_u32 v5, v41, 16, v5
	v_add_u32_e32 v8, v5, v8
	v_add_u32_e32 v9, v8, v9
	ds_write2_b32 v37, v5, v8 offset1:1
	v_add_u32_e32 v5, v9, v6
	v_add_u32_e32 v6, v5, v7
	;; [unrolled: 1-line block ×5, first 2 shown]
	ds_write2_b32 v37, v9, v5 offset0:2 offset1:3
	ds_write2_b32 v37, v6, v2 offset0:4 offset1:5
	;; [unrolled: 1-line block ×3, first 2 shown]
	s_waitcnt lgkmcnt(0)
	; wave barrier
	s_waitcnt lgkmcnt(0)
	ds_read_u16 v2, v19
	ds_read_u16 v3, v21
	;; [unrolled: 1-line block ×4, first 2 shown]
	s_waitcnt lgkmcnt(3)
	v_add_u32_sdwa v44, v2, v18 dst_sel:DWORD dst_unused:UNUSED_PAD src0_sel:DWORD src1_sel:WORD_0
	s_waitcnt lgkmcnt(2)
	v_add_u32_sdwa v42, v3, v20 dst_sel:DWORD dst_unused:UNUSED_PAD src0_sel:DWORD src1_sel:WORD_0
	;; [unrolled: 2-line block ×4, first 2 shown]
	s_cbranch_scc0 .LBB193_40
; %bb.51:
                                        ; implicit-def: $vgpr8_vgpr9
                                        ; implicit-def: $vgpr4_vgpr5
                                        ; implicit-def: $vgpr24_vgpr25
                                        ; implicit-def: $vgpr20_vgpr21
                                        ; implicit-def: $sgpr43
.LBB193_52:
	v_lshlrev_b32_e32 v0, 3, v44
	v_lshlrev_b32_e32 v1, 3, v42
	;; [unrolled: 1-line block ×4, first 2 shown]
	s_waitcnt lgkmcnt(0)
	; wave barrier
	ds_write_b64 v0, v[32:33]
	ds_write_b64 v1, v[30:31]
	ds_write_b64 v18, v[28:29]
	ds_write_b64 v19, v[26:27]
	s_waitcnt lgkmcnt(0)
	; wave barrier
	s_waitcnt lgkmcnt(0)
	ds_read2_b64 v[2:5], v35 offset1:1
	ds_read2_b64 v[6:9], v35 offset0:2 offset1:3
	s_waitcnt lgkmcnt(0)
	; wave barrier
	s_waitcnt lgkmcnt(0)
	ds_write_b64 v0, v[16:17]
	ds_write_b64 v1, v[14:15]
	;; [unrolled: 1-line block ×4, first 2 shown]
	v_bfrev_b32_e32 v0, -2
	v_cmp_gt_i64_e32 vcc, 0, v[2:3]
	v_ashrrev_i32_e32 v10, 31, v3
	s_waitcnt lgkmcnt(0)
	; wave barrier
	s_waitcnt lgkmcnt(0)
	ds_read2_b64 v[26:29], v35 offset1:1
	ds_read2_b64 v[30:33], v35 offset0:2 offset1:3
	v_cndmask_b32_e64 v1, v0, 0, vcc
	v_not_b32_e32 v10, v10
	v_cmp_gt_i64_e32 vcc, 0, v[4:5]
	v_xor_b32_e32 v3, v1, v3
	v_xor_b32_e32 v2, v10, v2
	v_cndmask_b32_e64 v1, v0, 0, vcc
	v_ashrrev_i32_e32 v10, 31, v5
	v_cmp_gt_i64_e32 vcc, 0, v[6:7]
	v_not_b32_e32 v10, v10
	v_xor_b32_e32 v5, v1, v5
	v_cndmask_b32_e64 v1, v0, 0, vcc
	v_xor_b32_e32 v4, v10, v4
	v_ashrrev_i32_e32 v10, 31, v7
	v_xor_b32_e32 v7, v1, v7
	v_cmp_gt_i64_e32 vcc, 0, v[8:9]
	v_ashrrev_i32_e32 v1, 31, v9
	v_not_b32_e32 v10, v10
	v_cndmask_b32_e64 v0, v0, 0, vcc
	v_not_b32_e32 v1, v1
	v_xor_b32_e32 v6, v10, v6
	v_xor_b32_e32 v9, v0, v9
	;; [unrolled: 1-line block ×3, first 2 shown]
.LBB193_53:
	s_waitcnt lgkmcnt(0)
	; wave barrier
	s_waitcnt lgkmcnt(0)
	ds_write2_b64 v58, v[2:3], v[4:5] offset1:1
	ds_write2_b64 v58, v[6:7], v[8:9] offset0:2 offset1:3
	s_waitcnt lgkmcnt(0)
	; wave barrier
	s_waitcnt lgkmcnt(0)
	ds_read_b64 v[6:7], v55 offset:256
	ds_read_b64 v[4:5], v56 offset:512
	;; [unrolled: 1-line block ×3, first 2 shown]
	v_mov_b32_e32 v35, 0
	v_lshlrev_b64 v[2:3], 3, v[34:35]
	v_mov_b32_e32 v8, s31
	v_add_co_u32_e32 v2, vcc, s27, v2
	v_addc_co_u32_e32 v3, vcc, v8, v3, vcc
	s_and_saveexec_b64 s[4:5], s[0:1]
	s_cbranch_execnz .LBB193_64
; %bb.54:
	s_or_b64 exec, exec, s[4:5]
	s_and_saveexec_b64 s[4:5], s[2:3]
	s_cbranch_execnz .LBB193_65
.LBB193_55:
	s_or_b64 exec, exec, s[4:5]
	s_and_saveexec_b64 s[4:5], s[24:25]
	s_cbranch_execnz .LBB193_66
.LBB193_56:
	s_or_b64 exec, exec, s[4:5]
	s_and_saveexec_b64 s[4:5], s[6:7]
	s_cbranch_execz .LBB193_58
.LBB193_57:
	s_mul_i32 s8, s30, 0x60
	s_mov_b32 s9, 0
	s_lshl_b64 s[8:9], s[8:9], 3
	s_waitcnt lgkmcnt(1)
	v_mov_b32_e32 v4, s9
	v_add_co_u32_e32 v2, vcc, s8, v2
	v_addc_co_u32_e32 v3, vcc, v3, v4, vcc
	s_waitcnt lgkmcnt(0)
	global_store_dwordx2 v[2:3], v[0:1], off
.LBB193_58:
	s_or_b64 exec, exec, s[4:5]
	s_waitcnt lgkmcnt(0)
	; wave barrier
	s_waitcnt lgkmcnt(0)
	ds_write2_b64 v58, v[26:27], v[28:29] offset1:1
	ds_write2_b64 v58, v[30:31], v[32:33] offset0:2 offset1:3
	s_waitcnt lgkmcnt(0)
	; wave barrier
	s_waitcnt lgkmcnt(0)
	ds_read_b64 v[6:7], v55 offset:256
	ds_read_b64 v[4:5], v56 offset:512
	;; [unrolled: 1-line block ×3, first 2 shown]
	v_mov_b32_e32 v37, 0
	v_lshlrev_b64 v[2:3], 3, v[36:37]
	v_mov_b32_e32 v8, s40
	v_add_co_u32_e32 v2, vcc, s33, v2
	v_addc_co_u32_e32 v3, vcc, v8, v3, vcc
	s_and_saveexec_b64 s[4:5], s[0:1]
	s_cbranch_execnz .LBB193_67
; %bb.59:
	s_or_b64 exec, exec, s[4:5]
	s_and_saveexec_b64 s[0:1], s[2:3]
	s_cbranch_execnz .LBB193_68
.LBB193_60:
	s_or_b64 exec, exec, s[0:1]
	s_and_saveexec_b64 s[0:1], s[24:25]
	s_cbranch_execnz .LBB193_69
.LBB193_61:
	s_or_b64 exec, exec, s[0:1]
	s_and_saveexec_b64 s[0:1], s[6:7]
	s_cbranch_execz .LBB193_63
.LBB193_62:
	s_mul_i32 s0, s26, 0x60
	s_mov_b32 s1, 0
	s_lshl_b64 s[0:1], s[0:1], 3
	s_waitcnt lgkmcnt(1)
	v_mov_b32_e32 v4, s1
	v_add_co_u32_e32 v2, vcc, s0, v2
	v_addc_co_u32_e32 v3, vcc, v3, v4, vcc
	s_waitcnt lgkmcnt(0)
	global_store_dwordx2 v[2:3], v[0:1], off
.LBB193_63:
	s_endpgm
.LBB193_64:
	ds_read_b64 v[8:9], v54
	s_waitcnt lgkmcnt(0)
	global_store_dwordx2 v[2:3], v[8:9], off
	s_or_b64 exec, exec, s[4:5]
	s_and_saveexec_b64 s[4:5], s[2:3]
	s_cbranch_execz .LBB193_55
.LBB193_65:
	s_lshl_b32 s8, s30, 5
	s_mov_b32 s9, 0
	s_lshl_b64 s[8:9], s[8:9], 3
	v_mov_b32_e32 v9, s9
	v_add_co_u32_e32 v8, vcc, s8, v2
	v_addc_co_u32_e32 v9, vcc, v3, v9, vcc
	s_waitcnt lgkmcnt(2)
	global_store_dwordx2 v[8:9], v[6:7], off
	s_or_b64 exec, exec, s[4:5]
	s_and_saveexec_b64 s[4:5], s[24:25]
	s_cbranch_execz .LBB193_56
.LBB193_66:
	s_lshl_b32 s8, s30, 6
	s_mov_b32 s9, 0
	s_lshl_b64 s[8:9], s[8:9], 3
	s_waitcnt lgkmcnt(2)
	v_mov_b32_e32 v7, s9
	v_add_co_u32_e32 v6, vcc, s8, v2
	v_addc_co_u32_e32 v7, vcc, v3, v7, vcc
	s_waitcnt lgkmcnt(1)
	global_store_dwordx2 v[6:7], v[4:5], off
	s_or_b64 exec, exec, s[4:5]
	s_and_saveexec_b64 s[4:5], s[6:7]
	s_cbranch_execnz .LBB193_57
	s_branch .LBB193_58
.LBB193_67:
	ds_read_b64 v[8:9], v54
	s_waitcnt lgkmcnt(0)
	global_store_dwordx2 v[2:3], v[8:9], off
	s_or_b64 exec, exec, s[4:5]
	s_and_saveexec_b64 s[0:1], s[2:3]
	s_cbranch_execz .LBB193_60
.LBB193_68:
	s_lshl_b32 s2, s26, 5
	s_mov_b32 s3, 0
	s_lshl_b64 s[2:3], s[2:3], 3
	v_mov_b32_e32 v9, s3
	v_add_co_u32_e32 v8, vcc, s2, v2
	v_addc_co_u32_e32 v9, vcc, v3, v9, vcc
	s_waitcnt lgkmcnt(2)
	global_store_dwordx2 v[8:9], v[6:7], off
	s_or_b64 exec, exec, s[0:1]
	s_and_saveexec_b64 s[0:1], s[24:25]
	s_cbranch_execz .LBB193_61
.LBB193_69:
	s_lshl_b32 s2, s26, 6
	s_mov_b32 s3, 0
	s_lshl_b64 s[2:3], s[2:3], 3
	s_waitcnt lgkmcnt(2)
	v_mov_b32_e32 v7, s3
	v_add_co_u32_e32 v6, vcc, s2, v2
	v_addc_co_u32_e32 v7, vcc, v3, v7, vcc
	s_waitcnt lgkmcnt(1)
	global_store_dwordx2 v[6:7], v[4:5], off
	s_or_b64 exec, exec, s[0:1]
	s_and_saveexec_b64 s[0:1], s[6:7]
	s_cbranch_execnz .LBB193_62
	s_branch .LBB193_63
	.section	.rodata,"a",@progbits
	.p2align	6, 0x0
	.amdhsa_kernel _ZN2at6native18radixSortKVInPlaceILin1ELin1ELi32ELi4EdljEEvNS_4cuda6detail10TensorInfoIT3_T5_EES6_S6_S6_NS4_IT4_S6_EES6_b
		.amdhsa_group_segment_fixed_size 1056
		.amdhsa_private_segment_fixed_size 0
		.amdhsa_kernarg_size 712
		.amdhsa_user_sgpr_count 6
		.amdhsa_user_sgpr_private_segment_buffer 1
		.amdhsa_user_sgpr_dispatch_ptr 0
		.amdhsa_user_sgpr_queue_ptr 0
		.amdhsa_user_sgpr_kernarg_segment_ptr 1
		.amdhsa_user_sgpr_dispatch_id 0
		.amdhsa_user_sgpr_flat_scratch_init 0
		.amdhsa_user_sgpr_kernarg_preload_length 0
		.amdhsa_user_sgpr_kernarg_preload_offset 0
		.amdhsa_user_sgpr_private_segment_size 0
		.amdhsa_uses_dynamic_stack 0
		.amdhsa_system_sgpr_private_segment_wavefront_offset 0
		.amdhsa_system_sgpr_workgroup_id_x 1
		.amdhsa_system_sgpr_workgroup_id_y 1
		.amdhsa_system_sgpr_workgroup_id_z 1
		.amdhsa_system_sgpr_workgroup_info 0
		.amdhsa_system_vgpr_workitem_id 0
		.amdhsa_next_free_vgpr 72
		.amdhsa_next_free_sgpr 48
		.amdhsa_accum_offset 72
		.amdhsa_reserve_vcc 1
		.amdhsa_reserve_flat_scratch 0
		.amdhsa_float_round_mode_32 0
		.amdhsa_float_round_mode_16_64 0
		.amdhsa_float_denorm_mode_32 3
		.amdhsa_float_denorm_mode_16_64 3
		.amdhsa_dx10_clamp 1
		.amdhsa_ieee_mode 1
		.amdhsa_fp16_overflow 0
		.amdhsa_tg_split 0
		.amdhsa_exception_fp_ieee_invalid_op 0
		.amdhsa_exception_fp_denorm_src 0
		.amdhsa_exception_fp_ieee_div_zero 0
		.amdhsa_exception_fp_ieee_overflow 0
		.amdhsa_exception_fp_ieee_underflow 0
		.amdhsa_exception_fp_ieee_inexact 0
		.amdhsa_exception_int_div_zero 0
	.end_amdhsa_kernel
	.section	.text._ZN2at6native18radixSortKVInPlaceILin1ELin1ELi32ELi4EdljEEvNS_4cuda6detail10TensorInfoIT3_T5_EES6_S6_S6_NS4_IT4_S6_EES6_b,"axG",@progbits,_ZN2at6native18radixSortKVInPlaceILin1ELin1ELi32ELi4EdljEEvNS_4cuda6detail10TensorInfoIT3_T5_EES6_S6_S6_NS4_IT4_S6_EES6_b,comdat
.Lfunc_end193:
	.size	_ZN2at6native18radixSortKVInPlaceILin1ELin1ELi32ELi4EdljEEvNS_4cuda6detail10TensorInfoIT3_T5_EES6_S6_S6_NS4_IT4_S6_EES6_b, .Lfunc_end193-_ZN2at6native18radixSortKVInPlaceILin1ELin1ELi32ELi4EdljEEvNS_4cuda6detail10TensorInfoIT3_T5_EES6_S6_S6_NS4_IT4_S6_EES6_b
                                        ; -- End function
	.section	.AMDGPU.csdata,"",@progbits
; Kernel info:
; codeLenInByte = 5240
; NumSgprs: 52
; NumVgprs: 72
; NumAgprs: 0
; TotalNumVgprs: 72
; ScratchSize: 0
; MemoryBound: 0
; FloatMode: 240
; IeeeMode: 1
; LDSByteSize: 1056 bytes/workgroup (compile time only)
; SGPRBlocks: 6
; VGPRBlocks: 8
; NumSGPRsForWavesPerEU: 52
; NumVGPRsForWavesPerEU: 72
; AccumOffset: 72
; Occupancy: 7
; WaveLimiterHint : 1
; COMPUTE_PGM_RSRC2:SCRATCH_EN: 0
; COMPUTE_PGM_RSRC2:USER_SGPR: 6
; COMPUTE_PGM_RSRC2:TRAP_HANDLER: 0
; COMPUTE_PGM_RSRC2:TGID_X_EN: 1
; COMPUTE_PGM_RSRC2:TGID_Y_EN: 1
; COMPUTE_PGM_RSRC2:TGID_Z_EN: 1
; COMPUTE_PGM_RSRC2:TIDIG_COMP_CNT: 0
; COMPUTE_PGM_RSRC3_GFX90A:ACCUM_OFFSET: 17
; COMPUTE_PGM_RSRC3_GFX90A:TG_SPLIT: 0
	.section	.text._ZN2at6native18radixSortKVInPlaceILin1ELin1ELi16ELi2EdljEEvNS_4cuda6detail10TensorInfoIT3_T5_EES6_S6_S6_NS4_IT4_S6_EES6_b,"axG",@progbits,_ZN2at6native18radixSortKVInPlaceILin1ELin1ELi16ELi2EdljEEvNS_4cuda6detail10TensorInfoIT3_T5_EES6_S6_S6_NS4_IT4_S6_EES6_b,comdat
	.protected	_ZN2at6native18radixSortKVInPlaceILin1ELin1ELi16ELi2EdljEEvNS_4cuda6detail10TensorInfoIT3_T5_EES6_S6_S6_NS4_IT4_S6_EES6_b ; -- Begin function _ZN2at6native18radixSortKVInPlaceILin1ELin1ELi16ELi2EdljEEvNS_4cuda6detail10TensorInfoIT3_T5_EES6_S6_S6_NS4_IT4_S6_EES6_b
	.globl	_ZN2at6native18radixSortKVInPlaceILin1ELin1ELi16ELi2EdljEEvNS_4cuda6detail10TensorInfoIT3_T5_EES6_S6_S6_NS4_IT4_S6_EES6_b
	.p2align	8
	.type	_ZN2at6native18radixSortKVInPlaceILin1ELin1ELi16ELi2EdljEEvNS_4cuda6detail10TensorInfoIT3_T5_EES6_S6_S6_NS4_IT4_S6_EES6_b,@function
_ZN2at6native18radixSortKVInPlaceILin1ELin1ELi16ELi2EdljEEvNS_4cuda6detail10TensorInfoIT3_T5_EES6_S6_S6_NS4_IT4_S6_EES6_b: ; @_ZN2at6native18radixSortKVInPlaceILin1ELin1ELi16ELi2EdljEEvNS_4cuda6detail10TensorInfoIT3_T5_EES6_S6_S6_NS4_IT4_S6_EES6_b
; %bb.0:
	s_load_dwordx2 s[0:1], s[4:5], 0x1c8
	s_load_dwordx4 s[16:19], s[4:5], 0xd8
	s_waitcnt lgkmcnt(0)
	s_mul_i32 s1, s1, s8
	s_add_i32 s1, s1, s7
	s_mul_i32 s0, s1, s0
	s_add_i32 s22, s0, s6
	s_cmp_ge_u32 s22, s16
	s_cbranch_scc1 .LBB194_53
; %bb.1:
	s_load_dword s2, s[4:5], 0xd0
	s_mov_b32 s1, 0
	s_mov_b32 s0, s22
	s_waitcnt lgkmcnt(0)
	s_cmp_lt_i32 s2, 2
	s_cbranch_scc1 .LBB194_4
; %bb.2:
	s_add_i32 s0, s2, -1
	s_add_i32 s6, s2, 1
	s_lshl_b64 s[2:3], s[0:1], 2
	s_add_u32 s0, s2, s4
	s_addc_u32 s3, s3, s5
	s_add_u32 s2, s0, 8
	s_addc_u32 s3, s3, 0
	s_mov_b32 s0, s22
.LBB194_3:                              ; =>This Inner Loop Header: Depth=1
	s_load_dword s7, s[2:3], 0x0
	s_load_dword s9, s[2:3], 0x64
	s_mov_b32 s8, s0
	s_waitcnt lgkmcnt(0)
	v_cvt_f32_u32_e32 v1, s7
	s_sub_i32 s0, 0, s7
	v_rcp_iflag_f32_e32 v1, v1
	v_mul_f32_e32 v1, 0x4f7ffffe, v1
	v_cvt_u32_f32_e32 v1, v1
	v_readfirstlane_b32 s10, v1
	s_mul_i32 s0, s0, s10
	s_mul_hi_u32 s0, s10, s0
	s_add_i32 s10, s10, s0
	s_mul_hi_u32 s0, s8, s10
	s_mul_i32 s10, s0, s7
	s_sub_i32 s10, s8, s10
	s_add_i32 s11, s0, 1
	s_sub_i32 s12, s10, s7
	s_cmp_ge_u32 s10, s7
	s_cselect_b32 s0, s11, s0
	s_cselect_b32 s10, s12, s10
	s_add_i32 s11, s0, 1
	s_cmp_ge_u32 s10, s7
	s_cselect_b32 s0, s11, s0
	s_mul_i32 s7, s0, s7
	s_sub_i32 s7, s8, s7
	s_mul_i32 s7, s9, s7
	s_add_i32 s6, s6, -1
	s_add_i32 s1, s7, s1
	s_add_u32 s2, s2, -4
	s_addc_u32 s3, s3, -1
	s_cmp_gt_u32 s6, 2
	s_cbranch_scc1 .LBB194_3
.LBB194_4:
	s_load_dword s2, s[4:5], 0x1b8
	s_mov_b32 s7, 0
	s_waitcnt lgkmcnt(0)
	s_cmp_lt_i32 s2, 2
	s_cbranch_scc1 .LBB194_7
; %bb.5:
	s_add_i32 s6, s2, -1
	s_add_i32 s8, s2, 1
	s_lshl_b64 s[2:3], s[6:7], 2
	s_add_u32 s2, s2, s4
	s_addc_u32 s3, s3, s5
	s_add_u32 s2, s2, 0xf0
	s_addc_u32 s3, s3, 0
.LBB194_6:                              ; =>This Inner Loop Header: Depth=1
	s_load_dword s6, s[2:3], 0x0
	s_load_dword s10, s[2:3], 0x64
	s_mov_b32 s9, s22
	s_waitcnt lgkmcnt(0)
	v_cvt_f32_u32_e32 v1, s6
	s_sub_i32 s11, 0, s6
	v_rcp_iflag_f32_e32 v1, v1
	v_mul_f32_e32 v1, 0x4f7ffffe, v1
	v_cvt_u32_f32_e32 v1, v1
	v_readfirstlane_b32 s12, v1
	s_mul_i32 s11, s11, s12
	s_mul_hi_u32 s11, s12, s11
	s_add_i32 s12, s12, s11
	s_mul_hi_u32 s11, s22, s12
	s_mul_i32 s12, s11, s6
	s_sub_i32 s12, s22, s12
	s_add_i32 s13, s11, 1
	s_sub_i32 s14, s12, s6
	s_cmp_ge_u32 s12, s6
	s_cselect_b32 s11, s13, s11
	s_cselect_b32 s12, s14, s12
	s_add_i32 s13, s11, 1
	s_cmp_ge_u32 s12, s6
	s_cselect_b32 s22, s13, s11
	s_mul_i32 s6, s22, s6
	s_sub_i32 s6, s9, s6
	s_mul_i32 s6, s10, s6
	s_add_i32 s8, s8, -1
	s_add_i32 s7, s6, s7
	s_add_u32 s2, s2, -4
	s_addc_u32 s3, s3, -1
	s_cmp_gt_u32 s8, 2
	s_cbranch_scc1 .LBB194_6
.LBB194_7:
	s_load_dword s2, s[4:5], 0x6c
	s_load_dwordx2 s[20:21], s[4:5], 0x1c0
	s_mov_b32 s8, -1
	v_mul_lo_u32 v18, v0, s18
	s_waitcnt lgkmcnt(0)
	s_mul_i32 s0, s2, s0
	s_add_i32 s0, s0, s1
	s_load_dwordx2 s[2:3], s[4:5], 0x0
	s_load_dwordx2 s[14:15], s[4:5], 0xe8
	s_bitcmp1_b32 s21, 0
	s_cselect_b64 s[12:13], -1, 0
	s_and_b64 s[10:11], s[12:13], exec
	s_mov_b32 s1, 0
	s_cselect_b32 s9, -1, 0x7fffffff
	s_lshl_b64 s[0:1], s[0:1], 3
	s_waitcnt lgkmcnt(0)
	s_add_u32 s19, s2, s0
	s_mov_b32 s10, s8
	s_mov_b32 s11, s9
	v_pk_mov_b32 v[2:3], s[8:9], s[8:9] op_sel:[0,1]
	s_addc_u32 s21, s3, s1
	v_cmp_gt_u32_e64 s[0:1], s17, v0
	v_pk_mov_b32 v[4:5], s[10:11], s[10:11] op_sel:[0,1]
	v_pk_mov_b32 v[6:7], s[8:9], s[8:9] op_sel:[0,1]
	s_and_saveexec_b64 s[2:3], s[0:1]
	s_cbranch_execz .LBB194_9
; %bb.8:
	v_mov_b32_e32 v19, 0
	v_lshlrev_b64 v[2:3], 3, v[18:19]
	v_mov_b32_e32 v1, s21
	v_add_co_u32_e32 v2, vcc, s19, v2
	v_addc_co_u32_e32 v3, vcc, v1, v3, vcc
	global_load_dwordx2 v[6:7], v[2:3], off
	v_pk_mov_b32 v[2:3], s[8:9], s[8:9] op_sel:[0,1]
	v_pk_mov_b32 v[4:5], s[10:11], s[10:11] op_sel:[0,1]
.LBB194_9:
	s_or_b64 exec, exec, s[2:3]
	s_load_dword s6, s[4:5], 0x154
	v_or_b32_e32 v1, 16, v0
	v_cmp_gt_u32_e64 s[2:3], s17, v1
	s_and_saveexec_b64 s[4:5], s[2:3]
	s_cbranch_execz .LBB194_11
; %bb.10:
	v_mul_lo_u32 v2, v1, s18
	v_mov_b32_e32 v3, 0
	v_lshlrev_b64 v[2:3], 3, v[2:3]
	v_mov_b32_e32 v4, s21
	v_add_co_u32_e32 v2, vcc, s19, v2
	v_addc_co_u32_e32 v3, vcc, v4, v3, vcc
	global_load_dwordx2 v[4:5], v[2:3], off
.LBB194_11:
	s_or_b64 exec, exec, s[4:5]
	s_waitcnt lgkmcnt(0)
	s_mul_i32 s4, s6, s22
	s_add_i32 s4, s4, s7
	s_mov_b32 s5, 0
	s_lshl_b64 s[6:7], s[4:5], 3
	v_lshlrev_b32_e32 v30, 3, v0
	v_lshlrev_b32_e32 v31, 4, v0
	s_add_u32 s33, s14, s6
	s_waitcnt vmcnt(0)
	ds_write2_b64 v30, v[6:7], v[4:5] offset1:16
	s_waitcnt lgkmcnt(0)
	; wave barrier
	s_waitcnt lgkmcnt(0)
	ds_read2_b64 v[2:5], v31 offset1:1
	s_addc_u32 s34, s15, s7
	s_mov_b32 s6, s5
	s_mov_b32 s7, s5
	;; [unrolled: 1-line block ×3, first 2 shown]
	v_pk_mov_b32 v[8:9], s[6:7], s[6:7] op_sel:[0,1]
	v_pk_mov_b32 v[6:7], s[4:5], s[4:5] op_sel:[0,1]
	v_pk_mov_b32 v[6:7], 0, 0
	v_mul_lo_u32 v20, v0, s20
	s_waitcnt lgkmcnt(0)
	; wave barrier
	s_waitcnt lgkmcnt(0)
	s_and_saveexec_b64 s[4:5], s[0:1]
	s_cbranch_execz .LBB194_13
; %bb.12:
	v_mov_b32_e32 v21, 0
	v_lshlrev_b64 v[6:7], 3, v[20:21]
	v_mov_b32_e32 v8, s34
	v_add_co_u32_e32 v6, vcc, s33, v6
	v_addc_co_u32_e32 v7, vcc, v8, v7, vcc
	global_load_dwordx2 v[6:7], v[6:7], off
	v_mov_b32_e32 v8, v21
	v_mov_b32_e32 v9, v21
.LBB194_13:
	s_or_b64 exec, exec, s[4:5]
	s_xor_b64 s[24:25], s[12:13], -1
	v_lshlrev_b32_e32 v10, 1, v0
	s_and_saveexec_b64 s[4:5], s[2:3]
	s_cbranch_execz .LBB194_15
; %bb.14:
	v_mul_lo_u32 v8, v1, s20
	v_mov_b32_e32 v9, 0
	v_lshlrev_b64 v[8:9], 3, v[8:9]
	v_mov_b32_e32 v11, s34
	v_add_co_u32_e32 v8, vcc, s33, v8
	v_addc_co_u32_e32 v9, vcc, v11, v9, vcc
	global_load_dwordx2 v[8:9], v[8:9], off
.LBB194_15:
	s_or_b64 exec, exec, s[4:5]
	v_mbcnt_lo_u32_b32 v11, -1, 0
	s_getpc_b64 s[4:5]
	s_add_u32 s4, s4, _ZN7rocprim17ROCPRIM_400000_NS16block_radix_sortIdLj16ELj2ElLj1ELj1ELj0ELNS0_26block_radix_rank_algorithmE1ELNS0_18block_padding_hintE2ELNS0_4arch9wavefront6targetE1EE19radix_bits_per_passE@rel32@lo+4
	s_addc_u32 s5, s5, _ZN7rocprim17ROCPRIM_400000_NS16block_radix_sortIdLj16ELj2ElLj1ELj1ELj0ELNS0_26block_radix_rank_algorithmE1ELNS0_18block_padding_hintE2ELNS0_4arch9wavefront6targetE1EE19radix_bits_per_passE@rel32@hi+12
	v_mbcnt_hi_u32_b32 v11, -1, v11
	s_waitcnt vmcnt(0)
	ds_write2_b64 v30, v[6:7], v[8:9] offset1:16
	s_waitcnt lgkmcnt(0)
	; wave barrier
	s_waitcnt lgkmcnt(0)
	ds_read2_b64 v[6:9], v31 offset1:1
	s_load_dword s35, s[4:5], 0x0
	v_and_b32_e32 v12, 15, v11
	v_cmp_eq_u32_e64 s[6:7], 0, v12
	v_cmp_lt_u32_e64 s[8:9], 1, v12
	v_cmp_lt_u32_e64 s[10:11], 3, v12
	;; [unrolled: 1-line block ×3, first 2 shown]
	v_add_u32_e32 v12, -1, v11
	v_and_b32_e32 v13, 0x70, v11
	v_cmp_lt_i32_e32 vcc, v12, v13
	s_movk_i32 s4, 0x80
	v_cndmask_b32_e32 v12, v12, v11, vcc
	v_cmp_gt_u32_e64 s[4:5], s4, v0
	v_lshlrev_b32_e32 v21, 5, v0
	s_mov_b32 s36, 0
	s_mov_b32 s22, -1
	v_cmp_eq_u32_e64 s[14:15], 15, v0
	s_movk_i32 s37, 0x70
	v_lshlrev_b32_e32 v32, 2, v12
	v_cmp_eq_u32_e64 s[16:17], 0, v11
	v_lshlrev_b32_e32 v19, 3, v10
	s_and_b64 vcc, exec, s[24:25]
	v_ashrrev_i32_e32 v35, 31, v3
	v_ashrrev_i32_e32 v34, 31, v5
	v_add_u32_e64 v33, 7, 2
	s_waitcnt lgkmcnt(0)
	; wave barrier
	s_waitcnt lgkmcnt(0)
	s_cbranch_vccz .LBB194_30
; %bb.16:
	v_bfrev_b32_e32 v36, 1
	v_cmp_lt_i64_e32 vcc, -1, v[2:3]
	v_cndmask_b32_e32 v10, -1, v36, vcc
	v_cmp_lt_i64_e32 vcc, -1, v[4:5]
	v_cndmask_b32_e32 v12, -1, v36, vcc
	v_xor_b32_e32 v11, v10, v3
	v_xor_b32_e32 v10, v35, v2
	;; [unrolled: 1-line block ×4, first 2 shown]
	v_and_b32_e32 v37, 14, v33
	v_mov_b32_e32 v38, 0
	s_brev_b32 s23, -2
	v_pk_mov_b32 v[14:15], v[6:7], v[6:7] op_sel:[0,1]
	v_pk_mov_b32 v[16:17], v[8:9], v[8:9] op_sel:[0,1]
	s_branch .LBB194_18
.LBB194_17:                             ;   in Loop: Header=BB194_18 Depth=1
	v_lshlrev_b32_e32 v14, 3, v39
	v_lshlrev_b32_e32 v15, 3, v40
	s_waitcnt lgkmcnt(0)
	; wave barrier
	ds_write_b64 v14, v[28:29]
	ds_write_b64 v15, v[26:27]
	s_waitcnt lgkmcnt(0)
	; wave barrier
	s_waitcnt lgkmcnt(0)
	ds_read2_b64 v[10:13], v19 offset1:1
	s_waitcnt lgkmcnt(0)
	; wave barrier
	s_waitcnt lgkmcnt(0)
	ds_write_b64 v14, v[24:25]
	ds_write_b64 v15, v[22:23]
	s_waitcnt lgkmcnt(0)
	; wave barrier
	s_waitcnt lgkmcnt(0)
	ds_read2_b64 v[14:17], v19 offset1:1
	s_add_i32 s36, s36, 4
	s_waitcnt lgkmcnt(0)
	; wave barrier
	s_waitcnt lgkmcnt(0)
	s_cbranch_execz .LBB194_29
.LBB194_18:                             ; =>This Loop Header: Depth=1
                                        ;     Child Loop BB194_21 Depth 2
	v_pk_mov_b32 v[26:27], v[12:13], v[12:13] op_sel:[0,1]
	v_pk_mov_b32 v[28:29], v[10:11], v[10:11] op_sel:[0,1]
	;; [unrolled: 1-line block ×4, first 2 shown]
	s_and_saveexec_b64 s[24:25], s[4:5]
	s_cbranch_execz .LBB194_25
; %bb.19:                               ;   in Loop: Header=BB194_18 Depth=1
	s_mov_b32 s38, 0
	s_mov_b64 s[26:27], 0
	v_pk_mov_b32 v[10:11], v[0:1], v[0:1] op_sel:[0,1]
	s_branch .LBB194_21
.LBB194_20:                             ;   in Loop: Header=BB194_21 Depth=2
	s_or_b64 exec, exec, s[30:31]
	s_add_i32 s38, s38, 2
	v_cmp_eq_u32_e32 vcc, s38, v37
	v_add_u32_e32 v11, 32, v11
	s_or_b64 s[26:27], vcc, s[26:27]
	v_add_u32_e32 v10, 32, v10
	s_andn2_b64 exec, exec, s[26:27]
	s_cbranch_execz .LBB194_25
.LBB194_21:                             ;   Parent Loop BB194_18 Depth=1
                                        ; =>  This Inner Loop Header: Depth=2
	s_or_b32 s28, s38, 1
	v_cmp_le_u32_e64 s[28:29], s28, 7
	v_cmp_le_u32_e64 s[40:41], s38, 7
	s_and_saveexec_b64 s[30:31], s[40:41]
	s_cbranch_execz .LBB194_23
; %bb.22:                               ;   in Loop: Header=BB194_21 Depth=2
	v_lshlrev_b32_e32 v12, 2, v10
	ds_write_b32 v12, v38
.LBB194_23:                             ;   in Loop: Header=BB194_21 Depth=2
	s_or_b64 exec, exec, s[30:31]
	s_and_saveexec_b64 s[30:31], s[28:29]
	s_cbranch_execz .LBB194_20
; %bb.24:                               ;   in Loop: Header=BB194_21 Depth=2
	v_lshlrev_b32_e32 v12, 2, v11
	ds_write_b32 v12, v38
	s_branch .LBB194_20
.LBB194_25:                             ;   in Loop: Header=BB194_18 Depth=1
	s_or_b64 exec, exec, s[24:25]
	s_sub_i32 s24, 64, s36
	s_min_u32 s24, s35, s24
	v_cmp_ne_u64_e32 vcc, s[22:23], v[28:29]
	s_lshl_b32 s24, -1, s24
	v_cndmask_b32_e32 v11, v36, v29, vcc
	v_cndmask_b32_e32 v10, 0, v28, vcc
	s_not_b32 s24, s24
	v_lshrrev_b64 v[10:11], s36, v[10:11]
	v_and_b32_e32 v10, s24, v10
	v_lshrrev_b32_e32 v11, 3, v10
	v_lshlrev_b32_e32 v10, 4, v10
	v_and_or_b32 v10, v10, s37, v0
	v_lshlrev_b32_e32 v10, 1, v10
	v_add_lshl_u32 v40, v10, v11, 1
	ds_read_u16 v39, v40
	v_cmp_ne_u64_e32 vcc, s[22:23], v[26:27]
	v_cndmask_b32_e32 v11, v36, v27, vcc
	s_waitcnt lgkmcnt(0)
	v_add_u16_e32 v10, 1, v39
	ds_write_b16 v40, v10
	v_cndmask_b32_e32 v10, 0, v26, vcc
	v_lshrrev_b64 v[10:11], s36, v[10:11]
	v_and_b32_e32 v10, s24, v10
	v_lshrrev_b32_e32 v11, 3, v10
	v_lshlrev_b32_e32 v10, 4, v10
	v_and_or_b32 v10, v10, s37, v0
	v_lshlrev_b32_e32 v10, 1, v10
	v_add_lshl_u32 v42, v10, v11, 1
	ds_read_u16 v41, v42
	s_waitcnt lgkmcnt(0)
	v_add_u16_e32 v10, 1, v41
	ds_write_b16 v42, v10
	s_waitcnt lgkmcnt(0)
	; wave barrier
	s_waitcnt lgkmcnt(0)
	ds_read2_b32 v[16:17], v21 offset1:1
	ds_read2_b32 v[14:15], v21 offset0:2 offset1:3
	ds_read2_b32 v[10:11], v21 offset0:4 offset1:5
	;; [unrolled: 1-line block ×3, first 2 shown]
	s_waitcnt lgkmcnt(3)
	v_add_u32_e32 v43, v17, v16
	s_waitcnt lgkmcnt(2)
	v_add3_u32 v43, v43, v14, v15
	s_waitcnt lgkmcnt(1)
	v_add3_u32 v43, v43, v10, v11
	;; [unrolled: 2-line block ×3, first 2 shown]
	s_nop 1
	v_mov_b32_dpp v43, v13 row_shr:1 row_mask:0xf bank_mask:0xf
	v_cndmask_b32_e64 v43, v43, 0, s[6:7]
	v_add_u32_e32 v13, v43, v13
	s_nop 1
	v_mov_b32_dpp v43, v13 row_shr:2 row_mask:0xf bank_mask:0xf
	v_cndmask_b32_e64 v43, 0, v43, s[8:9]
	v_add_u32_e32 v13, v13, v43
	;; [unrolled: 4-line block ×4, first 2 shown]
	s_and_saveexec_b64 s[24:25], s[14:15]
	s_cbranch_execz .LBB194_27
; %bb.26:                               ;   in Loop: Header=BB194_18 Depth=1
	ds_write_b32 v38, v13 offset:512
.LBB194_27:                             ;   in Loop: Header=BB194_18 Depth=1
	s_or_b64 exec, exec, s[24:25]
	ds_bpermute_b32 v13, v32, v13
	s_waitcnt lgkmcnt(0)
	; wave barrier
	s_waitcnt lgkmcnt(0)
	ds_read_b32 v43, v38 offset:512
	s_cmp_gt_u32 s36, 59
	v_cndmask_b32_e64 v13, v13, 0, s[16:17]
	s_waitcnt lgkmcnt(0)
	v_lshl_add_u32 v13, v43, 16, v13
	v_add_u32_e32 v16, v13, v16
	v_add_u32_e32 v17, v16, v17
	ds_write2_b32 v21, v13, v16 offset1:1
	v_add_u32_e32 v13, v17, v14
	v_add_u32_e32 v14, v13, v15
	;; [unrolled: 1-line block ×5, first 2 shown]
	ds_write2_b32 v21, v17, v13 offset0:2 offset1:3
	ds_write2_b32 v21, v14, v10 offset0:4 offset1:5
	;; [unrolled: 1-line block ×3, first 2 shown]
	s_waitcnt lgkmcnt(0)
	; wave barrier
	s_waitcnt lgkmcnt(0)
	ds_read_u16 v10, v40
	ds_read_u16 v11, v42
	s_waitcnt lgkmcnt(1)
	v_add_u32_sdwa v39, v10, v39 dst_sel:DWORD dst_unused:UNUSED_PAD src0_sel:DWORD src1_sel:WORD_0
	s_waitcnt lgkmcnt(0)
	v_add_u32_sdwa v40, v11, v41 dst_sel:DWORD dst_unused:UNUSED_PAD src0_sel:DWORD src1_sel:WORD_0
	s_cbranch_scc0 .LBB194_17
; %bb.28:
                                        ; implicit-def: $vgpr12_vgpr13
                                        ; implicit-def: $vgpr16_vgpr17
                                        ; implicit-def: $sgpr36
.LBB194_29:
	v_lshlrev_b32_e32 v10, 3, v39
	v_lshlrev_b32_e32 v11, 3, v40
	s_waitcnt lgkmcnt(0)
	; wave barrier
	ds_write_b64 v10, v[28:29]
	ds_write_b64 v11, v[26:27]
	s_waitcnt lgkmcnt(0)
	; wave barrier
	s_waitcnt lgkmcnt(0)
	ds_read2_b64 v[14:17], v19 offset1:1
	s_waitcnt lgkmcnt(0)
	; wave barrier
	s_waitcnt lgkmcnt(0)
	ds_write_b64 v10, v[24:25]
	ds_write_b64 v11, v[22:23]
	s_waitcnt lgkmcnt(0)
	; wave barrier
	s_waitcnt lgkmcnt(0)
	ds_read2_b64 v[10:13], v19 offset1:1
	v_bfrev_b32_e32 v22, 1
	v_cmp_lt_i64_e32 vcc, -1, v[14:15]
	v_cndmask_b32_e64 v23, v22, -1, vcc
	v_ashrrev_i32_e32 v24, 31, v15
	v_xor_b32_e32 v15, v23, v15
	v_cmp_lt_i64_e32 vcc, -1, v[16:17]
	v_ashrrev_i32_e32 v23, 31, v17
	v_not_b32_e32 v24, v24
	v_cndmask_b32_e64 v22, v22, -1, vcc
	v_not_b32_e32 v23, v23
	v_xor_b32_e32 v14, v24, v14
	v_xor_b32_e32 v17, v22, v17
	v_xor_b32_e32 v16, v23, v16
	s_branch .LBB194_45
.LBB194_30:
                                        ; implicit-def: $vgpr12_vgpr13
                                        ; implicit-def: $vgpr14_vgpr15_vgpr16_vgpr17
	s_cbranch_execz .LBB194_45
; %bb.31:
	v_bfrev_b32_e32 v22, -2
	v_cmp_gt_i64_e32 vcc, 0, v[2:3]
	s_waitcnt lgkmcnt(0)
	v_cndmask_b32_e64 v10, v22, 0, vcc
	v_not_b32_e32 v11, v35
	v_cmp_gt_i64_e32 vcc, 0, v[4:5]
	s_mov_b32 s22, 0
	v_xor_b32_e32 v3, v10, v3
	v_xor_b32_e32 v2, v11, v2
	v_cndmask_b32_e64 v10, v22, 0, vcc
	v_not_b32_e32 v11, v34
	s_brev_b32 s23, 1
	v_xor_b32_e32 v5, v10, v5
	v_xor_b32_e32 v4, v11, v4
	v_and_b32_e32 v23, 14, v33
	v_mov_b32_e32 v24, 0
	s_movk_i32 s36, 0x70
	s_mov_b32 s37, s22
	s_branch .LBB194_33
.LBB194_32:                             ;   in Loop: Header=BB194_33 Depth=1
	v_lshlrev_b32_e32 v6, 3, v25
	v_lshlrev_b32_e32 v7, 3, v26
	s_waitcnt lgkmcnt(0)
	; wave barrier
	ds_write_b64 v6, v[16:17]
	ds_write_b64 v7, v[14:15]
	s_waitcnt lgkmcnt(0)
	; wave barrier
	s_waitcnt lgkmcnt(0)
	ds_read2_b64 v[2:5], v19 offset1:1
	s_waitcnt lgkmcnt(0)
	; wave barrier
	s_waitcnt lgkmcnt(0)
	ds_write_b64 v6, v[12:13]
	ds_write_b64 v7, v[10:11]
	s_waitcnt lgkmcnt(0)
	; wave barrier
	s_waitcnt lgkmcnt(0)
	ds_read2_b64 v[6:9], v19 offset1:1
	s_add_i32 s37, s37, 4
	s_waitcnt lgkmcnt(0)
	; wave barrier
	s_waitcnt lgkmcnt(0)
	s_cbranch_execz .LBB194_44
.LBB194_33:                             ; =>This Loop Header: Depth=1
                                        ;     Child Loop BB194_36 Depth 2
	v_pk_mov_b32 v[14:15], v[4:5], v[4:5] op_sel:[0,1]
	v_pk_mov_b32 v[16:17], v[2:3], v[2:3] op_sel:[0,1]
	;; [unrolled: 1-line block ×4, first 2 shown]
	s_and_saveexec_b64 s[24:25], s[4:5]
	s_cbranch_execz .LBB194_40
; %bb.34:                               ;   in Loop: Header=BB194_33 Depth=1
	s_mov_b32 s38, 0
	s_mov_b64 s[26:27], 0
	v_pk_mov_b32 v[2:3], v[0:1], v[0:1] op_sel:[0,1]
	s_branch .LBB194_36
.LBB194_35:                             ;   in Loop: Header=BB194_36 Depth=2
	s_or_b64 exec, exec, s[30:31]
	s_add_i32 s38, s38, 2
	v_cmp_eq_u32_e32 vcc, s38, v23
	v_add_u32_e32 v3, 32, v3
	s_or_b64 s[26:27], vcc, s[26:27]
	v_add_u32_e32 v2, 32, v2
	s_andn2_b64 exec, exec, s[26:27]
	s_cbranch_execz .LBB194_40
.LBB194_36:                             ;   Parent Loop BB194_33 Depth=1
                                        ; =>  This Inner Loop Header: Depth=2
	s_or_b32 s28, s38, 1
	v_cmp_le_u32_e64 s[28:29], s28, 7
	v_cmp_le_u32_e64 s[40:41], s38, 7
	s_and_saveexec_b64 s[30:31], s[40:41]
	s_cbranch_execz .LBB194_38
; %bb.37:                               ;   in Loop: Header=BB194_36 Depth=2
	v_lshlrev_b32_e32 v4, 2, v2
	ds_write_b32 v4, v24
.LBB194_38:                             ;   in Loop: Header=BB194_36 Depth=2
	s_or_b64 exec, exec, s[30:31]
	s_and_saveexec_b64 s[30:31], s[28:29]
	s_cbranch_execz .LBB194_35
; %bb.39:                               ;   in Loop: Header=BB194_36 Depth=2
	v_lshlrev_b32_e32 v4, 2, v3
	ds_write_b32 v4, v24
	s_branch .LBB194_35
.LBB194_40:                             ;   in Loop: Header=BB194_33 Depth=1
	s_or_b64 exec, exec, s[24:25]
	s_sub_i32 s24, 64, s37
	s_min_u32 s24, s35, s24
	v_cmp_ne_u64_e32 vcc, s[22:23], v[16:17]
	s_lshl_b32 s24, -1, s24
	v_cndmask_b32_e32 v3, v22, v17, vcc
	v_cndmask_b32_e32 v2, -1, v16, vcc
	s_not_b32 s24, s24
	v_lshrrev_b64 v[2:3], s37, v[2:3]
	v_and_b32_e32 v2, s24, v2
	v_lshrrev_b32_e32 v3, 3, v2
	v_lshlrev_b32_e32 v2, 4, v2
	v_and_or_b32 v2, v2, s36, v0
	v_lshlrev_b32_e32 v2, 1, v2
	v_add_lshl_u32 v26, v2, v3, 1
	ds_read_u16 v25, v26
	v_cmp_ne_u64_e32 vcc, s[22:23], v[14:15]
	v_cndmask_b32_e32 v3, v22, v15, vcc
	s_waitcnt lgkmcnt(0)
	v_add_u16_e32 v2, 1, v25
	ds_write_b16 v26, v2
	v_cndmask_b32_e32 v2, -1, v14, vcc
	v_lshrrev_b64 v[2:3], s37, v[2:3]
	v_and_b32_e32 v2, s24, v2
	v_lshrrev_b32_e32 v3, 3, v2
	v_lshlrev_b32_e32 v2, 4, v2
	v_and_or_b32 v2, v2, s36, v0
	v_lshlrev_b32_e32 v2, 1, v2
	v_add_lshl_u32 v28, v2, v3, 1
	ds_read_u16 v27, v28
	s_waitcnt lgkmcnt(0)
	v_add_u16_e32 v2, 1, v27
	ds_write_b16 v28, v2
	s_waitcnt lgkmcnt(0)
	; wave barrier
	s_waitcnt lgkmcnt(0)
	ds_read2_b32 v[8:9], v21 offset1:1
	ds_read2_b32 v[6:7], v21 offset0:2 offset1:3
	ds_read2_b32 v[2:3], v21 offset0:4 offset1:5
	;; [unrolled: 1-line block ×3, first 2 shown]
	s_waitcnt lgkmcnt(3)
	v_add_u32_e32 v29, v9, v8
	s_waitcnt lgkmcnt(2)
	v_add3_u32 v29, v29, v6, v7
	s_waitcnt lgkmcnt(1)
	v_add3_u32 v29, v29, v2, v3
	;; [unrolled: 2-line block ×3, first 2 shown]
	s_nop 1
	v_mov_b32_dpp v29, v5 row_shr:1 row_mask:0xf bank_mask:0xf
	v_cndmask_b32_e64 v29, v29, 0, s[6:7]
	v_add_u32_e32 v5, v29, v5
	s_nop 1
	v_mov_b32_dpp v29, v5 row_shr:2 row_mask:0xf bank_mask:0xf
	v_cndmask_b32_e64 v29, 0, v29, s[8:9]
	v_add_u32_e32 v5, v5, v29
	;; [unrolled: 4-line block ×4, first 2 shown]
	s_and_saveexec_b64 s[24:25], s[14:15]
	s_cbranch_execz .LBB194_42
; %bb.41:                               ;   in Loop: Header=BB194_33 Depth=1
	ds_write_b32 v24, v5 offset:512
.LBB194_42:                             ;   in Loop: Header=BB194_33 Depth=1
	s_or_b64 exec, exec, s[24:25]
	ds_bpermute_b32 v5, v32, v5
	s_waitcnt lgkmcnt(0)
	; wave barrier
	s_waitcnt lgkmcnt(0)
	ds_read_b32 v29, v24 offset:512
	s_cmp_gt_u32 s37, 59
	v_cndmask_b32_e64 v5, v5, 0, s[16:17]
	s_waitcnt lgkmcnt(0)
	v_lshl_add_u32 v5, v29, 16, v5
	v_add_u32_e32 v8, v5, v8
	v_add_u32_e32 v9, v8, v9
	ds_write2_b32 v21, v5, v8 offset1:1
	v_add_u32_e32 v5, v9, v6
	v_add_u32_e32 v6, v5, v7
	;; [unrolled: 1-line block ×5, first 2 shown]
	ds_write2_b32 v21, v9, v5 offset0:2 offset1:3
	ds_write2_b32 v21, v6, v2 offset0:4 offset1:5
	;; [unrolled: 1-line block ×3, first 2 shown]
	s_waitcnt lgkmcnt(0)
	; wave barrier
	s_waitcnt lgkmcnt(0)
	ds_read_u16 v2, v26
	ds_read_u16 v3, v28
	s_waitcnt lgkmcnt(1)
	v_add_u32_sdwa v25, v2, v25 dst_sel:DWORD dst_unused:UNUSED_PAD src0_sel:DWORD src1_sel:WORD_0
	s_waitcnt lgkmcnt(0)
	v_add_u32_sdwa v26, v3, v27 dst_sel:DWORD dst_unused:UNUSED_PAD src0_sel:DWORD src1_sel:WORD_0
	s_cbranch_scc0 .LBB194_32
; %bb.43:
                                        ; implicit-def: $vgpr4_vgpr5
                                        ; implicit-def: $vgpr8_vgpr9
                                        ; implicit-def: $sgpr37
.LBB194_44:
	v_lshlrev_b32_e32 v4, 3, v25
	v_lshlrev_b32_e32 v5, 3, v26
	s_waitcnt lgkmcnt(0)
	; wave barrier
	ds_write_b64 v4, v[16:17]
	ds_write_b64 v5, v[14:15]
	s_waitcnt lgkmcnt(0)
	; wave barrier
	s_waitcnt lgkmcnt(0)
	ds_read2_b64 v[0:3], v19 offset1:1
	s_waitcnt lgkmcnt(0)
	; wave barrier
	s_waitcnt lgkmcnt(0)
	ds_write_b64 v4, v[12:13]
	ds_write_b64 v5, v[10:11]
	s_waitcnt lgkmcnt(0)
	; wave barrier
	s_waitcnt lgkmcnt(0)
	ds_read2_b64 v[10:13], v19 offset1:1
	v_bfrev_b32_e32 v4, -2
	v_cmp_gt_i64_e32 vcc, 0, v[0:1]
	v_cndmask_b32_e64 v5, v4, 0, vcc
	v_ashrrev_i32_e32 v6, 31, v1
	v_not_b32_e32 v6, v6
	v_xor_b32_e32 v15, v5, v1
	v_cmp_gt_i64_e32 vcc, 0, v[2:3]
	v_ashrrev_i32_e32 v1, 31, v3
	v_xor_b32_e32 v14, v6, v0
	v_cndmask_b32_e64 v0, v4, 0, vcc
	v_not_b32_e32 v1, v1
	v_xor_b32_e32 v17, v0, v3
	v_xor_b32_e32 v16, v1, v2
.LBB194_45:
	s_waitcnt lgkmcnt(0)
	; wave barrier
	s_waitcnt lgkmcnt(0)
	ds_write2_b64 v31, v[14:15], v[16:17] offset1:1
	s_waitcnt lgkmcnt(0)
	; wave barrier
	s_waitcnt lgkmcnt(0)
	ds_read_b64 v[0:1], v30 offset:128
	v_mov_b32_e32 v19, 0
	v_lshlrev_b64 v[2:3], 3, v[18:19]
	v_mov_b32_e32 v4, s21
	v_add_co_u32_e32 v2, vcc, s19, v2
	v_addc_co_u32_e32 v3, vcc, v4, v3, vcc
	s_and_saveexec_b64 s[4:5], s[0:1]
	s_cbranch_execz .LBB194_47
; %bb.46:
	ds_read_b64 v[4:5], v30
	s_waitcnt lgkmcnt(0)
	global_store_dwordx2 v[2:3], v[4:5], off
.LBB194_47:
	s_or_b64 exec, exec, s[4:5]
	s_and_saveexec_b64 s[4:5], s[2:3]
	s_cbranch_execz .LBB194_49
; %bb.48:
	s_lshl_b32 s6, s18, 4
	s_mov_b32 s7, 0
	s_lshl_b64 s[6:7], s[6:7], 3
	v_mov_b32_e32 v4, s7
	v_add_co_u32_e32 v2, vcc, s6, v2
	v_addc_co_u32_e32 v3, vcc, v3, v4, vcc
	s_waitcnt lgkmcnt(0)
	global_store_dwordx2 v[2:3], v[0:1], off
.LBB194_49:
	s_or_b64 exec, exec, s[4:5]
	s_waitcnt lgkmcnt(0)
	; wave barrier
	s_waitcnt lgkmcnt(0)
	ds_write2_b64 v31, v[10:11], v[12:13] offset1:1
	s_waitcnt lgkmcnt(0)
	; wave barrier
	s_waitcnt lgkmcnt(0)
	ds_read_b64 v[0:1], v30 offset:128
	v_mov_b32_e32 v21, 0
	v_lshlrev_b64 v[2:3], 3, v[20:21]
	v_mov_b32_e32 v4, s34
	v_add_co_u32_e32 v2, vcc, s33, v2
	v_addc_co_u32_e32 v3, vcc, v4, v3, vcc
	s_and_saveexec_b64 s[4:5], s[0:1]
	s_cbranch_execz .LBB194_51
; %bb.50:
	ds_read_b64 v[4:5], v30
	s_waitcnt lgkmcnt(0)
	global_store_dwordx2 v[2:3], v[4:5], off
.LBB194_51:
	s_or_b64 exec, exec, s[4:5]
	s_and_saveexec_b64 s[0:1], s[2:3]
	s_cbranch_execz .LBB194_53
; %bb.52:
	s_lshl_b32 s0, s20, 4
	s_mov_b32 s1, 0
	s_lshl_b64 s[0:1], s[0:1], 3
	v_mov_b32_e32 v4, s1
	v_add_co_u32_e32 v2, vcc, s0, v2
	v_addc_co_u32_e32 v3, vcc, v3, v4, vcc
	s_waitcnt lgkmcnt(0)
	global_store_dwordx2 v[2:3], v[0:1], off
.LBB194_53:
	s_endpgm
	.section	.rodata,"a",@progbits
	.p2align	6, 0x0
	.amdhsa_kernel _ZN2at6native18radixSortKVInPlaceILin1ELin1ELi16ELi2EdljEEvNS_4cuda6detail10TensorInfoIT3_T5_EES6_S6_S6_NS4_IT4_S6_EES6_b
		.amdhsa_group_segment_fixed_size 528
		.amdhsa_private_segment_fixed_size 0
		.amdhsa_kernarg_size 712
		.amdhsa_user_sgpr_count 6
		.amdhsa_user_sgpr_private_segment_buffer 1
		.amdhsa_user_sgpr_dispatch_ptr 0
		.amdhsa_user_sgpr_queue_ptr 0
		.amdhsa_user_sgpr_kernarg_segment_ptr 1
		.amdhsa_user_sgpr_dispatch_id 0
		.amdhsa_user_sgpr_flat_scratch_init 0
		.amdhsa_user_sgpr_kernarg_preload_length 0
		.amdhsa_user_sgpr_kernarg_preload_offset 0
		.amdhsa_user_sgpr_private_segment_size 0
		.amdhsa_uses_dynamic_stack 0
		.amdhsa_system_sgpr_private_segment_wavefront_offset 0
		.amdhsa_system_sgpr_workgroup_id_x 1
		.amdhsa_system_sgpr_workgroup_id_y 1
		.amdhsa_system_sgpr_workgroup_id_z 1
		.amdhsa_system_sgpr_workgroup_info 0
		.amdhsa_system_vgpr_workitem_id 0
		.amdhsa_next_free_vgpr 44
		.amdhsa_next_free_sgpr 42
		.amdhsa_accum_offset 44
		.amdhsa_reserve_vcc 1
		.amdhsa_reserve_flat_scratch 0
		.amdhsa_float_round_mode_32 0
		.amdhsa_float_round_mode_16_64 0
		.amdhsa_float_denorm_mode_32 3
		.amdhsa_float_denorm_mode_16_64 3
		.amdhsa_dx10_clamp 1
		.amdhsa_ieee_mode 1
		.amdhsa_fp16_overflow 0
		.amdhsa_tg_split 0
		.amdhsa_exception_fp_ieee_invalid_op 0
		.amdhsa_exception_fp_denorm_src 0
		.amdhsa_exception_fp_ieee_div_zero 0
		.amdhsa_exception_fp_ieee_overflow 0
		.amdhsa_exception_fp_ieee_underflow 0
		.amdhsa_exception_fp_ieee_inexact 0
		.amdhsa_exception_int_div_zero 0
	.end_amdhsa_kernel
	.section	.text._ZN2at6native18radixSortKVInPlaceILin1ELin1ELi16ELi2EdljEEvNS_4cuda6detail10TensorInfoIT3_T5_EES6_S6_S6_NS4_IT4_S6_EES6_b,"axG",@progbits,_ZN2at6native18radixSortKVInPlaceILin1ELin1ELi16ELi2EdljEEvNS_4cuda6detail10TensorInfoIT3_T5_EES6_S6_S6_NS4_IT4_S6_EES6_b,comdat
.Lfunc_end194:
	.size	_ZN2at6native18radixSortKVInPlaceILin1ELin1ELi16ELi2EdljEEvNS_4cuda6detail10TensorInfoIT3_T5_EES6_S6_S6_NS4_IT4_S6_EES6_b, .Lfunc_end194-_ZN2at6native18radixSortKVInPlaceILin1ELin1ELi16ELi2EdljEEvNS_4cuda6detail10TensorInfoIT3_T5_EES6_S6_S6_NS4_IT4_S6_EES6_b
                                        ; -- End function
	.section	.AMDGPU.csdata,"",@progbits
; Kernel info:
; codeLenInByte = 3460
; NumSgprs: 46
; NumVgprs: 44
; NumAgprs: 0
; TotalNumVgprs: 44
; ScratchSize: 0
; MemoryBound: 0
; FloatMode: 240
; IeeeMode: 1
; LDSByteSize: 528 bytes/workgroup (compile time only)
; SGPRBlocks: 5
; VGPRBlocks: 5
; NumSGPRsForWavesPerEU: 46
; NumVGPRsForWavesPerEU: 44
; AccumOffset: 44
; Occupancy: 8
; WaveLimiterHint : 1
; COMPUTE_PGM_RSRC2:SCRATCH_EN: 0
; COMPUTE_PGM_RSRC2:USER_SGPR: 6
; COMPUTE_PGM_RSRC2:TRAP_HANDLER: 0
; COMPUTE_PGM_RSRC2:TGID_X_EN: 1
; COMPUTE_PGM_RSRC2:TGID_Y_EN: 1
; COMPUTE_PGM_RSRC2:TGID_Z_EN: 1
; COMPUTE_PGM_RSRC2:TIDIG_COMP_CNT: 0
; COMPUTE_PGM_RSRC3_GFX90A:ACCUM_OFFSET: 10
; COMPUTE_PGM_RSRC3_GFX90A:TG_SPLIT: 0
	.section	.text._ZN2at6native18radixSortKVInPlaceILin1ELin1ELi512ELi8EdlmEEvNS_4cuda6detail10TensorInfoIT3_T5_EES6_S6_S6_NS4_IT4_S6_EES6_b,"axG",@progbits,_ZN2at6native18radixSortKVInPlaceILin1ELin1ELi512ELi8EdlmEEvNS_4cuda6detail10TensorInfoIT3_T5_EES6_S6_S6_NS4_IT4_S6_EES6_b,comdat
	.protected	_ZN2at6native18radixSortKVInPlaceILin1ELin1ELi512ELi8EdlmEEvNS_4cuda6detail10TensorInfoIT3_T5_EES6_S6_S6_NS4_IT4_S6_EES6_b ; -- Begin function _ZN2at6native18radixSortKVInPlaceILin1ELin1ELi512ELi8EdlmEEvNS_4cuda6detail10TensorInfoIT3_T5_EES6_S6_S6_NS4_IT4_S6_EES6_b
	.globl	_ZN2at6native18radixSortKVInPlaceILin1ELin1ELi512ELi8EdlmEEvNS_4cuda6detail10TensorInfoIT3_T5_EES6_S6_S6_NS4_IT4_S6_EES6_b
	.p2align	8
	.type	_ZN2at6native18radixSortKVInPlaceILin1ELin1ELi512ELi8EdlmEEvNS_4cuda6detail10TensorInfoIT3_T5_EES6_S6_S6_NS4_IT4_S6_EES6_b,@function
_ZN2at6native18radixSortKVInPlaceILin1ELin1ELi512ELi8EdlmEEvNS_4cuda6detail10TensorInfoIT3_T5_EES6_S6_S6_NS4_IT4_S6_EES6_b: ; @_ZN2at6native18radixSortKVInPlaceILin1ELin1ELi512ELi8EdlmEEvNS_4cuda6detail10TensorInfoIT3_T5_EES6_S6_S6_NS4_IT4_S6_EES6_b
; %bb.0:
	s_load_dwordx4 s[24:27], s[4:5], 0x1a0
	s_load_dwordx2 s[0:1], s[4:5], 0x368
	s_add_u32 s52, s4, 0x368
	s_addc_u32 s53, s5, 0
	s_waitcnt lgkmcnt(0)
	v_mov_b32_e32 v2, s24
	s_mul_i32 s1, s1, s8
	s_add_i32 s1, s1, s7
	s_mul_i32 s0, s1, s0
	v_mov_b32_e32 v3, s25
	s_add_i32 s6, s0, s6
	s_mov_b32 s7, 0
	v_cmp_ge_u64_e32 vcc, s[6:7], v[2:3]
	s_cbranch_vccnz .LBB195_124
; %bb.1:
	s_load_dword s0, s[4:5], 0x198
	s_load_dwordx2 s[48:49], s[4:5], 0x1b0
	s_mov_b64 s[2:3], 0
	s_mov_b64 s[8:9], s[6:7]
	s_waitcnt lgkmcnt(0)
	s_cmp_lt_i32 s0, 2
	s_cbranch_scc1 .LBB195_9
; %bb.2:
	s_mov_b32 s10, 0
	s_add_i32 s18, s0, 1
	s_add_i32 s0, s0, -1
	s_mov_b32 s1, s10
	s_lshl_b64 s[0:1], s[0:1], 3
	s_add_u32 s0, s0, s4
	s_addc_u32 s1, s1, s5
	s_add_u32 s12, s0, 8
	s_addc_u32 s13, s1, 0
	s_mov_b64 s[14:15], s[6:7]
.LBB195_3:                              ; =>This Inner Loop Header: Depth=1
	s_load_dwordx2 s[16:17], s[12:13], 0x0
	s_waitcnt lgkmcnt(0)
	s_or_b64 s[0:1], s[14:15], s[16:17]
	s_mov_b32 s11, s1
	s_cmp_lg_u64 s[10:11], 0
	s_cbranch_scc0 .LBB195_8
; %bb.4:                                ;   in Loop: Header=BB195_3 Depth=1
	v_cvt_f32_u32_e32 v1, s16
	v_cvt_f32_u32_e32 v2, s17
	s_sub_u32 s0, 0, s16
	s_subb_u32 s1, 0, s17
	v_mac_f32_e32 v1, 0x4f800000, v2
	v_rcp_f32_e32 v1, v1
	v_mul_f32_e32 v1, 0x5f7ffffc, v1
	v_mul_f32_e32 v2, 0x2f800000, v1
	v_trunc_f32_e32 v2, v2
	v_mac_f32_e32 v1, 0xcf800000, v2
	v_cvt_u32_f32_e32 v2, v2
	v_cvt_u32_f32_e32 v1, v1
	v_readfirstlane_b32 s8, v2
	v_readfirstlane_b32 s9, v1
	s_mul_i32 s11, s0, s8
	s_mul_hi_u32 s20, s0, s9
	s_mul_i32 s19, s1, s9
	s_add_i32 s11, s20, s11
	s_mul_i32 s21, s0, s9
	s_add_i32 s11, s11, s19
	s_mul_hi_u32 s19, s9, s11
	s_mul_i32 s20, s9, s11
	s_mul_hi_u32 s9, s9, s21
	s_add_u32 s9, s9, s20
	s_addc_u32 s19, 0, s19
	s_mul_hi_u32 s22, s8, s21
	s_mul_i32 s21, s8, s21
	s_add_u32 s9, s9, s21
	s_mul_hi_u32 s20, s8, s11
	s_addc_u32 s9, s19, s22
	s_addc_u32 s19, s20, 0
	s_mul_i32 s11, s8, s11
	s_add_u32 s9, s9, s11
	s_addc_u32 s11, 0, s19
	v_add_co_u32_e32 v1, vcc, s9, v1
	s_cmp_lg_u64 vcc, 0
	s_addc_u32 s8, s8, s11
	v_readfirstlane_b32 s11, v1
	s_mul_i32 s9, s0, s8
	s_mul_hi_u32 s19, s0, s11
	s_add_i32 s9, s19, s9
	s_mul_i32 s1, s1, s11
	s_add_i32 s9, s9, s1
	s_mul_i32 s0, s0, s11
	s_mul_hi_u32 s19, s8, s0
	s_mul_i32 s20, s8, s0
	s_mul_i32 s22, s11, s9
	s_mul_hi_u32 s0, s11, s0
	s_mul_hi_u32 s21, s11, s9
	s_add_u32 s0, s0, s22
	s_addc_u32 s11, 0, s21
	s_add_u32 s0, s0, s20
	s_mul_hi_u32 s1, s8, s9
	s_addc_u32 s0, s11, s19
	s_addc_u32 s1, s1, 0
	s_mul_i32 s9, s8, s9
	s_add_u32 s0, s0, s9
	s_addc_u32 s1, 0, s1
	v_add_co_u32_e32 v1, vcc, s0, v1
	s_cmp_lg_u64 vcc, 0
	s_addc_u32 s0, s8, s1
	v_readfirstlane_b32 s9, v1
	s_mul_i32 s8, s14, s0
	s_mul_hi_u32 s11, s14, s9
	s_mul_hi_u32 s1, s14, s0
	s_add_u32 s8, s11, s8
	s_addc_u32 s1, 0, s1
	s_mul_hi_u32 s19, s15, s9
	s_mul_i32 s9, s15, s9
	s_add_u32 s8, s8, s9
	s_mul_hi_u32 s11, s15, s0
	s_addc_u32 s1, s1, s19
	s_addc_u32 s8, s11, 0
	s_mul_i32 s0, s15, s0
	s_add_u32 s11, s1, s0
	s_addc_u32 s8, 0, s8
	s_mul_i32 s0, s16, s8
	s_mul_hi_u32 s1, s16, s11
	s_add_i32 s0, s1, s0
	s_mul_i32 s1, s17, s11
	s_add_i32 s9, s0, s1
	s_mul_i32 s1, s16, s11
	v_mov_b32_e32 v1, s1
	s_sub_i32 s0, s15, s9
	v_sub_co_u32_e32 v1, vcc, s14, v1
	s_cmp_lg_u64 vcc, 0
	s_subb_u32 s19, s0, s17
	v_subrev_co_u32_e64 v2, s[0:1], s16, v1
	s_cmp_lg_u64 s[0:1], 0
	s_subb_u32 s0, s19, 0
	s_cmp_ge_u32 s0, s17
	v_readfirstlane_b32 s19, v2
	s_cselect_b32 s1, -1, 0
	s_cmp_ge_u32 s19, s16
	s_cselect_b32 s19, -1, 0
	s_cmp_eq_u32 s0, s17
	s_cselect_b32 s0, s19, s1
	s_add_u32 s1, s11, 1
	s_addc_u32 s19, s8, 0
	s_add_u32 s20, s11, 2
	s_addc_u32 s21, s8, 0
	s_cmp_lg_u32 s0, 0
	s_cselect_b32 s0, s20, s1
	s_cselect_b32 s1, s21, s19
	s_cmp_lg_u64 vcc, 0
	s_subb_u32 s9, s15, s9
	s_cmp_ge_u32 s9, s17
	v_readfirstlane_b32 s20, v1
	s_cselect_b32 s19, -1, 0
	s_cmp_ge_u32 s20, s16
	s_cselect_b32 s20, -1, 0
	s_cmp_eq_u32 s9, s17
	s_cselect_b32 s9, s20, s19
	s_cmp_lg_u32 s9, 0
	s_cselect_b32 s9, s1, s8
	s_cselect_b32 s8, s0, s11
	s_cbranch_execnz .LBB195_6
.LBB195_5:                              ;   in Loop: Header=BB195_3 Depth=1
	v_cvt_f32_u32_e32 v1, s16
	s_sub_i32 s0, 0, s16
	v_rcp_iflag_f32_e32 v1, v1
	v_mul_f32_e32 v1, 0x4f7ffffe, v1
	v_cvt_u32_f32_e32 v1, v1
	v_readfirstlane_b32 s1, v1
	s_mul_i32 s0, s0, s1
	s_mul_hi_u32 s0, s1, s0
	s_add_i32 s1, s1, s0
	s_mul_hi_u32 s0, s14, s1
	s_mul_i32 s8, s0, s16
	s_sub_i32 s8, s14, s8
	s_add_i32 s1, s0, 1
	s_sub_i32 s9, s8, s16
	s_cmp_ge_u32 s8, s16
	s_cselect_b32 s0, s1, s0
	s_cselect_b32 s8, s9, s8
	s_add_i32 s1, s0, 1
	s_cmp_ge_u32 s8, s16
	s_cselect_b32 s8, s1, s0
	s_mov_b32 s9, s10
.LBB195_6:                              ;   in Loop: Header=BB195_3 Depth=1
	s_mul_i32 s0, s8, s17
	s_mul_hi_u32 s1, s8, s16
	s_add_i32 s11, s1, s0
	s_load_dwordx2 s[0:1], s[12:13], 0xc8
	s_mul_i32 s17, s9, s16
	s_add_i32 s11, s11, s17
	s_mul_i32 s16, s8, s16
	s_sub_u32 s14, s14, s16
	s_subb_u32 s11, s15, s11
	s_waitcnt lgkmcnt(0)
	s_mul_i32 s11, s0, s11
	s_mul_hi_u32 s15, s0, s14
	s_add_i32 s11, s15, s11
	s_mul_i32 s1, s1, s14
	s_add_i32 s11, s11, s1
	s_mul_i32 s0, s0, s14
	s_add_u32 s2, s0, s2
	s_addc_u32 s3, s11, s3
	s_add_i32 s18, s18, -1
	s_add_u32 s12, s12, -8
	s_addc_u32 s13, s13, -1
	s_cmp_gt_u32 s18, 2
	s_cbranch_scc0 .LBB195_9
; %bb.7:                                ;   in Loop: Header=BB195_3 Depth=1
	s_mov_b64 s[14:15], s[8:9]
	s_branch .LBB195_3
.LBB195_8:                              ;   in Loop: Header=BB195_3 Depth=1
                                        ; implicit-def: $sgpr8_sgpr9
	s_branch .LBB195_5
.LBB195_9:
	s_load_dword s0, s[4:5], 0x350
	s_load_dwordx2 s[10:11], s[4:5], 0xd0
	s_mov_b64 s[24:25], 0
	s_waitcnt lgkmcnt(0)
	s_cmp_lt_i32 s0, 2
	s_cbranch_scc1 .LBB195_17
; %bb.10:
	s_mov_b32 s12, 0
	s_add_i32 s18, s0, 1
	s_add_i32 s0, s0, -1
	s_mov_b32 s1, s12
	s_lshl_b64 s[0:1], s[0:1], 3
	s_add_u32 s0, s0, s4
	s_addc_u32 s1, s1, s5
	s_add_u32 s14, s0, 0x1c0
	s_addc_u32 s15, s1, 0
.LBB195_11:                             ; =>This Inner Loop Header: Depth=1
	s_load_dwordx2 s[16:17], s[14:15], 0x0
	s_waitcnt lgkmcnt(0)
	s_or_b64 s[0:1], s[6:7], s[16:17]
	s_mov_b32 s13, s1
	s_cmp_lg_u64 s[12:13], 0
	s_cbranch_scc0 .LBB195_16
; %bb.12:                               ;   in Loop: Header=BB195_11 Depth=1
	v_cvt_f32_u32_e32 v1, s16
	v_cvt_f32_u32_e32 v2, s17
	s_sub_u32 s0, 0, s16
	s_subb_u32 s1, 0, s17
	v_mac_f32_e32 v1, 0x4f800000, v2
	v_rcp_f32_e32 v1, v1
	v_mul_f32_e32 v1, 0x5f7ffffc, v1
	v_mul_f32_e32 v2, 0x2f800000, v1
	v_trunc_f32_e32 v2, v2
	v_mac_f32_e32 v1, 0xcf800000, v2
	v_cvt_u32_f32_e32 v2, v2
	v_cvt_u32_f32_e32 v1, v1
	v_readfirstlane_b32 s13, v2
	v_readfirstlane_b32 s19, v1
	s_mul_i32 s20, s0, s13
	s_mul_hi_u32 s22, s0, s19
	s_mul_i32 s21, s1, s19
	s_add_i32 s20, s22, s20
	s_mul_i32 s23, s0, s19
	s_add_i32 s20, s20, s21
	s_mul_hi_u32 s21, s19, s20
	s_mul_i32 s22, s19, s20
	s_mul_hi_u32 s19, s19, s23
	s_add_u32 s19, s19, s22
	s_addc_u32 s21, 0, s21
	s_mul_hi_u32 s27, s13, s23
	s_mul_i32 s23, s13, s23
	s_add_u32 s19, s19, s23
	s_mul_hi_u32 s22, s13, s20
	s_addc_u32 s19, s21, s27
	s_addc_u32 s21, s22, 0
	s_mul_i32 s20, s13, s20
	s_add_u32 s19, s19, s20
	s_addc_u32 s20, 0, s21
	v_add_co_u32_e32 v1, vcc, s19, v1
	s_cmp_lg_u64 vcc, 0
	s_addc_u32 s13, s13, s20
	v_readfirstlane_b32 s20, v1
	s_mul_i32 s19, s0, s13
	s_mul_hi_u32 s21, s0, s20
	s_add_i32 s19, s21, s19
	s_mul_i32 s1, s1, s20
	s_add_i32 s19, s19, s1
	s_mul_i32 s0, s0, s20
	s_mul_hi_u32 s21, s13, s0
	s_mul_i32 s22, s13, s0
	s_mul_i32 s27, s20, s19
	s_mul_hi_u32 s0, s20, s0
	s_mul_hi_u32 s23, s20, s19
	s_add_u32 s0, s0, s27
	s_addc_u32 s20, 0, s23
	s_add_u32 s0, s0, s22
	s_mul_hi_u32 s1, s13, s19
	s_addc_u32 s0, s20, s21
	s_addc_u32 s1, s1, 0
	s_mul_i32 s19, s13, s19
	s_add_u32 s0, s0, s19
	s_addc_u32 s1, 0, s1
	v_add_co_u32_e32 v1, vcc, s0, v1
	s_cmp_lg_u64 vcc, 0
	s_addc_u32 s0, s13, s1
	v_readfirstlane_b32 s19, v1
	s_mul_i32 s13, s6, s0
	s_mul_hi_u32 s20, s6, s19
	s_mul_hi_u32 s1, s6, s0
	s_add_u32 s13, s20, s13
	s_addc_u32 s1, 0, s1
	s_mul_hi_u32 s21, s7, s19
	s_mul_i32 s19, s7, s19
	s_add_u32 s13, s13, s19
	s_mul_hi_u32 s20, s7, s0
	s_addc_u32 s1, s1, s21
	s_addc_u32 s13, s20, 0
	s_mul_i32 s0, s7, s0
	s_add_u32 s19, s1, s0
	s_addc_u32 s13, 0, s13
	s_mul_i32 s0, s16, s13
	s_mul_hi_u32 s1, s16, s19
	s_add_i32 s0, s1, s0
	s_mul_i32 s1, s17, s19
	s_add_i32 s20, s0, s1
	s_mul_i32 s1, s16, s19
	v_mov_b32_e32 v1, s1
	s_sub_i32 s0, s7, s20
	v_sub_co_u32_e32 v1, vcc, s6, v1
	s_cmp_lg_u64 vcc, 0
	s_subb_u32 s21, s0, s17
	v_subrev_co_u32_e64 v2, s[0:1], s16, v1
	s_cmp_lg_u64 s[0:1], 0
	s_subb_u32 s0, s21, 0
	s_cmp_ge_u32 s0, s17
	v_readfirstlane_b32 s21, v2
	s_cselect_b32 s1, -1, 0
	s_cmp_ge_u32 s21, s16
	s_cselect_b32 s21, -1, 0
	s_cmp_eq_u32 s0, s17
	s_cselect_b32 s0, s21, s1
	s_add_u32 s1, s19, 1
	s_addc_u32 s21, s13, 0
	s_add_u32 s22, s19, 2
	s_addc_u32 s23, s13, 0
	s_cmp_lg_u32 s0, 0
	s_cselect_b32 s0, s22, s1
	s_cselect_b32 s1, s23, s21
	s_cmp_lg_u64 vcc, 0
	s_subb_u32 s20, s7, s20
	s_cmp_ge_u32 s20, s17
	v_readfirstlane_b32 s22, v1
	s_cselect_b32 s21, -1, 0
	s_cmp_ge_u32 s22, s16
	s_cselect_b32 s22, -1, 0
	s_cmp_eq_u32 s20, s17
	s_cselect_b32 s20, s22, s21
	s_cmp_lg_u32 s20, 0
	s_cselect_b32 s29, s1, s13
	s_cselect_b32 s28, s0, s19
	s_cbranch_execnz .LBB195_14
.LBB195_13:                             ;   in Loop: Header=BB195_11 Depth=1
	v_cvt_f32_u32_e32 v1, s16
	s_sub_i32 s0, 0, s16
	s_mov_b32 s29, s12
	v_rcp_iflag_f32_e32 v1, v1
	v_mul_f32_e32 v1, 0x4f7ffffe, v1
	v_cvt_u32_f32_e32 v1, v1
	v_readfirstlane_b32 s1, v1
	s_mul_i32 s0, s0, s1
	s_mul_hi_u32 s0, s1, s0
	s_add_i32 s1, s1, s0
	s_mul_hi_u32 s0, s6, s1
	s_mul_i32 s13, s0, s16
	s_sub_i32 s13, s6, s13
	s_add_i32 s1, s0, 1
	s_sub_i32 s19, s13, s16
	s_cmp_ge_u32 s13, s16
	s_cselect_b32 s0, s1, s0
	s_cselect_b32 s13, s19, s13
	s_add_i32 s1, s0, 1
	s_cmp_ge_u32 s13, s16
	s_cselect_b32 s28, s1, s0
.LBB195_14:                             ;   in Loop: Header=BB195_11 Depth=1
	s_mul_i32 s0, s28, s17
	s_mul_hi_u32 s1, s28, s16
	s_add_i32 s13, s1, s0
	s_load_dwordx2 s[0:1], s[14:15], 0xc8
	s_mul_i32 s17, s29, s16
	s_add_i32 s13, s13, s17
	s_mul_i32 s16, s28, s16
	s_sub_u32 s6, s6, s16
	s_subb_u32 s7, s7, s13
	s_waitcnt lgkmcnt(0)
	s_mul_i32 s7, s0, s7
	s_mul_hi_u32 s13, s0, s6
	s_add_i32 s7, s13, s7
	s_mul_i32 s1, s1, s6
	s_add_i32 s7, s7, s1
	s_mul_i32 s0, s0, s6
	s_add_u32 s24, s0, s24
	s_addc_u32 s25, s7, s25
	s_add_i32 s18, s18, -1
	s_add_u32 s14, s14, -8
	s_addc_u32 s15, s15, -1
	s_cmp_gt_u32 s18, 2
	s_cbranch_scc0 .LBB195_18
; %bb.15:                               ;   in Loop: Header=BB195_11 Depth=1
	s_mov_b64 s[6:7], s[28:29]
	s_branch .LBB195_11
.LBB195_16:                             ;   in Loop: Header=BB195_11 Depth=1
                                        ; implicit-def: $sgpr28_sgpr29
	s_branch .LBB195_13
.LBB195_17:
	s_mov_b64 s[28:29], s[6:7]
.LBB195_18:
	s_mul_i32 s0, s10, s9
	s_load_dword s9, s[4:5], 0x360
	s_load_dwordx2 s[6:7], s[4:5], 0x0
	s_mul_hi_u32 s1, s10, s8
	s_add_i32 s0, s1, s0
	s_mul_i32 s1, s11, s8
	s_add_i32 s1, s0, s1
	s_waitcnt lgkmcnt(0)
	s_bitcmp1_b32 s9, 0
	s_cselect_b64 s[34:35], -1, 0
	s_mul_i32 s0, s10, s8
	s_and_b64 s[10:11], s[34:35], exec
	s_cselect_b32 s9, -1, 0x7fffffff
	s_lshl_b64 s[0:1], s[0:1], 3
	s_add_u32 s6, s6, s0
	s_mov_b32 s8, -1
	s_addc_u32 s7, s7, s1
	s_lshl_b64 s[0:1], s[2:3], 3
	s_add_u32 s33, s6, s0
	v_and_b32_e32 v66, 0x3ff, v0
	s_mov_b32 s10, s8
	s_mov_b32 s11, s9
	;; [unrolled: 1-line block ×14, first 2 shown]
	v_pk_mov_b32 v[2:3], s[8:9], s[8:9] op_sel:[0,1]
	s_addc_u32 s58, s7, s1
	v_cmp_gt_u32_e64 s[0:1], s26, v66
	v_pk_mov_b32 v[4:5], s[10:11], s[10:11] op_sel:[0,1]
	v_pk_mov_b32 v[6:7], s[12:13], s[12:13] op_sel:[0,1]
	v_pk_mov_b32 v[8:9], s[14:15], s[14:15] op_sel:[0,1]
	v_pk_mov_b32 v[10:11], s[16:17], s[16:17] op_sel:[0,1]
	v_pk_mov_b32 v[12:13], s[18:19], s[18:19] op_sel:[0,1]
	v_pk_mov_b32 v[14:15], s[20:21], s[20:21] op_sel:[0,1]
	v_pk_mov_b32 v[16:17], s[22:23], s[22:23] op_sel:[0,1]
	v_pk_mov_b32 v[18:19], s[8:9], s[8:9] op_sel:[0,1]
	s_and_saveexec_b64 s[2:3], s[0:1]
	s_cbranch_execz .LBB195_20
; %bb.19:
	v_mad_u64_u32 v[2:3], s[6:7], v66, s48, 0
	v_mov_b32_e32 v4, v3
	v_mad_u64_u32 v[4:5], s[6:7], v66, s49, v[4:5]
	v_mov_b32_e32 v3, v4
	v_lshlrev_b64 v[2:3], 3, v[2:3]
	v_mov_b32_e32 v1, s58
	v_add_co_u32_e32 v2, vcc, s33, v2
	v_addc_co_u32_e32 v3, vcc, v1, v3, vcc
	global_load_dwordx2 v[18:19], v[2:3], off
	v_pk_mov_b32 v[2:3], s[8:9], s[8:9] op_sel:[0,1]
	v_pk_mov_b32 v[4:5], s[10:11], s[10:11] op_sel:[0,1]
	;; [unrolled: 1-line block ×8, first 2 shown]
.LBB195_20:
	s_or_b64 exec, exec, s[2:3]
	v_add_u32_e32 v1, 0x200, v66
	v_cmp_gt_u32_e64 s[2:3], s26, v1
	s_and_saveexec_b64 s[6:7], s[2:3]
	s_cbranch_execz .LBB195_22
; %bb.21:
	v_mad_u64_u32 v[2:3], s[8:9], v1, s48, 0
	v_mov_b32_e32 v4, v3
	v_mad_u64_u32 v[4:5], s[8:9], v1, s49, v[4:5]
	v_mov_b32_e32 v3, v4
	v_lshlrev_b64 v[2:3], 3, v[2:3]
	v_mov_b32_e32 v4, s58
	v_add_co_u32_e32 v2, vcc, s33, v2
	v_addc_co_u32_e32 v3, vcc, v4, v3, vcc
	global_load_dwordx2 v[4:5], v[2:3], off
.LBB195_22:
	s_or_b64 exec, exec, s[6:7]
	v_or_b32_e32 v34, 0x400, v66
	v_cmp_gt_u32_e64 s[46:47], s26, v34
	s_and_saveexec_b64 s[6:7], s[46:47]
	s_cbranch_execz .LBB195_24
; %bb.23:
	v_mad_u64_u32 v[2:3], s[8:9], v34, s48, 0
	v_mov_b32_e32 v6, v3
	v_mad_u64_u32 v[6:7], s[8:9], v34, s49, v[6:7]
	v_mov_b32_e32 v3, v6
	v_lshlrev_b64 v[2:3], 3, v[2:3]
	v_mov_b32_e32 v6, s58
	v_add_co_u32_e32 v2, vcc, s33, v2
	v_addc_co_u32_e32 v3, vcc, v6, v3, vcc
	global_load_dwordx2 v[6:7], v[2:3], off
.LBB195_24:
	s_or_b64 exec, exec, s[6:7]
	v_add_u32_e32 v35, 0x600, v66
	v_cmp_gt_u32_e64 s[6:7], s26, v35
	s_and_saveexec_b64 s[8:9], s[6:7]
	s_cbranch_execz .LBB195_26
; %bb.25:
	v_mad_u64_u32 v[2:3], s[10:11], v35, s48, 0
	v_mov_b32_e32 v8, v3
	v_mad_u64_u32 v[8:9], s[10:11], v35, s49, v[8:9]
	v_mov_b32_e32 v3, v8
	v_lshlrev_b64 v[2:3], 3, v[2:3]
	v_mov_b32_e32 v8, s58
	v_add_co_u32_e32 v2, vcc, s33, v2
	v_addc_co_u32_e32 v3, vcc, v8, v3, vcc
	global_load_dwordx2 v[8:9], v[2:3], off
.LBB195_26:
	s_or_b64 exec, exec, s[8:9]
	v_or_b32_e32 v36, 0x800, v66
	v_cmp_gt_u32_e64 s[8:9], s26, v36
	s_and_saveexec_b64 s[10:11], s[8:9]
	s_cbranch_execz .LBB195_28
; %bb.27:
	v_mad_u64_u32 v[2:3], s[12:13], v36, s48, 0
	v_mov_b32_e32 v10, v3
	v_mad_u64_u32 v[10:11], s[12:13], v36, s49, v[10:11]
	v_mov_b32_e32 v3, v10
	v_lshlrev_b64 v[2:3], 3, v[2:3]
	v_mov_b32_e32 v10, s58
	v_add_co_u32_e32 v2, vcc, s33, v2
	v_addc_co_u32_e32 v3, vcc, v10, v3, vcc
	global_load_dwordx2 v[10:11], v[2:3], off
.LBB195_28:
	s_or_b64 exec, exec, s[10:11]
	v_add_u32_e32 v37, 0xa00, v66
	v_cmp_gt_u32_e64 s[10:11], s26, v37
	s_and_saveexec_b64 s[12:13], s[10:11]
	s_cbranch_execz .LBB195_30
; %bb.29:
	v_mad_u64_u32 v[2:3], s[14:15], v37, s48, 0
	v_mov_b32_e32 v12, v3
	v_mad_u64_u32 v[12:13], s[14:15], v37, s49, v[12:13]
	v_mov_b32_e32 v3, v12
	v_lshlrev_b64 v[2:3], 3, v[2:3]
	v_mov_b32_e32 v12, s58
	v_add_co_u32_e32 v2, vcc, s33, v2
	v_addc_co_u32_e32 v3, vcc, v12, v3, vcc
	global_load_dwordx2 v[12:13], v[2:3], off
.LBB195_30:
	s_or_b64 exec, exec, s[12:13]
	s_load_dwordx2 s[18:19], s[4:5], 0x288
	s_load_dwordx2 s[16:17], s[4:5], 0x1b8
	v_or_b32_e32 v38, 0xc00, v66
	v_cmp_gt_u32_e64 s[12:13], s26, v38
	s_and_saveexec_b64 s[14:15], s[12:13]
	s_cbranch_execz .LBB195_32
; %bb.31:
	v_mad_u64_u32 v[2:3], s[20:21], v38, s48, 0
	v_mov_b32_e32 v14, v3
	v_mad_u64_u32 v[14:15], s[20:21], v38, s49, v[14:15]
	v_mov_b32_e32 v3, v14
	v_lshlrev_b64 v[2:3], 3, v[2:3]
	v_mov_b32_e32 v14, s58
	v_add_co_u32_e32 v2, vcc, s33, v2
	v_addc_co_u32_e32 v3, vcc, v14, v3, vcc
	global_load_dwordx2 v[14:15], v[2:3], off
.LBB195_32:
	s_or_b64 exec, exec, s[14:15]
	v_add_u32_e32 v39, 0xe00, v66
	v_cmp_gt_u32_e64 s[14:15], s26, v39
	s_and_saveexec_b64 s[20:21], s[14:15]
	s_cbranch_execz .LBB195_34
; %bb.33:
	v_mad_u64_u32 v[2:3], s[22:23], v39, s48, 0
	v_mov_b32_e32 v16, v3
	v_mad_u64_u32 v[16:17], s[22:23], v39, s49, v[16:17]
	v_mov_b32_e32 v3, v16
	v_lshlrev_b64 v[2:3], 3, v[2:3]
	v_mov_b32_e32 v16, s58
	v_add_co_u32_e32 v2, vcc, s33, v2
	v_addc_co_u32_e32 v3, vcc, v16, v3, vcc
	global_load_dwordx2 v[16:17], v[2:3], off
.LBB195_34:
	s_or_b64 exec, exec, s[20:21]
	v_lshrrev_b32_e32 v2, 5, v66
	v_add_lshl_u32 v67, v2, v66, 3
	v_lshrrev_b32_e32 v2, 5, v1
	v_add_lshl_u32 v100, v2, v66, 3
	;; [unrolled: 2-line block ×6, first 2 shown]
	v_lshrrev_b32_e32 v2, 5, v38
	s_waitcnt lgkmcnt(0)
	s_mul_i32 s20, s18, s29
	s_mul_hi_u32 s21, s18, s28
	v_add_lshl_u32 v105, v2, v66, 3
	v_lshrrev_b32_e32 v2, 5, v39
	s_add_i32 s20, s21, s20
	s_mul_i32 s19, s19, s28
	v_add_lshl_u32 v106, v2, v66, 3
	v_lshlrev_b32_e32 v108, 3, v66
	v_lshrrev_b32_e32 v2, 2, v66
	s_add_i32 s19, s20, s19
	s_mul_i32 s18, s18, s28
	v_add_lshl_u32 v107, v2, v108, 3
	s_lshl_b64 s[18:19], s[18:19], 3
	s_waitcnt vmcnt(0)
	ds_write_b64 v67, v[18:19]
	ds_write_b64 v100, v[4:5] offset:4096
	ds_write_b64 v101, v[6:7] offset:8192
	;; [unrolled: 1-line block ×7, first 2 shown]
	s_waitcnt lgkmcnt(0)
	s_barrier
	ds_read2_b64 v[30:33], v107 offset1:1
	ds_read2_b64 v[26:29], v107 offset0:2 offset1:3
	ds_read2_b64 v[22:25], v107 offset0:4 offset1:5
	;; [unrolled: 1-line block ×3, first 2 shown]
	s_add_u32 s18, s16, s18
	s_addc_u32 s19, s17, s19
	s_lshl_b64 s[16:17], s[24:25], 3
	s_load_dwordx2 s[50:51], s[4:5], 0x358
	s_add_u32 s59, s18, s16
	s_mov_b32 s16, 0
	s_addc_u32 s60, s19, s17
	s_mov_b32 s17, s16
	s_mov_b32 s18, s16
	;; [unrolled: 1-line block ×15, first 2 shown]
	v_pk_mov_b32 v[2:3], s[16:17], s[16:17] op_sel:[0,1]
	v_pk_mov_b32 v[4:5], s[18:19], s[18:19] op_sel:[0,1]
	;; [unrolled: 1-line block ×8, first 2 shown]
	v_pk_mov_b32 v[2:3], 0, 0
	s_waitcnt lgkmcnt(0)
	s_barrier
	s_and_saveexec_b64 s[4:5], s[0:1]
	s_cbranch_execnz .LBB195_71
; %bb.35:
	s_or_b64 exec, exec, s[4:5]
	s_and_saveexec_b64 s[4:5], s[2:3]
	s_cbranch_execnz .LBB195_72
.LBB195_36:
	s_or_b64 exec, exec, s[4:5]
	s_and_saveexec_b64 s[4:5], s[46:47]
	s_cbranch_execnz .LBB195_73
.LBB195_37:
	s_or_b64 exec, exec, s[4:5]
	s_and_saveexec_b64 s[4:5], s[6:7]
	s_cbranch_execnz .LBB195_74
.LBB195_38:
	s_or_b64 exec, exec, s[4:5]
	s_and_saveexec_b64 s[4:5], s[8:9]
	s_cbranch_execnz .LBB195_75
.LBB195_39:
	s_or_b64 exec, exec, s[4:5]
	s_and_saveexec_b64 s[4:5], s[10:11]
	s_cbranch_execnz .LBB195_76
.LBB195_40:
	s_or_b64 exec, exec, s[4:5]
	s_and_saveexec_b64 s[4:5], s[12:13]
	s_cbranch_execnz .LBB195_77
.LBB195_41:
	s_or_b64 exec, exec, s[4:5]
	s_xor_b64 s[4:5], s[34:35], -1
	s_and_saveexec_b64 s[16:17], s[14:15]
	s_cbranch_execz .LBB195_43
.LBB195_42:
	v_mad_u64_u32 v[16:17], s[18:19], v39, s50, 0
	v_mov_b32_e32 v34, v17
	v_mad_u64_u32 v[34:35], s[18:19], v39, s51, v[34:35]
	v_mov_b32_e32 v17, v34
	v_lshlrev_b64 v[16:17], 3, v[16:17]
	v_mov_b32_e32 v1, s60
	v_add_co_u32_e32 v16, vcc, s59, v16
	v_addc_co_u32_e32 v17, vcc, v1, v17, vcc
	global_load_dwordx2 v[16:17], v[16:17], off
.LBB195_43:
	s_or_b64 exec, exec, s[16:17]
	s_waitcnt vmcnt(0)
	ds_write_b64 v67, v[2:3]
	ds_write_b64 v100, v[4:5] offset:4096
	ds_write_b64 v101, v[6:7] offset:8192
	;; [unrolled: 1-line block ×7, first 2 shown]
	s_waitcnt lgkmcnt(0)
	s_barrier
	ds_read2_b64 v[46:49], v107 offset1:1
	ds_read2_b64 v[42:45], v107 offset0:2 offset1:3
	ds_read2_b64 v[38:41], v107 offset0:4 offset1:5
	;; [unrolled: 1-line block ×3, first 2 shown]
	s_and_b64 vcc, exec, s[4:5]
	v_bfe_u32 v112, v0, 10, 10
	v_bfe_u32 v113, v0, 20, 10
	v_ashrrev_i32_e32 v122, 31, v31
	v_ashrrev_i32_e32 v121, 31, v33
	;; [unrolled: 1-line block ×8, first 2 shown]
	v_mbcnt_lo_u32_b32 v114, -1, 0
	v_lshlrev_b32_e32 v109, 2, v66
	v_lshlrev_b32_e32 v110, 4, v66
	v_cmp_gt_u32_e64 s[16:17], 8, v66
	v_cmp_lt_u32_e64 s[18:19], 63, v66
	v_cmp_eq_u32_e64 s[20:21], 0, v66
	v_lshrrev_b32_e32 v111, 4, v66
	s_waitcnt lgkmcnt(0)
	s_barrier
	s_cbranch_vccz .LBB195_78
; %bb.44:
	v_bfrev_b32_e32 v123, 1
	v_cmp_lt_i64_e32 vcc, -1, v[30:31]
	v_cndmask_b32_e32 v0, -1, v123, vcc
	v_cmp_lt_i64_e32 vcc, -1, v[32:33]
	v_cndmask_b32_e32 v2, -1, v123, vcc
	;; [unrolled: 2-line block ×7, first 2 shown]
	v_cmp_lt_i64_e32 vcc, -1, v[20:21]
	v_mbcnt_hi_u32_b32 v68, -1, v114
	v_and_b32_e32 v69, 0x3c0, v66
	v_xor_b32_e32 v1, v0, v31
	v_xor_b32_e32 v0, v122, v30
	;; [unrolled: 1-line block ×4, first 2 shown]
	v_cndmask_b32_e32 v14, -1, v123, vcc
	v_add_lshl_u32 v16, v68, v69, 6
	v_and_b32_e32 v70, 0x1e00, v108
	v_xor_b32_e32 v5, v4, v27
	v_xor_b32_e32 v4, v120, v26
	;; [unrolled: 1-line block ×12, first 2 shown]
	ds_write2_b64 v16, v[0:1], v[2:3] offset1:1
	ds_write2_b64 v16, v[4:5], v[6:7] offset0:2 offset1:3
	ds_write2_b64 v16, v[8:9], v[10:11] offset0:4 offset1:5
	;; [unrolled: 1-line block ×3, first 2 shown]
	v_or_b32_e32 v0, v68, v70
	v_lshlrev_b32_e32 v17, 3, v0
	; wave barrier
	ds_read2st64_b64 v[0:3], v17 offset1:1
	ds_read2st64_b64 v[4:7], v17 offset0:2 offset1:3
	ds_read2st64_b64 v[8:11], v17 offset0:4 offset1:5
	;; [unrolled: 1-line block ×3, first 2 shown]
	; wave barrier
	ds_write2_b64 v16, v[46:47], v[48:49] offset1:1
	ds_write2_b64 v16, v[42:43], v[44:45] offset0:2 offset1:3
	ds_write2_b64 v16, v[38:39], v[40:41] offset0:4 offset1:5
	;; [unrolled: 1-line block ×3, first 2 shown]
	; wave barrier
	ds_read2st64_b64 v[50:53], v17 offset1:1
	ds_read2st64_b64 v[54:57], v17 offset0:2 offset1:3
	ds_read2st64_b64 v[58:61], v17 offset0:4 offset1:5
	;; [unrolled: 1-line block ×3, first 2 shown]
	s_waitcnt lgkmcnt(0)
	s_barrier
	s_load_dword s22, s[52:53], 0xc
	s_getpc_b64 s[4:5]
	s_add_u32 s4, s4, _ZN7rocprim17ROCPRIM_400000_NS16block_radix_sortIdLj512ELj8ElLj1ELj1ELj0ELNS0_26block_radix_rank_algorithmE1ELNS0_18block_padding_hintE2ELNS0_4arch9wavefront6targetE1EE19radix_bits_per_passE@rel32@lo+4
	s_addc_u32 s5, s5, _ZN7rocprim17ROCPRIM_400000_NS16block_radix_sortIdLj512ELj8ElLj1ELj1ELj0ELNS0_26block_radix_rank_algorithmE1ELNS0_18block_padding_hintE2ELNS0_4arch9wavefront6targetE1EE19radix_bits_per_passE@rel32@hi+12
	s_load_dword s61, s[4:5], 0x0
	s_mov_b32 s54, -1
	v_and_b32_e32 v127, 60, v111
	s_waitcnt lgkmcnt(0)
	s_lshr_b32 s4, s22, 16
	s_and_b32 s5, s22, 0xffff
	v_mad_u32_u24 v16, v113, s4, v112
	v_mad_u64_u32 v[16:17], s[4:5], v16, s5, v[66:67]
	v_lshrrev_b32_e32 v125, 6, v16
	v_and_b32_e32 v16, 15, v68
	v_cmp_eq_u32_e64 s[22:23], 0, v16
	v_cmp_lt_u32_e64 s[24:25], 1, v16
	v_cmp_lt_u32_e64 s[26:27], 3, v16
	;; [unrolled: 1-line block ×3, first 2 shown]
	v_and_b32_e32 v16, 16, v68
	v_cmp_eq_u32_e64 s[30:31], 0, v16
	v_min_u32_e32 v16, 0x1c0, v69
	v_or_b32_e32 v16, 63, v16
	v_cmp_eq_u32_e64 s[36:37], v16, v66
	v_add_u32_e32 v16, -1, v68
	v_and_b32_e32 v17, 64, v68
	v_cmp_lt_i32_e32 vcc, v16, v17
	v_cndmask_b32_e32 v16, v16, v68, vcc
	v_lshlrev_b32_e32 v126, 2, v16
	v_and_b32_e32 v16, 7, v68
	v_cmp_eq_u32_e64 s[40:41], 0, v16
	v_cmp_lt_u32_e64 s[42:43], 1, v16
	v_cmp_lt_u32_e64 s[44:45], 3, v16
	v_and_or_b32 v16, v68, 63, v70
	s_brev_b32 s55, -2
	v_add_u32_e32 v124, 32, v110
	v_cmp_lt_u32_e64 s[34:35], 31, v68
	s_mov_b32 s62, 64
	v_cmp_eq_u32_e64 s[38:39], 0, v68
	v_add_u32_e32 v128, -4, v127
	v_lshlrev_b32_e32 v129, 3, v16
	s_mov_b64 s[56:57], 0
	v_mov_b32_e32 v82, 0
	s_branch .LBB195_46
.LBB195_45:                             ;   in Loop: Header=BB195_46 Depth=1
	v_lshlrev_b32_e32 v50, 3, v136
	v_lshlrev_b32_e32 v51, 3, v135
	;; [unrolled: 1-line block ×8, first 2 shown]
	s_barrier
	ds_write_b64 v50, v[98:99]
	ds_write_b64 v51, v[96:97]
	;; [unrolled: 1-line block ×8, first 2 shown]
	s_waitcnt lgkmcnt(0)
	s_barrier
	ds_read2st64_b64 v[0:3], v129 offset1:1
	ds_read2st64_b64 v[4:7], v129 offset0:2 offset1:3
	ds_read2st64_b64 v[8:11], v129 offset0:4 offset1:5
	;; [unrolled: 1-line block ×3, first 2 shown]
	s_waitcnt lgkmcnt(0)
	s_barrier
	ds_write_b64 v50, v[80:81]
	ds_write_b64 v51, v[78:79]
	;; [unrolled: 1-line block ×8, first 2 shown]
	s_waitcnt lgkmcnt(0)
	s_barrier
	ds_read2st64_b64 v[50:53], v129 offset1:1
	ds_read2st64_b64 v[54:57], v129 offset0:2 offset1:3
	ds_read2st64_b64 v[58:61], v129 offset0:4 offset1:5
	;; [unrolled: 1-line block ×3, first 2 shown]
	s_add_u32 s56, s56, 8
	s_addc_u32 s57, s57, 0
	s_add_i32 s62, s62, -8
	s_waitcnt lgkmcnt(0)
	s_barrier
	s_cbranch_execz .LBB195_70
.LBB195_46:                             ; =>This Inner Loop Header: Depth=1
	v_pk_mov_b32 v[98:99], v[0:1], v[0:1] op_sel:[0,1]
	s_min_u32 s4, s61, s62
	v_cmp_ne_u64_e32 vcc, s[54:55], v[98:99]
	s_lshl_b32 s4, -1, s4
	v_cndmask_b32_e32 v1, v123, v99, vcc
	v_cndmask_b32_e32 v0, 0, v98, vcc
	s_not_b32 s63, s4
	v_lshrrev_b64 v[0:1], s56, v[0:1]
	v_and_b32_e32 v0, s63, v0
	v_lshl_add_u32 v1, v0, 3, v125
	v_pk_mov_b32 v[94:95], v[4:5], v[4:5] op_sel:[0,1]
	v_lshl_add_u32 v4, v1, 2, 32
	v_and_b32_e32 v1, 1, v0
	v_pk_mov_b32 v[96:97], v[2:3], v[2:3] op_sel:[0,1]
	v_add_co_u32_e32 v2, vcc, -1, v1
	v_addc_co_u32_e64 v3, s[4:5], 0, -1, vcc
	v_cmp_ne_u32_e32 vcc, 0, v1
	v_lshlrev_b32_e32 v83, 30, v0
	v_xor_b32_e32 v1, vcc_hi, v3
	v_not_b32_e32 v3, v83
	v_xor_b32_e32 v2, vcc_lo, v2
	v_cmp_gt_i64_e32 vcc, 0, v[82:83]
	v_ashrrev_i32_e32 v3, 31, v3
	v_and_b32_e32 v2, exec_lo, v2
	v_xor_b32_e32 v5, vcc_hi, v3
	v_xor_b32_e32 v3, vcc_lo, v3
	v_lshlrev_b32_e32 v83, 29, v0
	v_and_b32_e32 v2, v2, v3
	v_not_b32_e32 v3, v83
	v_and_b32_e32 v1, exec_hi, v1
	v_cmp_gt_i64_e32 vcc, 0, v[82:83]
	v_ashrrev_i32_e32 v3, 31, v3
	v_and_b32_e32 v1, v1, v5
	v_xor_b32_e32 v5, vcc_hi, v3
	v_xor_b32_e32 v3, vcc_lo, v3
	v_lshlrev_b32_e32 v83, 28, v0
	v_and_b32_e32 v2, v2, v3
	v_not_b32_e32 v3, v83
	v_cmp_gt_i64_e32 vcc, 0, v[82:83]
	v_ashrrev_i32_e32 v3, 31, v3
	v_and_b32_e32 v1, v1, v5
	v_xor_b32_e32 v5, vcc_hi, v3
	v_xor_b32_e32 v3, vcc_lo, v3
	v_lshlrev_b32_e32 v83, 27, v0
	v_and_b32_e32 v2, v2, v3
	v_not_b32_e32 v3, v83
	;; [unrolled: 8-line block ×3, first 2 shown]
	v_cmp_gt_i64_e32 vcc, 0, v[82:83]
	v_ashrrev_i32_e32 v3, 31, v3
	v_and_b32_e32 v1, v1, v5
	v_xor_b32_e32 v5, vcc_hi, v3
	v_xor_b32_e32 v3, vcc_lo, v3
	v_lshlrev_b32_e32 v83, 25, v0
	v_and_b32_e32 v2, v2, v3
	v_cmp_gt_i64_e32 vcc, 0, v[82:83]
	v_not_b32_e32 v3, v83
	v_lshlrev_b32_e32 v83, 24, v0
	v_ashrrev_i32_e32 v3, 31, v3
	v_not_b32_e32 v0, v83
	v_and_b32_e32 v1, v1, v5
	v_xor_b32_e32 v5, vcc_hi, v3
	v_xor_b32_e32 v3, vcc_lo, v3
	v_cmp_gt_i64_e32 vcc, 0, v[82:83]
	v_ashrrev_i32_e32 v0, 31, v0
	v_and_b32_e32 v2, v2, v3
	v_xor_b32_e32 v3, vcc_hi, v0
	v_xor_b32_e32 v0, vcc_lo, v0
	v_and_b32_e32 v1, v1, v5
	v_and_b32_e32 v0, v2, v0
	;; [unrolled: 1-line block ×3, first 2 shown]
	v_mbcnt_lo_u32_b32 v2, v0, 0
	v_mbcnt_hi_u32_b32 v5, v1, v2
	v_cmp_eq_u32_e32 vcc, 0, v5
	v_cmp_ne_u64_e64 s[4:5], 0, v[0:1]
	v_pk_mov_b32 v[84:85], v[14:15], v[14:15] op_sel:[0,1]
	v_pk_mov_b32 v[86:87], v[12:13], v[12:13] op_sel:[0,1]
	;; [unrolled: 1-line block ×13, first 2 shown]
	s_and_b64 s[64:65], s[4:5], vcc
	ds_write2_b32 v110, v82, v82 offset0:8 offset1:9
	ds_write2_b32 v124, v82, v82 offset0:2 offset1:3
	s_waitcnt lgkmcnt(0)
	s_barrier
	s_waitcnt lgkmcnt(0)
	; wave barrier
	s_and_saveexec_b64 s[4:5], s[64:65]
	s_cbranch_execz .LBB195_48
; %bb.47:                               ;   in Loop: Header=BB195_46 Depth=1
	v_bcnt_u32_b32 v0, v0, 0
	v_bcnt_u32_b32 v0, v1, v0
	ds_write_b32 v4, v0
.LBB195_48:                             ;   in Loop: Header=BB195_46 Depth=1
	s_or_b64 exec, exec, s[4:5]
	v_cmp_ne_u64_e32 vcc, s[54:55], v[96:97]
	v_cndmask_b32_e32 v1, v123, v97, vcc
	v_cndmask_b32_e32 v0, 0, v96, vcc
	v_lshrrev_b64 v[0:1], s56, v[0:1]
	v_and_b32_e32 v0, s63, v0
	v_lshlrev_b32_e32 v1, 3, v0
	v_add_lshl_u32 v1, v1, v125, 2
	; wave barrier
	v_add_u32_e32 v7, 32, v1
	ds_read_b32 v6, v1 offset:32
	v_and_b32_e32 v1, 1, v0
	v_add_co_u32_e32 v2, vcc, -1, v1
	v_addc_co_u32_e64 v3, s[4:5], 0, -1, vcc
	v_cmp_ne_u32_e32 vcc, 0, v1
	v_lshlrev_b32_e32 v83, 30, v0
	v_xor_b32_e32 v1, vcc_hi, v3
	v_not_b32_e32 v3, v83
	v_xor_b32_e32 v2, vcc_lo, v2
	v_cmp_gt_i64_e32 vcc, 0, v[82:83]
	v_ashrrev_i32_e32 v3, 31, v3
	v_and_b32_e32 v2, exec_lo, v2
	v_xor_b32_e32 v8, vcc_hi, v3
	v_xor_b32_e32 v3, vcc_lo, v3
	v_lshlrev_b32_e32 v83, 29, v0
	v_and_b32_e32 v2, v2, v3
	v_not_b32_e32 v3, v83
	v_and_b32_e32 v1, exec_hi, v1
	v_cmp_gt_i64_e32 vcc, 0, v[82:83]
	v_ashrrev_i32_e32 v3, 31, v3
	v_and_b32_e32 v1, v1, v8
	v_xor_b32_e32 v8, vcc_hi, v3
	v_xor_b32_e32 v3, vcc_lo, v3
	v_lshlrev_b32_e32 v83, 28, v0
	v_and_b32_e32 v2, v2, v3
	v_not_b32_e32 v3, v83
	v_cmp_gt_i64_e32 vcc, 0, v[82:83]
	v_ashrrev_i32_e32 v3, 31, v3
	v_and_b32_e32 v1, v1, v8
	v_xor_b32_e32 v8, vcc_hi, v3
	v_xor_b32_e32 v3, vcc_lo, v3
	v_lshlrev_b32_e32 v83, 27, v0
	v_and_b32_e32 v2, v2, v3
	v_not_b32_e32 v3, v83
	;; [unrolled: 8-line block ×3, first 2 shown]
	v_cmp_gt_i64_e32 vcc, 0, v[82:83]
	v_ashrrev_i32_e32 v3, 31, v3
	v_and_b32_e32 v1, v1, v8
	v_xor_b32_e32 v8, vcc_hi, v3
	v_xor_b32_e32 v3, vcc_lo, v3
	v_lshlrev_b32_e32 v83, 25, v0
	v_and_b32_e32 v2, v2, v3
	v_cmp_gt_i64_e32 vcc, 0, v[82:83]
	v_not_b32_e32 v3, v83
	v_lshlrev_b32_e32 v83, 24, v0
	v_ashrrev_i32_e32 v3, 31, v3
	v_not_b32_e32 v0, v83
	v_and_b32_e32 v1, v1, v8
	v_xor_b32_e32 v8, vcc_hi, v3
	v_xor_b32_e32 v3, vcc_lo, v3
	v_cmp_gt_i64_e32 vcc, 0, v[82:83]
	v_ashrrev_i32_e32 v0, 31, v0
	v_and_b32_e32 v2, v2, v3
	v_xor_b32_e32 v3, vcc_hi, v0
	v_xor_b32_e32 v0, vcc_lo, v0
	v_and_b32_e32 v1, v1, v8
	v_and_b32_e32 v0, v2, v0
	v_and_b32_e32 v1, v1, v3
	v_mbcnt_lo_u32_b32 v2, v0, 0
	v_mbcnt_hi_u32_b32 v8, v1, v2
	v_cmp_eq_u32_e32 vcc, 0, v8
	v_cmp_ne_u64_e64 s[4:5], 0, v[0:1]
	s_and_b64 s[64:65], s[4:5], vcc
	; wave barrier
	s_and_saveexec_b64 s[4:5], s[64:65]
	s_cbranch_execz .LBB195_50
; %bb.49:                               ;   in Loop: Header=BB195_46 Depth=1
	v_bcnt_u32_b32 v0, v0, 0
	v_bcnt_u32_b32 v0, v1, v0
	s_waitcnt lgkmcnt(0)
	v_add_u32_e32 v0, v6, v0
	ds_write_b32 v7, v0
.LBB195_50:                             ;   in Loop: Header=BB195_46 Depth=1
	s_or_b64 exec, exec, s[4:5]
	v_cmp_ne_u64_e32 vcc, s[54:55], v[94:95]
	v_cndmask_b32_e32 v1, v123, v95, vcc
	v_cndmask_b32_e32 v0, 0, v94, vcc
	v_lshrrev_b64 v[0:1], s56, v[0:1]
	v_and_b32_e32 v0, s63, v0
	v_lshlrev_b32_e32 v1, 3, v0
	v_add_lshl_u32 v1, v1, v125, 2
	; wave barrier
	v_add_u32_e32 v10, 32, v1
	ds_read_b32 v9, v1 offset:32
	v_and_b32_e32 v1, 1, v0
	v_add_co_u32_e32 v2, vcc, -1, v1
	v_addc_co_u32_e64 v3, s[4:5], 0, -1, vcc
	v_cmp_ne_u32_e32 vcc, 0, v1
	v_lshlrev_b32_e32 v83, 30, v0
	v_xor_b32_e32 v1, vcc_hi, v3
	v_not_b32_e32 v3, v83
	v_xor_b32_e32 v2, vcc_lo, v2
	v_cmp_gt_i64_e32 vcc, 0, v[82:83]
	v_ashrrev_i32_e32 v3, 31, v3
	v_and_b32_e32 v2, exec_lo, v2
	v_xor_b32_e32 v11, vcc_hi, v3
	v_xor_b32_e32 v3, vcc_lo, v3
	v_lshlrev_b32_e32 v83, 29, v0
	v_and_b32_e32 v2, v2, v3
	v_not_b32_e32 v3, v83
	v_and_b32_e32 v1, exec_hi, v1
	v_cmp_gt_i64_e32 vcc, 0, v[82:83]
	v_ashrrev_i32_e32 v3, 31, v3
	v_and_b32_e32 v1, v1, v11
	v_xor_b32_e32 v11, vcc_hi, v3
	v_xor_b32_e32 v3, vcc_lo, v3
	v_lshlrev_b32_e32 v83, 28, v0
	v_and_b32_e32 v2, v2, v3
	v_not_b32_e32 v3, v83
	v_cmp_gt_i64_e32 vcc, 0, v[82:83]
	v_ashrrev_i32_e32 v3, 31, v3
	v_and_b32_e32 v1, v1, v11
	v_xor_b32_e32 v11, vcc_hi, v3
	v_xor_b32_e32 v3, vcc_lo, v3
	v_lshlrev_b32_e32 v83, 27, v0
	v_and_b32_e32 v2, v2, v3
	v_not_b32_e32 v3, v83
	;; [unrolled: 8-line block ×3, first 2 shown]
	v_cmp_gt_i64_e32 vcc, 0, v[82:83]
	v_ashrrev_i32_e32 v3, 31, v3
	v_and_b32_e32 v1, v1, v11
	v_xor_b32_e32 v11, vcc_hi, v3
	v_xor_b32_e32 v3, vcc_lo, v3
	v_lshlrev_b32_e32 v83, 25, v0
	v_and_b32_e32 v2, v2, v3
	v_cmp_gt_i64_e32 vcc, 0, v[82:83]
	v_not_b32_e32 v3, v83
	v_lshlrev_b32_e32 v83, 24, v0
	v_ashrrev_i32_e32 v3, 31, v3
	v_not_b32_e32 v0, v83
	v_and_b32_e32 v1, v1, v11
	v_xor_b32_e32 v11, vcc_hi, v3
	v_xor_b32_e32 v3, vcc_lo, v3
	v_cmp_gt_i64_e32 vcc, 0, v[82:83]
	v_ashrrev_i32_e32 v0, 31, v0
	v_and_b32_e32 v2, v2, v3
	v_xor_b32_e32 v3, vcc_hi, v0
	v_xor_b32_e32 v0, vcc_lo, v0
	v_and_b32_e32 v1, v1, v11
	v_and_b32_e32 v0, v2, v0
	;; [unrolled: 1-line block ×3, first 2 shown]
	v_mbcnt_lo_u32_b32 v2, v0, 0
	v_mbcnt_hi_u32_b32 v11, v1, v2
	v_cmp_eq_u32_e32 vcc, 0, v11
	v_cmp_ne_u64_e64 s[4:5], 0, v[0:1]
	s_and_b64 s[64:65], s[4:5], vcc
	; wave barrier
	s_and_saveexec_b64 s[4:5], s[64:65]
	s_cbranch_execz .LBB195_52
; %bb.51:                               ;   in Loop: Header=BB195_46 Depth=1
	v_bcnt_u32_b32 v0, v0, 0
	v_bcnt_u32_b32 v0, v1, v0
	s_waitcnt lgkmcnt(0)
	v_add_u32_e32 v0, v9, v0
	ds_write_b32 v10, v0
.LBB195_52:                             ;   in Loop: Header=BB195_46 Depth=1
	s_or_b64 exec, exec, s[4:5]
	v_cmp_ne_u64_e32 vcc, s[54:55], v[92:93]
	v_cndmask_b32_e32 v1, v123, v93, vcc
	v_cndmask_b32_e32 v0, 0, v92, vcc
	v_lshrrev_b64 v[0:1], s56, v[0:1]
	v_and_b32_e32 v0, s63, v0
	v_lshlrev_b32_e32 v1, 3, v0
	v_add_lshl_u32 v1, v1, v125, 2
	; wave barrier
	v_add_u32_e32 v13, 32, v1
	ds_read_b32 v12, v1 offset:32
	v_and_b32_e32 v1, 1, v0
	v_add_co_u32_e32 v2, vcc, -1, v1
	v_addc_co_u32_e64 v3, s[4:5], 0, -1, vcc
	v_cmp_ne_u32_e32 vcc, 0, v1
	v_lshlrev_b32_e32 v83, 30, v0
	v_xor_b32_e32 v1, vcc_hi, v3
	v_not_b32_e32 v3, v83
	v_xor_b32_e32 v2, vcc_lo, v2
	v_cmp_gt_i64_e32 vcc, 0, v[82:83]
	v_ashrrev_i32_e32 v3, 31, v3
	v_and_b32_e32 v2, exec_lo, v2
	v_xor_b32_e32 v14, vcc_hi, v3
	v_xor_b32_e32 v3, vcc_lo, v3
	v_lshlrev_b32_e32 v83, 29, v0
	v_and_b32_e32 v2, v2, v3
	v_not_b32_e32 v3, v83
	v_and_b32_e32 v1, exec_hi, v1
	v_cmp_gt_i64_e32 vcc, 0, v[82:83]
	v_ashrrev_i32_e32 v3, 31, v3
	v_and_b32_e32 v1, v1, v14
	v_xor_b32_e32 v14, vcc_hi, v3
	v_xor_b32_e32 v3, vcc_lo, v3
	v_lshlrev_b32_e32 v83, 28, v0
	v_and_b32_e32 v2, v2, v3
	v_not_b32_e32 v3, v83
	v_cmp_gt_i64_e32 vcc, 0, v[82:83]
	v_ashrrev_i32_e32 v3, 31, v3
	v_and_b32_e32 v1, v1, v14
	v_xor_b32_e32 v14, vcc_hi, v3
	v_xor_b32_e32 v3, vcc_lo, v3
	v_lshlrev_b32_e32 v83, 27, v0
	v_and_b32_e32 v2, v2, v3
	v_not_b32_e32 v3, v83
	;; [unrolled: 8-line block ×3, first 2 shown]
	v_cmp_gt_i64_e32 vcc, 0, v[82:83]
	v_ashrrev_i32_e32 v3, 31, v3
	v_and_b32_e32 v1, v1, v14
	v_xor_b32_e32 v14, vcc_hi, v3
	v_xor_b32_e32 v3, vcc_lo, v3
	v_lshlrev_b32_e32 v83, 25, v0
	v_and_b32_e32 v2, v2, v3
	v_cmp_gt_i64_e32 vcc, 0, v[82:83]
	v_not_b32_e32 v3, v83
	v_lshlrev_b32_e32 v83, 24, v0
	v_ashrrev_i32_e32 v3, 31, v3
	v_not_b32_e32 v0, v83
	v_and_b32_e32 v1, v1, v14
	v_xor_b32_e32 v14, vcc_hi, v3
	v_xor_b32_e32 v3, vcc_lo, v3
	v_cmp_gt_i64_e32 vcc, 0, v[82:83]
	v_ashrrev_i32_e32 v0, 31, v0
	v_and_b32_e32 v2, v2, v3
	v_xor_b32_e32 v3, vcc_hi, v0
	v_xor_b32_e32 v0, vcc_lo, v0
	v_and_b32_e32 v1, v1, v14
	v_and_b32_e32 v0, v2, v0
	;; [unrolled: 1-line block ×3, first 2 shown]
	v_mbcnt_lo_u32_b32 v2, v0, 0
	v_mbcnt_hi_u32_b32 v14, v1, v2
	v_cmp_eq_u32_e32 vcc, 0, v14
	v_cmp_ne_u64_e64 s[4:5], 0, v[0:1]
	s_and_b64 s[64:65], s[4:5], vcc
	; wave barrier
	s_and_saveexec_b64 s[4:5], s[64:65]
	s_cbranch_execz .LBB195_54
; %bb.53:                               ;   in Loop: Header=BB195_46 Depth=1
	v_bcnt_u32_b32 v0, v0, 0
	v_bcnt_u32_b32 v0, v1, v0
	s_waitcnt lgkmcnt(0)
	v_add_u32_e32 v0, v12, v0
	ds_write_b32 v13, v0
.LBB195_54:                             ;   in Loop: Header=BB195_46 Depth=1
	s_or_b64 exec, exec, s[4:5]
	v_cmp_ne_u64_e32 vcc, s[54:55], v[90:91]
	v_cndmask_b32_e32 v1, v123, v91, vcc
	v_cndmask_b32_e32 v0, 0, v90, vcc
	v_lshrrev_b64 v[0:1], s56, v[0:1]
	v_and_b32_e32 v0, s63, v0
	v_lshlrev_b32_e32 v1, 3, v0
	v_add_lshl_u32 v1, v1, v125, 2
	; wave barrier
	v_add_u32_e32 v50, 32, v1
	ds_read_b32 v15, v1 offset:32
	v_and_b32_e32 v1, 1, v0
	v_add_co_u32_e32 v2, vcc, -1, v1
	v_addc_co_u32_e64 v3, s[4:5], 0, -1, vcc
	v_cmp_ne_u32_e32 vcc, 0, v1
	v_lshlrev_b32_e32 v83, 30, v0
	v_xor_b32_e32 v1, vcc_hi, v3
	v_not_b32_e32 v3, v83
	v_xor_b32_e32 v2, vcc_lo, v2
	v_cmp_gt_i64_e32 vcc, 0, v[82:83]
	v_ashrrev_i32_e32 v3, 31, v3
	v_and_b32_e32 v2, exec_lo, v2
	v_xor_b32_e32 v51, vcc_hi, v3
	v_xor_b32_e32 v3, vcc_lo, v3
	v_lshlrev_b32_e32 v83, 29, v0
	v_and_b32_e32 v2, v2, v3
	v_not_b32_e32 v3, v83
	v_and_b32_e32 v1, exec_hi, v1
	v_cmp_gt_i64_e32 vcc, 0, v[82:83]
	v_ashrrev_i32_e32 v3, 31, v3
	v_and_b32_e32 v1, v1, v51
	v_xor_b32_e32 v51, vcc_hi, v3
	v_xor_b32_e32 v3, vcc_lo, v3
	v_lshlrev_b32_e32 v83, 28, v0
	v_and_b32_e32 v2, v2, v3
	v_not_b32_e32 v3, v83
	v_cmp_gt_i64_e32 vcc, 0, v[82:83]
	v_ashrrev_i32_e32 v3, 31, v3
	v_and_b32_e32 v1, v1, v51
	v_xor_b32_e32 v51, vcc_hi, v3
	v_xor_b32_e32 v3, vcc_lo, v3
	v_lshlrev_b32_e32 v83, 27, v0
	v_and_b32_e32 v2, v2, v3
	v_not_b32_e32 v3, v83
	v_cmp_gt_i64_e32 vcc, 0, v[82:83]
	v_ashrrev_i32_e32 v3, 31, v3
	v_and_b32_e32 v1, v1, v51
	v_xor_b32_e32 v51, vcc_hi, v3
	v_xor_b32_e32 v3, vcc_lo, v3
	v_lshlrev_b32_e32 v83, 26, v0
	v_and_b32_e32 v2, v2, v3
	v_not_b32_e32 v3, v83
	v_cmp_gt_i64_e32 vcc, 0, v[82:83]
	v_ashrrev_i32_e32 v3, 31, v3
	v_and_b32_e32 v1, v1, v51
	v_xor_b32_e32 v51, vcc_hi, v3
	v_xor_b32_e32 v3, vcc_lo, v3
	v_lshlrev_b32_e32 v83, 25, v0
	v_and_b32_e32 v2, v2, v3
	v_cmp_gt_i64_e32 vcc, 0, v[82:83]
	v_not_b32_e32 v3, v83
	v_lshlrev_b32_e32 v83, 24, v0
	v_ashrrev_i32_e32 v3, 31, v3
	v_not_b32_e32 v0, v83
	v_and_b32_e32 v1, v1, v51
	v_xor_b32_e32 v51, vcc_hi, v3
	v_xor_b32_e32 v3, vcc_lo, v3
	v_cmp_gt_i64_e32 vcc, 0, v[82:83]
	v_ashrrev_i32_e32 v0, 31, v0
	v_and_b32_e32 v2, v2, v3
	v_xor_b32_e32 v3, vcc_hi, v0
	v_xor_b32_e32 v0, vcc_lo, v0
	v_and_b32_e32 v1, v1, v51
	v_and_b32_e32 v0, v2, v0
	;; [unrolled: 1-line block ×3, first 2 shown]
	v_mbcnt_lo_u32_b32 v2, v0, 0
	v_mbcnt_hi_u32_b32 v51, v1, v2
	v_cmp_eq_u32_e32 vcc, 0, v51
	v_cmp_ne_u64_e64 s[4:5], 0, v[0:1]
	s_and_b64 s[64:65], s[4:5], vcc
	; wave barrier
	s_and_saveexec_b64 s[4:5], s[64:65]
	s_cbranch_execz .LBB195_56
; %bb.55:                               ;   in Loop: Header=BB195_46 Depth=1
	v_bcnt_u32_b32 v0, v0, 0
	v_bcnt_u32_b32 v0, v1, v0
	s_waitcnt lgkmcnt(0)
	v_add_u32_e32 v0, v15, v0
	ds_write_b32 v50, v0
.LBB195_56:                             ;   in Loop: Header=BB195_46 Depth=1
	s_or_b64 exec, exec, s[4:5]
	v_cmp_ne_u64_e32 vcc, s[54:55], v[88:89]
	v_cndmask_b32_e32 v1, v123, v89, vcc
	v_cndmask_b32_e32 v0, 0, v88, vcc
	v_lshrrev_b64 v[0:1], s56, v[0:1]
	v_and_b32_e32 v0, s63, v0
	v_lshlrev_b32_e32 v1, 3, v0
	v_add_lshl_u32 v1, v1, v125, 2
	; wave barrier
	v_add_u32_e32 v53, 32, v1
	ds_read_b32 v52, v1 offset:32
	v_and_b32_e32 v1, 1, v0
	v_add_co_u32_e32 v2, vcc, -1, v1
	v_addc_co_u32_e64 v3, s[4:5], 0, -1, vcc
	v_cmp_ne_u32_e32 vcc, 0, v1
	v_lshlrev_b32_e32 v83, 30, v0
	v_xor_b32_e32 v1, vcc_hi, v3
	v_not_b32_e32 v3, v83
	v_xor_b32_e32 v2, vcc_lo, v2
	v_cmp_gt_i64_e32 vcc, 0, v[82:83]
	v_ashrrev_i32_e32 v3, 31, v3
	v_and_b32_e32 v2, exec_lo, v2
	v_xor_b32_e32 v54, vcc_hi, v3
	v_xor_b32_e32 v3, vcc_lo, v3
	v_lshlrev_b32_e32 v83, 29, v0
	v_and_b32_e32 v2, v2, v3
	v_not_b32_e32 v3, v83
	v_and_b32_e32 v1, exec_hi, v1
	v_cmp_gt_i64_e32 vcc, 0, v[82:83]
	v_ashrrev_i32_e32 v3, 31, v3
	v_and_b32_e32 v1, v1, v54
	v_xor_b32_e32 v54, vcc_hi, v3
	v_xor_b32_e32 v3, vcc_lo, v3
	v_lshlrev_b32_e32 v83, 28, v0
	v_and_b32_e32 v2, v2, v3
	v_not_b32_e32 v3, v83
	v_cmp_gt_i64_e32 vcc, 0, v[82:83]
	v_ashrrev_i32_e32 v3, 31, v3
	v_and_b32_e32 v1, v1, v54
	v_xor_b32_e32 v54, vcc_hi, v3
	v_xor_b32_e32 v3, vcc_lo, v3
	v_lshlrev_b32_e32 v83, 27, v0
	v_and_b32_e32 v2, v2, v3
	v_not_b32_e32 v3, v83
	;; [unrolled: 8-line block ×3, first 2 shown]
	v_cmp_gt_i64_e32 vcc, 0, v[82:83]
	v_ashrrev_i32_e32 v3, 31, v3
	v_and_b32_e32 v1, v1, v54
	v_xor_b32_e32 v54, vcc_hi, v3
	v_xor_b32_e32 v3, vcc_lo, v3
	v_lshlrev_b32_e32 v83, 25, v0
	v_and_b32_e32 v2, v2, v3
	v_cmp_gt_i64_e32 vcc, 0, v[82:83]
	v_not_b32_e32 v3, v83
	v_lshlrev_b32_e32 v83, 24, v0
	v_ashrrev_i32_e32 v3, 31, v3
	v_not_b32_e32 v0, v83
	v_and_b32_e32 v1, v1, v54
	v_xor_b32_e32 v54, vcc_hi, v3
	v_xor_b32_e32 v3, vcc_lo, v3
	v_cmp_gt_i64_e32 vcc, 0, v[82:83]
	v_ashrrev_i32_e32 v0, 31, v0
	v_and_b32_e32 v2, v2, v3
	v_xor_b32_e32 v3, vcc_hi, v0
	v_xor_b32_e32 v0, vcc_lo, v0
	v_and_b32_e32 v1, v1, v54
	v_and_b32_e32 v0, v2, v0
	v_and_b32_e32 v1, v1, v3
	v_mbcnt_lo_u32_b32 v2, v0, 0
	v_mbcnt_hi_u32_b32 v54, v1, v2
	v_cmp_eq_u32_e32 vcc, 0, v54
	v_cmp_ne_u64_e64 s[4:5], 0, v[0:1]
	s_and_b64 s[64:65], s[4:5], vcc
	; wave barrier
	s_and_saveexec_b64 s[4:5], s[64:65]
	s_cbranch_execz .LBB195_58
; %bb.57:                               ;   in Loop: Header=BB195_46 Depth=1
	v_bcnt_u32_b32 v0, v0, 0
	v_bcnt_u32_b32 v0, v1, v0
	s_waitcnt lgkmcnt(0)
	v_add_u32_e32 v0, v52, v0
	ds_write_b32 v53, v0
.LBB195_58:                             ;   in Loop: Header=BB195_46 Depth=1
	s_or_b64 exec, exec, s[4:5]
	v_cmp_ne_u64_e32 vcc, s[54:55], v[86:87]
	v_cndmask_b32_e32 v1, v123, v87, vcc
	v_cndmask_b32_e32 v0, 0, v86, vcc
	v_lshrrev_b64 v[0:1], s56, v[0:1]
	v_and_b32_e32 v0, s63, v0
	v_lshlrev_b32_e32 v1, 3, v0
	v_add_lshl_u32 v1, v1, v125, 2
	; wave barrier
	v_add_u32_e32 v56, 32, v1
	ds_read_b32 v55, v1 offset:32
	v_and_b32_e32 v1, 1, v0
	v_add_co_u32_e32 v2, vcc, -1, v1
	v_addc_co_u32_e64 v3, s[4:5], 0, -1, vcc
	v_cmp_ne_u32_e32 vcc, 0, v1
	v_lshlrev_b32_e32 v83, 30, v0
	v_xor_b32_e32 v1, vcc_hi, v3
	v_not_b32_e32 v3, v83
	v_xor_b32_e32 v2, vcc_lo, v2
	v_cmp_gt_i64_e32 vcc, 0, v[82:83]
	v_ashrrev_i32_e32 v3, 31, v3
	v_and_b32_e32 v2, exec_lo, v2
	v_xor_b32_e32 v57, vcc_hi, v3
	v_xor_b32_e32 v3, vcc_lo, v3
	v_lshlrev_b32_e32 v83, 29, v0
	v_and_b32_e32 v2, v2, v3
	v_not_b32_e32 v3, v83
	v_and_b32_e32 v1, exec_hi, v1
	v_cmp_gt_i64_e32 vcc, 0, v[82:83]
	v_ashrrev_i32_e32 v3, 31, v3
	v_and_b32_e32 v1, v1, v57
	v_xor_b32_e32 v57, vcc_hi, v3
	v_xor_b32_e32 v3, vcc_lo, v3
	v_lshlrev_b32_e32 v83, 28, v0
	v_and_b32_e32 v2, v2, v3
	v_not_b32_e32 v3, v83
	v_cmp_gt_i64_e32 vcc, 0, v[82:83]
	v_ashrrev_i32_e32 v3, 31, v3
	v_and_b32_e32 v1, v1, v57
	v_xor_b32_e32 v57, vcc_hi, v3
	v_xor_b32_e32 v3, vcc_lo, v3
	v_lshlrev_b32_e32 v83, 27, v0
	v_and_b32_e32 v2, v2, v3
	v_not_b32_e32 v3, v83
	;; [unrolled: 8-line block ×3, first 2 shown]
	v_cmp_gt_i64_e32 vcc, 0, v[82:83]
	v_ashrrev_i32_e32 v3, 31, v3
	v_and_b32_e32 v1, v1, v57
	v_xor_b32_e32 v57, vcc_hi, v3
	v_xor_b32_e32 v3, vcc_lo, v3
	v_lshlrev_b32_e32 v83, 25, v0
	v_and_b32_e32 v2, v2, v3
	v_cmp_gt_i64_e32 vcc, 0, v[82:83]
	v_not_b32_e32 v3, v83
	v_lshlrev_b32_e32 v83, 24, v0
	v_ashrrev_i32_e32 v3, 31, v3
	v_not_b32_e32 v0, v83
	v_and_b32_e32 v1, v1, v57
	v_xor_b32_e32 v57, vcc_hi, v3
	v_xor_b32_e32 v3, vcc_lo, v3
	v_cmp_gt_i64_e32 vcc, 0, v[82:83]
	v_ashrrev_i32_e32 v0, 31, v0
	v_and_b32_e32 v2, v2, v3
	v_xor_b32_e32 v3, vcc_hi, v0
	v_xor_b32_e32 v0, vcc_lo, v0
	v_and_b32_e32 v1, v1, v57
	v_and_b32_e32 v0, v2, v0
	;; [unrolled: 1-line block ×3, first 2 shown]
	v_mbcnt_lo_u32_b32 v2, v0, 0
	v_mbcnt_hi_u32_b32 v57, v1, v2
	v_cmp_eq_u32_e32 vcc, 0, v57
	v_cmp_ne_u64_e64 s[4:5], 0, v[0:1]
	s_and_b64 s[64:65], s[4:5], vcc
	; wave barrier
	s_and_saveexec_b64 s[4:5], s[64:65]
	s_cbranch_execz .LBB195_60
; %bb.59:                               ;   in Loop: Header=BB195_46 Depth=1
	v_bcnt_u32_b32 v0, v0, 0
	v_bcnt_u32_b32 v0, v1, v0
	s_waitcnt lgkmcnt(0)
	v_add_u32_e32 v0, v55, v0
	ds_write_b32 v56, v0
.LBB195_60:                             ;   in Loop: Header=BB195_46 Depth=1
	s_or_b64 exec, exec, s[4:5]
	v_cmp_ne_u64_e32 vcc, s[54:55], v[84:85]
	v_cndmask_b32_e32 v1, v123, v85, vcc
	v_cndmask_b32_e32 v0, 0, v84, vcc
	v_lshrrev_b64 v[0:1], s56, v[0:1]
	v_and_b32_e32 v0, s63, v0
	v_lshlrev_b32_e32 v1, 3, v0
	v_add_lshl_u32 v1, v1, v125, 2
	; wave barrier
	v_add_u32_e32 v59, 32, v1
	ds_read_b32 v58, v1 offset:32
	v_and_b32_e32 v1, 1, v0
	v_add_co_u32_e32 v2, vcc, -1, v1
	v_addc_co_u32_e64 v3, s[4:5], 0, -1, vcc
	v_cmp_ne_u32_e32 vcc, 0, v1
	v_lshlrev_b32_e32 v83, 30, v0
	v_xor_b32_e32 v1, vcc_hi, v3
	v_not_b32_e32 v3, v83
	v_xor_b32_e32 v2, vcc_lo, v2
	v_cmp_gt_i64_e32 vcc, 0, v[82:83]
	v_ashrrev_i32_e32 v3, 31, v3
	v_and_b32_e32 v2, exec_lo, v2
	v_xor_b32_e32 v60, vcc_hi, v3
	v_xor_b32_e32 v3, vcc_lo, v3
	v_lshlrev_b32_e32 v83, 29, v0
	v_and_b32_e32 v2, v2, v3
	v_not_b32_e32 v3, v83
	v_and_b32_e32 v1, exec_hi, v1
	v_cmp_gt_i64_e32 vcc, 0, v[82:83]
	v_ashrrev_i32_e32 v3, 31, v3
	v_and_b32_e32 v1, v1, v60
	v_xor_b32_e32 v60, vcc_hi, v3
	v_xor_b32_e32 v3, vcc_lo, v3
	v_lshlrev_b32_e32 v83, 28, v0
	v_and_b32_e32 v2, v2, v3
	v_not_b32_e32 v3, v83
	v_cmp_gt_i64_e32 vcc, 0, v[82:83]
	v_ashrrev_i32_e32 v3, 31, v3
	v_and_b32_e32 v1, v1, v60
	v_xor_b32_e32 v60, vcc_hi, v3
	v_xor_b32_e32 v3, vcc_lo, v3
	v_lshlrev_b32_e32 v83, 27, v0
	v_and_b32_e32 v2, v2, v3
	v_not_b32_e32 v3, v83
	;; [unrolled: 8-line block ×3, first 2 shown]
	v_cmp_gt_i64_e32 vcc, 0, v[82:83]
	v_ashrrev_i32_e32 v3, 31, v3
	v_and_b32_e32 v1, v1, v60
	v_xor_b32_e32 v60, vcc_hi, v3
	v_xor_b32_e32 v3, vcc_lo, v3
	v_lshlrev_b32_e32 v83, 25, v0
	v_and_b32_e32 v2, v2, v3
	v_cmp_gt_i64_e32 vcc, 0, v[82:83]
	v_not_b32_e32 v3, v83
	v_lshlrev_b32_e32 v83, 24, v0
	v_ashrrev_i32_e32 v3, 31, v3
	v_not_b32_e32 v0, v83
	v_and_b32_e32 v1, v1, v60
	v_xor_b32_e32 v60, vcc_hi, v3
	v_xor_b32_e32 v3, vcc_lo, v3
	v_cmp_gt_i64_e32 vcc, 0, v[82:83]
	v_ashrrev_i32_e32 v0, 31, v0
	v_and_b32_e32 v2, v2, v3
	v_xor_b32_e32 v3, vcc_hi, v0
	v_xor_b32_e32 v0, vcc_lo, v0
	v_and_b32_e32 v1, v1, v60
	v_and_b32_e32 v0, v2, v0
	;; [unrolled: 1-line block ×3, first 2 shown]
	v_mbcnt_lo_u32_b32 v2, v0, 0
	v_mbcnt_hi_u32_b32 v60, v1, v2
	v_cmp_eq_u32_e32 vcc, 0, v60
	v_cmp_ne_u64_e64 s[4:5], 0, v[0:1]
	s_and_b64 s[64:65], s[4:5], vcc
	; wave barrier
	s_and_saveexec_b64 s[4:5], s[64:65]
	s_cbranch_execz .LBB195_62
; %bb.61:                               ;   in Loop: Header=BB195_46 Depth=1
	v_bcnt_u32_b32 v0, v0, 0
	v_bcnt_u32_b32 v0, v1, v0
	s_waitcnt lgkmcnt(0)
	v_add_u32_e32 v0, v58, v0
	ds_write_b32 v59, v0
.LBB195_62:                             ;   in Loop: Header=BB195_46 Depth=1
	s_or_b64 exec, exec, s[4:5]
	; wave barrier
	s_waitcnt lgkmcnt(0)
	s_barrier
	ds_read2_b32 v[2:3], v110 offset0:8 offset1:9
	ds_read2_b32 v[0:1], v124 offset0:2 offset1:3
	s_waitcnt lgkmcnt(1)
	v_add_u32_e32 v61, v3, v2
	s_waitcnt lgkmcnt(0)
	v_add3_u32 v1, v61, v0, v1
	s_nop 1
	v_mov_b32_dpp v61, v1 row_shr:1 row_mask:0xf bank_mask:0xf
	v_cndmask_b32_e64 v61, v61, 0, s[22:23]
	v_add_u32_e32 v1, v61, v1
	s_nop 1
	v_mov_b32_dpp v61, v1 row_shr:2 row_mask:0xf bank_mask:0xf
	v_cndmask_b32_e64 v61, 0, v61, s[24:25]
	v_add_u32_e32 v1, v1, v61
	;; [unrolled: 4-line block ×4, first 2 shown]
	s_nop 1
	v_mov_b32_dpp v61, v1 row_bcast:15 row_mask:0xf bank_mask:0xf
	v_cndmask_b32_e64 v61, v61, 0, s[30:31]
	v_add_u32_e32 v1, v1, v61
	s_nop 1
	v_mov_b32_dpp v61, v1 row_bcast:31 row_mask:0xf bank_mask:0xf
	v_cndmask_b32_e64 v61, 0, v61, s[34:35]
	v_add_u32_e32 v1, v1, v61
	s_and_saveexec_b64 s[4:5], s[36:37]
	s_cbranch_execz .LBB195_64
; %bb.63:                               ;   in Loop: Header=BB195_46 Depth=1
	ds_write_b32 v127, v1
.LBB195_64:                             ;   in Loop: Header=BB195_46 Depth=1
	s_or_b64 exec, exec, s[4:5]
	s_waitcnt lgkmcnt(0)
	s_barrier
	s_and_saveexec_b64 s[4:5], s[16:17]
	s_cbranch_execz .LBB195_66
; %bb.65:                               ;   in Loop: Header=BB195_46 Depth=1
	ds_read_b32 v61, v109
	s_waitcnt lgkmcnt(0)
	s_nop 0
	v_mov_b32_dpp v62, v61 row_shr:1 row_mask:0xf bank_mask:0xf
	v_cndmask_b32_e64 v62, v62, 0, s[40:41]
	v_add_u32_e32 v61, v62, v61
	s_nop 1
	v_mov_b32_dpp v62, v61 row_shr:2 row_mask:0xf bank_mask:0xf
	v_cndmask_b32_e64 v62, 0, v62, s[42:43]
	v_add_u32_e32 v61, v61, v62
	;; [unrolled: 4-line block ×3, first 2 shown]
	ds_write_b32 v109, v61
.LBB195_66:                             ;   in Loop: Header=BB195_46 Depth=1
	s_or_b64 exec, exec, s[4:5]
	v_mov_b32_e32 v61, 0
	s_waitcnt lgkmcnt(0)
	s_barrier
	s_and_saveexec_b64 s[4:5], s[18:19]
	s_cbranch_execz .LBB195_68
; %bb.67:                               ;   in Loop: Header=BB195_46 Depth=1
	ds_read_b32 v61, v128
.LBB195_68:                             ;   in Loop: Header=BB195_46 Depth=1
	s_or_b64 exec, exec, s[4:5]
	s_waitcnt lgkmcnt(0)
	v_add_u32_e32 v1, v61, v1
	ds_bpermute_b32 v1, v126, v1
	s_cmp_gt_u32 s56, 55
	s_waitcnt lgkmcnt(0)
	v_cndmask_b32_e64 v1, v1, v61, s[38:39]
	v_cndmask_b32_e64 v1, v1, 0, s[20:21]
	v_add_u32_e32 v2, v1, v2
	v_add_u32_e32 v3, v2, v3
	;; [unrolled: 1-line block ×3, first 2 shown]
	ds_write2_b32 v110, v1, v2 offset0:8 offset1:9
	ds_write2_b32 v124, v3, v0 offset0:2 offset1:3
	s_waitcnt lgkmcnt(0)
	s_barrier
	ds_read_b32 v0, v4
	ds_read_b32 v1, v7
	;; [unrolled: 1-line block ×8, first 2 shown]
	s_waitcnt lgkmcnt(7)
	v_add_u32_e32 v136, v0, v5
	s_waitcnt lgkmcnt(6)
	v_add3_u32 v135, v8, v6, v1
	s_waitcnt lgkmcnt(5)
	v_add3_u32 v134, v11, v9, v2
	;; [unrolled: 2-line block ×7, first 2 shown]
	s_cbranch_scc0 .LBB195_45
; %bb.69:
                                        ; implicit-def: $vgpr14_vgpr15
                                        ; implicit-def: $vgpr10_vgpr11
                                        ; implicit-def: $vgpr6_vgpr7
                                        ; implicit-def: $vgpr2_vgpr3
                                        ; implicit-def: $vgpr64_vgpr65
                                        ; implicit-def: $vgpr60_vgpr61
                                        ; implicit-def: $vgpr56_vgpr57
                                        ; implicit-def: $vgpr52_vgpr53
                                        ; implicit-def: $sgpr56_sgpr57
                                        ; implicit-def: $sgpr62
.LBB195_70:
	v_lshlrev_b32_e32 v50, 3, v136
	v_lshlrev_b32_e32 v51, 3, v135
	;; [unrolled: 1-line block ×9, first 2 shown]
	s_barrier
	ds_write_b64 v50, v[98:99]
	ds_write_b64 v51, v[96:97]
	;; [unrolled: 1-line block ×8, first 2 shown]
	s_waitcnt lgkmcnt(0)
	s_barrier
	ds_read2_b64 v[0:3], v62 offset1:1
	ds_read2_b64 v[4:7], v62 offset0:2 offset1:3
	ds_read2_b64 v[8:11], v62 offset0:4 offset1:5
	;; [unrolled: 1-line block ×3, first 2 shown]
	s_waitcnt lgkmcnt(0)
	s_barrier
	ds_write_b64 v50, v[80:81]
	ds_write_b64 v51, v[78:79]
	;; [unrolled: 1-line block ×8, first 2 shown]
	v_ashrrev_i32_e32 v68, 31, v1
	v_not_b32_e32 v68, v68
	v_cmp_lt_i64_e32 vcc, -1, v[0:1]
	v_xor_b32_e32 v0, v68, v0
	v_ashrrev_i32_e32 v68, 31, v3
	v_bfrev_b32_e32 v16, 1
	v_not_b32_e32 v68, v68
	v_cndmask_b32_e64 v17, v16, -1, vcc
	v_cmp_lt_i64_e32 vcc, -1, v[2:3]
	v_xor_b32_e32 v2, v68, v2
	v_ashrrev_i32_e32 v68, 31, v5
	v_not_b32_e32 v68, v68
	v_xor_b32_e32 v1, v17, v1
	v_cndmask_b32_e64 v17, v16, -1, vcc
	v_cmp_lt_i64_e32 vcc, -1, v[4:5]
	v_xor_b32_e32 v4, v68, v4
	v_ashrrev_i32_e32 v68, 31, v7
	s_waitcnt lgkmcnt(0)
	s_barrier
	ds_read2_b64 v[50:53], v62 offset1:1
	ds_read2_b64 v[54:57], v62 offset0:2 offset1:3
	ds_read2_b64 v[58:61], v62 offset0:4 offset1:5
	;; [unrolled: 1-line block ×3, first 2 shown]
	v_xor_b32_e32 v3, v17, v3
	v_cndmask_b32_e64 v17, v16, -1, vcc
	v_cmp_lt_i64_e32 vcc, -1, v[6:7]
	v_not_b32_e32 v68, v68
	v_xor_b32_e32 v5, v17, v5
	v_cndmask_b32_e64 v17, v16, -1, vcc
	v_xor_b32_e32 v6, v68, v6
	v_cmp_lt_i64_e32 vcc, -1, v[8:9]
	v_ashrrev_i32_e32 v68, 31, v9
	v_xor_b32_e32 v7, v17, v7
	v_cndmask_b32_e64 v17, v16, -1, vcc
	v_not_b32_e32 v68, v68
	v_cmp_lt_i64_e32 vcc, -1, v[10:11]
	v_xor_b32_e32 v9, v17, v9
	v_xor_b32_e32 v8, v68, v8
	v_cndmask_b32_e64 v17, v16, -1, vcc
	v_ashrrev_i32_e32 v68, 31, v11
	v_cmp_lt_i64_e32 vcc, -1, v[12:13]
	v_not_b32_e32 v68, v68
	v_xor_b32_e32 v11, v17, v11
	v_cndmask_b32_e64 v17, v16, -1, vcc
	v_xor_b32_e32 v10, v68, v10
	v_ashrrev_i32_e32 v68, 31, v13
	v_xor_b32_e32 v13, v17, v13
	v_cmp_lt_i64_e32 vcc, -1, v[14:15]
	v_ashrrev_i32_e32 v17, 31, v15
	v_not_b32_e32 v68, v68
	v_cndmask_b32_e64 v16, v16, -1, vcc
	v_not_b32_e32 v17, v17
	v_xor_b32_e32 v12, v68, v12
	v_xor_b32_e32 v15, v16, v15
	;; [unrolled: 1-line block ×3, first 2 shown]
	s_branch .LBB195_106
.LBB195_71:
	v_mad_u64_u32 v[2:3], s[16:17], v66, s50, 0
	v_mov_b32_e32 v4, v3
	v_mad_u64_u32 v[4:5], s[16:17], v66, s51, v[4:5]
	v_mov_b32_e32 v3, v4
	v_lshlrev_b64 v[2:3], 3, v[2:3]
	v_mov_b32_e32 v4, s60
	v_add_co_u32_e32 v2, vcc, s59, v2
	v_addc_co_u32_e32 v3, vcc, v4, v3, vcc
	global_load_dwordx2 v[2:3], v[2:3], off
	v_mov_b32_e32 v4, 0
	v_mov_b32_e32 v5, v4
	;; [unrolled: 1-line block ×14, first 2 shown]
	s_or_b64 exec, exec, s[4:5]
	s_and_saveexec_b64 s[4:5], s[2:3]
	s_cbranch_execz .LBB195_36
.LBB195_72:
	v_mad_u64_u32 v[4:5], s[16:17], v1, s50, 0
	v_mov_b32_e32 v40, v5
	v_mad_u64_u32 v[40:41], s[16:17], v1, s51, v[40:41]
	v_mov_b32_e32 v5, v40
	v_lshlrev_b64 v[4:5], 3, v[4:5]
	v_mov_b32_e32 v1, s60
	v_add_co_u32_e32 v4, vcc, s59, v4
	v_addc_co_u32_e32 v5, vcc, v1, v5, vcc
	global_load_dwordx2 v[4:5], v[4:5], off
	s_or_b64 exec, exec, s[4:5]
	s_and_saveexec_b64 s[4:5], s[46:47]
	s_cbranch_execz .LBB195_37
.LBB195_73:
	v_mad_u64_u32 v[6:7], s[16:17], v34, s50, 0
	v_mov_b32_e32 v40, v7
	v_mad_u64_u32 v[40:41], s[16:17], v34, s51, v[40:41]
	v_mov_b32_e32 v7, v40
	v_lshlrev_b64 v[6:7], 3, v[6:7]
	v_mov_b32_e32 v1, s60
	v_add_co_u32_e32 v6, vcc, s59, v6
	v_addc_co_u32_e32 v7, vcc, v1, v7, vcc
	global_load_dwordx2 v[6:7], v[6:7], off
	s_or_b64 exec, exec, s[4:5]
	s_and_saveexec_b64 s[4:5], s[6:7]
	s_cbranch_execz .LBB195_38
.LBB195_74:
	v_mad_u64_u32 v[8:9], s[16:17], v35, s50, 0
	v_mov_b32_e32 v34, v9
	v_mad_u64_u32 v[34:35], s[16:17], v35, s51, v[34:35]
	v_mov_b32_e32 v9, v34
	v_lshlrev_b64 v[8:9], 3, v[8:9]
	v_mov_b32_e32 v1, s60
	v_add_co_u32_e32 v8, vcc, s59, v8
	v_addc_co_u32_e32 v9, vcc, v1, v9, vcc
	global_load_dwordx2 v[8:9], v[8:9], off
	s_or_b64 exec, exec, s[4:5]
	s_and_saveexec_b64 s[4:5], s[8:9]
	s_cbranch_execz .LBB195_39
.LBB195_75:
	v_mad_u64_u32 v[10:11], s[16:17], v36, s50, 0
	v_mov_b32_e32 v34, v11
	v_mad_u64_u32 v[34:35], s[16:17], v36, s51, v[34:35]
	v_mov_b32_e32 v11, v34
	v_lshlrev_b64 v[10:11], 3, v[10:11]
	v_mov_b32_e32 v1, s60
	v_add_co_u32_e32 v10, vcc, s59, v10
	v_addc_co_u32_e32 v11, vcc, v1, v11, vcc
	global_load_dwordx2 v[10:11], v[10:11], off
	s_or_b64 exec, exec, s[4:5]
	s_and_saveexec_b64 s[4:5], s[10:11]
	s_cbranch_execz .LBB195_40
.LBB195_76:
	v_mad_u64_u32 v[12:13], s[16:17], v37, s50, 0
	v_mov_b32_e32 v34, v13
	v_mad_u64_u32 v[34:35], s[16:17], v37, s51, v[34:35]
	v_mov_b32_e32 v13, v34
	v_lshlrev_b64 v[12:13], 3, v[12:13]
	v_mov_b32_e32 v1, s60
	v_add_co_u32_e32 v12, vcc, s59, v12
	v_addc_co_u32_e32 v13, vcc, v1, v13, vcc
	global_load_dwordx2 v[12:13], v[12:13], off
	s_or_b64 exec, exec, s[4:5]
	s_and_saveexec_b64 s[4:5], s[12:13]
	s_cbranch_execz .LBB195_41
.LBB195_77:
	v_mad_u64_u32 v[14:15], s[16:17], v38, s50, 0
	v_mov_b32_e32 v34, v15
	v_mad_u64_u32 v[34:35], s[16:17], v38, s51, v[34:35]
	v_mov_b32_e32 v15, v34
	v_lshlrev_b64 v[14:15], 3, v[14:15]
	v_mov_b32_e32 v1, s60
	v_add_co_u32_e32 v14, vcc, s59, v14
	v_addc_co_u32_e32 v15, vcc, v1, v15, vcc
	global_load_dwordx2 v[14:15], v[14:15], off
	s_or_b64 exec, exec, s[4:5]
	s_xor_b64 s[4:5], s[34:35], -1
	s_and_saveexec_b64 s[16:17], s[14:15]
	s_cbranch_execnz .LBB195_42
	s_branch .LBB195_43
.LBB195_78:
                                        ; implicit-def: $vgpr64_vgpr65
                                        ; implicit-def: $vgpr60_vgpr61
                                        ; implicit-def: $vgpr56_vgpr57
                                        ; implicit-def: $vgpr52_vgpr53
                                        ; implicit-def: $vgpr0_vgpr1_vgpr2_vgpr3_vgpr4_vgpr5_vgpr6_vgpr7_vgpr8_vgpr9_vgpr10_vgpr11_vgpr12_vgpr13_vgpr14_vgpr15
	s_cbranch_execz .LBB195_106
; %bb.79:
	v_bfrev_b32_e32 v68, -2
	v_cmp_gt_i64_e32 vcc, 0, v[30:31]
	v_cndmask_b32_e64 v0, v68, 0, vcc
	v_not_b32_e32 v2, v122
	v_cmp_gt_i64_e32 vcc, 0, v[32:33]
	v_xor_b32_e32 v1, v0, v31
	v_xor_b32_e32 v0, v2, v30
	v_cndmask_b32_e64 v2, v68, 0, vcc
	v_not_b32_e32 v4, v121
	v_cmp_gt_i64_e32 vcc, 0, v[26:27]
	v_xor_b32_e32 v3, v2, v33
	v_xor_b32_e32 v2, v4, v32
	;; [unrolled: 5-line block ×7, first 2 shown]
	v_cndmask_b32_e64 v14, v68, 0, vcc
	v_not_b32_e32 v16, v115
	s_waitcnt lgkmcnt(3)
	v_mbcnt_hi_u32_b32 v50, -1, v114
	v_and_b32_e32 v51, 0x3c0, v66
	v_xor_b32_e32 v15, v14, v21
	v_xor_b32_e32 v14, v16, v20
	v_add_lshl_u32 v16, v50, v51, 6
	v_and_b32_e32 v52, 0x1e00, v108
	ds_write2_b64 v16, v[0:1], v[2:3] offset1:1
	ds_write2_b64 v16, v[4:5], v[6:7] offset0:2 offset1:3
	ds_write2_b64 v16, v[8:9], v[10:11] offset0:4 offset1:5
	;; [unrolled: 1-line block ×3, first 2 shown]
	v_or_b32_e32 v0, v50, v52
	v_lshlrev_b32_e32 v28, 3, v0
	; wave barrier
	ds_read2st64_b64 v[0:3], v28 offset1:1
	ds_read2st64_b64 v[4:7], v28 offset0:2 offset1:3
	ds_read2st64_b64 v[8:11], v28 offset0:4 offset1:5
	;; [unrolled: 1-line block ×3, first 2 shown]
	; wave barrier
	ds_write2_b64 v16, v[46:47], v[48:49] offset1:1
	ds_write2_b64 v16, v[42:43], v[44:45] offset0:2 offset1:3
	ds_write2_b64 v16, v[38:39], v[40:41] offset0:4 offset1:5
	;; [unrolled: 1-line block ×3, first 2 shown]
	; wave barrier
	ds_read2st64_b64 v[16:19], v28 offset1:1
	ds_read2st64_b64 v[20:23], v28 offset0:2 offset1:3
	ds_read2st64_b64 v[24:27], v28 offset0:4 offset1:5
	;; [unrolled: 1-line block ×3, first 2 shown]
	s_waitcnt lgkmcnt(0)
	s_barrier
	s_load_dword s16, s[52:53], 0xc
	s_getpc_b64 s[4:5]
	s_add_u32 s4, s4, _ZN7rocprim17ROCPRIM_400000_NS16block_radix_sortIdLj512ELj8ElLj1ELj1ELj0ELNS0_26block_radix_rank_algorithmE1ELNS0_18block_padding_hintE2ELNS0_4arch9wavefront6targetE1EE19radix_bits_per_passE@rel32@lo+4
	s_addc_u32 s5, s5, _ZN7rocprim17ROCPRIM_400000_NS16block_radix_sortIdLj512ELj8ElLj1ELj1ELj0ELNS0_26block_radix_rank_algorithmE1ELNS0_18block_padding_hintE2ELNS0_4arch9wavefront6targetE1EE19radix_bits_per_passE@rel32@hi+12
	s_load_dword s56, s[4:5], 0x0
	s_mov_b32 s52, 0
	v_and_b32_e32 v72, 60, v111
	s_waitcnt lgkmcnt(0)
	s_lshr_b32 s4, s16, 16
	s_and_b32 s5, s16, 0xffff
	v_mad_u32_u24 v32, v113, s4, v112
	v_mad_u64_u32 v[32:33], s[4:5], v32, s5, v[66:67]
	v_lshrrev_b32_e32 v70, 6, v32
	v_and_b32_e32 v32, 15, v50
	v_cmp_eq_u32_e64 s[16:17], 0, v32
	v_cmp_lt_u32_e64 s[18:19], 1, v32
	v_cmp_lt_u32_e64 s[20:21], 3, v32
	;; [unrolled: 1-line block ×3, first 2 shown]
	v_and_b32_e32 v32, 16, v50
	v_cmp_eq_u32_e64 s[24:25], 0, v32
	v_min_u32_e32 v32, 0x1c0, v51
	v_or_b32_e32 v32, 63, v32
	v_cmp_eq_u32_e64 s[28:29], v32, v66
	v_add_u32_e32 v32, -1, v50
	v_and_b32_e32 v33, 64, v50
	v_cmp_lt_i32_e32 vcc, v32, v33
	v_cndmask_b32_e32 v32, v32, v50, vcc
	v_lshlrev_b32_e32 v71, 2, v32
	v_and_b32_e32 v32, 7, v50
	v_cmp_eq_u32_e64 s[40:41], 0, v32
	v_cmp_lt_u32_e64 s[42:43], 1, v32
	v_cmp_lt_u32_e64 s[44:45], 3, v32
	v_and_or_b32 v32, v50, 63, v52
	s_mov_b64 s[54:55], 0
	s_brev_b32 s53, 1
	v_add_u32_e32 v69, 32, v110
	v_cmp_lt_u32_e64 s[26:27], 31, v50
	v_cmp_gt_u32_e64 s[30:31], 8, v66
	v_cmp_lt_u32_e64 s[34:35], 63, v66
	s_mov_b32 s57, 64
	v_cmp_eq_u32_e64 s[36:37], 0, v50
	v_cmp_eq_u32_e64 s[38:39], 0, v66
	v_add_u32_e32 v73, -4, v72
	v_lshlrev_b32_e32 v74, 3, v32
	v_mov_b32_e32 v48, 0
	s_branch .LBB195_81
.LBB195_80:                             ;   in Loop: Header=BB195_81 Depth=1
	v_lshlrev_b32_e32 v16, 3, v81
	v_lshlrev_b32_e32 v17, 3, v80
	;; [unrolled: 1-line block ×8, first 2 shown]
	s_barrier
	ds_write_b64 v16, v[64:65]
	ds_write_b64 v17, v[62:63]
	;; [unrolled: 1-line block ×8, first 2 shown]
	s_waitcnt lgkmcnt(0)
	s_barrier
	ds_read2st64_b64 v[0:3], v74 offset1:1
	ds_read2st64_b64 v[4:7], v74 offset0:2 offset1:3
	ds_read2st64_b64 v[8:11], v74 offset0:4 offset1:5
	ds_read2st64_b64 v[12:15], v74 offset0:6 offset1:7
	s_waitcnt lgkmcnt(0)
	s_barrier
	ds_write_b64 v16, v[46:47]
	ds_write_b64 v17, v[44:45]
	;; [unrolled: 1-line block ×8, first 2 shown]
	s_waitcnt lgkmcnt(0)
	s_barrier
	ds_read2st64_b64 v[16:19], v74 offset1:1
	ds_read2st64_b64 v[20:23], v74 offset0:2 offset1:3
	ds_read2st64_b64 v[24:27], v74 offset0:4 offset1:5
	;; [unrolled: 1-line block ×3, first 2 shown]
	s_add_u32 s54, s54, 8
	s_addc_u32 s55, s55, 0
	s_add_i32 s57, s57, -8
	s_waitcnt lgkmcnt(0)
	s_barrier
	s_cbranch_execz .LBB195_105
.LBB195_81:                             ; =>This Inner Loop Header: Depth=1
	v_pk_mov_b32 v[64:65], v[0:1], v[0:1] op_sel:[0,1]
	s_min_u32 s4, s56, s57
	v_cmp_ne_u64_e32 vcc, s[52:53], v[64:65]
	s_lshl_b32 s4, -1, s4
	v_cndmask_b32_e32 v1, v68, v65, vcc
	v_cndmask_b32_e32 v0, -1, v64, vcc
	s_not_b32 s61, s4
	v_lshrrev_b64 v[0:1], s54, v[0:1]
	v_and_b32_e32 v0, s61, v0
	v_lshl_add_u32 v1, v0, 3, v70
	v_pk_mov_b32 v[60:61], v[4:5], v[4:5] op_sel:[0,1]
	v_lshl_add_u32 v4, v1, 2, 32
	v_and_b32_e32 v1, 1, v0
	v_pk_mov_b32 v[62:63], v[2:3], v[2:3] op_sel:[0,1]
	v_add_co_u32_e32 v2, vcc, -1, v1
	v_addc_co_u32_e64 v3, s[4:5], 0, -1, vcc
	v_cmp_ne_u32_e32 vcc, 0, v1
	v_lshlrev_b32_e32 v49, 30, v0
	v_xor_b32_e32 v1, vcc_hi, v3
	v_not_b32_e32 v3, v49
	v_xor_b32_e32 v2, vcc_lo, v2
	v_cmp_gt_i64_e32 vcc, 0, v[48:49]
	v_ashrrev_i32_e32 v3, 31, v3
	v_and_b32_e32 v2, exec_lo, v2
	v_xor_b32_e32 v5, vcc_hi, v3
	v_xor_b32_e32 v3, vcc_lo, v3
	v_lshlrev_b32_e32 v49, 29, v0
	v_and_b32_e32 v2, v2, v3
	v_not_b32_e32 v3, v49
	v_and_b32_e32 v1, exec_hi, v1
	v_cmp_gt_i64_e32 vcc, 0, v[48:49]
	v_ashrrev_i32_e32 v3, 31, v3
	v_and_b32_e32 v1, v1, v5
	v_xor_b32_e32 v5, vcc_hi, v3
	v_xor_b32_e32 v3, vcc_lo, v3
	v_lshlrev_b32_e32 v49, 28, v0
	v_and_b32_e32 v2, v2, v3
	v_not_b32_e32 v3, v49
	v_cmp_gt_i64_e32 vcc, 0, v[48:49]
	v_ashrrev_i32_e32 v3, 31, v3
	v_and_b32_e32 v1, v1, v5
	v_xor_b32_e32 v5, vcc_hi, v3
	v_xor_b32_e32 v3, vcc_lo, v3
	v_lshlrev_b32_e32 v49, 27, v0
	v_and_b32_e32 v2, v2, v3
	v_not_b32_e32 v3, v49
	;; [unrolled: 8-line block ×3, first 2 shown]
	v_cmp_gt_i64_e32 vcc, 0, v[48:49]
	v_ashrrev_i32_e32 v3, 31, v3
	v_and_b32_e32 v1, v1, v5
	v_xor_b32_e32 v5, vcc_hi, v3
	v_xor_b32_e32 v3, vcc_lo, v3
	v_lshlrev_b32_e32 v49, 25, v0
	v_and_b32_e32 v2, v2, v3
	v_cmp_gt_i64_e32 vcc, 0, v[48:49]
	v_not_b32_e32 v3, v49
	v_lshlrev_b32_e32 v49, 24, v0
	v_ashrrev_i32_e32 v3, 31, v3
	v_not_b32_e32 v0, v49
	v_and_b32_e32 v1, v1, v5
	v_xor_b32_e32 v5, vcc_hi, v3
	v_xor_b32_e32 v3, vcc_lo, v3
	v_cmp_gt_i64_e32 vcc, 0, v[48:49]
	v_ashrrev_i32_e32 v0, 31, v0
	v_and_b32_e32 v2, v2, v3
	v_xor_b32_e32 v3, vcc_hi, v0
	v_xor_b32_e32 v0, vcc_lo, v0
	v_and_b32_e32 v1, v1, v5
	v_and_b32_e32 v0, v2, v0
	;; [unrolled: 1-line block ×3, first 2 shown]
	v_mbcnt_lo_u32_b32 v2, v0, 0
	v_mbcnt_hi_u32_b32 v5, v1, v2
	v_cmp_eq_u32_e32 vcc, 0, v5
	v_cmp_ne_u64_e64 s[4:5], 0, v[0:1]
	v_pk_mov_b32 v[50:51], v[14:15], v[14:15] op_sel:[0,1]
	v_pk_mov_b32 v[52:53], v[12:13], v[12:13] op_sel:[0,1]
	;; [unrolled: 1-line block ×13, first 2 shown]
	s_and_b64 s[62:63], s[4:5], vcc
	ds_write2_b32 v110, v48, v48 offset0:8 offset1:9
	ds_write2_b32 v69, v48, v48 offset0:2 offset1:3
	s_waitcnt lgkmcnt(0)
	s_barrier
	s_waitcnt lgkmcnt(0)
	; wave barrier
	s_and_saveexec_b64 s[4:5], s[62:63]
	s_cbranch_execz .LBB195_83
; %bb.82:                               ;   in Loop: Header=BB195_81 Depth=1
	v_bcnt_u32_b32 v0, v0, 0
	v_bcnt_u32_b32 v0, v1, v0
	ds_write_b32 v4, v0
.LBB195_83:                             ;   in Loop: Header=BB195_81 Depth=1
	s_or_b64 exec, exec, s[4:5]
	v_cmp_ne_u64_e32 vcc, s[52:53], v[62:63]
	v_cndmask_b32_e32 v1, v68, v63, vcc
	v_cndmask_b32_e32 v0, -1, v62, vcc
	v_lshrrev_b64 v[0:1], s54, v[0:1]
	v_and_b32_e32 v0, s61, v0
	v_lshlrev_b32_e32 v1, 3, v0
	v_add_lshl_u32 v1, v1, v70, 2
	; wave barrier
	v_add_u32_e32 v7, 32, v1
	ds_read_b32 v6, v1 offset:32
	v_and_b32_e32 v1, 1, v0
	v_add_co_u32_e32 v2, vcc, -1, v1
	v_addc_co_u32_e64 v3, s[4:5], 0, -1, vcc
	v_cmp_ne_u32_e32 vcc, 0, v1
	v_lshlrev_b32_e32 v49, 30, v0
	v_xor_b32_e32 v1, vcc_hi, v3
	v_not_b32_e32 v3, v49
	v_xor_b32_e32 v2, vcc_lo, v2
	v_cmp_gt_i64_e32 vcc, 0, v[48:49]
	v_ashrrev_i32_e32 v3, 31, v3
	v_and_b32_e32 v2, exec_lo, v2
	v_xor_b32_e32 v8, vcc_hi, v3
	v_xor_b32_e32 v3, vcc_lo, v3
	v_lshlrev_b32_e32 v49, 29, v0
	v_and_b32_e32 v2, v2, v3
	v_not_b32_e32 v3, v49
	v_and_b32_e32 v1, exec_hi, v1
	v_cmp_gt_i64_e32 vcc, 0, v[48:49]
	v_ashrrev_i32_e32 v3, 31, v3
	v_and_b32_e32 v1, v1, v8
	v_xor_b32_e32 v8, vcc_hi, v3
	v_xor_b32_e32 v3, vcc_lo, v3
	v_lshlrev_b32_e32 v49, 28, v0
	v_and_b32_e32 v2, v2, v3
	v_not_b32_e32 v3, v49
	v_cmp_gt_i64_e32 vcc, 0, v[48:49]
	v_ashrrev_i32_e32 v3, 31, v3
	v_and_b32_e32 v1, v1, v8
	v_xor_b32_e32 v8, vcc_hi, v3
	v_xor_b32_e32 v3, vcc_lo, v3
	v_lshlrev_b32_e32 v49, 27, v0
	v_and_b32_e32 v2, v2, v3
	v_not_b32_e32 v3, v49
	;; [unrolled: 8-line block ×3, first 2 shown]
	v_cmp_gt_i64_e32 vcc, 0, v[48:49]
	v_ashrrev_i32_e32 v3, 31, v3
	v_and_b32_e32 v1, v1, v8
	v_xor_b32_e32 v8, vcc_hi, v3
	v_xor_b32_e32 v3, vcc_lo, v3
	v_lshlrev_b32_e32 v49, 25, v0
	v_and_b32_e32 v2, v2, v3
	v_cmp_gt_i64_e32 vcc, 0, v[48:49]
	v_not_b32_e32 v3, v49
	v_lshlrev_b32_e32 v49, 24, v0
	v_ashrrev_i32_e32 v3, 31, v3
	v_not_b32_e32 v0, v49
	v_and_b32_e32 v1, v1, v8
	v_xor_b32_e32 v8, vcc_hi, v3
	v_xor_b32_e32 v3, vcc_lo, v3
	v_cmp_gt_i64_e32 vcc, 0, v[48:49]
	v_ashrrev_i32_e32 v0, 31, v0
	v_and_b32_e32 v2, v2, v3
	v_xor_b32_e32 v3, vcc_hi, v0
	v_xor_b32_e32 v0, vcc_lo, v0
	v_and_b32_e32 v1, v1, v8
	v_and_b32_e32 v0, v2, v0
	;; [unrolled: 1-line block ×3, first 2 shown]
	v_mbcnt_lo_u32_b32 v2, v0, 0
	v_mbcnt_hi_u32_b32 v8, v1, v2
	v_cmp_eq_u32_e32 vcc, 0, v8
	v_cmp_ne_u64_e64 s[4:5], 0, v[0:1]
	s_and_b64 s[62:63], s[4:5], vcc
	; wave barrier
	s_and_saveexec_b64 s[4:5], s[62:63]
	s_cbranch_execz .LBB195_85
; %bb.84:                               ;   in Loop: Header=BB195_81 Depth=1
	v_bcnt_u32_b32 v0, v0, 0
	v_bcnt_u32_b32 v0, v1, v0
	s_waitcnt lgkmcnt(0)
	v_add_u32_e32 v0, v6, v0
	ds_write_b32 v7, v0
.LBB195_85:                             ;   in Loop: Header=BB195_81 Depth=1
	s_or_b64 exec, exec, s[4:5]
	v_cmp_ne_u64_e32 vcc, s[52:53], v[60:61]
	v_cndmask_b32_e32 v1, v68, v61, vcc
	v_cndmask_b32_e32 v0, -1, v60, vcc
	v_lshrrev_b64 v[0:1], s54, v[0:1]
	v_and_b32_e32 v0, s61, v0
	v_lshlrev_b32_e32 v1, 3, v0
	v_add_lshl_u32 v1, v1, v70, 2
	; wave barrier
	v_add_u32_e32 v10, 32, v1
	ds_read_b32 v9, v1 offset:32
	v_and_b32_e32 v1, 1, v0
	v_add_co_u32_e32 v2, vcc, -1, v1
	v_addc_co_u32_e64 v3, s[4:5], 0, -1, vcc
	v_cmp_ne_u32_e32 vcc, 0, v1
	v_lshlrev_b32_e32 v49, 30, v0
	v_xor_b32_e32 v1, vcc_hi, v3
	v_not_b32_e32 v3, v49
	v_xor_b32_e32 v2, vcc_lo, v2
	v_cmp_gt_i64_e32 vcc, 0, v[48:49]
	v_ashrrev_i32_e32 v3, 31, v3
	v_and_b32_e32 v2, exec_lo, v2
	v_xor_b32_e32 v11, vcc_hi, v3
	v_xor_b32_e32 v3, vcc_lo, v3
	v_lshlrev_b32_e32 v49, 29, v0
	v_and_b32_e32 v2, v2, v3
	v_not_b32_e32 v3, v49
	v_and_b32_e32 v1, exec_hi, v1
	v_cmp_gt_i64_e32 vcc, 0, v[48:49]
	v_ashrrev_i32_e32 v3, 31, v3
	v_and_b32_e32 v1, v1, v11
	v_xor_b32_e32 v11, vcc_hi, v3
	v_xor_b32_e32 v3, vcc_lo, v3
	v_lshlrev_b32_e32 v49, 28, v0
	v_and_b32_e32 v2, v2, v3
	v_not_b32_e32 v3, v49
	v_cmp_gt_i64_e32 vcc, 0, v[48:49]
	v_ashrrev_i32_e32 v3, 31, v3
	v_and_b32_e32 v1, v1, v11
	v_xor_b32_e32 v11, vcc_hi, v3
	v_xor_b32_e32 v3, vcc_lo, v3
	v_lshlrev_b32_e32 v49, 27, v0
	v_and_b32_e32 v2, v2, v3
	v_not_b32_e32 v3, v49
	;; [unrolled: 8-line block ×3, first 2 shown]
	v_cmp_gt_i64_e32 vcc, 0, v[48:49]
	v_ashrrev_i32_e32 v3, 31, v3
	v_and_b32_e32 v1, v1, v11
	v_xor_b32_e32 v11, vcc_hi, v3
	v_xor_b32_e32 v3, vcc_lo, v3
	v_lshlrev_b32_e32 v49, 25, v0
	v_and_b32_e32 v2, v2, v3
	v_cmp_gt_i64_e32 vcc, 0, v[48:49]
	v_not_b32_e32 v3, v49
	v_lshlrev_b32_e32 v49, 24, v0
	v_ashrrev_i32_e32 v3, 31, v3
	v_not_b32_e32 v0, v49
	v_and_b32_e32 v1, v1, v11
	v_xor_b32_e32 v11, vcc_hi, v3
	v_xor_b32_e32 v3, vcc_lo, v3
	v_cmp_gt_i64_e32 vcc, 0, v[48:49]
	v_ashrrev_i32_e32 v0, 31, v0
	v_and_b32_e32 v2, v2, v3
	v_xor_b32_e32 v3, vcc_hi, v0
	v_xor_b32_e32 v0, vcc_lo, v0
	v_and_b32_e32 v1, v1, v11
	v_and_b32_e32 v0, v2, v0
	;; [unrolled: 1-line block ×3, first 2 shown]
	v_mbcnt_lo_u32_b32 v2, v0, 0
	v_mbcnt_hi_u32_b32 v11, v1, v2
	v_cmp_eq_u32_e32 vcc, 0, v11
	v_cmp_ne_u64_e64 s[4:5], 0, v[0:1]
	s_and_b64 s[62:63], s[4:5], vcc
	; wave barrier
	s_and_saveexec_b64 s[4:5], s[62:63]
	s_cbranch_execz .LBB195_87
; %bb.86:                               ;   in Loop: Header=BB195_81 Depth=1
	v_bcnt_u32_b32 v0, v0, 0
	v_bcnt_u32_b32 v0, v1, v0
	s_waitcnt lgkmcnt(0)
	v_add_u32_e32 v0, v9, v0
	ds_write_b32 v10, v0
.LBB195_87:                             ;   in Loop: Header=BB195_81 Depth=1
	s_or_b64 exec, exec, s[4:5]
	v_cmp_ne_u64_e32 vcc, s[52:53], v[58:59]
	v_cndmask_b32_e32 v1, v68, v59, vcc
	v_cndmask_b32_e32 v0, -1, v58, vcc
	v_lshrrev_b64 v[0:1], s54, v[0:1]
	v_and_b32_e32 v0, s61, v0
	v_lshlrev_b32_e32 v1, 3, v0
	v_add_lshl_u32 v1, v1, v70, 2
	; wave barrier
	v_add_u32_e32 v13, 32, v1
	ds_read_b32 v12, v1 offset:32
	v_and_b32_e32 v1, 1, v0
	v_add_co_u32_e32 v2, vcc, -1, v1
	v_addc_co_u32_e64 v3, s[4:5], 0, -1, vcc
	v_cmp_ne_u32_e32 vcc, 0, v1
	v_lshlrev_b32_e32 v49, 30, v0
	v_xor_b32_e32 v1, vcc_hi, v3
	v_not_b32_e32 v3, v49
	v_xor_b32_e32 v2, vcc_lo, v2
	v_cmp_gt_i64_e32 vcc, 0, v[48:49]
	v_ashrrev_i32_e32 v3, 31, v3
	v_and_b32_e32 v2, exec_lo, v2
	v_xor_b32_e32 v14, vcc_hi, v3
	v_xor_b32_e32 v3, vcc_lo, v3
	v_lshlrev_b32_e32 v49, 29, v0
	v_and_b32_e32 v2, v2, v3
	v_not_b32_e32 v3, v49
	v_and_b32_e32 v1, exec_hi, v1
	v_cmp_gt_i64_e32 vcc, 0, v[48:49]
	v_ashrrev_i32_e32 v3, 31, v3
	v_and_b32_e32 v1, v1, v14
	v_xor_b32_e32 v14, vcc_hi, v3
	v_xor_b32_e32 v3, vcc_lo, v3
	v_lshlrev_b32_e32 v49, 28, v0
	v_and_b32_e32 v2, v2, v3
	v_not_b32_e32 v3, v49
	v_cmp_gt_i64_e32 vcc, 0, v[48:49]
	v_ashrrev_i32_e32 v3, 31, v3
	v_and_b32_e32 v1, v1, v14
	v_xor_b32_e32 v14, vcc_hi, v3
	v_xor_b32_e32 v3, vcc_lo, v3
	v_lshlrev_b32_e32 v49, 27, v0
	v_and_b32_e32 v2, v2, v3
	v_not_b32_e32 v3, v49
	v_cmp_gt_i64_e32 vcc, 0, v[48:49]
	v_ashrrev_i32_e32 v3, 31, v3
	v_and_b32_e32 v1, v1, v14
	v_xor_b32_e32 v14, vcc_hi, v3
	v_xor_b32_e32 v3, vcc_lo, v3
	v_lshlrev_b32_e32 v49, 26, v0
	v_and_b32_e32 v2, v2, v3
	v_not_b32_e32 v3, v49
	v_cmp_gt_i64_e32 vcc, 0, v[48:49]
	v_ashrrev_i32_e32 v3, 31, v3
	v_and_b32_e32 v1, v1, v14
	v_xor_b32_e32 v14, vcc_hi, v3
	v_xor_b32_e32 v3, vcc_lo, v3
	v_lshlrev_b32_e32 v49, 25, v0
	v_and_b32_e32 v2, v2, v3
	v_cmp_gt_i64_e32 vcc, 0, v[48:49]
	v_not_b32_e32 v3, v49
	v_lshlrev_b32_e32 v49, 24, v0
	v_ashrrev_i32_e32 v3, 31, v3
	v_not_b32_e32 v0, v49
	v_and_b32_e32 v1, v1, v14
	v_xor_b32_e32 v14, vcc_hi, v3
	v_xor_b32_e32 v3, vcc_lo, v3
	v_cmp_gt_i64_e32 vcc, 0, v[48:49]
	v_ashrrev_i32_e32 v0, 31, v0
	v_and_b32_e32 v2, v2, v3
	v_xor_b32_e32 v3, vcc_hi, v0
	v_xor_b32_e32 v0, vcc_lo, v0
	v_and_b32_e32 v1, v1, v14
	v_and_b32_e32 v0, v2, v0
	;; [unrolled: 1-line block ×3, first 2 shown]
	v_mbcnt_lo_u32_b32 v2, v0, 0
	v_mbcnt_hi_u32_b32 v14, v1, v2
	v_cmp_eq_u32_e32 vcc, 0, v14
	v_cmp_ne_u64_e64 s[4:5], 0, v[0:1]
	s_and_b64 s[62:63], s[4:5], vcc
	; wave barrier
	s_and_saveexec_b64 s[4:5], s[62:63]
	s_cbranch_execz .LBB195_89
; %bb.88:                               ;   in Loop: Header=BB195_81 Depth=1
	v_bcnt_u32_b32 v0, v0, 0
	v_bcnt_u32_b32 v0, v1, v0
	s_waitcnt lgkmcnt(0)
	v_add_u32_e32 v0, v12, v0
	ds_write_b32 v13, v0
.LBB195_89:                             ;   in Loop: Header=BB195_81 Depth=1
	s_or_b64 exec, exec, s[4:5]
	v_cmp_ne_u64_e32 vcc, s[52:53], v[56:57]
	v_cndmask_b32_e32 v1, v68, v57, vcc
	v_cndmask_b32_e32 v0, -1, v56, vcc
	v_lshrrev_b64 v[0:1], s54, v[0:1]
	v_and_b32_e32 v0, s61, v0
	v_lshlrev_b32_e32 v1, 3, v0
	v_add_lshl_u32 v1, v1, v70, 2
	; wave barrier
	v_add_u32_e32 v16, 32, v1
	ds_read_b32 v15, v1 offset:32
	v_and_b32_e32 v1, 1, v0
	v_add_co_u32_e32 v2, vcc, -1, v1
	v_addc_co_u32_e64 v3, s[4:5], 0, -1, vcc
	v_cmp_ne_u32_e32 vcc, 0, v1
	v_lshlrev_b32_e32 v49, 30, v0
	v_xor_b32_e32 v1, vcc_hi, v3
	v_not_b32_e32 v3, v49
	v_xor_b32_e32 v2, vcc_lo, v2
	v_cmp_gt_i64_e32 vcc, 0, v[48:49]
	v_ashrrev_i32_e32 v3, 31, v3
	v_and_b32_e32 v2, exec_lo, v2
	v_xor_b32_e32 v17, vcc_hi, v3
	v_xor_b32_e32 v3, vcc_lo, v3
	v_lshlrev_b32_e32 v49, 29, v0
	v_and_b32_e32 v2, v2, v3
	v_not_b32_e32 v3, v49
	v_and_b32_e32 v1, exec_hi, v1
	v_cmp_gt_i64_e32 vcc, 0, v[48:49]
	v_ashrrev_i32_e32 v3, 31, v3
	v_and_b32_e32 v1, v1, v17
	v_xor_b32_e32 v17, vcc_hi, v3
	v_xor_b32_e32 v3, vcc_lo, v3
	v_lshlrev_b32_e32 v49, 28, v0
	v_and_b32_e32 v2, v2, v3
	v_not_b32_e32 v3, v49
	v_cmp_gt_i64_e32 vcc, 0, v[48:49]
	v_ashrrev_i32_e32 v3, 31, v3
	v_and_b32_e32 v1, v1, v17
	v_xor_b32_e32 v17, vcc_hi, v3
	v_xor_b32_e32 v3, vcc_lo, v3
	v_lshlrev_b32_e32 v49, 27, v0
	v_and_b32_e32 v2, v2, v3
	v_not_b32_e32 v3, v49
	;; [unrolled: 8-line block ×3, first 2 shown]
	v_cmp_gt_i64_e32 vcc, 0, v[48:49]
	v_ashrrev_i32_e32 v3, 31, v3
	v_and_b32_e32 v1, v1, v17
	v_xor_b32_e32 v17, vcc_hi, v3
	v_xor_b32_e32 v3, vcc_lo, v3
	v_lshlrev_b32_e32 v49, 25, v0
	v_and_b32_e32 v2, v2, v3
	v_cmp_gt_i64_e32 vcc, 0, v[48:49]
	v_not_b32_e32 v3, v49
	v_lshlrev_b32_e32 v49, 24, v0
	v_ashrrev_i32_e32 v3, 31, v3
	v_not_b32_e32 v0, v49
	v_and_b32_e32 v1, v1, v17
	v_xor_b32_e32 v17, vcc_hi, v3
	v_xor_b32_e32 v3, vcc_lo, v3
	v_cmp_gt_i64_e32 vcc, 0, v[48:49]
	v_ashrrev_i32_e32 v0, 31, v0
	v_and_b32_e32 v2, v2, v3
	v_xor_b32_e32 v3, vcc_hi, v0
	v_xor_b32_e32 v0, vcc_lo, v0
	v_and_b32_e32 v1, v1, v17
	v_and_b32_e32 v0, v2, v0
	;; [unrolled: 1-line block ×3, first 2 shown]
	v_mbcnt_lo_u32_b32 v2, v0, 0
	v_mbcnt_hi_u32_b32 v17, v1, v2
	v_cmp_eq_u32_e32 vcc, 0, v17
	v_cmp_ne_u64_e64 s[4:5], 0, v[0:1]
	s_and_b64 s[62:63], s[4:5], vcc
	; wave barrier
	s_and_saveexec_b64 s[4:5], s[62:63]
	s_cbranch_execz .LBB195_91
; %bb.90:                               ;   in Loop: Header=BB195_81 Depth=1
	v_bcnt_u32_b32 v0, v0, 0
	v_bcnt_u32_b32 v0, v1, v0
	s_waitcnt lgkmcnt(0)
	v_add_u32_e32 v0, v15, v0
	ds_write_b32 v16, v0
.LBB195_91:                             ;   in Loop: Header=BB195_81 Depth=1
	s_or_b64 exec, exec, s[4:5]
	v_cmp_ne_u64_e32 vcc, s[52:53], v[54:55]
	v_cndmask_b32_e32 v1, v68, v55, vcc
	v_cndmask_b32_e32 v0, -1, v54, vcc
	v_lshrrev_b64 v[0:1], s54, v[0:1]
	v_and_b32_e32 v0, s61, v0
	v_lshlrev_b32_e32 v1, 3, v0
	v_add_lshl_u32 v1, v1, v70, 2
	; wave barrier
	v_add_u32_e32 v19, 32, v1
	ds_read_b32 v18, v1 offset:32
	v_and_b32_e32 v1, 1, v0
	v_add_co_u32_e32 v2, vcc, -1, v1
	v_addc_co_u32_e64 v3, s[4:5], 0, -1, vcc
	v_cmp_ne_u32_e32 vcc, 0, v1
	v_lshlrev_b32_e32 v49, 30, v0
	v_xor_b32_e32 v1, vcc_hi, v3
	v_not_b32_e32 v3, v49
	v_xor_b32_e32 v2, vcc_lo, v2
	v_cmp_gt_i64_e32 vcc, 0, v[48:49]
	v_ashrrev_i32_e32 v3, 31, v3
	v_and_b32_e32 v2, exec_lo, v2
	v_xor_b32_e32 v20, vcc_hi, v3
	v_xor_b32_e32 v3, vcc_lo, v3
	v_lshlrev_b32_e32 v49, 29, v0
	v_and_b32_e32 v2, v2, v3
	v_not_b32_e32 v3, v49
	v_and_b32_e32 v1, exec_hi, v1
	v_cmp_gt_i64_e32 vcc, 0, v[48:49]
	v_ashrrev_i32_e32 v3, 31, v3
	v_and_b32_e32 v1, v1, v20
	v_xor_b32_e32 v20, vcc_hi, v3
	v_xor_b32_e32 v3, vcc_lo, v3
	v_lshlrev_b32_e32 v49, 28, v0
	v_and_b32_e32 v2, v2, v3
	v_not_b32_e32 v3, v49
	v_cmp_gt_i64_e32 vcc, 0, v[48:49]
	v_ashrrev_i32_e32 v3, 31, v3
	v_and_b32_e32 v1, v1, v20
	v_xor_b32_e32 v20, vcc_hi, v3
	v_xor_b32_e32 v3, vcc_lo, v3
	v_lshlrev_b32_e32 v49, 27, v0
	v_and_b32_e32 v2, v2, v3
	v_not_b32_e32 v3, v49
	;; [unrolled: 8-line block ×3, first 2 shown]
	v_cmp_gt_i64_e32 vcc, 0, v[48:49]
	v_ashrrev_i32_e32 v3, 31, v3
	v_and_b32_e32 v1, v1, v20
	v_xor_b32_e32 v20, vcc_hi, v3
	v_xor_b32_e32 v3, vcc_lo, v3
	v_lshlrev_b32_e32 v49, 25, v0
	v_and_b32_e32 v2, v2, v3
	v_cmp_gt_i64_e32 vcc, 0, v[48:49]
	v_not_b32_e32 v3, v49
	v_lshlrev_b32_e32 v49, 24, v0
	v_ashrrev_i32_e32 v3, 31, v3
	v_not_b32_e32 v0, v49
	v_and_b32_e32 v1, v1, v20
	v_xor_b32_e32 v20, vcc_hi, v3
	v_xor_b32_e32 v3, vcc_lo, v3
	v_cmp_gt_i64_e32 vcc, 0, v[48:49]
	v_ashrrev_i32_e32 v0, 31, v0
	v_and_b32_e32 v2, v2, v3
	v_xor_b32_e32 v3, vcc_hi, v0
	v_xor_b32_e32 v0, vcc_lo, v0
	v_and_b32_e32 v1, v1, v20
	v_and_b32_e32 v0, v2, v0
	;; [unrolled: 1-line block ×3, first 2 shown]
	v_mbcnt_lo_u32_b32 v2, v0, 0
	v_mbcnt_hi_u32_b32 v20, v1, v2
	v_cmp_eq_u32_e32 vcc, 0, v20
	v_cmp_ne_u64_e64 s[4:5], 0, v[0:1]
	s_and_b64 s[62:63], s[4:5], vcc
	; wave barrier
	s_and_saveexec_b64 s[4:5], s[62:63]
	s_cbranch_execz .LBB195_93
; %bb.92:                               ;   in Loop: Header=BB195_81 Depth=1
	v_bcnt_u32_b32 v0, v0, 0
	v_bcnt_u32_b32 v0, v1, v0
	s_waitcnt lgkmcnt(0)
	v_add_u32_e32 v0, v18, v0
	ds_write_b32 v19, v0
.LBB195_93:                             ;   in Loop: Header=BB195_81 Depth=1
	s_or_b64 exec, exec, s[4:5]
	v_cmp_ne_u64_e32 vcc, s[52:53], v[52:53]
	v_cndmask_b32_e32 v1, v68, v53, vcc
	v_cndmask_b32_e32 v0, -1, v52, vcc
	v_lshrrev_b64 v[0:1], s54, v[0:1]
	v_and_b32_e32 v0, s61, v0
	v_lshlrev_b32_e32 v1, 3, v0
	v_add_lshl_u32 v1, v1, v70, 2
	; wave barrier
	v_add_u32_e32 v22, 32, v1
	ds_read_b32 v21, v1 offset:32
	v_and_b32_e32 v1, 1, v0
	v_add_co_u32_e32 v2, vcc, -1, v1
	v_addc_co_u32_e64 v3, s[4:5], 0, -1, vcc
	v_cmp_ne_u32_e32 vcc, 0, v1
	v_lshlrev_b32_e32 v49, 30, v0
	v_xor_b32_e32 v1, vcc_hi, v3
	v_not_b32_e32 v3, v49
	v_xor_b32_e32 v2, vcc_lo, v2
	v_cmp_gt_i64_e32 vcc, 0, v[48:49]
	v_ashrrev_i32_e32 v3, 31, v3
	v_and_b32_e32 v2, exec_lo, v2
	v_xor_b32_e32 v23, vcc_hi, v3
	v_xor_b32_e32 v3, vcc_lo, v3
	v_lshlrev_b32_e32 v49, 29, v0
	v_and_b32_e32 v2, v2, v3
	v_not_b32_e32 v3, v49
	v_and_b32_e32 v1, exec_hi, v1
	v_cmp_gt_i64_e32 vcc, 0, v[48:49]
	v_ashrrev_i32_e32 v3, 31, v3
	v_and_b32_e32 v1, v1, v23
	v_xor_b32_e32 v23, vcc_hi, v3
	v_xor_b32_e32 v3, vcc_lo, v3
	v_lshlrev_b32_e32 v49, 28, v0
	v_and_b32_e32 v2, v2, v3
	v_not_b32_e32 v3, v49
	v_cmp_gt_i64_e32 vcc, 0, v[48:49]
	v_ashrrev_i32_e32 v3, 31, v3
	v_and_b32_e32 v1, v1, v23
	v_xor_b32_e32 v23, vcc_hi, v3
	v_xor_b32_e32 v3, vcc_lo, v3
	v_lshlrev_b32_e32 v49, 27, v0
	v_and_b32_e32 v2, v2, v3
	v_not_b32_e32 v3, v49
	;; [unrolled: 8-line block ×3, first 2 shown]
	v_cmp_gt_i64_e32 vcc, 0, v[48:49]
	v_ashrrev_i32_e32 v3, 31, v3
	v_and_b32_e32 v1, v1, v23
	v_xor_b32_e32 v23, vcc_hi, v3
	v_xor_b32_e32 v3, vcc_lo, v3
	v_lshlrev_b32_e32 v49, 25, v0
	v_and_b32_e32 v2, v2, v3
	v_cmp_gt_i64_e32 vcc, 0, v[48:49]
	v_not_b32_e32 v3, v49
	v_lshlrev_b32_e32 v49, 24, v0
	v_ashrrev_i32_e32 v3, 31, v3
	v_not_b32_e32 v0, v49
	v_and_b32_e32 v1, v1, v23
	v_xor_b32_e32 v23, vcc_hi, v3
	v_xor_b32_e32 v3, vcc_lo, v3
	v_cmp_gt_i64_e32 vcc, 0, v[48:49]
	v_ashrrev_i32_e32 v0, 31, v0
	v_and_b32_e32 v2, v2, v3
	v_xor_b32_e32 v3, vcc_hi, v0
	v_xor_b32_e32 v0, vcc_lo, v0
	v_and_b32_e32 v1, v1, v23
	v_and_b32_e32 v0, v2, v0
	;; [unrolled: 1-line block ×3, first 2 shown]
	v_mbcnt_lo_u32_b32 v2, v0, 0
	v_mbcnt_hi_u32_b32 v23, v1, v2
	v_cmp_eq_u32_e32 vcc, 0, v23
	v_cmp_ne_u64_e64 s[4:5], 0, v[0:1]
	s_and_b64 s[62:63], s[4:5], vcc
	; wave barrier
	s_and_saveexec_b64 s[4:5], s[62:63]
	s_cbranch_execz .LBB195_95
; %bb.94:                               ;   in Loop: Header=BB195_81 Depth=1
	v_bcnt_u32_b32 v0, v0, 0
	v_bcnt_u32_b32 v0, v1, v0
	s_waitcnt lgkmcnt(0)
	v_add_u32_e32 v0, v21, v0
	ds_write_b32 v22, v0
.LBB195_95:                             ;   in Loop: Header=BB195_81 Depth=1
	s_or_b64 exec, exec, s[4:5]
	v_cmp_ne_u64_e32 vcc, s[52:53], v[50:51]
	v_cndmask_b32_e32 v1, v68, v51, vcc
	v_cndmask_b32_e32 v0, -1, v50, vcc
	v_lshrrev_b64 v[0:1], s54, v[0:1]
	v_and_b32_e32 v0, s61, v0
	v_lshlrev_b32_e32 v1, 3, v0
	v_add_lshl_u32 v1, v1, v70, 2
	; wave barrier
	v_add_u32_e32 v25, 32, v1
	ds_read_b32 v24, v1 offset:32
	v_and_b32_e32 v1, 1, v0
	v_add_co_u32_e32 v2, vcc, -1, v1
	v_addc_co_u32_e64 v3, s[4:5], 0, -1, vcc
	v_cmp_ne_u32_e32 vcc, 0, v1
	v_lshlrev_b32_e32 v49, 30, v0
	v_xor_b32_e32 v1, vcc_hi, v3
	v_not_b32_e32 v3, v49
	v_xor_b32_e32 v2, vcc_lo, v2
	v_cmp_gt_i64_e32 vcc, 0, v[48:49]
	v_ashrrev_i32_e32 v3, 31, v3
	v_and_b32_e32 v2, exec_lo, v2
	v_xor_b32_e32 v26, vcc_hi, v3
	v_xor_b32_e32 v3, vcc_lo, v3
	v_lshlrev_b32_e32 v49, 29, v0
	v_and_b32_e32 v2, v2, v3
	v_not_b32_e32 v3, v49
	v_and_b32_e32 v1, exec_hi, v1
	v_cmp_gt_i64_e32 vcc, 0, v[48:49]
	v_ashrrev_i32_e32 v3, 31, v3
	v_and_b32_e32 v1, v1, v26
	v_xor_b32_e32 v26, vcc_hi, v3
	v_xor_b32_e32 v3, vcc_lo, v3
	v_lshlrev_b32_e32 v49, 28, v0
	v_and_b32_e32 v2, v2, v3
	v_not_b32_e32 v3, v49
	v_cmp_gt_i64_e32 vcc, 0, v[48:49]
	v_ashrrev_i32_e32 v3, 31, v3
	v_and_b32_e32 v1, v1, v26
	v_xor_b32_e32 v26, vcc_hi, v3
	v_xor_b32_e32 v3, vcc_lo, v3
	v_lshlrev_b32_e32 v49, 27, v0
	v_and_b32_e32 v2, v2, v3
	v_not_b32_e32 v3, v49
	v_cmp_gt_i64_e32 vcc, 0, v[48:49]
	v_ashrrev_i32_e32 v3, 31, v3
	v_and_b32_e32 v1, v1, v26
	v_xor_b32_e32 v26, vcc_hi, v3
	v_xor_b32_e32 v3, vcc_lo, v3
	v_lshlrev_b32_e32 v49, 26, v0
	v_and_b32_e32 v2, v2, v3
	v_not_b32_e32 v3, v49
	v_cmp_gt_i64_e32 vcc, 0, v[48:49]
	v_ashrrev_i32_e32 v3, 31, v3
	v_and_b32_e32 v1, v1, v26
	v_xor_b32_e32 v26, vcc_hi, v3
	v_xor_b32_e32 v3, vcc_lo, v3
	v_lshlrev_b32_e32 v49, 25, v0
	v_and_b32_e32 v2, v2, v3
	v_cmp_gt_i64_e32 vcc, 0, v[48:49]
	v_not_b32_e32 v3, v49
	v_lshlrev_b32_e32 v49, 24, v0
	v_ashrrev_i32_e32 v3, 31, v3
	v_not_b32_e32 v0, v49
	v_and_b32_e32 v1, v1, v26
	v_xor_b32_e32 v26, vcc_hi, v3
	v_xor_b32_e32 v3, vcc_lo, v3
	v_cmp_gt_i64_e32 vcc, 0, v[48:49]
	v_ashrrev_i32_e32 v0, 31, v0
	v_and_b32_e32 v2, v2, v3
	v_xor_b32_e32 v3, vcc_hi, v0
	v_xor_b32_e32 v0, vcc_lo, v0
	v_and_b32_e32 v1, v1, v26
	v_and_b32_e32 v0, v2, v0
	;; [unrolled: 1-line block ×3, first 2 shown]
	v_mbcnt_lo_u32_b32 v2, v0, 0
	v_mbcnt_hi_u32_b32 v26, v1, v2
	v_cmp_eq_u32_e32 vcc, 0, v26
	v_cmp_ne_u64_e64 s[4:5], 0, v[0:1]
	s_and_b64 s[62:63], s[4:5], vcc
	; wave barrier
	s_and_saveexec_b64 s[4:5], s[62:63]
	s_cbranch_execz .LBB195_97
; %bb.96:                               ;   in Loop: Header=BB195_81 Depth=1
	v_bcnt_u32_b32 v0, v0, 0
	v_bcnt_u32_b32 v0, v1, v0
	s_waitcnt lgkmcnt(0)
	v_add_u32_e32 v0, v24, v0
	ds_write_b32 v25, v0
.LBB195_97:                             ;   in Loop: Header=BB195_81 Depth=1
	s_or_b64 exec, exec, s[4:5]
	; wave barrier
	s_waitcnt lgkmcnt(0)
	s_barrier
	ds_read2_b32 v[2:3], v110 offset0:8 offset1:9
	ds_read2_b32 v[0:1], v69 offset0:2 offset1:3
	s_waitcnt lgkmcnt(1)
	v_add_u32_e32 v27, v3, v2
	s_waitcnt lgkmcnt(0)
	v_add3_u32 v1, v27, v0, v1
	s_nop 1
	v_mov_b32_dpp v27, v1 row_shr:1 row_mask:0xf bank_mask:0xf
	v_cndmask_b32_e64 v27, v27, 0, s[16:17]
	v_add_u32_e32 v1, v27, v1
	s_nop 1
	v_mov_b32_dpp v27, v1 row_shr:2 row_mask:0xf bank_mask:0xf
	v_cndmask_b32_e64 v27, 0, v27, s[18:19]
	v_add_u32_e32 v1, v1, v27
	;; [unrolled: 4-line block ×4, first 2 shown]
	s_nop 1
	v_mov_b32_dpp v27, v1 row_bcast:15 row_mask:0xf bank_mask:0xf
	v_cndmask_b32_e64 v27, v27, 0, s[24:25]
	v_add_u32_e32 v1, v1, v27
	s_nop 1
	v_mov_b32_dpp v27, v1 row_bcast:31 row_mask:0xf bank_mask:0xf
	v_cndmask_b32_e64 v27, 0, v27, s[26:27]
	v_add_u32_e32 v1, v1, v27
	s_and_saveexec_b64 s[4:5], s[28:29]
	s_cbranch_execz .LBB195_99
; %bb.98:                               ;   in Loop: Header=BB195_81 Depth=1
	ds_write_b32 v72, v1
.LBB195_99:                             ;   in Loop: Header=BB195_81 Depth=1
	s_or_b64 exec, exec, s[4:5]
	s_waitcnt lgkmcnt(0)
	s_barrier
	s_and_saveexec_b64 s[4:5], s[30:31]
	s_cbranch_execz .LBB195_101
; %bb.100:                              ;   in Loop: Header=BB195_81 Depth=1
	ds_read_b32 v27, v109
	s_waitcnt lgkmcnt(0)
	s_nop 0
	v_mov_b32_dpp v28, v27 row_shr:1 row_mask:0xf bank_mask:0xf
	v_cndmask_b32_e64 v28, v28, 0, s[40:41]
	v_add_u32_e32 v27, v28, v27
	s_nop 1
	v_mov_b32_dpp v28, v27 row_shr:2 row_mask:0xf bank_mask:0xf
	v_cndmask_b32_e64 v28, 0, v28, s[42:43]
	v_add_u32_e32 v27, v27, v28
	;; [unrolled: 4-line block ×3, first 2 shown]
	ds_write_b32 v109, v27
.LBB195_101:                            ;   in Loop: Header=BB195_81 Depth=1
	s_or_b64 exec, exec, s[4:5]
	v_mov_b32_e32 v27, 0
	s_waitcnt lgkmcnt(0)
	s_barrier
	s_and_saveexec_b64 s[4:5], s[34:35]
	s_cbranch_execz .LBB195_103
; %bb.102:                              ;   in Loop: Header=BB195_81 Depth=1
	ds_read_b32 v27, v73
.LBB195_103:                            ;   in Loop: Header=BB195_81 Depth=1
	s_or_b64 exec, exec, s[4:5]
	s_waitcnt lgkmcnt(0)
	v_add_u32_e32 v1, v27, v1
	ds_bpermute_b32 v1, v71, v1
	s_cmp_gt_u32 s54, 55
	s_waitcnt lgkmcnt(0)
	v_cndmask_b32_e64 v1, v1, v27, s[36:37]
	v_cndmask_b32_e64 v1, v1, 0, s[38:39]
	v_add_u32_e32 v2, v1, v2
	v_add_u32_e32 v3, v2, v3
	;; [unrolled: 1-line block ×3, first 2 shown]
	ds_write2_b32 v110, v1, v2 offset0:8 offset1:9
	ds_write2_b32 v69, v3, v0 offset0:2 offset1:3
	s_waitcnt lgkmcnt(0)
	s_barrier
	ds_read_b32 v0, v4
	ds_read_b32 v1, v7
	;; [unrolled: 1-line block ×8, first 2 shown]
	s_waitcnt lgkmcnt(7)
	v_add_u32_e32 v81, v0, v5
	s_waitcnt lgkmcnt(6)
	v_add3_u32 v80, v8, v6, v1
	s_waitcnt lgkmcnt(5)
	v_add3_u32 v79, v11, v9, v2
	;; [unrolled: 2-line block ×7, first 2 shown]
	s_cbranch_scc0 .LBB195_80
; %bb.104:
                                        ; implicit-def: $vgpr14_vgpr15
                                        ; implicit-def: $vgpr10_vgpr11
                                        ; implicit-def: $vgpr6_vgpr7
                                        ; implicit-def: $vgpr2_vgpr3
                                        ; implicit-def: $vgpr30_vgpr31
                                        ; implicit-def: $vgpr26_vgpr27
                                        ; implicit-def: $vgpr22_vgpr23
                                        ; implicit-def: $vgpr18_vgpr19
                                        ; implicit-def: $sgpr54_sgpr55
                                        ; implicit-def: $sgpr57
.LBB195_105:
	v_lshlrev_b32_e32 v16, 3, v81
	v_lshlrev_b32_e32 v17, 3, v80
	;; [unrolled: 1-line block ×9, first 2 shown]
	s_barrier
	ds_write_b64 v16, v[64:65]
	ds_write_b64 v17, v[62:63]
	;; [unrolled: 1-line block ×8, first 2 shown]
	s_waitcnt lgkmcnt(0)
	s_barrier
	ds_read2_b64 v[0:3], v24 offset1:1
	ds_read2_b64 v[4:7], v24 offset0:2 offset1:3
	ds_read2_b64 v[8:11], v24 offset0:4 offset1:5
	;; [unrolled: 1-line block ×3, first 2 shown]
	s_waitcnt lgkmcnt(0)
	s_barrier
	ds_write_b64 v16, v[46:47]
	ds_write_b64 v17, v[44:45]
	;; [unrolled: 1-line block ×8, first 2 shown]
	v_ashrrev_i32_e32 v18, 31, v1
	v_not_b32_e32 v18, v18
	v_cmp_gt_i64_e32 vcc, 0, v[0:1]
	v_xor_b32_e32 v0, v18, v0
	v_ashrrev_i32_e32 v18, 31, v3
	v_bfrev_b32_e32 v16, -2
	v_not_b32_e32 v18, v18
	v_cndmask_b32_e64 v17, v16, 0, vcc
	v_cmp_gt_i64_e32 vcc, 0, v[2:3]
	v_xor_b32_e32 v2, v18, v2
	v_ashrrev_i32_e32 v18, 31, v5
	v_not_b32_e32 v18, v18
	v_xor_b32_e32 v1, v17, v1
	v_cndmask_b32_e64 v17, v16, 0, vcc
	v_cmp_gt_i64_e32 vcc, 0, v[4:5]
	v_xor_b32_e32 v4, v18, v4
	v_ashrrev_i32_e32 v18, 31, v7
	s_waitcnt lgkmcnt(0)
	s_barrier
	ds_read2_b64 v[50:53], v24 offset1:1
	ds_read2_b64 v[54:57], v24 offset0:2 offset1:3
	ds_read2_b64 v[58:61], v24 offset0:4 offset1:5
	;; [unrolled: 1-line block ×3, first 2 shown]
	v_xor_b32_e32 v3, v17, v3
	v_cndmask_b32_e64 v17, v16, 0, vcc
	v_cmp_gt_i64_e32 vcc, 0, v[6:7]
	v_not_b32_e32 v18, v18
	v_xor_b32_e32 v5, v17, v5
	v_cndmask_b32_e64 v17, v16, 0, vcc
	v_xor_b32_e32 v6, v18, v6
	v_cmp_gt_i64_e32 vcc, 0, v[8:9]
	v_ashrrev_i32_e32 v18, 31, v9
	v_xor_b32_e32 v7, v17, v7
	v_cndmask_b32_e64 v17, v16, 0, vcc
	v_not_b32_e32 v18, v18
	v_cmp_gt_i64_e32 vcc, 0, v[10:11]
	v_xor_b32_e32 v9, v17, v9
	v_xor_b32_e32 v8, v18, v8
	v_cndmask_b32_e64 v17, v16, 0, vcc
	v_ashrrev_i32_e32 v18, 31, v11
	v_cmp_gt_i64_e32 vcc, 0, v[12:13]
	v_not_b32_e32 v18, v18
	v_xor_b32_e32 v11, v17, v11
	v_cndmask_b32_e64 v17, v16, 0, vcc
	v_xor_b32_e32 v10, v18, v10
	v_ashrrev_i32_e32 v18, 31, v13
	v_xor_b32_e32 v13, v17, v13
	v_cmp_gt_i64_e32 vcc, 0, v[14:15]
	v_ashrrev_i32_e32 v17, 31, v15
	v_not_b32_e32 v18, v18
	v_cndmask_b32_e64 v16, v16, 0, vcc
	v_not_b32_e32 v17, v17
	v_xor_b32_e32 v12, v18, v12
	v_xor_b32_e32 v15, v16, v15
	;; [unrolled: 1-line block ×3, first 2 shown]
.LBB195_106:
	s_waitcnt lgkmcnt(0)
	s_barrier
	ds_write2_b64 v107, v[0:1], v[2:3] offset1:1
	ds_write2_b64 v107, v[4:5], v[6:7] offset0:2 offset1:3
	ds_write2_b64 v107, v[8:9], v[10:11] offset0:4 offset1:5
	;; [unrolled: 1-line block ×3, first 2 shown]
	s_waitcnt lgkmcnt(0)
	s_barrier
	ds_read_b64 v[14:15], v100 offset:4096
	ds_read_b64 v[12:13], v101 offset:8192
	;; [unrolled: 1-line block ×7, first 2 shown]
	v_mad_u64_u32 v[4:5], s[4:5], v66, s48, 0
	v_mov_b32_e32 v16, v5
	v_mad_u64_u32 v[16:17], s[4:5], v66, s49, v[16:17]
	v_mov_b32_e32 v5, v16
	v_lshlrev_b64 v[4:5], 3, v[4:5]
	v_mov_b32_e32 v16, s58
	v_add_co_u32_e32 v4, vcc, s33, v4
	v_addc_co_u32_e32 v5, vcc, v16, v5, vcc
	s_and_saveexec_b64 s[4:5], s[0:1]
	s_cbranch_execnz .LBB195_125
; %bb.107:
	s_or_b64 exec, exec, s[4:5]
	s_and_saveexec_b64 s[4:5], s[2:3]
	s_cbranch_execnz .LBB195_126
.LBB195_108:
	s_or_b64 exec, exec, s[4:5]
	s_and_saveexec_b64 s[4:5], s[46:47]
	s_cbranch_execnz .LBB195_127
.LBB195_109:
	s_or_b64 exec, exec, s[4:5]
	s_and_saveexec_b64 s[4:5], s[6:7]
	s_cbranch_execnz .LBB195_128
.LBB195_110:
	s_or_b64 exec, exec, s[4:5]
	s_and_saveexec_b64 s[4:5], s[8:9]
	s_cbranch_execnz .LBB195_129
.LBB195_111:
	s_or_b64 exec, exec, s[4:5]
	s_and_saveexec_b64 s[4:5], s[10:11]
	s_cbranch_execnz .LBB195_130
.LBB195_112:
	s_or_b64 exec, exec, s[4:5]
	s_and_saveexec_b64 s[4:5], s[12:13]
	s_cbranch_execnz .LBB195_131
.LBB195_113:
	s_or_b64 exec, exec, s[4:5]
	s_and_saveexec_b64 s[4:5], s[14:15]
	s_cbranch_execz .LBB195_115
.LBB195_114:
	s_waitcnt lgkmcnt(1)
	v_mov_b32_e32 v2, 0x7000
	v_mad_u64_u32 v[2:3], s[16:17], s48, v2, v[4:5]
	s_mul_i32 s16, s49, 0x7000
	v_add_u32_e32 v3, s16, v3
	s_waitcnt lgkmcnt(0)
	global_store_dwordx2 v[2:3], v[0:1], off
.LBB195_115:
	s_or_b64 exec, exec, s[4:5]
	s_waitcnt lgkmcnt(0)
	s_barrier
	ds_write2_b64 v107, v[50:51], v[52:53] offset1:1
	ds_write2_b64 v107, v[54:55], v[56:57] offset0:2 offset1:3
	ds_write2_b64 v107, v[58:59], v[60:61] offset0:4 offset1:5
	;; [unrolled: 1-line block ×3, first 2 shown]
	s_waitcnt lgkmcnt(0)
	s_barrier
	ds_read_b64 v[14:15], v100 offset:4096
	ds_read_b64 v[12:13], v101 offset:8192
	;; [unrolled: 1-line block ×7, first 2 shown]
	v_mad_u64_u32 v[4:5], s[4:5], v66, s50, 0
	v_mov_b32_e32 v16, v5
	v_mad_u64_u32 v[16:17], s[4:5], v66, s51, v[16:17]
	v_mov_b32_e32 v5, v16
	v_lshlrev_b64 v[4:5], 3, v[4:5]
	v_mov_b32_e32 v16, s60
	v_add_co_u32_e32 v4, vcc, s59, v4
	v_addc_co_u32_e32 v5, vcc, v16, v5, vcc
	s_and_saveexec_b64 s[4:5], s[0:1]
	s_cbranch_execnz .LBB195_132
; %bb.116:
	s_or_b64 exec, exec, s[4:5]
	s_and_saveexec_b64 s[0:1], s[2:3]
	s_cbranch_execnz .LBB195_133
.LBB195_117:
	s_or_b64 exec, exec, s[0:1]
	s_and_saveexec_b64 s[0:1], s[46:47]
	s_cbranch_execnz .LBB195_134
.LBB195_118:
	s_or_b64 exec, exec, s[0:1]
	s_and_saveexec_b64 s[0:1], s[6:7]
	s_cbranch_execnz .LBB195_135
.LBB195_119:
	s_or_b64 exec, exec, s[0:1]
	s_and_saveexec_b64 s[0:1], s[8:9]
	s_cbranch_execnz .LBB195_136
.LBB195_120:
	s_or_b64 exec, exec, s[0:1]
	s_and_saveexec_b64 s[0:1], s[10:11]
	s_cbranch_execnz .LBB195_137
.LBB195_121:
	s_or_b64 exec, exec, s[0:1]
	s_and_saveexec_b64 s[0:1], s[12:13]
	s_cbranch_execnz .LBB195_138
.LBB195_122:
	s_or_b64 exec, exec, s[0:1]
	s_and_saveexec_b64 s[0:1], s[14:15]
	s_cbranch_execz .LBB195_124
.LBB195_123:
	s_waitcnt lgkmcnt(1)
	v_mov_b32_e32 v2, 0x7000
	v_mad_u64_u32 v[2:3], s[0:1], s50, v2, v[4:5]
	s_mul_i32 s0, s51, 0x7000
	v_add_u32_e32 v3, s0, v3
	s_waitcnt lgkmcnt(0)
	global_store_dwordx2 v[2:3], v[0:1], off
.LBB195_124:
	s_endpgm
.LBB195_125:
	ds_read_b64 v[16:17], v67
	s_waitcnt lgkmcnt(0)
	global_store_dwordx2 v[4:5], v[16:17], off
	s_or_b64 exec, exec, s[4:5]
	s_and_saveexec_b64 s[4:5], s[2:3]
	s_cbranch_execz .LBB195_108
.LBB195_126:
	s_lshl_b64 s[16:17], s[48:49], 12
	v_mov_b32_e32 v17, s17
	v_add_co_u32_e32 v16, vcc, s16, v4
	v_addc_co_u32_e32 v17, vcc, v5, v17, vcc
	s_waitcnt lgkmcnt(6)
	global_store_dwordx2 v[16:17], v[14:15], off
	s_or_b64 exec, exec, s[4:5]
	s_and_saveexec_b64 s[4:5], s[46:47]
	s_cbranch_execz .LBB195_109
.LBB195_127:
	s_lshl_b64 s[16:17], s[48:49], 13
	s_waitcnt lgkmcnt(6)
	v_mov_b32_e32 v15, s17
	v_add_co_u32_e32 v14, vcc, s16, v4
	v_addc_co_u32_e32 v15, vcc, v5, v15, vcc
	s_waitcnt lgkmcnt(5)
	global_store_dwordx2 v[14:15], v[12:13], off
	s_or_b64 exec, exec, s[4:5]
	s_and_saveexec_b64 s[4:5], s[6:7]
	s_cbranch_execz .LBB195_110
.LBB195_128:
	s_waitcnt lgkmcnt(5)
	v_mov_b32_e32 v12, 0x3000
	v_mad_u64_u32 v[12:13], s[16:17], s48, v12, v[4:5]
	s_mul_i32 s16, s49, 0x3000
	v_add_u32_e32 v13, s16, v13
	s_waitcnt lgkmcnt(4)
	global_store_dwordx2 v[12:13], v[10:11], off
	s_or_b64 exec, exec, s[4:5]
	s_and_saveexec_b64 s[4:5], s[8:9]
	s_cbranch_execz .LBB195_111
.LBB195_129:
	s_lshl_b64 s[16:17], s[48:49], 14
	s_waitcnt lgkmcnt(4)
	v_mov_b32_e32 v11, s17
	v_add_co_u32_e32 v10, vcc, s16, v4
	v_addc_co_u32_e32 v11, vcc, v5, v11, vcc
	s_waitcnt lgkmcnt(3)
	global_store_dwordx2 v[10:11], v[8:9], off
	s_or_b64 exec, exec, s[4:5]
	s_and_saveexec_b64 s[4:5], s[10:11]
	s_cbranch_execz .LBB195_112
.LBB195_130:
	s_waitcnt lgkmcnt(3)
	v_mov_b32_e32 v8, 0x5000
	v_mad_u64_u32 v[8:9], s[16:17], s48, v8, v[4:5]
	s_mul_i32 s16, s49, 0x5000
	v_add_u32_e32 v9, s16, v9
	s_waitcnt lgkmcnt(2)
	global_store_dwordx2 v[8:9], v[6:7], off
	s_or_b64 exec, exec, s[4:5]
	s_and_saveexec_b64 s[4:5], s[12:13]
	s_cbranch_execz .LBB195_113
.LBB195_131:
	s_waitcnt lgkmcnt(2)
	v_mov_b32_e32 v6, 0x6000
	v_mad_u64_u32 v[6:7], s[16:17], s48, v6, v[4:5]
	s_mul_i32 s16, s49, 0x6000
	v_add_u32_e32 v7, s16, v7
	s_waitcnt lgkmcnt(1)
	global_store_dwordx2 v[6:7], v[2:3], off
	s_or_b64 exec, exec, s[4:5]
	s_and_saveexec_b64 s[4:5], s[14:15]
	s_cbranch_execnz .LBB195_114
	s_branch .LBB195_115
.LBB195_132:
	ds_read_b64 v[16:17], v67
	s_waitcnt lgkmcnt(0)
	global_store_dwordx2 v[4:5], v[16:17], off
	s_or_b64 exec, exec, s[4:5]
	s_and_saveexec_b64 s[0:1], s[2:3]
	s_cbranch_execz .LBB195_117
.LBB195_133:
	s_lshl_b64 s[2:3], s[50:51], 12
	v_mov_b32_e32 v17, s3
	v_add_co_u32_e32 v16, vcc, s2, v4
	v_addc_co_u32_e32 v17, vcc, v5, v17, vcc
	s_waitcnt lgkmcnt(6)
	global_store_dwordx2 v[16:17], v[14:15], off
	s_or_b64 exec, exec, s[0:1]
	s_and_saveexec_b64 s[0:1], s[46:47]
	s_cbranch_execz .LBB195_118
.LBB195_134:
	s_lshl_b64 s[2:3], s[50:51], 13
	s_waitcnt lgkmcnt(6)
	v_mov_b32_e32 v15, s3
	v_add_co_u32_e32 v14, vcc, s2, v4
	v_addc_co_u32_e32 v15, vcc, v5, v15, vcc
	s_waitcnt lgkmcnt(5)
	global_store_dwordx2 v[14:15], v[12:13], off
	s_or_b64 exec, exec, s[0:1]
	s_and_saveexec_b64 s[0:1], s[6:7]
	s_cbranch_execz .LBB195_119
.LBB195_135:
	s_waitcnt lgkmcnt(5)
	v_mov_b32_e32 v12, 0x3000
	v_mad_u64_u32 v[12:13], s[2:3], s50, v12, v[4:5]
	s_mul_i32 s2, s51, 0x3000
	v_add_u32_e32 v13, s2, v13
	s_waitcnt lgkmcnt(4)
	global_store_dwordx2 v[12:13], v[10:11], off
	s_or_b64 exec, exec, s[0:1]
	s_and_saveexec_b64 s[0:1], s[8:9]
	s_cbranch_execz .LBB195_120
.LBB195_136:
	s_lshl_b64 s[2:3], s[50:51], 14
	s_waitcnt lgkmcnt(4)
	v_mov_b32_e32 v11, s3
	v_add_co_u32_e32 v10, vcc, s2, v4
	v_addc_co_u32_e32 v11, vcc, v5, v11, vcc
	s_waitcnt lgkmcnt(3)
	global_store_dwordx2 v[10:11], v[8:9], off
	s_or_b64 exec, exec, s[0:1]
	s_and_saveexec_b64 s[0:1], s[10:11]
	s_cbranch_execz .LBB195_121
.LBB195_137:
	s_waitcnt lgkmcnt(3)
	v_mov_b32_e32 v8, 0x5000
	v_mad_u64_u32 v[8:9], s[2:3], s50, v8, v[4:5]
	s_mul_i32 s2, s51, 0x5000
	v_add_u32_e32 v9, s2, v9
	s_waitcnt lgkmcnt(2)
	global_store_dwordx2 v[8:9], v[6:7], off
	s_or_b64 exec, exec, s[0:1]
	s_and_saveexec_b64 s[0:1], s[12:13]
	s_cbranch_execz .LBB195_122
.LBB195_138:
	s_waitcnt lgkmcnt(2)
	v_mov_b32_e32 v6, 0x6000
	v_mad_u64_u32 v[6:7], s[2:3], s50, v6, v[4:5]
	s_mul_i32 s2, s51, 0x6000
	v_add_u32_e32 v7, s2, v7
	s_waitcnt lgkmcnt(1)
	global_store_dwordx2 v[6:7], v[2:3], off
	s_or_b64 exec, exec, s[0:1]
	s_and_saveexec_b64 s[0:1], s[14:15]
	s_cbranch_execnz .LBB195_123
	s_branch .LBB195_124
	.section	.rodata,"a",@progbits
	.p2align	6, 0x0
	.amdhsa_kernel _ZN2at6native18radixSortKVInPlaceILin1ELin1ELi512ELi8EdlmEEvNS_4cuda6detail10TensorInfoIT3_T5_EES6_S6_S6_NS4_IT4_S6_EES6_b
		.amdhsa_group_segment_fixed_size 33792
		.amdhsa_private_segment_fixed_size 0
		.amdhsa_kernarg_size 1128
		.amdhsa_user_sgpr_count 6
		.amdhsa_user_sgpr_private_segment_buffer 1
		.amdhsa_user_sgpr_dispatch_ptr 0
		.amdhsa_user_sgpr_queue_ptr 0
		.amdhsa_user_sgpr_kernarg_segment_ptr 1
		.amdhsa_user_sgpr_dispatch_id 0
		.amdhsa_user_sgpr_flat_scratch_init 0
		.amdhsa_user_sgpr_kernarg_preload_length 0
		.amdhsa_user_sgpr_kernarg_preload_offset 0
		.amdhsa_user_sgpr_private_segment_size 0
		.amdhsa_uses_dynamic_stack 0
		.amdhsa_system_sgpr_private_segment_wavefront_offset 0
		.amdhsa_system_sgpr_workgroup_id_x 1
		.amdhsa_system_sgpr_workgroup_id_y 1
		.amdhsa_system_sgpr_workgroup_id_z 1
		.amdhsa_system_sgpr_workgroup_info 0
		.amdhsa_system_vgpr_workitem_id 2
		.amdhsa_next_free_vgpr 137
		.amdhsa_next_free_sgpr 66
		.amdhsa_accum_offset 140
		.amdhsa_reserve_vcc 1
		.amdhsa_reserve_flat_scratch 0
		.amdhsa_float_round_mode_32 0
		.amdhsa_float_round_mode_16_64 0
		.amdhsa_float_denorm_mode_32 3
		.amdhsa_float_denorm_mode_16_64 3
		.amdhsa_dx10_clamp 1
		.amdhsa_ieee_mode 1
		.amdhsa_fp16_overflow 0
		.amdhsa_tg_split 0
		.amdhsa_exception_fp_ieee_invalid_op 0
		.amdhsa_exception_fp_denorm_src 0
		.amdhsa_exception_fp_ieee_div_zero 0
		.amdhsa_exception_fp_ieee_overflow 0
		.amdhsa_exception_fp_ieee_underflow 0
		.amdhsa_exception_fp_ieee_inexact 0
		.amdhsa_exception_int_div_zero 0
	.end_amdhsa_kernel
	.section	.text._ZN2at6native18radixSortKVInPlaceILin1ELin1ELi512ELi8EdlmEEvNS_4cuda6detail10TensorInfoIT3_T5_EES6_S6_S6_NS4_IT4_S6_EES6_b,"axG",@progbits,_ZN2at6native18radixSortKVInPlaceILin1ELin1ELi512ELi8EdlmEEvNS_4cuda6detail10TensorInfoIT3_T5_EES6_S6_S6_NS4_IT4_S6_EES6_b,comdat
.Lfunc_end195:
	.size	_ZN2at6native18radixSortKVInPlaceILin1ELin1ELi512ELi8EdlmEEvNS_4cuda6detail10TensorInfoIT3_T5_EES6_S6_S6_NS4_IT4_S6_EES6_b, .Lfunc_end195-_ZN2at6native18radixSortKVInPlaceILin1ELin1ELi512ELi8EdlmEEvNS_4cuda6detail10TensorInfoIT3_T5_EES6_S6_S6_NS4_IT4_S6_EES6_b
                                        ; -- End function
	.section	.AMDGPU.csdata,"",@progbits
; Kernel info:
; codeLenInByte = 15492
; NumSgprs: 70
; NumVgprs: 137
; NumAgprs: 0
; TotalNumVgprs: 137
; ScratchSize: 0
; MemoryBound: 0
; FloatMode: 240
; IeeeMode: 1
; LDSByteSize: 33792 bytes/workgroup (compile time only)
; SGPRBlocks: 8
; VGPRBlocks: 17
; NumSGPRsForWavesPerEU: 70
; NumVGPRsForWavesPerEU: 137
; AccumOffset: 140
; Occupancy: 2
; WaveLimiterHint : 1
; COMPUTE_PGM_RSRC2:SCRATCH_EN: 0
; COMPUTE_PGM_RSRC2:USER_SGPR: 6
; COMPUTE_PGM_RSRC2:TRAP_HANDLER: 0
; COMPUTE_PGM_RSRC2:TGID_X_EN: 1
; COMPUTE_PGM_RSRC2:TGID_Y_EN: 1
; COMPUTE_PGM_RSRC2:TGID_Z_EN: 1
; COMPUTE_PGM_RSRC2:TIDIG_COMP_CNT: 2
; COMPUTE_PGM_RSRC3_GFX90A:ACCUM_OFFSET: 34
; COMPUTE_PGM_RSRC3_GFX90A:TG_SPLIT: 0
	.section	.text._ZN2at6native18radixSortKVInPlaceILin1ELin1ELi256ELi8EdlmEEvNS_4cuda6detail10TensorInfoIT3_T5_EES6_S6_S6_NS4_IT4_S6_EES6_b,"axG",@progbits,_ZN2at6native18radixSortKVInPlaceILin1ELin1ELi256ELi8EdlmEEvNS_4cuda6detail10TensorInfoIT3_T5_EES6_S6_S6_NS4_IT4_S6_EES6_b,comdat
	.protected	_ZN2at6native18radixSortKVInPlaceILin1ELin1ELi256ELi8EdlmEEvNS_4cuda6detail10TensorInfoIT3_T5_EES6_S6_S6_NS4_IT4_S6_EES6_b ; -- Begin function _ZN2at6native18radixSortKVInPlaceILin1ELin1ELi256ELi8EdlmEEvNS_4cuda6detail10TensorInfoIT3_T5_EES6_S6_S6_NS4_IT4_S6_EES6_b
	.globl	_ZN2at6native18radixSortKVInPlaceILin1ELin1ELi256ELi8EdlmEEvNS_4cuda6detail10TensorInfoIT3_T5_EES6_S6_S6_NS4_IT4_S6_EES6_b
	.p2align	8
	.type	_ZN2at6native18radixSortKVInPlaceILin1ELin1ELi256ELi8EdlmEEvNS_4cuda6detail10TensorInfoIT3_T5_EES6_S6_S6_NS4_IT4_S6_EES6_b,@function
_ZN2at6native18radixSortKVInPlaceILin1ELin1ELi256ELi8EdlmEEvNS_4cuda6detail10TensorInfoIT3_T5_EES6_S6_S6_NS4_IT4_S6_EES6_b: ; @_ZN2at6native18radixSortKVInPlaceILin1ELin1ELi256ELi8EdlmEEvNS_4cuda6detail10TensorInfoIT3_T5_EES6_S6_S6_NS4_IT4_S6_EES6_b
; %bb.0:
	s_load_dwordx4 s[24:27], s[4:5], 0x1a0
	s_load_dwordx2 s[0:1], s[4:5], 0x368
	s_add_u32 s50, s4, 0x368
	s_addc_u32 s51, s5, 0
	s_waitcnt lgkmcnt(0)
	v_mov_b32_e32 v2, s24
	s_mul_i32 s1, s1, s8
	s_add_i32 s1, s1, s7
	s_mul_i32 s0, s1, s0
	v_mov_b32_e32 v3, s25
	s_add_i32 s6, s0, s6
	s_mov_b32 s7, 0
	v_cmp_ge_u64_e32 vcc, s[6:7], v[2:3]
	s_cbranch_vccnz .LBB196_124
; %bb.1:
	s_load_dword s0, s[4:5], 0x198
	s_load_dwordx2 s[46:47], s[4:5], 0x1b0
	s_mov_b64 s[2:3], 0
	s_mov_b64 s[8:9], s[6:7]
	s_waitcnt lgkmcnt(0)
	s_cmp_lt_i32 s0, 2
	s_cbranch_scc1 .LBB196_9
; %bb.2:
	s_mov_b32 s10, 0
	s_add_i32 s18, s0, 1
	s_add_i32 s0, s0, -1
	s_mov_b32 s1, s10
	s_lshl_b64 s[0:1], s[0:1], 3
	s_add_u32 s0, s0, s4
	s_addc_u32 s1, s1, s5
	s_add_u32 s12, s0, 8
	s_addc_u32 s13, s1, 0
	s_mov_b64 s[14:15], s[6:7]
.LBB196_3:                              ; =>This Inner Loop Header: Depth=1
	s_load_dwordx2 s[16:17], s[12:13], 0x0
	s_waitcnt lgkmcnt(0)
	s_or_b64 s[0:1], s[14:15], s[16:17]
	s_mov_b32 s11, s1
	s_cmp_lg_u64 s[10:11], 0
	s_cbranch_scc0 .LBB196_8
; %bb.4:                                ;   in Loop: Header=BB196_3 Depth=1
	v_cvt_f32_u32_e32 v1, s16
	v_cvt_f32_u32_e32 v2, s17
	s_sub_u32 s0, 0, s16
	s_subb_u32 s1, 0, s17
	v_mac_f32_e32 v1, 0x4f800000, v2
	v_rcp_f32_e32 v1, v1
	v_mul_f32_e32 v1, 0x5f7ffffc, v1
	v_mul_f32_e32 v2, 0x2f800000, v1
	v_trunc_f32_e32 v2, v2
	v_mac_f32_e32 v1, 0xcf800000, v2
	v_cvt_u32_f32_e32 v2, v2
	v_cvt_u32_f32_e32 v1, v1
	v_readfirstlane_b32 s8, v2
	v_readfirstlane_b32 s9, v1
	s_mul_i32 s11, s0, s8
	s_mul_hi_u32 s20, s0, s9
	s_mul_i32 s19, s1, s9
	s_add_i32 s11, s20, s11
	s_mul_i32 s21, s0, s9
	s_add_i32 s11, s11, s19
	s_mul_hi_u32 s19, s9, s11
	s_mul_i32 s20, s9, s11
	s_mul_hi_u32 s9, s9, s21
	s_add_u32 s9, s9, s20
	s_addc_u32 s19, 0, s19
	s_mul_hi_u32 s22, s8, s21
	s_mul_i32 s21, s8, s21
	s_add_u32 s9, s9, s21
	s_mul_hi_u32 s20, s8, s11
	s_addc_u32 s9, s19, s22
	s_addc_u32 s19, s20, 0
	s_mul_i32 s11, s8, s11
	s_add_u32 s9, s9, s11
	s_addc_u32 s11, 0, s19
	v_add_co_u32_e32 v1, vcc, s9, v1
	s_cmp_lg_u64 vcc, 0
	s_addc_u32 s8, s8, s11
	v_readfirstlane_b32 s11, v1
	s_mul_i32 s9, s0, s8
	s_mul_hi_u32 s19, s0, s11
	s_add_i32 s9, s19, s9
	s_mul_i32 s1, s1, s11
	s_add_i32 s9, s9, s1
	s_mul_i32 s0, s0, s11
	s_mul_hi_u32 s19, s8, s0
	s_mul_i32 s20, s8, s0
	s_mul_i32 s22, s11, s9
	s_mul_hi_u32 s0, s11, s0
	s_mul_hi_u32 s21, s11, s9
	s_add_u32 s0, s0, s22
	s_addc_u32 s11, 0, s21
	s_add_u32 s0, s0, s20
	s_mul_hi_u32 s1, s8, s9
	s_addc_u32 s0, s11, s19
	s_addc_u32 s1, s1, 0
	s_mul_i32 s9, s8, s9
	s_add_u32 s0, s0, s9
	s_addc_u32 s1, 0, s1
	v_add_co_u32_e32 v1, vcc, s0, v1
	s_cmp_lg_u64 vcc, 0
	s_addc_u32 s0, s8, s1
	v_readfirstlane_b32 s9, v1
	s_mul_i32 s8, s14, s0
	s_mul_hi_u32 s11, s14, s9
	s_mul_hi_u32 s1, s14, s0
	s_add_u32 s8, s11, s8
	s_addc_u32 s1, 0, s1
	s_mul_hi_u32 s19, s15, s9
	s_mul_i32 s9, s15, s9
	s_add_u32 s8, s8, s9
	s_mul_hi_u32 s11, s15, s0
	s_addc_u32 s1, s1, s19
	s_addc_u32 s8, s11, 0
	s_mul_i32 s0, s15, s0
	s_add_u32 s11, s1, s0
	s_addc_u32 s8, 0, s8
	s_mul_i32 s0, s16, s8
	s_mul_hi_u32 s1, s16, s11
	s_add_i32 s0, s1, s0
	s_mul_i32 s1, s17, s11
	s_add_i32 s9, s0, s1
	s_mul_i32 s1, s16, s11
	v_mov_b32_e32 v1, s1
	s_sub_i32 s0, s15, s9
	v_sub_co_u32_e32 v1, vcc, s14, v1
	s_cmp_lg_u64 vcc, 0
	s_subb_u32 s19, s0, s17
	v_subrev_co_u32_e64 v2, s[0:1], s16, v1
	s_cmp_lg_u64 s[0:1], 0
	s_subb_u32 s0, s19, 0
	s_cmp_ge_u32 s0, s17
	v_readfirstlane_b32 s19, v2
	s_cselect_b32 s1, -1, 0
	s_cmp_ge_u32 s19, s16
	s_cselect_b32 s19, -1, 0
	s_cmp_eq_u32 s0, s17
	s_cselect_b32 s0, s19, s1
	s_add_u32 s1, s11, 1
	s_addc_u32 s19, s8, 0
	s_add_u32 s20, s11, 2
	s_addc_u32 s21, s8, 0
	s_cmp_lg_u32 s0, 0
	s_cselect_b32 s0, s20, s1
	s_cselect_b32 s1, s21, s19
	s_cmp_lg_u64 vcc, 0
	s_subb_u32 s9, s15, s9
	s_cmp_ge_u32 s9, s17
	v_readfirstlane_b32 s20, v1
	s_cselect_b32 s19, -1, 0
	s_cmp_ge_u32 s20, s16
	s_cselect_b32 s20, -1, 0
	s_cmp_eq_u32 s9, s17
	s_cselect_b32 s9, s20, s19
	s_cmp_lg_u32 s9, 0
	s_cselect_b32 s9, s1, s8
	s_cselect_b32 s8, s0, s11
	s_cbranch_execnz .LBB196_6
.LBB196_5:                              ;   in Loop: Header=BB196_3 Depth=1
	v_cvt_f32_u32_e32 v1, s16
	s_sub_i32 s0, 0, s16
	v_rcp_iflag_f32_e32 v1, v1
	v_mul_f32_e32 v1, 0x4f7ffffe, v1
	v_cvt_u32_f32_e32 v1, v1
	v_readfirstlane_b32 s1, v1
	s_mul_i32 s0, s0, s1
	s_mul_hi_u32 s0, s1, s0
	s_add_i32 s1, s1, s0
	s_mul_hi_u32 s0, s14, s1
	s_mul_i32 s8, s0, s16
	s_sub_i32 s8, s14, s8
	s_add_i32 s1, s0, 1
	s_sub_i32 s9, s8, s16
	s_cmp_ge_u32 s8, s16
	s_cselect_b32 s0, s1, s0
	s_cselect_b32 s8, s9, s8
	s_add_i32 s1, s0, 1
	s_cmp_ge_u32 s8, s16
	s_cselect_b32 s8, s1, s0
	s_mov_b32 s9, s10
.LBB196_6:                              ;   in Loop: Header=BB196_3 Depth=1
	s_mul_i32 s0, s8, s17
	s_mul_hi_u32 s1, s8, s16
	s_add_i32 s11, s1, s0
	s_load_dwordx2 s[0:1], s[12:13], 0xc8
	s_mul_i32 s17, s9, s16
	s_add_i32 s11, s11, s17
	s_mul_i32 s16, s8, s16
	s_sub_u32 s14, s14, s16
	s_subb_u32 s11, s15, s11
	s_waitcnt lgkmcnt(0)
	s_mul_i32 s11, s0, s11
	s_mul_hi_u32 s15, s0, s14
	s_add_i32 s11, s15, s11
	s_mul_i32 s1, s1, s14
	s_add_i32 s11, s11, s1
	s_mul_i32 s0, s0, s14
	s_add_u32 s2, s0, s2
	s_addc_u32 s3, s11, s3
	s_add_i32 s18, s18, -1
	s_add_u32 s12, s12, -8
	s_addc_u32 s13, s13, -1
	s_cmp_gt_u32 s18, 2
	s_cbranch_scc0 .LBB196_9
; %bb.7:                                ;   in Loop: Header=BB196_3 Depth=1
	s_mov_b64 s[14:15], s[8:9]
	s_branch .LBB196_3
.LBB196_8:                              ;   in Loop: Header=BB196_3 Depth=1
                                        ; implicit-def: $sgpr8_sgpr9
	s_branch .LBB196_5
.LBB196_9:
	s_load_dword s0, s[4:5], 0x350
	s_load_dwordx2 s[10:11], s[4:5], 0xd0
	s_mov_b64 s[24:25], 0
	s_waitcnt lgkmcnt(0)
	s_cmp_lt_i32 s0, 2
	s_cbranch_scc1 .LBB196_17
; %bb.10:
	s_mov_b32 s12, 0
	s_add_i32 s18, s0, 1
	s_add_i32 s0, s0, -1
	s_mov_b32 s1, s12
	s_lshl_b64 s[0:1], s[0:1], 3
	s_add_u32 s0, s0, s4
	s_addc_u32 s1, s1, s5
	s_add_u32 s14, s0, 0x1c0
	s_addc_u32 s15, s1, 0
.LBB196_11:                             ; =>This Inner Loop Header: Depth=1
	s_load_dwordx2 s[16:17], s[14:15], 0x0
	s_waitcnt lgkmcnt(0)
	s_or_b64 s[0:1], s[6:7], s[16:17]
	s_mov_b32 s13, s1
	s_cmp_lg_u64 s[12:13], 0
	s_cbranch_scc0 .LBB196_16
; %bb.12:                               ;   in Loop: Header=BB196_11 Depth=1
	v_cvt_f32_u32_e32 v1, s16
	v_cvt_f32_u32_e32 v2, s17
	s_sub_u32 s0, 0, s16
	s_subb_u32 s1, 0, s17
	v_mac_f32_e32 v1, 0x4f800000, v2
	v_rcp_f32_e32 v1, v1
	v_mul_f32_e32 v1, 0x5f7ffffc, v1
	v_mul_f32_e32 v2, 0x2f800000, v1
	v_trunc_f32_e32 v2, v2
	v_mac_f32_e32 v1, 0xcf800000, v2
	v_cvt_u32_f32_e32 v2, v2
	v_cvt_u32_f32_e32 v1, v1
	v_readfirstlane_b32 s13, v2
	v_readfirstlane_b32 s19, v1
	s_mul_i32 s20, s0, s13
	s_mul_hi_u32 s22, s0, s19
	s_mul_i32 s21, s1, s19
	s_add_i32 s20, s22, s20
	s_mul_i32 s23, s0, s19
	s_add_i32 s20, s20, s21
	s_mul_hi_u32 s21, s19, s20
	s_mul_i32 s22, s19, s20
	s_mul_hi_u32 s19, s19, s23
	s_add_u32 s19, s19, s22
	s_addc_u32 s21, 0, s21
	s_mul_hi_u32 s27, s13, s23
	s_mul_i32 s23, s13, s23
	s_add_u32 s19, s19, s23
	s_mul_hi_u32 s22, s13, s20
	s_addc_u32 s19, s21, s27
	s_addc_u32 s21, s22, 0
	s_mul_i32 s20, s13, s20
	s_add_u32 s19, s19, s20
	s_addc_u32 s20, 0, s21
	v_add_co_u32_e32 v1, vcc, s19, v1
	s_cmp_lg_u64 vcc, 0
	s_addc_u32 s13, s13, s20
	v_readfirstlane_b32 s20, v1
	s_mul_i32 s19, s0, s13
	s_mul_hi_u32 s21, s0, s20
	s_add_i32 s19, s21, s19
	s_mul_i32 s1, s1, s20
	s_add_i32 s19, s19, s1
	s_mul_i32 s0, s0, s20
	s_mul_hi_u32 s21, s13, s0
	s_mul_i32 s22, s13, s0
	s_mul_i32 s27, s20, s19
	s_mul_hi_u32 s0, s20, s0
	s_mul_hi_u32 s23, s20, s19
	s_add_u32 s0, s0, s27
	s_addc_u32 s20, 0, s23
	s_add_u32 s0, s0, s22
	s_mul_hi_u32 s1, s13, s19
	s_addc_u32 s0, s20, s21
	s_addc_u32 s1, s1, 0
	s_mul_i32 s19, s13, s19
	s_add_u32 s0, s0, s19
	s_addc_u32 s1, 0, s1
	v_add_co_u32_e32 v1, vcc, s0, v1
	s_cmp_lg_u64 vcc, 0
	s_addc_u32 s0, s13, s1
	v_readfirstlane_b32 s19, v1
	s_mul_i32 s13, s6, s0
	s_mul_hi_u32 s20, s6, s19
	s_mul_hi_u32 s1, s6, s0
	s_add_u32 s13, s20, s13
	s_addc_u32 s1, 0, s1
	s_mul_hi_u32 s21, s7, s19
	s_mul_i32 s19, s7, s19
	s_add_u32 s13, s13, s19
	s_mul_hi_u32 s20, s7, s0
	s_addc_u32 s1, s1, s21
	s_addc_u32 s13, s20, 0
	s_mul_i32 s0, s7, s0
	s_add_u32 s19, s1, s0
	s_addc_u32 s13, 0, s13
	s_mul_i32 s0, s16, s13
	s_mul_hi_u32 s1, s16, s19
	s_add_i32 s0, s1, s0
	s_mul_i32 s1, s17, s19
	s_add_i32 s20, s0, s1
	s_mul_i32 s1, s16, s19
	v_mov_b32_e32 v1, s1
	s_sub_i32 s0, s7, s20
	v_sub_co_u32_e32 v1, vcc, s6, v1
	s_cmp_lg_u64 vcc, 0
	s_subb_u32 s21, s0, s17
	v_subrev_co_u32_e64 v2, s[0:1], s16, v1
	s_cmp_lg_u64 s[0:1], 0
	s_subb_u32 s0, s21, 0
	s_cmp_ge_u32 s0, s17
	v_readfirstlane_b32 s21, v2
	s_cselect_b32 s1, -1, 0
	s_cmp_ge_u32 s21, s16
	s_cselect_b32 s21, -1, 0
	s_cmp_eq_u32 s0, s17
	s_cselect_b32 s0, s21, s1
	s_add_u32 s1, s19, 1
	s_addc_u32 s21, s13, 0
	s_add_u32 s22, s19, 2
	s_addc_u32 s23, s13, 0
	s_cmp_lg_u32 s0, 0
	s_cselect_b32 s0, s22, s1
	s_cselect_b32 s1, s23, s21
	s_cmp_lg_u64 vcc, 0
	s_subb_u32 s20, s7, s20
	s_cmp_ge_u32 s20, s17
	v_readfirstlane_b32 s22, v1
	s_cselect_b32 s21, -1, 0
	s_cmp_ge_u32 s22, s16
	s_cselect_b32 s22, -1, 0
	s_cmp_eq_u32 s20, s17
	s_cselect_b32 s20, s22, s21
	s_cmp_lg_u32 s20, 0
	s_cselect_b32 s29, s1, s13
	s_cselect_b32 s28, s0, s19
	s_cbranch_execnz .LBB196_14
.LBB196_13:                             ;   in Loop: Header=BB196_11 Depth=1
	v_cvt_f32_u32_e32 v1, s16
	s_sub_i32 s0, 0, s16
	s_mov_b32 s29, s12
	v_rcp_iflag_f32_e32 v1, v1
	v_mul_f32_e32 v1, 0x4f7ffffe, v1
	v_cvt_u32_f32_e32 v1, v1
	v_readfirstlane_b32 s1, v1
	s_mul_i32 s0, s0, s1
	s_mul_hi_u32 s0, s1, s0
	s_add_i32 s1, s1, s0
	s_mul_hi_u32 s0, s6, s1
	s_mul_i32 s13, s0, s16
	s_sub_i32 s13, s6, s13
	s_add_i32 s1, s0, 1
	s_sub_i32 s19, s13, s16
	s_cmp_ge_u32 s13, s16
	s_cselect_b32 s0, s1, s0
	s_cselect_b32 s13, s19, s13
	s_add_i32 s1, s0, 1
	s_cmp_ge_u32 s13, s16
	s_cselect_b32 s28, s1, s0
.LBB196_14:                             ;   in Loop: Header=BB196_11 Depth=1
	s_mul_i32 s0, s28, s17
	s_mul_hi_u32 s1, s28, s16
	s_add_i32 s13, s1, s0
	s_load_dwordx2 s[0:1], s[14:15], 0xc8
	s_mul_i32 s17, s29, s16
	s_add_i32 s13, s13, s17
	s_mul_i32 s16, s28, s16
	s_sub_u32 s6, s6, s16
	s_subb_u32 s7, s7, s13
	s_waitcnt lgkmcnt(0)
	s_mul_i32 s7, s0, s7
	s_mul_hi_u32 s13, s0, s6
	s_add_i32 s7, s13, s7
	s_mul_i32 s1, s1, s6
	s_add_i32 s7, s7, s1
	s_mul_i32 s0, s0, s6
	s_add_u32 s24, s0, s24
	s_addc_u32 s25, s7, s25
	s_add_i32 s18, s18, -1
	s_add_u32 s14, s14, -8
	s_addc_u32 s15, s15, -1
	s_cmp_gt_u32 s18, 2
	s_cbranch_scc0 .LBB196_18
; %bb.15:                               ;   in Loop: Header=BB196_11 Depth=1
	s_mov_b64 s[6:7], s[28:29]
	s_branch .LBB196_11
.LBB196_16:                             ;   in Loop: Header=BB196_11 Depth=1
                                        ; implicit-def: $sgpr28_sgpr29
	s_branch .LBB196_13
.LBB196_17:
	s_mov_b64 s[28:29], s[6:7]
.LBB196_18:
	s_mul_i32 s0, s10, s9
	s_load_dword s9, s[4:5], 0x360
	s_load_dwordx2 s[6:7], s[4:5], 0x0
	s_mul_hi_u32 s1, s10, s8
	s_add_i32 s0, s1, s0
	s_mul_i32 s1, s11, s8
	s_add_i32 s1, s0, s1
	s_waitcnt lgkmcnt(0)
	s_bitcmp1_b32 s9, 0
	s_cselect_b64 s[34:35], -1, 0
	s_mul_i32 s0, s10, s8
	s_and_b64 s[10:11], s[34:35], exec
	s_cselect_b32 s9, -1, 0x7fffffff
	s_lshl_b64 s[0:1], s[0:1], 3
	s_add_u32 s6, s6, s0
	s_mov_b32 s8, -1
	s_addc_u32 s7, s7, s1
	s_lshl_b64 s[0:1], s[2:3], 3
	s_add_u32 s33, s6, s0
	v_and_b32_e32 v66, 0x3ff, v0
	s_mov_b32 s10, s8
	s_mov_b32 s11, s9
	;; [unrolled: 1-line block ×14, first 2 shown]
	v_pk_mov_b32 v[2:3], s[8:9], s[8:9] op_sel:[0,1]
	s_addc_u32 s56, s7, s1
	v_cmp_gt_u32_e64 s[0:1], s26, v66
	v_pk_mov_b32 v[4:5], s[10:11], s[10:11] op_sel:[0,1]
	v_pk_mov_b32 v[6:7], s[12:13], s[12:13] op_sel:[0,1]
	;; [unrolled: 1-line block ×8, first 2 shown]
	s_and_saveexec_b64 s[2:3], s[0:1]
	s_cbranch_execz .LBB196_20
; %bb.19:
	v_mad_u64_u32 v[2:3], s[6:7], v66, s46, 0
	v_mov_b32_e32 v4, v3
	v_mad_u64_u32 v[4:5], s[6:7], v66, s47, v[4:5]
	v_mov_b32_e32 v3, v4
	v_lshlrev_b64 v[2:3], 3, v[2:3]
	v_mov_b32_e32 v1, s56
	v_add_co_u32_e32 v2, vcc, s33, v2
	v_addc_co_u32_e32 v3, vcc, v1, v3, vcc
	global_load_dwordx2 v[18:19], v[2:3], off
	v_pk_mov_b32 v[2:3], s[8:9], s[8:9] op_sel:[0,1]
	v_pk_mov_b32 v[4:5], s[10:11], s[10:11] op_sel:[0,1]
	;; [unrolled: 1-line block ×8, first 2 shown]
.LBB196_20:
	s_or_b64 exec, exec, s[2:3]
	v_add_u32_e32 v1, 0x100, v66
	v_cmp_gt_u32_e64 s[2:3], s26, v1
	s_and_saveexec_b64 s[6:7], s[2:3]
	s_cbranch_execz .LBB196_22
; %bb.21:
	v_mad_u64_u32 v[2:3], s[8:9], v1, s46, 0
	v_mov_b32_e32 v4, v3
	v_mad_u64_u32 v[4:5], s[8:9], v1, s47, v[4:5]
	v_mov_b32_e32 v3, v4
	v_lshlrev_b64 v[2:3], 3, v[2:3]
	v_mov_b32_e32 v4, s56
	v_add_co_u32_e32 v2, vcc, s33, v2
	v_addc_co_u32_e32 v3, vcc, v4, v3, vcc
	global_load_dwordx2 v[4:5], v[2:3], off
.LBB196_22:
	s_or_b64 exec, exec, s[6:7]
	v_add_u32_e32 v34, 0x200, v66
	v_cmp_gt_u32_e64 s[44:45], s26, v34
	s_and_saveexec_b64 s[6:7], s[44:45]
	s_cbranch_execz .LBB196_24
; %bb.23:
	v_mad_u64_u32 v[2:3], s[8:9], v34, s46, 0
	v_mov_b32_e32 v6, v3
	v_mad_u64_u32 v[6:7], s[8:9], v34, s47, v[6:7]
	v_mov_b32_e32 v3, v6
	v_lshlrev_b64 v[2:3], 3, v[2:3]
	v_mov_b32_e32 v6, s56
	v_add_co_u32_e32 v2, vcc, s33, v2
	v_addc_co_u32_e32 v3, vcc, v6, v3, vcc
	global_load_dwordx2 v[6:7], v[2:3], off
.LBB196_24:
	;; [unrolled: 16-line block ×3, first 2 shown]
	s_or_b64 exec, exec, s[8:9]
	v_or_b32_e32 v36, 0x400, v66
	v_cmp_gt_u32_e64 s[8:9], s26, v36
	s_and_saveexec_b64 s[10:11], s[8:9]
	s_cbranch_execz .LBB196_28
; %bb.27:
	v_mad_u64_u32 v[2:3], s[12:13], v36, s46, 0
	v_mov_b32_e32 v10, v3
	v_mad_u64_u32 v[10:11], s[12:13], v36, s47, v[10:11]
	v_mov_b32_e32 v3, v10
	v_lshlrev_b64 v[2:3], 3, v[2:3]
	v_mov_b32_e32 v10, s56
	v_add_co_u32_e32 v2, vcc, s33, v2
	v_addc_co_u32_e32 v3, vcc, v10, v3, vcc
	global_load_dwordx2 v[10:11], v[2:3], off
.LBB196_28:
	s_or_b64 exec, exec, s[10:11]
	v_add_u32_e32 v37, 0x500, v66
	v_cmp_gt_u32_e64 s[10:11], s26, v37
	s_and_saveexec_b64 s[12:13], s[10:11]
	s_cbranch_execz .LBB196_30
; %bb.29:
	v_mad_u64_u32 v[2:3], s[14:15], v37, s46, 0
	v_mov_b32_e32 v12, v3
	v_mad_u64_u32 v[12:13], s[14:15], v37, s47, v[12:13]
	v_mov_b32_e32 v3, v12
	v_lshlrev_b64 v[2:3], 3, v[2:3]
	v_mov_b32_e32 v12, s56
	v_add_co_u32_e32 v2, vcc, s33, v2
	v_addc_co_u32_e32 v3, vcc, v12, v3, vcc
	global_load_dwordx2 v[12:13], v[2:3], off
.LBB196_30:
	s_or_b64 exec, exec, s[12:13]
	s_load_dwordx2 s[18:19], s[4:5], 0x288
	s_load_dwordx2 s[16:17], s[4:5], 0x1b8
	v_add_u32_e32 v38, 0x600, v66
	v_cmp_gt_u32_e64 s[12:13], s26, v38
	s_and_saveexec_b64 s[14:15], s[12:13]
	s_cbranch_execz .LBB196_32
; %bb.31:
	v_mad_u64_u32 v[2:3], s[20:21], v38, s46, 0
	v_mov_b32_e32 v14, v3
	v_mad_u64_u32 v[14:15], s[20:21], v38, s47, v[14:15]
	v_mov_b32_e32 v3, v14
	v_lshlrev_b64 v[2:3], 3, v[2:3]
	v_mov_b32_e32 v14, s56
	v_add_co_u32_e32 v2, vcc, s33, v2
	v_addc_co_u32_e32 v3, vcc, v14, v3, vcc
	global_load_dwordx2 v[14:15], v[2:3], off
.LBB196_32:
	s_or_b64 exec, exec, s[14:15]
	v_add_u32_e32 v39, 0x700, v66
	v_cmp_gt_u32_e64 s[14:15], s26, v39
	s_and_saveexec_b64 s[20:21], s[14:15]
	s_cbranch_execz .LBB196_34
; %bb.33:
	v_mad_u64_u32 v[2:3], s[22:23], v39, s46, 0
	v_mov_b32_e32 v16, v3
	v_mad_u64_u32 v[16:17], s[22:23], v39, s47, v[16:17]
	v_mov_b32_e32 v3, v16
	v_lshlrev_b64 v[2:3], 3, v[2:3]
	v_mov_b32_e32 v16, s56
	v_add_co_u32_e32 v2, vcc, s33, v2
	v_addc_co_u32_e32 v3, vcc, v16, v3, vcc
	global_load_dwordx2 v[16:17], v[2:3], off
.LBB196_34:
	s_or_b64 exec, exec, s[20:21]
	v_lshrrev_b32_e32 v2, 5, v66
	v_add_lshl_u32 v67, v2, v66, 3
	v_lshrrev_b32_e32 v2, 5, v1
	v_add_lshl_u32 v100, v2, v66, 3
	;; [unrolled: 2-line block ×6, first 2 shown]
	v_lshrrev_b32_e32 v2, 5, v38
	s_waitcnt lgkmcnt(0)
	s_mul_i32 s20, s18, s29
	s_mul_hi_u32 s21, s18, s28
	v_add_lshl_u32 v105, v2, v66, 3
	v_lshrrev_b32_e32 v2, 5, v39
	s_add_i32 s20, s21, s20
	s_mul_i32 s19, s19, s28
	v_add_lshl_u32 v106, v2, v66, 3
	v_lshlrev_b32_e32 v108, 3, v66
	v_lshrrev_b32_e32 v2, 2, v66
	s_add_i32 s19, s20, s19
	s_mul_i32 s18, s18, s28
	v_add_lshl_u32 v107, v2, v108, 3
	s_lshl_b64 s[18:19], s[18:19], 3
	s_waitcnt vmcnt(0)
	ds_write_b64 v67, v[18:19]
	ds_write_b64 v100, v[4:5] offset:2048
	ds_write_b64 v101, v[6:7] offset:4096
	ds_write_b64 v102, v[8:9] offset:6144
	ds_write_b64 v103, v[10:11] offset:8192
	ds_write_b64 v104, v[12:13] offset:10240
	ds_write_b64 v105, v[14:15] offset:12288
	ds_write_b64 v106, v[16:17] offset:14336
	s_waitcnt lgkmcnt(0)
	s_barrier
	ds_read2_b64 v[30:33], v107 offset1:1
	ds_read2_b64 v[26:29], v107 offset0:2 offset1:3
	ds_read2_b64 v[22:25], v107 offset0:4 offset1:5
	;; [unrolled: 1-line block ×3, first 2 shown]
	s_add_u32 s18, s16, s18
	s_addc_u32 s19, s17, s19
	s_lshl_b64 s[16:17], s[24:25], 3
	s_load_dwordx2 s[48:49], s[4:5], 0x358
	s_add_u32 s57, s18, s16
	s_mov_b32 s16, 0
	s_addc_u32 s58, s19, s17
	s_mov_b32 s17, s16
	s_mov_b32 s18, s16
	;; [unrolled: 1-line block ×15, first 2 shown]
	v_pk_mov_b32 v[2:3], s[16:17], s[16:17] op_sel:[0,1]
	v_pk_mov_b32 v[4:5], s[18:19], s[18:19] op_sel:[0,1]
	;; [unrolled: 1-line block ×8, first 2 shown]
	v_pk_mov_b32 v[2:3], 0, 0
	s_waitcnt lgkmcnt(0)
	s_barrier
	s_and_saveexec_b64 s[4:5], s[0:1]
	s_cbranch_execnz .LBB196_71
; %bb.35:
	s_or_b64 exec, exec, s[4:5]
	s_and_saveexec_b64 s[4:5], s[2:3]
	s_cbranch_execnz .LBB196_72
.LBB196_36:
	s_or_b64 exec, exec, s[4:5]
	s_and_saveexec_b64 s[4:5], s[44:45]
	s_cbranch_execnz .LBB196_73
.LBB196_37:
	s_or_b64 exec, exec, s[4:5]
	s_and_saveexec_b64 s[4:5], s[6:7]
	s_cbranch_execnz .LBB196_74
.LBB196_38:
	s_or_b64 exec, exec, s[4:5]
	s_and_saveexec_b64 s[4:5], s[8:9]
	s_cbranch_execnz .LBB196_75
.LBB196_39:
	s_or_b64 exec, exec, s[4:5]
	s_and_saveexec_b64 s[4:5], s[10:11]
	s_cbranch_execnz .LBB196_76
.LBB196_40:
	s_or_b64 exec, exec, s[4:5]
	s_and_saveexec_b64 s[4:5], s[12:13]
	s_cbranch_execnz .LBB196_77
.LBB196_41:
	s_or_b64 exec, exec, s[4:5]
	s_xor_b64 s[4:5], s[34:35], -1
	s_and_saveexec_b64 s[16:17], s[14:15]
	s_cbranch_execz .LBB196_43
.LBB196_42:
	v_mad_u64_u32 v[16:17], s[18:19], v39, s48, 0
	v_mov_b32_e32 v34, v17
	v_mad_u64_u32 v[34:35], s[18:19], v39, s49, v[34:35]
	v_mov_b32_e32 v17, v34
	v_lshlrev_b64 v[16:17], 3, v[16:17]
	v_mov_b32_e32 v1, s58
	v_add_co_u32_e32 v16, vcc, s57, v16
	v_addc_co_u32_e32 v17, vcc, v1, v17, vcc
	global_load_dwordx2 v[16:17], v[16:17], off
.LBB196_43:
	s_or_b64 exec, exec, s[16:17]
	s_waitcnt vmcnt(0)
	ds_write_b64 v67, v[2:3]
	ds_write_b64 v100, v[4:5] offset:2048
	ds_write_b64 v101, v[6:7] offset:4096
	;; [unrolled: 1-line block ×7, first 2 shown]
	s_waitcnt lgkmcnt(0)
	s_barrier
	ds_read2_b64 v[46:49], v107 offset1:1
	ds_read2_b64 v[42:45], v107 offset0:2 offset1:3
	ds_read2_b64 v[38:41], v107 offset0:4 offset1:5
	;; [unrolled: 1-line block ×3, first 2 shown]
	s_and_b64 vcc, exec, s[4:5]
	v_bfe_u32 v112, v0, 10, 10
	v_bfe_u32 v113, v0, 20, 10
	v_ashrrev_i32_e32 v122, 31, v31
	v_ashrrev_i32_e32 v121, 31, v33
	;; [unrolled: 1-line block ×8, first 2 shown]
	v_mbcnt_lo_u32_b32 v114, -1, 0
	v_lshlrev_b32_e32 v109, 2, v66
	v_lshlrev_b32_e32 v110, 4, v66
	v_cmp_gt_u32_e64 s[16:17], 4, v66
	v_cmp_lt_u32_e64 s[18:19], 63, v66
	v_cmp_eq_u32_e64 s[20:21], 0, v66
	v_lshrrev_b32_e32 v111, 4, v66
	s_waitcnt lgkmcnt(0)
	s_barrier
	s_cbranch_vccz .LBB196_78
; %bb.44:
	v_bfrev_b32_e32 v123, 1
	v_cmp_lt_i64_e32 vcc, -1, v[30:31]
	v_cndmask_b32_e32 v0, -1, v123, vcc
	v_cmp_lt_i64_e32 vcc, -1, v[32:33]
	v_cndmask_b32_e32 v2, -1, v123, vcc
	;; [unrolled: 2-line block ×7, first 2 shown]
	v_cmp_lt_i64_e32 vcc, -1, v[20:21]
	v_mbcnt_hi_u32_b32 v68, -1, v114
	v_and_b32_e32 v69, 0x3c0, v66
	v_xor_b32_e32 v1, v0, v31
	v_xor_b32_e32 v0, v122, v30
	;; [unrolled: 1-line block ×4, first 2 shown]
	v_cndmask_b32_e32 v14, -1, v123, vcc
	v_add_lshl_u32 v16, v68, v69, 6
	v_and_b32_e32 v70, 0x1e00, v108
	v_xor_b32_e32 v5, v4, v27
	v_xor_b32_e32 v4, v120, v26
	;; [unrolled: 1-line block ×12, first 2 shown]
	ds_write2_b64 v16, v[0:1], v[2:3] offset1:1
	ds_write2_b64 v16, v[4:5], v[6:7] offset0:2 offset1:3
	ds_write2_b64 v16, v[8:9], v[10:11] offset0:4 offset1:5
	;; [unrolled: 1-line block ×3, first 2 shown]
	v_or_b32_e32 v0, v68, v70
	v_lshlrev_b32_e32 v17, 3, v0
	; wave barrier
	ds_read2st64_b64 v[0:3], v17 offset1:1
	ds_read2st64_b64 v[4:7], v17 offset0:2 offset1:3
	ds_read2st64_b64 v[8:11], v17 offset0:4 offset1:5
	;; [unrolled: 1-line block ×3, first 2 shown]
	; wave barrier
	ds_write2_b64 v16, v[46:47], v[48:49] offset1:1
	ds_write2_b64 v16, v[42:43], v[44:45] offset0:2 offset1:3
	ds_write2_b64 v16, v[38:39], v[40:41] offset0:4 offset1:5
	;; [unrolled: 1-line block ×3, first 2 shown]
	; wave barrier
	ds_read2st64_b64 v[50:53], v17 offset1:1
	ds_read2st64_b64 v[54:57], v17 offset0:2 offset1:3
	ds_read2st64_b64 v[58:61], v17 offset0:4 offset1:5
	;; [unrolled: 1-line block ×3, first 2 shown]
	s_waitcnt lgkmcnt(0)
	s_barrier
	s_load_dword s22, s[50:51], 0xc
	s_getpc_b64 s[4:5]
	s_add_u32 s4, s4, _ZN7rocprim17ROCPRIM_400000_NS16block_radix_sortIdLj256ELj8ElLj1ELj1ELj0ELNS0_26block_radix_rank_algorithmE1ELNS0_18block_padding_hintE2ELNS0_4arch9wavefront6targetE1EE19radix_bits_per_passE@rel32@lo+4
	s_addc_u32 s5, s5, _ZN7rocprim17ROCPRIM_400000_NS16block_radix_sortIdLj256ELj8ElLj1ELj1ELj0ELNS0_26block_radix_rank_algorithmE1ELNS0_18block_padding_hintE2ELNS0_4arch9wavefront6targetE1EE19radix_bits_per_passE@rel32@hi+12
	s_load_dword s59, s[4:5], 0x0
	s_mov_b32 s52, -1
	v_and_b32_e32 v127, 60, v111
	s_waitcnt lgkmcnt(0)
	s_lshr_b32 s4, s22, 16
	s_and_b32 s5, s22, 0xffff
	v_mad_u32_u24 v16, v113, s4, v112
	v_mad_u64_u32 v[16:17], s[4:5], v16, s5, v[66:67]
	v_lshrrev_b32_e32 v125, 6, v16
	v_and_b32_e32 v16, 15, v68
	v_cmp_eq_u32_e64 s[22:23], 0, v16
	v_cmp_lt_u32_e64 s[24:25], 1, v16
	v_cmp_lt_u32_e64 s[26:27], 3, v16
	;; [unrolled: 1-line block ×3, first 2 shown]
	v_and_b32_e32 v16, 16, v68
	v_cmp_eq_u32_e64 s[30:31], 0, v16
	v_min_u32_e32 v16, 0xc0, v69
	v_or_b32_e32 v16, 63, v16
	v_cmp_eq_u32_e64 s[36:37], v16, v66
	v_add_u32_e32 v16, -1, v68
	v_and_b32_e32 v17, 64, v68
	v_cmp_lt_i32_e32 vcc, v16, v17
	v_cndmask_b32_e32 v16, v16, v68, vcc
	v_lshlrev_b32_e32 v126, 2, v16
	v_and_b32_e32 v16, 3, v68
	v_cmp_eq_u32_e64 s[40:41], 0, v16
	v_cmp_lt_u32_e64 s[42:43], 1, v16
	v_and_or_b32 v16, v68, 63, v70
	s_brev_b32 s53, -2
	v_add_u32_e32 v124, 16, v110
	v_cmp_lt_u32_e64 s[34:35], 31, v68
	s_mov_b32 s60, 64
	v_cmp_eq_u32_e64 s[38:39], 0, v68
	v_add_u32_e32 v128, -4, v127
	v_lshlrev_b32_e32 v129, 3, v16
	s_mov_b64 s[54:55], 0
	v_mov_b32_e32 v82, 0
	s_branch .LBB196_46
.LBB196_45:                             ;   in Loop: Header=BB196_46 Depth=1
	v_lshlrev_b32_e32 v50, 3, v136
	v_lshlrev_b32_e32 v51, 3, v135
	;; [unrolled: 1-line block ×8, first 2 shown]
	s_barrier
	ds_write_b64 v50, v[98:99]
	ds_write_b64 v51, v[96:97]
	;; [unrolled: 1-line block ×8, first 2 shown]
	s_waitcnt lgkmcnt(0)
	s_barrier
	ds_read2st64_b64 v[0:3], v129 offset1:1
	ds_read2st64_b64 v[4:7], v129 offset0:2 offset1:3
	ds_read2st64_b64 v[8:11], v129 offset0:4 offset1:5
	;; [unrolled: 1-line block ×3, first 2 shown]
	s_waitcnt lgkmcnt(0)
	s_barrier
	ds_write_b64 v50, v[80:81]
	ds_write_b64 v51, v[78:79]
	;; [unrolled: 1-line block ×8, first 2 shown]
	s_waitcnt lgkmcnt(0)
	s_barrier
	ds_read2st64_b64 v[50:53], v129 offset1:1
	ds_read2st64_b64 v[54:57], v129 offset0:2 offset1:3
	ds_read2st64_b64 v[58:61], v129 offset0:4 offset1:5
	;; [unrolled: 1-line block ×3, first 2 shown]
	s_add_u32 s54, s54, 8
	s_addc_u32 s55, s55, 0
	s_add_i32 s60, s60, -8
	s_waitcnt lgkmcnt(0)
	s_barrier
	s_cbranch_execz .LBB196_70
.LBB196_46:                             ; =>This Inner Loop Header: Depth=1
	v_pk_mov_b32 v[98:99], v[0:1], v[0:1] op_sel:[0,1]
	s_min_u32 s4, s59, s60
	v_cmp_ne_u64_e32 vcc, s[52:53], v[98:99]
	s_lshl_b32 s4, -1, s4
	v_cndmask_b32_e32 v1, v123, v99, vcc
	v_cndmask_b32_e32 v0, 0, v98, vcc
	s_not_b32 s61, s4
	v_lshrrev_b64 v[0:1], s54, v[0:1]
	v_and_b32_e32 v0, s61, v0
	v_lshl_add_u32 v1, v0, 2, v125
	v_pk_mov_b32 v[94:95], v[4:5], v[4:5] op_sel:[0,1]
	v_lshl_add_u32 v4, v1, 2, 16
	v_and_b32_e32 v1, 1, v0
	v_pk_mov_b32 v[96:97], v[2:3], v[2:3] op_sel:[0,1]
	v_add_co_u32_e32 v2, vcc, -1, v1
	v_addc_co_u32_e64 v3, s[4:5], 0, -1, vcc
	v_cmp_ne_u32_e32 vcc, 0, v1
	v_lshlrev_b32_e32 v83, 30, v0
	v_xor_b32_e32 v1, vcc_hi, v3
	v_not_b32_e32 v3, v83
	v_xor_b32_e32 v2, vcc_lo, v2
	v_cmp_gt_i64_e32 vcc, 0, v[82:83]
	v_ashrrev_i32_e32 v3, 31, v3
	v_and_b32_e32 v2, exec_lo, v2
	v_xor_b32_e32 v5, vcc_hi, v3
	v_xor_b32_e32 v3, vcc_lo, v3
	v_lshlrev_b32_e32 v83, 29, v0
	v_and_b32_e32 v2, v2, v3
	v_not_b32_e32 v3, v83
	v_and_b32_e32 v1, exec_hi, v1
	v_cmp_gt_i64_e32 vcc, 0, v[82:83]
	v_ashrrev_i32_e32 v3, 31, v3
	v_and_b32_e32 v1, v1, v5
	v_xor_b32_e32 v5, vcc_hi, v3
	v_xor_b32_e32 v3, vcc_lo, v3
	v_lshlrev_b32_e32 v83, 28, v0
	v_and_b32_e32 v2, v2, v3
	v_not_b32_e32 v3, v83
	v_cmp_gt_i64_e32 vcc, 0, v[82:83]
	v_ashrrev_i32_e32 v3, 31, v3
	v_and_b32_e32 v1, v1, v5
	v_xor_b32_e32 v5, vcc_hi, v3
	v_xor_b32_e32 v3, vcc_lo, v3
	v_lshlrev_b32_e32 v83, 27, v0
	v_and_b32_e32 v2, v2, v3
	v_not_b32_e32 v3, v83
	;; [unrolled: 8-line block ×3, first 2 shown]
	v_cmp_gt_i64_e32 vcc, 0, v[82:83]
	v_ashrrev_i32_e32 v3, 31, v3
	v_and_b32_e32 v1, v1, v5
	v_xor_b32_e32 v5, vcc_hi, v3
	v_xor_b32_e32 v3, vcc_lo, v3
	v_lshlrev_b32_e32 v83, 25, v0
	v_and_b32_e32 v2, v2, v3
	v_cmp_gt_i64_e32 vcc, 0, v[82:83]
	v_not_b32_e32 v3, v83
	v_lshlrev_b32_e32 v83, 24, v0
	v_ashrrev_i32_e32 v3, 31, v3
	v_not_b32_e32 v0, v83
	v_and_b32_e32 v1, v1, v5
	v_xor_b32_e32 v5, vcc_hi, v3
	v_xor_b32_e32 v3, vcc_lo, v3
	v_cmp_gt_i64_e32 vcc, 0, v[82:83]
	v_ashrrev_i32_e32 v0, 31, v0
	v_and_b32_e32 v2, v2, v3
	v_xor_b32_e32 v3, vcc_hi, v0
	v_xor_b32_e32 v0, vcc_lo, v0
	v_and_b32_e32 v1, v1, v5
	v_and_b32_e32 v0, v2, v0
	;; [unrolled: 1-line block ×3, first 2 shown]
	v_mbcnt_lo_u32_b32 v2, v0, 0
	v_mbcnt_hi_u32_b32 v5, v1, v2
	v_cmp_eq_u32_e32 vcc, 0, v5
	v_cmp_ne_u64_e64 s[4:5], 0, v[0:1]
	v_pk_mov_b32 v[84:85], v[14:15], v[14:15] op_sel:[0,1]
	v_pk_mov_b32 v[86:87], v[12:13], v[12:13] op_sel:[0,1]
	;; [unrolled: 1-line block ×13, first 2 shown]
	s_and_b64 s[62:63], s[4:5], vcc
	ds_write2_b32 v110, v82, v82 offset0:4 offset1:5
	ds_write2_b32 v124, v82, v82 offset0:2 offset1:3
	s_waitcnt lgkmcnt(0)
	s_barrier
	s_waitcnt lgkmcnt(0)
	; wave barrier
	s_and_saveexec_b64 s[4:5], s[62:63]
	s_cbranch_execz .LBB196_48
; %bb.47:                               ;   in Loop: Header=BB196_46 Depth=1
	v_bcnt_u32_b32 v0, v0, 0
	v_bcnt_u32_b32 v0, v1, v0
	ds_write_b32 v4, v0
.LBB196_48:                             ;   in Loop: Header=BB196_46 Depth=1
	s_or_b64 exec, exec, s[4:5]
	v_cmp_ne_u64_e32 vcc, s[52:53], v[96:97]
	v_cndmask_b32_e32 v1, v123, v97, vcc
	v_cndmask_b32_e32 v0, 0, v96, vcc
	v_lshrrev_b64 v[0:1], s54, v[0:1]
	v_and_b32_e32 v0, s61, v0
	v_lshlrev_b32_e32 v1, 2, v0
	v_add_lshl_u32 v1, v1, v125, 2
	; wave barrier
	v_add_u32_e32 v7, 16, v1
	ds_read_b32 v6, v1 offset:16
	v_and_b32_e32 v1, 1, v0
	v_add_co_u32_e32 v2, vcc, -1, v1
	v_addc_co_u32_e64 v3, s[4:5], 0, -1, vcc
	v_cmp_ne_u32_e32 vcc, 0, v1
	v_lshlrev_b32_e32 v83, 30, v0
	v_xor_b32_e32 v1, vcc_hi, v3
	v_not_b32_e32 v3, v83
	v_xor_b32_e32 v2, vcc_lo, v2
	v_cmp_gt_i64_e32 vcc, 0, v[82:83]
	v_ashrrev_i32_e32 v3, 31, v3
	v_and_b32_e32 v2, exec_lo, v2
	v_xor_b32_e32 v8, vcc_hi, v3
	v_xor_b32_e32 v3, vcc_lo, v3
	v_lshlrev_b32_e32 v83, 29, v0
	v_and_b32_e32 v2, v2, v3
	v_not_b32_e32 v3, v83
	v_and_b32_e32 v1, exec_hi, v1
	v_cmp_gt_i64_e32 vcc, 0, v[82:83]
	v_ashrrev_i32_e32 v3, 31, v3
	v_and_b32_e32 v1, v1, v8
	v_xor_b32_e32 v8, vcc_hi, v3
	v_xor_b32_e32 v3, vcc_lo, v3
	v_lshlrev_b32_e32 v83, 28, v0
	v_and_b32_e32 v2, v2, v3
	v_not_b32_e32 v3, v83
	v_cmp_gt_i64_e32 vcc, 0, v[82:83]
	v_ashrrev_i32_e32 v3, 31, v3
	v_and_b32_e32 v1, v1, v8
	v_xor_b32_e32 v8, vcc_hi, v3
	v_xor_b32_e32 v3, vcc_lo, v3
	v_lshlrev_b32_e32 v83, 27, v0
	v_and_b32_e32 v2, v2, v3
	v_not_b32_e32 v3, v83
	;; [unrolled: 8-line block ×3, first 2 shown]
	v_cmp_gt_i64_e32 vcc, 0, v[82:83]
	v_ashrrev_i32_e32 v3, 31, v3
	v_and_b32_e32 v1, v1, v8
	v_xor_b32_e32 v8, vcc_hi, v3
	v_xor_b32_e32 v3, vcc_lo, v3
	v_lshlrev_b32_e32 v83, 25, v0
	v_and_b32_e32 v2, v2, v3
	v_cmp_gt_i64_e32 vcc, 0, v[82:83]
	v_not_b32_e32 v3, v83
	v_lshlrev_b32_e32 v83, 24, v0
	v_ashrrev_i32_e32 v3, 31, v3
	v_not_b32_e32 v0, v83
	v_and_b32_e32 v1, v1, v8
	v_xor_b32_e32 v8, vcc_hi, v3
	v_xor_b32_e32 v3, vcc_lo, v3
	v_cmp_gt_i64_e32 vcc, 0, v[82:83]
	v_ashrrev_i32_e32 v0, 31, v0
	v_and_b32_e32 v2, v2, v3
	v_xor_b32_e32 v3, vcc_hi, v0
	v_xor_b32_e32 v0, vcc_lo, v0
	v_and_b32_e32 v1, v1, v8
	v_and_b32_e32 v0, v2, v0
	;; [unrolled: 1-line block ×3, first 2 shown]
	v_mbcnt_lo_u32_b32 v2, v0, 0
	v_mbcnt_hi_u32_b32 v8, v1, v2
	v_cmp_eq_u32_e32 vcc, 0, v8
	v_cmp_ne_u64_e64 s[4:5], 0, v[0:1]
	s_and_b64 s[62:63], s[4:5], vcc
	; wave barrier
	s_and_saveexec_b64 s[4:5], s[62:63]
	s_cbranch_execz .LBB196_50
; %bb.49:                               ;   in Loop: Header=BB196_46 Depth=1
	v_bcnt_u32_b32 v0, v0, 0
	v_bcnt_u32_b32 v0, v1, v0
	s_waitcnt lgkmcnt(0)
	v_add_u32_e32 v0, v6, v0
	ds_write_b32 v7, v0
.LBB196_50:                             ;   in Loop: Header=BB196_46 Depth=1
	s_or_b64 exec, exec, s[4:5]
	v_cmp_ne_u64_e32 vcc, s[52:53], v[94:95]
	v_cndmask_b32_e32 v1, v123, v95, vcc
	v_cndmask_b32_e32 v0, 0, v94, vcc
	v_lshrrev_b64 v[0:1], s54, v[0:1]
	v_and_b32_e32 v0, s61, v0
	v_lshlrev_b32_e32 v1, 2, v0
	v_add_lshl_u32 v1, v1, v125, 2
	; wave barrier
	v_add_u32_e32 v10, 16, v1
	ds_read_b32 v9, v1 offset:16
	v_and_b32_e32 v1, 1, v0
	v_add_co_u32_e32 v2, vcc, -1, v1
	v_addc_co_u32_e64 v3, s[4:5], 0, -1, vcc
	v_cmp_ne_u32_e32 vcc, 0, v1
	v_lshlrev_b32_e32 v83, 30, v0
	v_xor_b32_e32 v1, vcc_hi, v3
	v_not_b32_e32 v3, v83
	v_xor_b32_e32 v2, vcc_lo, v2
	v_cmp_gt_i64_e32 vcc, 0, v[82:83]
	v_ashrrev_i32_e32 v3, 31, v3
	v_and_b32_e32 v2, exec_lo, v2
	v_xor_b32_e32 v11, vcc_hi, v3
	v_xor_b32_e32 v3, vcc_lo, v3
	v_lshlrev_b32_e32 v83, 29, v0
	v_and_b32_e32 v2, v2, v3
	v_not_b32_e32 v3, v83
	v_and_b32_e32 v1, exec_hi, v1
	v_cmp_gt_i64_e32 vcc, 0, v[82:83]
	v_ashrrev_i32_e32 v3, 31, v3
	v_and_b32_e32 v1, v1, v11
	v_xor_b32_e32 v11, vcc_hi, v3
	v_xor_b32_e32 v3, vcc_lo, v3
	v_lshlrev_b32_e32 v83, 28, v0
	v_and_b32_e32 v2, v2, v3
	v_not_b32_e32 v3, v83
	v_cmp_gt_i64_e32 vcc, 0, v[82:83]
	v_ashrrev_i32_e32 v3, 31, v3
	v_and_b32_e32 v1, v1, v11
	v_xor_b32_e32 v11, vcc_hi, v3
	v_xor_b32_e32 v3, vcc_lo, v3
	v_lshlrev_b32_e32 v83, 27, v0
	v_and_b32_e32 v2, v2, v3
	v_not_b32_e32 v3, v83
	;; [unrolled: 8-line block ×3, first 2 shown]
	v_cmp_gt_i64_e32 vcc, 0, v[82:83]
	v_ashrrev_i32_e32 v3, 31, v3
	v_and_b32_e32 v1, v1, v11
	v_xor_b32_e32 v11, vcc_hi, v3
	v_xor_b32_e32 v3, vcc_lo, v3
	v_lshlrev_b32_e32 v83, 25, v0
	v_and_b32_e32 v2, v2, v3
	v_cmp_gt_i64_e32 vcc, 0, v[82:83]
	v_not_b32_e32 v3, v83
	v_lshlrev_b32_e32 v83, 24, v0
	v_ashrrev_i32_e32 v3, 31, v3
	v_not_b32_e32 v0, v83
	v_and_b32_e32 v1, v1, v11
	v_xor_b32_e32 v11, vcc_hi, v3
	v_xor_b32_e32 v3, vcc_lo, v3
	v_cmp_gt_i64_e32 vcc, 0, v[82:83]
	v_ashrrev_i32_e32 v0, 31, v0
	v_and_b32_e32 v2, v2, v3
	v_xor_b32_e32 v3, vcc_hi, v0
	v_xor_b32_e32 v0, vcc_lo, v0
	v_and_b32_e32 v1, v1, v11
	v_and_b32_e32 v0, v2, v0
	;; [unrolled: 1-line block ×3, first 2 shown]
	v_mbcnt_lo_u32_b32 v2, v0, 0
	v_mbcnt_hi_u32_b32 v11, v1, v2
	v_cmp_eq_u32_e32 vcc, 0, v11
	v_cmp_ne_u64_e64 s[4:5], 0, v[0:1]
	s_and_b64 s[62:63], s[4:5], vcc
	; wave barrier
	s_and_saveexec_b64 s[4:5], s[62:63]
	s_cbranch_execz .LBB196_52
; %bb.51:                               ;   in Loop: Header=BB196_46 Depth=1
	v_bcnt_u32_b32 v0, v0, 0
	v_bcnt_u32_b32 v0, v1, v0
	s_waitcnt lgkmcnt(0)
	v_add_u32_e32 v0, v9, v0
	ds_write_b32 v10, v0
.LBB196_52:                             ;   in Loop: Header=BB196_46 Depth=1
	s_or_b64 exec, exec, s[4:5]
	v_cmp_ne_u64_e32 vcc, s[52:53], v[92:93]
	v_cndmask_b32_e32 v1, v123, v93, vcc
	v_cndmask_b32_e32 v0, 0, v92, vcc
	v_lshrrev_b64 v[0:1], s54, v[0:1]
	v_and_b32_e32 v0, s61, v0
	v_lshlrev_b32_e32 v1, 2, v0
	v_add_lshl_u32 v1, v1, v125, 2
	; wave barrier
	v_add_u32_e32 v13, 16, v1
	ds_read_b32 v12, v1 offset:16
	v_and_b32_e32 v1, 1, v0
	v_add_co_u32_e32 v2, vcc, -1, v1
	v_addc_co_u32_e64 v3, s[4:5], 0, -1, vcc
	v_cmp_ne_u32_e32 vcc, 0, v1
	v_lshlrev_b32_e32 v83, 30, v0
	v_xor_b32_e32 v1, vcc_hi, v3
	v_not_b32_e32 v3, v83
	v_xor_b32_e32 v2, vcc_lo, v2
	v_cmp_gt_i64_e32 vcc, 0, v[82:83]
	v_ashrrev_i32_e32 v3, 31, v3
	v_and_b32_e32 v2, exec_lo, v2
	v_xor_b32_e32 v14, vcc_hi, v3
	v_xor_b32_e32 v3, vcc_lo, v3
	v_lshlrev_b32_e32 v83, 29, v0
	v_and_b32_e32 v2, v2, v3
	v_not_b32_e32 v3, v83
	v_and_b32_e32 v1, exec_hi, v1
	v_cmp_gt_i64_e32 vcc, 0, v[82:83]
	v_ashrrev_i32_e32 v3, 31, v3
	v_and_b32_e32 v1, v1, v14
	v_xor_b32_e32 v14, vcc_hi, v3
	v_xor_b32_e32 v3, vcc_lo, v3
	v_lshlrev_b32_e32 v83, 28, v0
	v_and_b32_e32 v2, v2, v3
	v_not_b32_e32 v3, v83
	v_cmp_gt_i64_e32 vcc, 0, v[82:83]
	v_ashrrev_i32_e32 v3, 31, v3
	v_and_b32_e32 v1, v1, v14
	v_xor_b32_e32 v14, vcc_hi, v3
	v_xor_b32_e32 v3, vcc_lo, v3
	v_lshlrev_b32_e32 v83, 27, v0
	v_and_b32_e32 v2, v2, v3
	v_not_b32_e32 v3, v83
	;; [unrolled: 8-line block ×3, first 2 shown]
	v_cmp_gt_i64_e32 vcc, 0, v[82:83]
	v_ashrrev_i32_e32 v3, 31, v3
	v_and_b32_e32 v1, v1, v14
	v_xor_b32_e32 v14, vcc_hi, v3
	v_xor_b32_e32 v3, vcc_lo, v3
	v_lshlrev_b32_e32 v83, 25, v0
	v_and_b32_e32 v2, v2, v3
	v_cmp_gt_i64_e32 vcc, 0, v[82:83]
	v_not_b32_e32 v3, v83
	v_lshlrev_b32_e32 v83, 24, v0
	v_ashrrev_i32_e32 v3, 31, v3
	v_not_b32_e32 v0, v83
	v_and_b32_e32 v1, v1, v14
	v_xor_b32_e32 v14, vcc_hi, v3
	v_xor_b32_e32 v3, vcc_lo, v3
	v_cmp_gt_i64_e32 vcc, 0, v[82:83]
	v_ashrrev_i32_e32 v0, 31, v0
	v_and_b32_e32 v2, v2, v3
	v_xor_b32_e32 v3, vcc_hi, v0
	v_xor_b32_e32 v0, vcc_lo, v0
	v_and_b32_e32 v1, v1, v14
	v_and_b32_e32 v0, v2, v0
	;; [unrolled: 1-line block ×3, first 2 shown]
	v_mbcnt_lo_u32_b32 v2, v0, 0
	v_mbcnt_hi_u32_b32 v14, v1, v2
	v_cmp_eq_u32_e32 vcc, 0, v14
	v_cmp_ne_u64_e64 s[4:5], 0, v[0:1]
	s_and_b64 s[62:63], s[4:5], vcc
	; wave barrier
	s_and_saveexec_b64 s[4:5], s[62:63]
	s_cbranch_execz .LBB196_54
; %bb.53:                               ;   in Loop: Header=BB196_46 Depth=1
	v_bcnt_u32_b32 v0, v0, 0
	v_bcnt_u32_b32 v0, v1, v0
	s_waitcnt lgkmcnt(0)
	v_add_u32_e32 v0, v12, v0
	ds_write_b32 v13, v0
.LBB196_54:                             ;   in Loop: Header=BB196_46 Depth=1
	s_or_b64 exec, exec, s[4:5]
	v_cmp_ne_u64_e32 vcc, s[52:53], v[90:91]
	v_cndmask_b32_e32 v1, v123, v91, vcc
	v_cndmask_b32_e32 v0, 0, v90, vcc
	v_lshrrev_b64 v[0:1], s54, v[0:1]
	v_and_b32_e32 v0, s61, v0
	v_lshlrev_b32_e32 v1, 2, v0
	v_add_lshl_u32 v1, v1, v125, 2
	; wave barrier
	v_add_u32_e32 v50, 16, v1
	ds_read_b32 v15, v1 offset:16
	v_and_b32_e32 v1, 1, v0
	v_add_co_u32_e32 v2, vcc, -1, v1
	v_addc_co_u32_e64 v3, s[4:5], 0, -1, vcc
	v_cmp_ne_u32_e32 vcc, 0, v1
	v_lshlrev_b32_e32 v83, 30, v0
	v_xor_b32_e32 v1, vcc_hi, v3
	v_not_b32_e32 v3, v83
	v_xor_b32_e32 v2, vcc_lo, v2
	v_cmp_gt_i64_e32 vcc, 0, v[82:83]
	v_ashrrev_i32_e32 v3, 31, v3
	v_and_b32_e32 v2, exec_lo, v2
	v_xor_b32_e32 v51, vcc_hi, v3
	v_xor_b32_e32 v3, vcc_lo, v3
	v_lshlrev_b32_e32 v83, 29, v0
	v_and_b32_e32 v2, v2, v3
	v_not_b32_e32 v3, v83
	v_and_b32_e32 v1, exec_hi, v1
	v_cmp_gt_i64_e32 vcc, 0, v[82:83]
	v_ashrrev_i32_e32 v3, 31, v3
	v_and_b32_e32 v1, v1, v51
	v_xor_b32_e32 v51, vcc_hi, v3
	v_xor_b32_e32 v3, vcc_lo, v3
	v_lshlrev_b32_e32 v83, 28, v0
	v_and_b32_e32 v2, v2, v3
	v_not_b32_e32 v3, v83
	v_cmp_gt_i64_e32 vcc, 0, v[82:83]
	v_ashrrev_i32_e32 v3, 31, v3
	v_and_b32_e32 v1, v1, v51
	v_xor_b32_e32 v51, vcc_hi, v3
	v_xor_b32_e32 v3, vcc_lo, v3
	v_lshlrev_b32_e32 v83, 27, v0
	v_and_b32_e32 v2, v2, v3
	v_not_b32_e32 v3, v83
	;; [unrolled: 8-line block ×3, first 2 shown]
	v_cmp_gt_i64_e32 vcc, 0, v[82:83]
	v_ashrrev_i32_e32 v3, 31, v3
	v_and_b32_e32 v1, v1, v51
	v_xor_b32_e32 v51, vcc_hi, v3
	v_xor_b32_e32 v3, vcc_lo, v3
	v_lshlrev_b32_e32 v83, 25, v0
	v_and_b32_e32 v2, v2, v3
	v_cmp_gt_i64_e32 vcc, 0, v[82:83]
	v_not_b32_e32 v3, v83
	v_lshlrev_b32_e32 v83, 24, v0
	v_ashrrev_i32_e32 v3, 31, v3
	v_not_b32_e32 v0, v83
	v_and_b32_e32 v1, v1, v51
	v_xor_b32_e32 v51, vcc_hi, v3
	v_xor_b32_e32 v3, vcc_lo, v3
	v_cmp_gt_i64_e32 vcc, 0, v[82:83]
	v_ashrrev_i32_e32 v0, 31, v0
	v_and_b32_e32 v2, v2, v3
	v_xor_b32_e32 v3, vcc_hi, v0
	v_xor_b32_e32 v0, vcc_lo, v0
	v_and_b32_e32 v1, v1, v51
	v_and_b32_e32 v0, v2, v0
	v_and_b32_e32 v1, v1, v3
	v_mbcnt_lo_u32_b32 v2, v0, 0
	v_mbcnt_hi_u32_b32 v51, v1, v2
	v_cmp_eq_u32_e32 vcc, 0, v51
	v_cmp_ne_u64_e64 s[4:5], 0, v[0:1]
	s_and_b64 s[62:63], s[4:5], vcc
	; wave barrier
	s_and_saveexec_b64 s[4:5], s[62:63]
	s_cbranch_execz .LBB196_56
; %bb.55:                               ;   in Loop: Header=BB196_46 Depth=1
	v_bcnt_u32_b32 v0, v0, 0
	v_bcnt_u32_b32 v0, v1, v0
	s_waitcnt lgkmcnt(0)
	v_add_u32_e32 v0, v15, v0
	ds_write_b32 v50, v0
.LBB196_56:                             ;   in Loop: Header=BB196_46 Depth=1
	s_or_b64 exec, exec, s[4:5]
	v_cmp_ne_u64_e32 vcc, s[52:53], v[88:89]
	v_cndmask_b32_e32 v1, v123, v89, vcc
	v_cndmask_b32_e32 v0, 0, v88, vcc
	v_lshrrev_b64 v[0:1], s54, v[0:1]
	v_and_b32_e32 v0, s61, v0
	v_lshlrev_b32_e32 v1, 2, v0
	v_add_lshl_u32 v1, v1, v125, 2
	; wave barrier
	v_add_u32_e32 v53, 16, v1
	ds_read_b32 v52, v1 offset:16
	v_and_b32_e32 v1, 1, v0
	v_add_co_u32_e32 v2, vcc, -1, v1
	v_addc_co_u32_e64 v3, s[4:5], 0, -1, vcc
	v_cmp_ne_u32_e32 vcc, 0, v1
	v_lshlrev_b32_e32 v83, 30, v0
	v_xor_b32_e32 v1, vcc_hi, v3
	v_not_b32_e32 v3, v83
	v_xor_b32_e32 v2, vcc_lo, v2
	v_cmp_gt_i64_e32 vcc, 0, v[82:83]
	v_ashrrev_i32_e32 v3, 31, v3
	v_and_b32_e32 v2, exec_lo, v2
	v_xor_b32_e32 v54, vcc_hi, v3
	v_xor_b32_e32 v3, vcc_lo, v3
	v_lshlrev_b32_e32 v83, 29, v0
	v_and_b32_e32 v2, v2, v3
	v_not_b32_e32 v3, v83
	v_and_b32_e32 v1, exec_hi, v1
	v_cmp_gt_i64_e32 vcc, 0, v[82:83]
	v_ashrrev_i32_e32 v3, 31, v3
	v_and_b32_e32 v1, v1, v54
	v_xor_b32_e32 v54, vcc_hi, v3
	v_xor_b32_e32 v3, vcc_lo, v3
	v_lshlrev_b32_e32 v83, 28, v0
	v_and_b32_e32 v2, v2, v3
	v_not_b32_e32 v3, v83
	v_cmp_gt_i64_e32 vcc, 0, v[82:83]
	v_ashrrev_i32_e32 v3, 31, v3
	v_and_b32_e32 v1, v1, v54
	v_xor_b32_e32 v54, vcc_hi, v3
	v_xor_b32_e32 v3, vcc_lo, v3
	v_lshlrev_b32_e32 v83, 27, v0
	v_and_b32_e32 v2, v2, v3
	v_not_b32_e32 v3, v83
	;; [unrolled: 8-line block ×3, first 2 shown]
	v_cmp_gt_i64_e32 vcc, 0, v[82:83]
	v_ashrrev_i32_e32 v3, 31, v3
	v_and_b32_e32 v1, v1, v54
	v_xor_b32_e32 v54, vcc_hi, v3
	v_xor_b32_e32 v3, vcc_lo, v3
	v_lshlrev_b32_e32 v83, 25, v0
	v_and_b32_e32 v2, v2, v3
	v_cmp_gt_i64_e32 vcc, 0, v[82:83]
	v_not_b32_e32 v3, v83
	v_lshlrev_b32_e32 v83, 24, v0
	v_ashrrev_i32_e32 v3, 31, v3
	v_not_b32_e32 v0, v83
	v_and_b32_e32 v1, v1, v54
	v_xor_b32_e32 v54, vcc_hi, v3
	v_xor_b32_e32 v3, vcc_lo, v3
	v_cmp_gt_i64_e32 vcc, 0, v[82:83]
	v_ashrrev_i32_e32 v0, 31, v0
	v_and_b32_e32 v2, v2, v3
	v_xor_b32_e32 v3, vcc_hi, v0
	v_xor_b32_e32 v0, vcc_lo, v0
	v_and_b32_e32 v1, v1, v54
	v_and_b32_e32 v0, v2, v0
	;; [unrolled: 1-line block ×3, first 2 shown]
	v_mbcnt_lo_u32_b32 v2, v0, 0
	v_mbcnt_hi_u32_b32 v54, v1, v2
	v_cmp_eq_u32_e32 vcc, 0, v54
	v_cmp_ne_u64_e64 s[4:5], 0, v[0:1]
	s_and_b64 s[62:63], s[4:5], vcc
	; wave barrier
	s_and_saveexec_b64 s[4:5], s[62:63]
	s_cbranch_execz .LBB196_58
; %bb.57:                               ;   in Loop: Header=BB196_46 Depth=1
	v_bcnt_u32_b32 v0, v0, 0
	v_bcnt_u32_b32 v0, v1, v0
	s_waitcnt lgkmcnt(0)
	v_add_u32_e32 v0, v52, v0
	ds_write_b32 v53, v0
.LBB196_58:                             ;   in Loop: Header=BB196_46 Depth=1
	s_or_b64 exec, exec, s[4:5]
	v_cmp_ne_u64_e32 vcc, s[52:53], v[86:87]
	v_cndmask_b32_e32 v1, v123, v87, vcc
	v_cndmask_b32_e32 v0, 0, v86, vcc
	v_lshrrev_b64 v[0:1], s54, v[0:1]
	v_and_b32_e32 v0, s61, v0
	v_lshlrev_b32_e32 v1, 2, v0
	v_add_lshl_u32 v1, v1, v125, 2
	; wave barrier
	v_add_u32_e32 v56, 16, v1
	ds_read_b32 v55, v1 offset:16
	v_and_b32_e32 v1, 1, v0
	v_add_co_u32_e32 v2, vcc, -1, v1
	v_addc_co_u32_e64 v3, s[4:5], 0, -1, vcc
	v_cmp_ne_u32_e32 vcc, 0, v1
	v_lshlrev_b32_e32 v83, 30, v0
	v_xor_b32_e32 v1, vcc_hi, v3
	v_not_b32_e32 v3, v83
	v_xor_b32_e32 v2, vcc_lo, v2
	v_cmp_gt_i64_e32 vcc, 0, v[82:83]
	v_ashrrev_i32_e32 v3, 31, v3
	v_and_b32_e32 v2, exec_lo, v2
	v_xor_b32_e32 v57, vcc_hi, v3
	v_xor_b32_e32 v3, vcc_lo, v3
	v_lshlrev_b32_e32 v83, 29, v0
	v_and_b32_e32 v2, v2, v3
	v_not_b32_e32 v3, v83
	v_and_b32_e32 v1, exec_hi, v1
	v_cmp_gt_i64_e32 vcc, 0, v[82:83]
	v_ashrrev_i32_e32 v3, 31, v3
	v_and_b32_e32 v1, v1, v57
	v_xor_b32_e32 v57, vcc_hi, v3
	v_xor_b32_e32 v3, vcc_lo, v3
	v_lshlrev_b32_e32 v83, 28, v0
	v_and_b32_e32 v2, v2, v3
	v_not_b32_e32 v3, v83
	v_cmp_gt_i64_e32 vcc, 0, v[82:83]
	v_ashrrev_i32_e32 v3, 31, v3
	v_and_b32_e32 v1, v1, v57
	v_xor_b32_e32 v57, vcc_hi, v3
	v_xor_b32_e32 v3, vcc_lo, v3
	v_lshlrev_b32_e32 v83, 27, v0
	v_and_b32_e32 v2, v2, v3
	v_not_b32_e32 v3, v83
	;; [unrolled: 8-line block ×3, first 2 shown]
	v_cmp_gt_i64_e32 vcc, 0, v[82:83]
	v_ashrrev_i32_e32 v3, 31, v3
	v_and_b32_e32 v1, v1, v57
	v_xor_b32_e32 v57, vcc_hi, v3
	v_xor_b32_e32 v3, vcc_lo, v3
	v_lshlrev_b32_e32 v83, 25, v0
	v_and_b32_e32 v2, v2, v3
	v_cmp_gt_i64_e32 vcc, 0, v[82:83]
	v_not_b32_e32 v3, v83
	v_lshlrev_b32_e32 v83, 24, v0
	v_ashrrev_i32_e32 v3, 31, v3
	v_not_b32_e32 v0, v83
	v_and_b32_e32 v1, v1, v57
	v_xor_b32_e32 v57, vcc_hi, v3
	v_xor_b32_e32 v3, vcc_lo, v3
	v_cmp_gt_i64_e32 vcc, 0, v[82:83]
	v_ashrrev_i32_e32 v0, 31, v0
	v_and_b32_e32 v2, v2, v3
	v_xor_b32_e32 v3, vcc_hi, v0
	v_xor_b32_e32 v0, vcc_lo, v0
	v_and_b32_e32 v1, v1, v57
	v_and_b32_e32 v0, v2, v0
	;; [unrolled: 1-line block ×3, first 2 shown]
	v_mbcnt_lo_u32_b32 v2, v0, 0
	v_mbcnt_hi_u32_b32 v57, v1, v2
	v_cmp_eq_u32_e32 vcc, 0, v57
	v_cmp_ne_u64_e64 s[4:5], 0, v[0:1]
	s_and_b64 s[62:63], s[4:5], vcc
	; wave barrier
	s_and_saveexec_b64 s[4:5], s[62:63]
	s_cbranch_execz .LBB196_60
; %bb.59:                               ;   in Loop: Header=BB196_46 Depth=1
	v_bcnt_u32_b32 v0, v0, 0
	v_bcnt_u32_b32 v0, v1, v0
	s_waitcnt lgkmcnt(0)
	v_add_u32_e32 v0, v55, v0
	ds_write_b32 v56, v0
.LBB196_60:                             ;   in Loop: Header=BB196_46 Depth=1
	s_or_b64 exec, exec, s[4:5]
	v_cmp_ne_u64_e32 vcc, s[52:53], v[84:85]
	v_cndmask_b32_e32 v1, v123, v85, vcc
	v_cndmask_b32_e32 v0, 0, v84, vcc
	v_lshrrev_b64 v[0:1], s54, v[0:1]
	v_and_b32_e32 v0, s61, v0
	v_lshlrev_b32_e32 v1, 2, v0
	v_add_lshl_u32 v1, v1, v125, 2
	; wave barrier
	v_add_u32_e32 v59, 16, v1
	ds_read_b32 v58, v1 offset:16
	v_and_b32_e32 v1, 1, v0
	v_add_co_u32_e32 v2, vcc, -1, v1
	v_addc_co_u32_e64 v3, s[4:5], 0, -1, vcc
	v_cmp_ne_u32_e32 vcc, 0, v1
	v_lshlrev_b32_e32 v83, 30, v0
	v_xor_b32_e32 v1, vcc_hi, v3
	v_not_b32_e32 v3, v83
	v_xor_b32_e32 v2, vcc_lo, v2
	v_cmp_gt_i64_e32 vcc, 0, v[82:83]
	v_ashrrev_i32_e32 v3, 31, v3
	v_and_b32_e32 v2, exec_lo, v2
	v_xor_b32_e32 v60, vcc_hi, v3
	v_xor_b32_e32 v3, vcc_lo, v3
	v_lshlrev_b32_e32 v83, 29, v0
	v_and_b32_e32 v2, v2, v3
	v_not_b32_e32 v3, v83
	v_and_b32_e32 v1, exec_hi, v1
	v_cmp_gt_i64_e32 vcc, 0, v[82:83]
	v_ashrrev_i32_e32 v3, 31, v3
	v_and_b32_e32 v1, v1, v60
	v_xor_b32_e32 v60, vcc_hi, v3
	v_xor_b32_e32 v3, vcc_lo, v3
	v_lshlrev_b32_e32 v83, 28, v0
	v_and_b32_e32 v2, v2, v3
	v_not_b32_e32 v3, v83
	v_cmp_gt_i64_e32 vcc, 0, v[82:83]
	v_ashrrev_i32_e32 v3, 31, v3
	v_and_b32_e32 v1, v1, v60
	v_xor_b32_e32 v60, vcc_hi, v3
	v_xor_b32_e32 v3, vcc_lo, v3
	v_lshlrev_b32_e32 v83, 27, v0
	v_and_b32_e32 v2, v2, v3
	v_not_b32_e32 v3, v83
	v_cmp_gt_i64_e32 vcc, 0, v[82:83]
	v_ashrrev_i32_e32 v3, 31, v3
	v_and_b32_e32 v1, v1, v60
	v_xor_b32_e32 v60, vcc_hi, v3
	v_xor_b32_e32 v3, vcc_lo, v3
	v_lshlrev_b32_e32 v83, 26, v0
	v_and_b32_e32 v2, v2, v3
	v_not_b32_e32 v3, v83
	v_cmp_gt_i64_e32 vcc, 0, v[82:83]
	v_ashrrev_i32_e32 v3, 31, v3
	v_and_b32_e32 v1, v1, v60
	v_xor_b32_e32 v60, vcc_hi, v3
	v_xor_b32_e32 v3, vcc_lo, v3
	v_lshlrev_b32_e32 v83, 25, v0
	v_and_b32_e32 v2, v2, v3
	v_cmp_gt_i64_e32 vcc, 0, v[82:83]
	v_not_b32_e32 v3, v83
	v_lshlrev_b32_e32 v83, 24, v0
	v_ashrrev_i32_e32 v3, 31, v3
	v_not_b32_e32 v0, v83
	v_and_b32_e32 v1, v1, v60
	v_xor_b32_e32 v60, vcc_hi, v3
	v_xor_b32_e32 v3, vcc_lo, v3
	v_cmp_gt_i64_e32 vcc, 0, v[82:83]
	v_ashrrev_i32_e32 v0, 31, v0
	v_and_b32_e32 v2, v2, v3
	v_xor_b32_e32 v3, vcc_hi, v0
	v_xor_b32_e32 v0, vcc_lo, v0
	v_and_b32_e32 v1, v1, v60
	v_and_b32_e32 v0, v2, v0
	;; [unrolled: 1-line block ×3, first 2 shown]
	v_mbcnt_lo_u32_b32 v2, v0, 0
	v_mbcnt_hi_u32_b32 v60, v1, v2
	v_cmp_eq_u32_e32 vcc, 0, v60
	v_cmp_ne_u64_e64 s[4:5], 0, v[0:1]
	s_and_b64 s[62:63], s[4:5], vcc
	; wave barrier
	s_and_saveexec_b64 s[4:5], s[62:63]
	s_cbranch_execz .LBB196_62
; %bb.61:                               ;   in Loop: Header=BB196_46 Depth=1
	v_bcnt_u32_b32 v0, v0, 0
	v_bcnt_u32_b32 v0, v1, v0
	s_waitcnt lgkmcnt(0)
	v_add_u32_e32 v0, v58, v0
	ds_write_b32 v59, v0
.LBB196_62:                             ;   in Loop: Header=BB196_46 Depth=1
	s_or_b64 exec, exec, s[4:5]
	; wave barrier
	s_waitcnt lgkmcnt(0)
	s_barrier
	ds_read2_b32 v[2:3], v110 offset0:4 offset1:5
	ds_read2_b32 v[0:1], v124 offset0:2 offset1:3
	s_waitcnt lgkmcnt(1)
	v_add_u32_e32 v61, v3, v2
	s_waitcnt lgkmcnt(0)
	v_add3_u32 v1, v61, v0, v1
	s_nop 1
	v_mov_b32_dpp v61, v1 row_shr:1 row_mask:0xf bank_mask:0xf
	v_cndmask_b32_e64 v61, v61, 0, s[22:23]
	v_add_u32_e32 v1, v61, v1
	s_nop 1
	v_mov_b32_dpp v61, v1 row_shr:2 row_mask:0xf bank_mask:0xf
	v_cndmask_b32_e64 v61, 0, v61, s[24:25]
	v_add_u32_e32 v1, v1, v61
	;; [unrolled: 4-line block ×4, first 2 shown]
	s_nop 1
	v_mov_b32_dpp v61, v1 row_bcast:15 row_mask:0xf bank_mask:0xf
	v_cndmask_b32_e64 v61, v61, 0, s[30:31]
	v_add_u32_e32 v1, v1, v61
	s_nop 1
	v_mov_b32_dpp v61, v1 row_bcast:31 row_mask:0xf bank_mask:0xf
	v_cndmask_b32_e64 v61, 0, v61, s[34:35]
	v_add_u32_e32 v1, v1, v61
	s_and_saveexec_b64 s[4:5], s[36:37]
	s_cbranch_execz .LBB196_64
; %bb.63:                               ;   in Loop: Header=BB196_46 Depth=1
	ds_write_b32 v127, v1
.LBB196_64:                             ;   in Loop: Header=BB196_46 Depth=1
	s_or_b64 exec, exec, s[4:5]
	s_waitcnt lgkmcnt(0)
	s_barrier
	s_and_saveexec_b64 s[4:5], s[16:17]
	s_cbranch_execz .LBB196_66
; %bb.65:                               ;   in Loop: Header=BB196_46 Depth=1
	ds_read_b32 v61, v109
	s_waitcnt lgkmcnt(0)
	s_nop 0
	v_mov_b32_dpp v62, v61 row_shr:1 row_mask:0xf bank_mask:0xf
	v_cndmask_b32_e64 v62, v62, 0, s[40:41]
	v_add_u32_e32 v61, v62, v61
	s_nop 1
	v_mov_b32_dpp v62, v61 row_shr:2 row_mask:0xf bank_mask:0xf
	v_cndmask_b32_e64 v62, 0, v62, s[42:43]
	v_add_u32_e32 v61, v61, v62
	ds_write_b32 v109, v61
.LBB196_66:                             ;   in Loop: Header=BB196_46 Depth=1
	s_or_b64 exec, exec, s[4:5]
	v_mov_b32_e32 v61, 0
	s_waitcnt lgkmcnt(0)
	s_barrier
	s_and_saveexec_b64 s[4:5], s[18:19]
	s_cbranch_execz .LBB196_68
; %bb.67:                               ;   in Loop: Header=BB196_46 Depth=1
	ds_read_b32 v61, v128
.LBB196_68:                             ;   in Loop: Header=BB196_46 Depth=1
	s_or_b64 exec, exec, s[4:5]
	s_waitcnt lgkmcnt(0)
	v_add_u32_e32 v1, v61, v1
	ds_bpermute_b32 v1, v126, v1
	s_cmp_gt_u32 s54, 55
	s_waitcnt lgkmcnt(0)
	v_cndmask_b32_e64 v1, v1, v61, s[38:39]
	v_cndmask_b32_e64 v1, v1, 0, s[20:21]
	v_add_u32_e32 v2, v1, v2
	v_add_u32_e32 v3, v2, v3
	;; [unrolled: 1-line block ×3, first 2 shown]
	ds_write2_b32 v110, v1, v2 offset0:4 offset1:5
	ds_write2_b32 v124, v3, v0 offset0:2 offset1:3
	s_waitcnt lgkmcnt(0)
	s_barrier
	ds_read_b32 v0, v4
	ds_read_b32 v1, v7
	;; [unrolled: 1-line block ×8, first 2 shown]
	s_waitcnt lgkmcnt(7)
	v_add_u32_e32 v136, v0, v5
	s_waitcnt lgkmcnt(6)
	v_add3_u32 v135, v8, v6, v1
	s_waitcnt lgkmcnt(5)
	v_add3_u32 v134, v11, v9, v2
	;; [unrolled: 2-line block ×7, first 2 shown]
	s_cbranch_scc0 .LBB196_45
; %bb.69:
                                        ; implicit-def: $vgpr14_vgpr15
                                        ; implicit-def: $vgpr10_vgpr11
                                        ; implicit-def: $vgpr6_vgpr7
                                        ; implicit-def: $vgpr2_vgpr3
                                        ; implicit-def: $vgpr64_vgpr65
                                        ; implicit-def: $vgpr60_vgpr61
                                        ; implicit-def: $vgpr56_vgpr57
                                        ; implicit-def: $vgpr52_vgpr53
                                        ; implicit-def: $sgpr54_sgpr55
                                        ; implicit-def: $sgpr60
.LBB196_70:
	v_lshlrev_b32_e32 v50, 3, v136
	v_lshlrev_b32_e32 v51, 3, v135
	;; [unrolled: 1-line block ×9, first 2 shown]
	s_barrier
	ds_write_b64 v50, v[98:99]
	ds_write_b64 v51, v[96:97]
	;; [unrolled: 1-line block ×8, first 2 shown]
	s_waitcnt lgkmcnt(0)
	s_barrier
	ds_read2_b64 v[0:3], v62 offset1:1
	ds_read2_b64 v[4:7], v62 offset0:2 offset1:3
	ds_read2_b64 v[8:11], v62 offset0:4 offset1:5
	;; [unrolled: 1-line block ×3, first 2 shown]
	s_waitcnt lgkmcnt(0)
	s_barrier
	ds_write_b64 v50, v[80:81]
	ds_write_b64 v51, v[78:79]
	;; [unrolled: 1-line block ×8, first 2 shown]
	v_ashrrev_i32_e32 v68, 31, v1
	v_not_b32_e32 v68, v68
	v_cmp_lt_i64_e32 vcc, -1, v[0:1]
	v_xor_b32_e32 v0, v68, v0
	v_ashrrev_i32_e32 v68, 31, v3
	v_bfrev_b32_e32 v16, 1
	v_not_b32_e32 v68, v68
	v_cndmask_b32_e64 v17, v16, -1, vcc
	v_cmp_lt_i64_e32 vcc, -1, v[2:3]
	v_xor_b32_e32 v2, v68, v2
	v_ashrrev_i32_e32 v68, 31, v5
	v_not_b32_e32 v68, v68
	v_xor_b32_e32 v1, v17, v1
	v_cndmask_b32_e64 v17, v16, -1, vcc
	v_cmp_lt_i64_e32 vcc, -1, v[4:5]
	v_xor_b32_e32 v4, v68, v4
	v_ashrrev_i32_e32 v68, 31, v7
	s_waitcnt lgkmcnt(0)
	s_barrier
	ds_read2_b64 v[50:53], v62 offset1:1
	ds_read2_b64 v[54:57], v62 offset0:2 offset1:3
	ds_read2_b64 v[58:61], v62 offset0:4 offset1:5
	;; [unrolled: 1-line block ×3, first 2 shown]
	v_xor_b32_e32 v3, v17, v3
	v_cndmask_b32_e64 v17, v16, -1, vcc
	v_cmp_lt_i64_e32 vcc, -1, v[6:7]
	v_not_b32_e32 v68, v68
	v_xor_b32_e32 v5, v17, v5
	v_cndmask_b32_e64 v17, v16, -1, vcc
	v_xor_b32_e32 v6, v68, v6
	v_cmp_lt_i64_e32 vcc, -1, v[8:9]
	v_ashrrev_i32_e32 v68, 31, v9
	v_xor_b32_e32 v7, v17, v7
	v_cndmask_b32_e64 v17, v16, -1, vcc
	v_not_b32_e32 v68, v68
	v_cmp_lt_i64_e32 vcc, -1, v[10:11]
	v_xor_b32_e32 v9, v17, v9
	v_xor_b32_e32 v8, v68, v8
	v_cndmask_b32_e64 v17, v16, -1, vcc
	v_ashrrev_i32_e32 v68, 31, v11
	v_cmp_lt_i64_e32 vcc, -1, v[12:13]
	v_not_b32_e32 v68, v68
	v_xor_b32_e32 v11, v17, v11
	v_cndmask_b32_e64 v17, v16, -1, vcc
	v_xor_b32_e32 v10, v68, v10
	v_ashrrev_i32_e32 v68, 31, v13
	v_xor_b32_e32 v13, v17, v13
	v_cmp_lt_i64_e32 vcc, -1, v[14:15]
	v_ashrrev_i32_e32 v17, 31, v15
	v_not_b32_e32 v68, v68
	v_cndmask_b32_e64 v16, v16, -1, vcc
	v_not_b32_e32 v17, v17
	v_xor_b32_e32 v12, v68, v12
	v_xor_b32_e32 v15, v16, v15
	;; [unrolled: 1-line block ×3, first 2 shown]
	s_branch .LBB196_106
.LBB196_71:
	v_mad_u64_u32 v[2:3], s[16:17], v66, s48, 0
	v_mov_b32_e32 v4, v3
	v_mad_u64_u32 v[4:5], s[16:17], v66, s49, v[4:5]
	v_mov_b32_e32 v3, v4
	v_lshlrev_b64 v[2:3], 3, v[2:3]
	v_mov_b32_e32 v4, s58
	v_add_co_u32_e32 v2, vcc, s57, v2
	v_addc_co_u32_e32 v3, vcc, v4, v3, vcc
	global_load_dwordx2 v[2:3], v[2:3], off
	v_mov_b32_e32 v4, 0
	v_mov_b32_e32 v5, v4
	;; [unrolled: 1-line block ×14, first 2 shown]
	s_or_b64 exec, exec, s[4:5]
	s_and_saveexec_b64 s[4:5], s[2:3]
	s_cbranch_execz .LBB196_36
.LBB196_72:
	v_mad_u64_u32 v[4:5], s[16:17], v1, s48, 0
	v_mov_b32_e32 v40, v5
	v_mad_u64_u32 v[40:41], s[16:17], v1, s49, v[40:41]
	v_mov_b32_e32 v5, v40
	v_lshlrev_b64 v[4:5], 3, v[4:5]
	v_mov_b32_e32 v1, s58
	v_add_co_u32_e32 v4, vcc, s57, v4
	v_addc_co_u32_e32 v5, vcc, v1, v5, vcc
	global_load_dwordx2 v[4:5], v[4:5], off
	s_or_b64 exec, exec, s[4:5]
	s_and_saveexec_b64 s[4:5], s[44:45]
	s_cbranch_execz .LBB196_37
.LBB196_73:
	v_mad_u64_u32 v[6:7], s[16:17], v34, s48, 0
	v_mov_b32_e32 v40, v7
	v_mad_u64_u32 v[40:41], s[16:17], v34, s49, v[40:41]
	v_mov_b32_e32 v7, v40
	v_lshlrev_b64 v[6:7], 3, v[6:7]
	v_mov_b32_e32 v1, s58
	v_add_co_u32_e32 v6, vcc, s57, v6
	v_addc_co_u32_e32 v7, vcc, v1, v7, vcc
	global_load_dwordx2 v[6:7], v[6:7], off
	s_or_b64 exec, exec, s[4:5]
	s_and_saveexec_b64 s[4:5], s[6:7]
	s_cbranch_execz .LBB196_38
.LBB196_74:
	v_mad_u64_u32 v[8:9], s[16:17], v35, s48, 0
	v_mov_b32_e32 v34, v9
	v_mad_u64_u32 v[34:35], s[16:17], v35, s49, v[34:35]
	v_mov_b32_e32 v9, v34
	v_lshlrev_b64 v[8:9], 3, v[8:9]
	v_mov_b32_e32 v1, s58
	v_add_co_u32_e32 v8, vcc, s57, v8
	v_addc_co_u32_e32 v9, vcc, v1, v9, vcc
	global_load_dwordx2 v[8:9], v[8:9], off
	s_or_b64 exec, exec, s[4:5]
	s_and_saveexec_b64 s[4:5], s[8:9]
	s_cbranch_execz .LBB196_39
.LBB196_75:
	v_mad_u64_u32 v[10:11], s[16:17], v36, s48, 0
	v_mov_b32_e32 v34, v11
	v_mad_u64_u32 v[34:35], s[16:17], v36, s49, v[34:35]
	v_mov_b32_e32 v11, v34
	v_lshlrev_b64 v[10:11], 3, v[10:11]
	v_mov_b32_e32 v1, s58
	v_add_co_u32_e32 v10, vcc, s57, v10
	v_addc_co_u32_e32 v11, vcc, v1, v11, vcc
	global_load_dwordx2 v[10:11], v[10:11], off
	s_or_b64 exec, exec, s[4:5]
	s_and_saveexec_b64 s[4:5], s[10:11]
	s_cbranch_execz .LBB196_40
.LBB196_76:
	v_mad_u64_u32 v[12:13], s[16:17], v37, s48, 0
	v_mov_b32_e32 v34, v13
	v_mad_u64_u32 v[34:35], s[16:17], v37, s49, v[34:35]
	v_mov_b32_e32 v13, v34
	v_lshlrev_b64 v[12:13], 3, v[12:13]
	v_mov_b32_e32 v1, s58
	v_add_co_u32_e32 v12, vcc, s57, v12
	v_addc_co_u32_e32 v13, vcc, v1, v13, vcc
	global_load_dwordx2 v[12:13], v[12:13], off
	s_or_b64 exec, exec, s[4:5]
	s_and_saveexec_b64 s[4:5], s[12:13]
	s_cbranch_execz .LBB196_41
.LBB196_77:
	v_mad_u64_u32 v[14:15], s[16:17], v38, s48, 0
	v_mov_b32_e32 v34, v15
	v_mad_u64_u32 v[34:35], s[16:17], v38, s49, v[34:35]
	v_mov_b32_e32 v15, v34
	v_lshlrev_b64 v[14:15], 3, v[14:15]
	v_mov_b32_e32 v1, s58
	v_add_co_u32_e32 v14, vcc, s57, v14
	v_addc_co_u32_e32 v15, vcc, v1, v15, vcc
	global_load_dwordx2 v[14:15], v[14:15], off
	s_or_b64 exec, exec, s[4:5]
	s_xor_b64 s[4:5], s[34:35], -1
	s_and_saveexec_b64 s[16:17], s[14:15]
	s_cbranch_execnz .LBB196_42
	s_branch .LBB196_43
.LBB196_78:
                                        ; implicit-def: $vgpr64_vgpr65
                                        ; implicit-def: $vgpr60_vgpr61
                                        ; implicit-def: $vgpr56_vgpr57
                                        ; implicit-def: $vgpr52_vgpr53
                                        ; implicit-def: $vgpr0_vgpr1_vgpr2_vgpr3_vgpr4_vgpr5_vgpr6_vgpr7_vgpr8_vgpr9_vgpr10_vgpr11_vgpr12_vgpr13_vgpr14_vgpr15
	s_cbranch_execz .LBB196_106
; %bb.79:
	v_bfrev_b32_e32 v68, -2
	v_cmp_gt_i64_e32 vcc, 0, v[30:31]
	v_cndmask_b32_e64 v0, v68, 0, vcc
	v_not_b32_e32 v2, v122
	v_cmp_gt_i64_e32 vcc, 0, v[32:33]
	v_xor_b32_e32 v1, v0, v31
	v_xor_b32_e32 v0, v2, v30
	v_cndmask_b32_e64 v2, v68, 0, vcc
	v_not_b32_e32 v4, v121
	v_cmp_gt_i64_e32 vcc, 0, v[26:27]
	v_xor_b32_e32 v3, v2, v33
	v_xor_b32_e32 v2, v4, v32
	;; [unrolled: 5-line block ×7, first 2 shown]
	v_cndmask_b32_e64 v14, v68, 0, vcc
	v_not_b32_e32 v16, v115
	s_waitcnt lgkmcnt(3)
	v_mbcnt_hi_u32_b32 v50, -1, v114
	v_and_b32_e32 v51, 0x3c0, v66
	v_xor_b32_e32 v15, v14, v21
	v_xor_b32_e32 v14, v16, v20
	v_add_lshl_u32 v16, v50, v51, 6
	v_and_b32_e32 v52, 0x1e00, v108
	ds_write2_b64 v16, v[0:1], v[2:3] offset1:1
	ds_write2_b64 v16, v[4:5], v[6:7] offset0:2 offset1:3
	ds_write2_b64 v16, v[8:9], v[10:11] offset0:4 offset1:5
	;; [unrolled: 1-line block ×3, first 2 shown]
	v_or_b32_e32 v0, v50, v52
	v_lshlrev_b32_e32 v28, 3, v0
	; wave barrier
	ds_read2st64_b64 v[0:3], v28 offset1:1
	ds_read2st64_b64 v[4:7], v28 offset0:2 offset1:3
	ds_read2st64_b64 v[8:11], v28 offset0:4 offset1:5
	ds_read2st64_b64 v[12:15], v28 offset0:6 offset1:7
	; wave barrier
	ds_write2_b64 v16, v[46:47], v[48:49] offset1:1
	ds_write2_b64 v16, v[42:43], v[44:45] offset0:2 offset1:3
	ds_write2_b64 v16, v[38:39], v[40:41] offset0:4 offset1:5
	;; [unrolled: 1-line block ×3, first 2 shown]
	; wave barrier
	ds_read2st64_b64 v[16:19], v28 offset1:1
	ds_read2st64_b64 v[20:23], v28 offset0:2 offset1:3
	ds_read2st64_b64 v[24:27], v28 offset0:4 offset1:5
	;; [unrolled: 1-line block ×3, first 2 shown]
	s_waitcnt lgkmcnt(0)
	s_barrier
	s_load_dword s16, s[50:51], 0xc
	s_getpc_b64 s[4:5]
	s_add_u32 s4, s4, _ZN7rocprim17ROCPRIM_400000_NS16block_radix_sortIdLj256ELj8ElLj1ELj1ELj0ELNS0_26block_radix_rank_algorithmE1ELNS0_18block_padding_hintE2ELNS0_4arch9wavefront6targetE1EE19radix_bits_per_passE@rel32@lo+4
	s_addc_u32 s5, s5, _ZN7rocprim17ROCPRIM_400000_NS16block_radix_sortIdLj256ELj8ElLj1ELj1ELj0ELNS0_26block_radix_rank_algorithmE1ELNS0_18block_padding_hintE2ELNS0_4arch9wavefront6targetE1EE19radix_bits_per_passE@rel32@hi+12
	s_load_dword s54, s[4:5], 0x0
	s_mov_b32 s50, 0
	v_and_b32_e32 v72, 60, v111
	s_waitcnt lgkmcnt(0)
	s_lshr_b32 s4, s16, 16
	s_and_b32 s5, s16, 0xffff
	v_mad_u32_u24 v32, v113, s4, v112
	v_mad_u64_u32 v[32:33], s[4:5], v32, s5, v[66:67]
	v_lshrrev_b32_e32 v70, 6, v32
	v_and_b32_e32 v32, 15, v50
	v_cmp_eq_u32_e64 s[16:17], 0, v32
	v_cmp_lt_u32_e64 s[18:19], 1, v32
	v_cmp_lt_u32_e64 s[20:21], 3, v32
	;; [unrolled: 1-line block ×3, first 2 shown]
	v_and_b32_e32 v32, 16, v50
	v_cmp_eq_u32_e64 s[24:25], 0, v32
	v_min_u32_e32 v32, 0xc0, v51
	v_or_b32_e32 v32, 63, v32
	v_cmp_eq_u32_e64 s[28:29], v32, v66
	v_add_u32_e32 v32, -1, v50
	v_and_b32_e32 v33, 64, v50
	v_cmp_lt_i32_e32 vcc, v32, v33
	v_cndmask_b32_e32 v32, v32, v50, vcc
	v_lshlrev_b32_e32 v71, 2, v32
	v_and_b32_e32 v32, 3, v50
	v_cmp_eq_u32_e64 s[40:41], 0, v32
	v_cmp_lt_u32_e64 s[42:43], 1, v32
	v_and_or_b32 v32, v50, 63, v52
	s_mov_b64 s[52:53], 0
	s_brev_b32 s51, 1
	v_add_u32_e32 v69, 16, v110
	v_cmp_lt_u32_e64 s[26:27], 31, v50
	v_cmp_gt_u32_e64 s[30:31], 4, v66
	v_cmp_lt_u32_e64 s[34:35], 63, v66
	s_mov_b32 s55, 64
	v_cmp_eq_u32_e64 s[36:37], 0, v50
	v_cmp_eq_u32_e64 s[38:39], 0, v66
	v_add_u32_e32 v73, -4, v72
	v_lshlrev_b32_e32 v74, 3, v32
	v_mov_b32_e32 v48, 0
	s_branch .LBB196_81
.LBB196_80:                             ;   in Loop: Header=BB196_81 Depth=1
	v_lshlrev_b32_e32 v16, 3, v81
	v_lshlrev_b32_e32 v17, 3, v80
	;; [unrolled: 1-line block ×8, first 2 shown]
	s_barrier
	ds_write_b64 v16, v[64:65]
	ds_write_b64 v17, v[62:63]
	;; [unrolled: 1-line block ×8, first 2 shown]
	s_waitcnt lgkmcnt(0)
	s_barrier
	ds_read2st64_b64 v[0:3], v74 offset1:1
	ds_read2st64_b64 v[4:7], v74 offset0:2 offset1:3
	ds_read2st64_b64 v[8:11], v74 offset0:4 offset1:5
	;; [unrolled: 1-line block ×3, first 2 shown]
	s_waitcnt lgkmcnt(0)
	s_barrier
	ds_write_b64 v16, v[46:47]
	ds_write_b64 v17, v[44:45]
	ds_write_b64 v18, v[42:43]
	ds_write_b64 v19, v[40:41]
	ds_write_b64 v20, v[38:39]
	ds_write_b64 v21, v[36:37]
	ds_write_b64 v22, v[34:35]
	ds_write_b64 v23, v[32:33]
	s_waitcnt lgkmcnt(0)
	s_barrier
	ds_read2st64_b64 v[16:19], v74 offset1:1
	ds_read2st64_b64 v[20:23], v74 offset0:2 offset1:3
	ds_read2st64_b64 v[24:27], v74 offset0:4 offset1:5
	;; [unrolled: 1-line block ×3, first 2 shown]
	s_add_u32 s52, s52, 8
	s_addc_u32 s53, s53, 0
	s_add_i32 s55, s55, -8
	s_waitcnt lgkmcnt(0)
	s_barrier
	s_cbranch_execz .LBB196_105
.LBB196_81:                             ; =>This Inner Loop Header: Depth=1
	v_pk_mov_b32 v[64:65], v[0:1], v[0:1] op_sel:[0,1]
	s_min_u32 s4, s54, s55
	v_cmp_ne_u64_e32 vcc, s[50:51], v[64:65]
	s_lshl_b32 s4, -1, s4
	v_cndmask_b32_e32 v1, v68, v65, vcc
	v_cndmask_b32_e32 v0, -1, v64, vcc
	s_not_b32 s59, s4
	v_lshrrev_b64 v[0:1], s52, v[0:1]
	v_and_b32_e32 v0, s59, v0
	v_lshl_add_u32 v1, v0, 2, v70
	v_pk_mov_b32 v[60:61], v[4:5], v[4:5] op_sel:[0,1]
	v_lshl_add_u32 v4, v1, 2, 16
	v_and_b32_e32 v1, 1, v0
	v_pk_mov_b32 v[62:63], v[2:3], v[2:3] op_sel:[0,1]
	v_add_co_u32_e32 v2, vcc, -1, v1
	v_addc_co_u32_e64 v3, s[4:5], 0, -1, vcc
	v_cmp_ne_u32_e32 vcc, 0, v1
	v_lshlrev_b32_e32 v49, 30, v0
	v_xor_b32_e32 v1, vcc_hi, v3
	v_not_b32_e32 v3, v49
	v_xor_b32_e32 v2, vcc_lo, v2
	v_cmp_gt_i64_e32 vcc, 0, v[48:49]
	v_ashrrev_i32_e32 v3, 31, v3
	v_and_b32_e32 v2, exec_lo, v2
	v_xor_b32_e32 v5, vcc_hi, v3
	v_xor_b32_e32 v3, vcc_lo, v3
	v_lshlrev_b32_e32 v49, 29, v0
	v_and_b32_e32 v2, v2, v3
	v_not_b32_e32 v3, v49
	v_and_b32_e32 v1, exec_hi, v1
	v_cmp_gt_i64_e32 vcc, 0, v[48:49]
	v_ashrrev_i32_e32 v3, 31, v3
	v_and_b32_e32 v1, v1, v5
	v_xor_b32_e32 v5, vcc_hi, v3
	v_xor_b32_e32 v3, vcc_lo, v3
	v_lshlrev_b32_e32 v49, 28, v0
	v_and_b32_e32 v2, v2, v3
	v_not_b32_e32 v3, v49
	v_cmp_gt_i64_e32 vcc, 0, v[48:49]
	v_ashrrev_i32_e32 v3, 31, v3
	v_and_b32_e32 v1, v1, v5
	v_xor_b32_e32 v5, vcc_hi, v3
	v_xor_b32_e32 v3, vcc_lo, v3
	v_lshlrev_b32_e32 v49, 27, v0
	v_and_b32_e32 v2, v2, v3
	v_not_b32_e32 v3, v49
	;; [unrolled: 8-line block ×3, first 2 shown]
	v_cmp_gt_i64_e32 vcc, 0, v[48:49]
	v_ashrrev_i32_e32 v3, 31, v3
	v_and_b32_e32 v1, v1, v5
	v_xor_b32_e32 v5, vcc_hi, v3
	v_xor_b32_e32 v3, vcc_lo, v3
	v_lshlrev_b32_e32 v49, 25, v0
	v_and_b32_e32 v2, v2, v3
	v_cmp_gt_i64_e32 vcc, 0, v[48:49]
	v_not_b32_e32 v3, v49
	v_lshlrev_b32_e32 v49, 24, v0
	v_ashrrev_i32_e32 v3, 31, v3
	v_not_b32_e32 v0, v49
	v_and_b32_e32 v1, v1, v5
	v_xor_b32_e32 v5, vcc_hi, v3
	v_xor_b32_e32 v3, vcc_lo, v3
	v_cmp_gt_i64_e32 vcc, 0, v[48:49]
	v_ashrrev_i32_e32 v0, 31, v0
	v_and_b32_e32 v2, v2, v3
	v_xor_b32_e32 v3, vcc_hi, v0
	v_xor_b32_e32 v0, vcc_lo, v0
	v_and_b32_e32 v1, v1, v5
	v_and_b32_e32 v0, v2, v0
	;; [unrolled: 1-line block ×3, first 2 shown]
	v_mbcnt_lo_u32_b32 v2, v0, 0
	v_mbcnt_hi_u32_b32 v5, v1, v2
	v_cmp_eq_u32_e32 vcc, 0, v5
	v_cmp_ne_u64_e64 s[4:5], 0, v[0:1]
	v_pk_mov_b32 v[50:51], v[14:15], v[14:15] op_sel:[0,1]
	v_pk_mov_b32 v[52:53], v[12:13], v[12:13] op_sel:[0,1]
	;; [unrolled: 1-line block ×13, first 2 shown]
	s_and_b64 s[60:61], s[4:5], vcc
	ds_write2_b32 v110, v48, v48 offset0:4 offset1:5
	ds_write2_b32 v69, v48, v48 offset0:2 offset1:3
	s_waitcnt lgkmcnt(0)
	s_barrier
	s_waitcnt lgkmcnt(0)
	; wave barrier
	s_and_saveexec_b64 s[4:5], s[60:61]
	s_cbranch_execz .LBB196_83
; %bb.82:                               ;   in Loop: Header=BB196_81 Depth=1
	v_bcnt_u32_b32 v0, v0, 0
	v_bcnt_u32_b32 v0, v1, v0
	ds_write_b32 v4, v0
.LBB196_83:                             ;   in Loop: Header=BB196_81 Depth=1
	s_or_b64 exec, exec, s[4:5]
	v_cmp_ne_u64_e32 vcc, s[50:51], v[62:63]
	v_cndmask_b32_e32 v1, v68, v63, vcc
	v_cndmask_b32_e32 v0, -1, v62, vcc
	v_lshrrev_b64 v[0:1], s52, v[0:1]
	v_and_b32_e32 v0, s59, v0
	v_lshlrev_b32_e32 v1, 2, v0
	v_add_lshl_u32 v1, v1, v70, 2
	; wave barrier
	v_add_u32_e32 v7, 16, v1
	ds_read_b32 v6, v1 offset:16
	v_and_b32_e32 v1, 1, v0
	v_add_co_u32_e32 v2, vcc, -1, v1
	v_addc_co_u32_e64 v3, s[4:5], 0, -1, vcc
	v_cmp_ne_u32_e32 vcc, 0, v1
	v_lshlrev_b32_e32 v49, 30, v0
	v_xor_b32_e32 v1, vcc_hi, v3
	v_not_b32_e32 v3, v49
	v_xor_b32_e32 v2, vcc_lo, v2
	v_cmp_gt_i64_e32 vcc, 0, v[48:49]
	v_ashrrev_i32_e32 v3, 31, v3
	v_and_b32_e32 v2, exec_lo, v2
	v_xor_b32_e32 v8, vcc_hi, v3
	v_xor_b32_e32 v3, vcc_lo, v3
	v_lshlrev_b32_e32 v49, 29, v0
	v_and_b32_e32 v2, v2, v3
	v_not_b32_e32 v3, v49
	v_and_b32_e32 v1, exec_hi, v1
	v_cmp_gt_i64_e32 vcc, 0, v[48:49]
	v_ashrrev_i32_e32 v3, 31, v3
	v_and_b32_e32 v1, v1, v8
	v_xor_b32_e32 v8, vcc_hi, v3
	v_xor_b32_e32 v3, vcc_lo, v3
	v_lshlrev_b32_e32 v49, 28, v0
	v_and_b32_e32 v2, v2, v3
	v_not_b32_e32 v3, v49
	v_cmp_gt_i64_e32 vcc, 0, v[48:49]
	v_ashrrev_i32_e32 v3, 31, v3
	v_and_b32_e32 v1, v1, v8
	v_xor_b32_e32 v8, vcc_hi, v3
	v_xor_b32_e32 v3, vcc_lo, v3
	v_lshlrev_b32_e32 v49, 27, v0
	v_and_b32_e32 v2, v2, v3
	v_not_b32_e32 v3, v49
	;; [unrolled: 8-line block ×3, first 2 shown]
	v_cmp_gt_i64_e32 vcc, 0, v[48:49]
	v_ashrrev_i32_e32 v3, 31, v3
	v_and_b32_e32 v1, v1, v8
	v_xor_b32_e32 v8, vcc_hi, v3
	v_xor_b32_e32 v3, vcc_lo, v3
	v_lshlrev_b32_e32 v49, 25, v0
	v_and_b32_e32 v2, v2, v3
	v_cmp_gt_i64_e32 vcc, 0, v[48:49]
	v_not_b32_e32 v3, v49
	v_lshlrev_b32_e32 v49, 24, v0
	v_ashrrev_i32_e32 v3, 31, v3
	v_not_b32_e32 v0, v49
	v_and_b32_e32 v1, v1, v8
	v_xor_b32_e32 v8, vcc_hi, v3
	v_xor_b32_e32 v3, vcc_lo, v3
	v_cmp_gt_i64_e32 vcc, 0, v[48:49]
	v_ashrrev_i32_e32 v0, 31, v0
	v_and_b32_e32 v2, v2, v3
	v_xor_b32_e32 v3, vcc_hi, v0
	v_xor_b32_e32 v0, vcc_lo, v0
	v_and_b32_e32 v1, v1, v8
	v_and_b32_e32 v0, v2, v0
	;; [unrolled: 1-line block ×3, first 2 shown]
	v_mbcnt_lo_u32_b32 v2, v0, 0
	v_mbcnt_hi_u32_b32 v8, v1, v2
	v_cmp_eq_u32_e32 vcc, 0, v8
	v_cmp_ne_u64_e64 s[4:5], 0, v[0:1]
	s_and_b64 s[60:61], s[4:5], vcc
	; wave barrier
	s_and_saveexec_b64 s[4:5], s[60:61]
	s_cbranch_execz .LBB196_85
; %bb.84:                               ;   in Loop: Header=BB196_81 Depth=1
	v_bcnt_u32_b32 v0, v0, 0
	v_bcnt_u32_b32 v0, v1, v0
	s_waitcnt lgkmcnt(0)
	v_add_u32_e32 v0, v6, v0
	ds_write_b32 v7, v0
.LBB196_85:                             ;   in Loop: Header=BB196_81 Depth=1
	s_or_b64 exec, exec, s[4:5]
	v_cmp_ne_u64_e32 vcc, s[50:51], v[60:61]
	v_cndmask_b32_e32 v1, v68, v61, vcc
	v_cndmask_b32_e32 v0, -1, v60, vcc
	v_lshrrev_b64 v[0:1], s52, v[0:1]
	v_and_b32_e32 v0, s59, v0
	v_lshlrev_b32_e32 v1, 2, v0
	v_add_lshl_u32 v1, v1, v70, 2
	; wave barrier
	v_add_u32_e32 v10, 16, v1
	ds_read_b32 v9, v1 offset:16
	v_and_b32_e32 v1, 1, v0
	v_add_co_u32_e32 v2, vcc, -1, v1
	v_addc_co_u32_e64 v3, s[4:5], 0, -1, vcc
	v_cmp_ne_u32_e32 vcc, 0, v1
	v_lshlrev_b32_e32 v49, 30, v0
	v_xor_b32_e32 v1, vcc_hi, v3
	v_not_b32_e32 v3, v49
	v_xor_b32_e32 v2, vcc_lo, v2
	v_cmp_gt_i64_e32 vcc, 0, v[48:49]
	v_ashrrev_i32_e32 v3, 31, v3
	v_and_b32_e32 v2, exec_lo, v2
	v_xor_b32_e32 v11, vcc_hi, v3
	v_xor_b32_e32 v3, vcc_lo, v3
	v_lshlrev_b32_e32 v49, 29, v0
	v_and_b32_e32 v2, v2, v3
	v_not_b32_e32 v3, v49
	v_and_b32_e32 v1, exec_hi, v1
	v_cmp_gt_i64_e32 vcc, 0, v[48:49]
	v_ashrrev_i32_e32 v3, 31, v3
	v_and_b32_e32 v1, v1, v11
	v_xor_b32_e32 v11, vcc_hi, v3
	v_xor_b32_e32 v3, vcc_lo, v3
	v_lshlrev_b32_e32 v49, 28, v0
	v_and_b32_e32 v2, v2, v3
	v_not_b32_e32 v3, v49
	v_cmp_gt_i64_e32 vcc, 0, v[48:49]
	v_ashrrev_i32_e32 v3, 31, v3
	v_and_b32_e32 v1, v1, v11
	v_xor_b32_e32 v11, vcc_hi, v3
	v_xor_b32_e32 v3, vcc_lo, v3
	v_lshlrev_b32_e32 v49, 27, v0
	v_and_b32_e32 v2, v2, v3
	v_not_b32_e32 v3, v49
	;; [unrolled: 8-line block ×3, first 2 shown]
	v_cmp_gt_i64_e32 vcc, 0, v[48:49]
	v_ashrrev_i32_e32 v3, 31, v3
	v_and_b32_e32 v1, v1, v11
	v_xor_b32_e32 v11, vcc_hi, v3
	v_xor_b32_e32 v3, vcc_lo, v3
	v_lshlrev_b32_e32 v49, 25, v0
	v_and_b32_e32 v2, v2, v3
	v_cmp_gt_i64_e32 vcc, 0, v[48:49]
	v_not_b32_e32 v3, v49
	v_lshlrev_b32_e32 v49, 24, v0
	v_ashrrev_i32_e32 v3, 31, v3
	v_not_b32_e32 v0, v49
	v_and_b32_e32 v1, v1, v11
	v_xor_b32_e32 v11, vcc_hi, v3
	v_xor_b32_e32 v3, vcc_lo, v3
	v_cmp_gt_i64_e32 vcc, 0, v[48:49]
	v_ashrrev_i32_e32 v0, 31, v0
	v_and_b32_e32 v2, v2, v3
	v_xor_b32_e32 v3, vcc_hi, v0
	v_xor_b32_e32 v0, vcc_lo, v0
	v_and_b32_e32 v1, v1, v11
	v_and_b32_e32 v0, v2, v0
	;; [unrolled: 1-line block ×3, first 2 shown]
	v_mbcnt_lo_u32_b32 v2, v0, 0
	v_mbcnt_hi_u32_b32 v11, v1, v2
	v_cmp_eq_u32_e32 vcc, 0, v11
	v_cmp_ne_u64_e64 s[4:5], 0, v[0:1]
	s_and_b64 s[60:61], s[4:5], vcc
	; wave barrier
	s_and_saveexec_b64 s[4:5], s[60:61]
	s_cbranch_execz .LBB196_87
; %bb.86:                               ;   in Loop: Header=BB196_81 Depth=1
	v_bcnt_u32_b32 v0, v0, 0
	v_bcnt_u32_b32 v0, v1, v0
	s_waitcnt lgkmcnt(0)
	v_add_u32_e32 v0, v9, v0
	ds_write_b32 v10, v0
.LBB196_87:                             ;   in Loop: Header=BB196_81 Depth=1
	s_or_b64 exec, exec, s[4:5]
	v_cmp_ne_u64_e32 vcc, s[50:51], v[58:59]
	v_cndmask_b32_e32 v1, v68, v59, vcc
	v_cndmask_b32_e32 v0, -1, v58, vcc
	v_lshrrev_b64 v[0:1], s52, v[0:1]
	v_and_b32_e32 v0, s59, v0
	v_lshlrev_b32_e32 v1, 2, v0
	v_add_lshl_u32 v1, v1, v70, 2
	; wave barrier
	v_add_u32_e32 v13, 16, v1
	ds_read_b32 v12, v1 offset:16
	v_and_b32_e32 v1, 1, v0
	v_add_co_u32_e32 v2, vcc, -1, v1
	v_addc_co_u32_e64 v3, s[4:5], 0, -1, vcc
	v_cmp_ne_u32_e32 vcc, 0, v1
	v_lshlrev_b32_e32 v49, 30, v0
	v_xor_b32_e32 v1, vcc_hi, v3
	v_not_b32_e32 v3, v49
	v_xor_b32_e32 v2, vcc_lo, v2
	v_cmp_gt_i64_e32 vcc, 0, v[48:49]
	v_ashrrev_i32_e32 v3, 31, v3
	v_and_b32_e32 v2, exec_lo, v2
	v_xor_b32_e32 v14, vcc_hi, v3
	v_xor_b32_e32 v3, vcc_lo, v3
	v_lshlrev_b32_e32 v49, 29, v0
	v_and_b32_e32 v2, v2, v3
	v_not_b32_e32 v3, v49
	v_and_b32_e32 v1, exec_hi, v1
	v_cmp_gt_i64_e32 vcc, 0, v[48:49]
	v_ashrrev_i32_e32 v3, 31, v3
	v_and_b32_e32 v1, v1, v14
	v_xor_b32_e32 v14, vcc_hi, v3
	v_xor_b32_e32 v3, vcc_lo, v3
	v_lshlrev_b32_e32 v49, 28, v0
	v_and_b32_e32 v2, v2, v3
	v_not_b32_e32 v3, v49
	v_cmp_gt_i64_e32 vcc, 0, v[48:49]
	v_ashrrev_i32_e32 v3, 31, v3
	v_and_b32_e32 v1, v1, v14
	v_xor_b32_e32 v14, vcc_hi, v3
	v_xor_b32_e32 v3, vcc_lo, v3
	v_lshlrev_b32_e32 v49, 27, v0
	v_and_b32_e32 v2, v2, v3
	v_not_b32_e32 v3, v49
	;; [unrolled: 8-line block ×3, first 2 shown]
	v_cmp_gt_i64_e32 vcc, 0, v[48:49]
	v_ashrrev_i32_e32 v3, 31, v3
	v_and_b32_e32 v1, v1, v14
	v_xor_b32_e32 v14, vcc_hi, v3
	v_xor_b32_e32 v3, vcc_lo, v3
	v_lshlrev_b32_e32 v49, 25, v0
	v_and_b32_e32 v2, v2, v3
	v_cmp_gt_i64_e32 vcc, 0, v[48:49]
	v_not_b32_e32 v3, v49
	v_lshlrev_b32_e32 v49, 24, v0
	v_ashrrev_i32_e32 v3, 31, v3
	v_not_b32_e32 v0, v49
	v_and_b32_e32 v1, v1, v14
	v_xor_b32_e32 v14, vcc_hi, v3
	v_xor_b32_e32 v3, vcc_lo, v3
	v_cmp_gt_i64_e32 vcc, 0, v[48:49]
	v_ashrrev_i32_e32 v0, 31, v0
	v_and_b32_e32 v2, v2, v3
	v_xor_b32_e32 v3, vcc_hi, v0
	v_xor_b32_e32 v0, vcc_lo, v0
	v_and_b32_e32 v1, v1, v14
	v_and_b32_e32 v0, v2, v0
	;; [unrolled: 1-line block ×3, first 2 shown]
	v_mbcnt_lo_u32_b32 v2, v0, 0
	v_mbcnt_hi_u32_b32 v14, v1, v2
	v_cmp_eq_u32_e32 vcc, 0, v14
	v_cmp_ne_u64_e64 s[4:5], 0, v[0:1]
	s_and_b64 s[60:61], s[4:5], vcc
	; wave barrier
	s_and_saveexec_b64 s[4:5], s[60:61]
	s_cbranch_execz .LBB196_89
; %bb.88:                               ;   in Loop: Header=BB196_81 Depth=1
	v_bcnt_u32_b32 v0, v0, 0
	v_bcnt_u32_b32 v0, v1, v0
	s_waitcnt lgkmcnt(0)
	v_add_u32_e32 v0, v12, v0
	ds_write_b32 v13, v0
.LBB196_89:                             ;   in Loop: Header=BB196_81 Depth=1
	s_or_b64 exec, exec, s[4:5]
	v_cmp_ne_u64_e32 vcc, s[50:51], v[56:57]
	v_cndmask_b32_e32 v1, v68, v57, vcc
	v_cndmask_b32_e32 v0, -1, v56, vcc
	v_lshrrev_b64 v[0:1], s52, v[0:1]
	v_and_b32_e32 v0, s59, v0
	v_lshlrev_b32_e32 v1, 2, v0
	v_add_lshl_u32 v1, v1, v70, 2
	; wave barrier
	v_add_u32_e32 v16, 16, v1
	ds_read_b32 v15, v1 offset:16
	v_and_b32_e32 v1, 1, v0
	v_add_co_u32_e32 v2, vcc, -1, v1
	v_addc_co_u32_e64 v3, s[4:5], 0, -1, vcc
	v_cmp_ne_u32_e32 vcc, 0, v1
	v_lshlrev_b32_e32 v49, 30, v0
	v_xor_b32_e32 v1, vcc_hi, v3
	v_not_b32_e32 v3, v49
	v_xor_b32_e32 v2, vcc_lo, v2
	v_cmp_gt_i64_e32 vcc, 0, v[48:49]
	v_ashrrev_i32_e32 v3, 31, v3
	v_and_b32_e32 v2, exec_lo, v2
	v_xor_b32_e32 v17, vcc_hi, v3
	v_xor_b32_e32 v3, vcc_lo, v3
	v_lshlrev_b32_e32 v49, 29, v0
	v_and_b32_e32 v2, v2, v3
	v_not_b32_e32 v3, v49
	v_and_b32_e32 v1, exec_hi, v1
	v_cmp_gt_i64_e32 vcc, 0, v[48:49]
	v_ashrrev_i32_e32 v3, 31, v3
	v_and_b32_e32 v1, v1, v17
	v_xor_b32_e32 v17, vcc_hi, v3
	v_xor_b32_e32 v3, vcc_lo, v3
	v_lshlrev_b32_e32 v49, 28, v0
	v_and_b32_e32 v2, v2, v3
	v_not_b32_e32 v3, v49
	v_cmp_gt_i64_e32 vcc, 0, v[48:49]
	v_ashrrev_i32_e32 v3, 31, v3
	v_and_b32_e32 v1, v1, v17
	v_xor_b32_e32 v17, vcc_hi, v3
	v_xor_b32_e32 v3, vcc_lo, v3
	v_lshlrev_b32_e32 v49, 27, v0
	v_and_b32_e32 v2, v2, v3
	v_not_b32_e32 v3, v49
	;; [unrolled: 8-line block ×3, first 2 shown]
	v_cmp_gt_i64_e32 vcc, 0, v[48:49]
	v_ashrrev_i32_e32 v3, 31, v3
	v_and_b32_e32 v1, v1, v17
	v_xor_b32_e32 v17, vcc_hi, v3
	v_xor_b32_e32 v3, vcc_lo, v3
	v_lshlrev_b32_e32 v49, 25, v0
	v_and_b32_e32 v2, v2, v3
	v_cmp_gt_i64_e32 vcc, 0, v[48:49]
	v_not_b32_e32 v3, v49
	v_lshlrev_b32_e32 v49, 24, v0
	v_ashrrev_i32_e32 v3, 31, v3
	v_not_b32_e32 v0, v49
	v_and_b32_e32 v1, v1, v17
	v_xor_b32_e32 v17, vcc_hi, v3
	v_xor_b32_e32 v3, vcc_lo, v3
	v_cmp_gt_i64_e32 vcc, 0, v[48:49]
	v_ashrrev_i32_e32 v0, 31, v0
	v_and_b32_e32 v2, v2, v3
	v_xor_b32_e32 v3, vcc_hi, v0
	v_xor_b32_e32 v0, vcc_lo, v0
	v_and_b32_e32 v1, v1, v17
	v_and_b32_e32 v0, v2, v0
	;; [unrolled: 1-line block ×3, first 2 shown]
	v_mbcnt_lo_u32_b32 v2, v0, 0
	v_mbcnt_hi_u32_b32 v17, v1, v2
	v_cmp_eq_u32_e32 vcc, 0, v17
	v_cmp_ne_u64_e64 s[4:5], 0, v[0:1]
	s_and_b64 s[60:61], s[4:5], vcc
	; wave barrier
	s_and_saveexec_b64 s[4:5], s[60:61]
	s_cbranch_execz .LBB196_91
; %bb.90:                               ;   in Loop: Header=BB196_81 Depth=1
	v_bcnt_u32_b32 v0, v0, 0
	v_bcnt_u32_b32 v0, v1, v0
	s_waitcnt lgkmcnt(0)
	v_add_u32_e32 v0, v15, v0
	ds_write_b32 v16, v0
.LBB196_91:                             ;   in Loop: Header=BB196_81 Depth=1
	s_or_b64 exec, exec, s[4:5]
	v_cmp_ne_u64_e32 vcc, s[50:51], v[54:55]
	v_cndmask_b32_e32 v1, v68, v55, vcc
	v_cndmask_b32_e32 v0, -1, v54, vcc
	v_lshrrev_b64 v[0:1], s52, v[0:1]
	v_and_b32_e32 v0, s59, v0
	v_lshlrev_b32_e32 v1, 2, v0
	v_add_lshl_u32 v1, v1, v70, 2
	; wave barrier
	v_add_u32_e32 v19, 16, v1
	ds_read_b32 v18, v1 offset:16
	v_and_b32_e32 v1, 1, v0
	v_add_co_u32_e32 v2, vcc, -1, v1
	v_addc_co_u32_e64 v3, s[4:5], 0, -1, vcc
	v_cmp_ne_u32_e32 vcc, 0, v1
	v_lshlrev_b32_e32 v49, 30, v0
	v_xor_b32_e32 v1, vcc_hi, v3
	v_not_b32_e32 v3, v49
	v_xor_b32_e32 v2, vcc_lo, v2
	v_cmp_gt_i64_e32 vcc, 0, v[48:49]
	v_ashrrev_i32_e32 v3, 31, v3
	v_and_b32_e32 v2, exec_lo, v2
	v_xor_b32_e32 v20, vcc_hi, v3
	v_xor_b32_e32 v3, vcc_lo, v3
	v_lshlrev_b32_e32 v49, 29, v0
	v_and_b32_e32 v2, v2, v3
	v_not_b32_e32 v3, v49
	v_and_b32_e32 v1, exec_hi, v1
	v_cmp_gt_i64_e32 vcc, 0, v[48:49]
	v_ashrrev_i32_e32 v3, 31, v3
	v_and_b32_e32 v1, v1, v20
	v_xor_b32_e32 v20, vcc_hi, v3
	v_xor_b32_e32 v3, vcc_lo, v3
	v_lshlrev_b32_e32 v49, 28, v0
	v_and_b32_e32 v2, v2, v3
	v_not_b32_e32 v3, v49
	v_cmp_gt_i64_e32 vcc, 0, v[48:49]
	v_ashrrev_i32_e32 v3, 31, v3
	v_and_b32_e32 v1, v1, v20
	v_xor_b32_e32 v20, vcc_hi, v3
	v_xor_b32_e32 v3, vcc_lo, v3
	v_lshlrev_b32_e32 v49, 27, v0
	v_and_b32_e32 v2, v2, v3
	v_not_b32_e32 v3, v49
	;; [unrolled: 8-line block ×3, first 2 shown]
	v_cmp_gt_i64_e32 vcc, 0, v[48:49]
	v_ashrrev_i32_e32 v3, 31, v3
	v_and_b32_e32 v1, v1, v20
	v_xor_b32_e32 v20, vcc_hi, v3
	v_xor_b32_e32 v3, vcc_lo, v3
	v_lshlrev_b32_e32 v49, 25, v0
	v_and_b32_e32 v2, v2, v3
	v_cmp_gt_i64_e32 vcc, 0, v[48:49]
	v_not_b32_e32 v3, v49
	v_lshlrev_b32_e32 v49, 24, v0
	v_ashrrev_i32_e32 v3, 31, v3
	v_not_b32_e32 v0, v49
	v_and_b32_e32 v1, v1, v20
	v_xor_b32_e32 v20, vcc_hi, v3
	v_xor_b32_e32 v3, vcc_lo, v3
	v_cmp_gt_i64_e32 vcc, 0, v[48:49]
	v_ashrrev_i32_e32 v0, 31, v0
	v_and_b32_e32 v2, v2, v3
	v_xor_b32_e32 v3, vcc_hi, v0
	v_xor_b32_e32 v0, vcc_lo, v0
	v_and_b32_e32 v1, v1, v20
	v_and_b32_e32 v0, v2, v0
	;; [unrolled: 1-line block ×3, first 2 shown]
	v_mbcnt_lo_u32_b32 v2, v0, 0
	v_mbcnt_hi_u32_b32 v20, v1, v2
	v_cmp_eq_u32_e32 vcc, 0, v20
	v_cmp_ne_u64_e64 s[4:5], 0, v[0:1]
	s_and_b64 s[60:61], s[4:5], vcc
	; wave barrier
	s_and_saveexec_b64 s[4:5], s[60:61]
	s_cbranch_execz .LBB196_93
; %bb.92:                               ;   in Loop: Header=BB196_81 Depth=1
	v_bcnt_u32_b32 v0, v0, 0
	v_bcnt_u32_b32 v0, v1, v0
	s_waitcnt lgkmcnt(0)
	v_add_u32_e32 v0, v18, v0
	ds_write_b32 v19, v0
.LBB196_93:                             ;   in Loop: Header=BB196_81 Depth=1
	s_or_b64 exec, exec, s[4:5]
	v_cmp_ne_u64_e32 vcc, s[50:51], v[52:53]
	v_cndmask_b32_e32 v1, v68, v53, vcc
	v_cndmask_b32_e32 v0, -1, v52, vcc
	v_lshrrev_b64 v[0:1], s52, v[0:1]
	v_and_b32_e32 v0, s59, v0
	v_lshlrev_b32_e32 v1, 2, v0
	v_add_lshl_u32 v1, v1, v70, 2
	; wave barrier
	v_add_u32_e32 v22, 16, v1
	ds_read_b32 v21, v1 offset:16
	v_and_b32_e32 v1, 1, v0
	v_add_co_u32_e32 v2, vcc, -1, v1
	v_addc_co_u32_e64 v3, s[4:5], 0, -1, vcc
	v_cmp_ne_u32_e32 vcc, 0, v1
	v_lshlrev_b32_e32 v49, 30, v0
	v_xor_b32_e32 v1, vcc_hi, v3
	v_not_b32_e32 v3, v49
	v_xor_b32_e32 v2, vcc_lo, v2
	v_cmp_gt_i64_e32 vcc, 0, v[48:49]
	v_ashrrev_i32_e32 v3, 31, v3
	v_and_b32_e32 v2, exec_lo, v2
	v_xor_b32_e32 v23, vcc_hi, v3
	v_xor_b32_e32 v3, vcc_lo, v3
	v_lshlrev_b32_e32 v49, 29, v0
	v_and_b32_e32 v2, v2, v3
	v_not_b32_e32 v3, v49
	v_and_b32_e32 v1, exec_hi, v1
	v_cmp_gt_i64_e32 vcc, 0, v[48:49]
	v_ashrrev_i32_e32 v3, 31, v3
	v_and_b32_e32 v1, v1, v23
	v_xor_b32_e32 v23, vcc_hi, v3
	v_xor_b32_e32 v3, vcc_lo, v3
	v_lshlrev_b32_e32 v49, 28, v0
	v_and_b32_e32 v2, v2, v3
	v_not_b32_e32 v3, v49
	v_cmp_gt_i64_e32 vcc, 0, v[48:49]
	v_ashrrev_i32_e32 v3, 31, v3
	v_and_b32_e32 v1, v1, v23
	v_xor_b32_e32 v23, vcc_hi, v3
	v_xor_b32_e32 v3, vcc_lo, v3
	v_lshlrev_b32_e32 v49, 27, v0
	v_and_b32_e32 v2, v2, v3
	v_not_b32_e32 v3, v49
	;; [unrolled: 8-line block ×3, first 2 shown]
	v_cmp_gt_i64_e32 vcc, 0, v[48:49]
	v_ashrrev_i32_e32 v3, 31, v3
	v_and_b32_e32 v1, v1, v23
	v_xor_b32_e32 v23, vcc_hi, v3
	v_xor_b32_e32 v3, vcc_lo, v3
	v_lshlrev_b32_e32 v49, 25, v0
	v_and_b32_e32 v2, v2, v3
	v_cmp_gt_i64_e32 vcc, 0, v[48:49]
	v_not_b32_e32 v3, v49
	v_lshlrev_b32_e32 v49, 24, v0
	v_ashrrev_i32_e32 v3, 31, v3
	v_not_b32_e32 v0, v49
	v_and_b32_e32 v1, v1, v23
	v_xor_b32_e32 v23, vcc_hi, v3
	v_xor_b32_e32 v3, vcc_lo, v3
	v_cmp_gt_i64_e32 vcc, 0, v[48:49]
	v_ashrrev_i32_e32 v0, 31, v0
	v_and_b32_e32 v2, v2, v3
	v_xor_b32_e32 v3, vcc_hi, v0
	v_xor_b32_e32 v0, vcc_lo, v0
	v_and_b32_e32 v1, v1, v23
	v_and_b32_e32 v0, v2, v0
	;; [unrolled: 1-line block ×3, first 2 shown]
	v_mbcnt_lo_u32_b32 v2, v0, 0
	v_mbcnt_hi_u32_b32 v23, v1, v2
	v_cmp_eq_u32_e32 vcc, 0, v23
	v_cmp_ne_u64_e64 s[4:5], 0, v[0:1]
	s_and_b64 s[60:61], s[4:5], vcc
	; wave barrier
	s_and_saveexec_b64 s[4:5], s[60:61]
	s_cbranch_execz .LBB196_95
; %bb.94:                               ;   in Loop: Header=BB196_81 Depth=1
	v_bcnt_u32_b32 v0, v0, 0
	v_bcnt_u32_b32 v0, v1, v0
	s_waitcnt lgkmcnt(0)
	v_add_u32_e32 v0, v21, v0
	ds_write_b32 v22, v0
.LBB196_95:                             ;   in Loop: Header=BB196_81 Depth=1
	s_or_b64 exec, exec, s[4:5]
	v_cmp_ne_u64_e32 vcc, s[50:51], v[50:51]
	v_cndmask_b32_e32 v1, v68, v51, vcc
	v_cndmask_b32_e32 v0, -1, v50, vcc
	v_lshrrev_b64 v[0:1], s52, v[0:1]
	v_and_b32_e32 v0, s59, v0
	v_lshlrev_b32_e32 v1, 2, v0
	v_add_lshl_u32 v1, v1, v70, 2
	; wave barrier
	v_add_u32_e32 v25, 16, v1
	ds_read_b32 v24, v1 offset:16
	v_and_b32_e32 v1, 1, v0
	v_add_co_u32_e32 v2, vcc, -1, v1
	v_addc_co_u32_e64 v3, s[4:5], 0, -1, vcc
	v_cmp_ne_u32_e32 vcc, 0, v1
	v_lshlrev_b32_e32 v49, 30, v0
	v_xor_b32_e32 v1, vcc_hi, v3
	v_not_b32_e32 v3, v49
	v_xor_b32_e32 v2, vcc_lo, v2
	v_cmp_gt_i64_e32 vcc, 0, v[48:49]
	v_ashrrev_i32_e32 v3, 31, v3
	v_and_b32_e32 v2, exec_lo, v2
	v_xor_b32_e32 v26, vcc_hi, v3
	v_xor_b32_e32 v3, vcc_lo, v3
	v_lshlrev_b32_e32 v49, 29, v0
	v_and_b32_e32 v2, v2, v3
	v_not_b32_e32 v3, v49
	v_and_b32_e32 v1, exec_hi, v1
	v_cmp_gt_i64_e32 vcc, 0, v[48:49]
	v_ashrrev_i32_e32 v3, 31, v3
	v_and_b32_e32 v1, v1, v26
	v_xor_b32_e32 v26, vcc_hi, v3
	v_xor_b32_e32 v3, vcc_lo, v3
	v_lshlrev_b32_e32 v49, 28, v0
	v_and_b32_e32 v2, v2, v3
	v_not_b32_e32 v3, v49
	v_cmp_gt_i64_e32 vcc, 0, v[48:49]
	v_ashrrev_i32_e32 v3, 31, v3
	v_and_b32_e32 v1, v1, v26
	v_xor_b32_e32 v26, vcc_hi, v3
	v_xor_b32_e32 v3, vcc_lo, v3
	v_lshlrev_b32_e32 v49, 27, v0
	v_and_b32_e32 v2, v2, v3
	v_not_b32_e32 v3, v49
	v_cmp_gt_i64_e32 vcc, 0, v[48:49]
	v_ashrrev_i32_e32 v3, 31, v3
	v_and_b32_e32 v1, v1, v26
	v_xor_b32_e32 v26, vcc_hi, v3
	v_xor_b32_e32 v3, vcc_lo, v3
	v_lshlrev_b32_e32 v49, 26, v0
	v_and_b32_e32 v2, v2, v3
	v_not_b32_e32 v3, v49
	v_cmp_gt_i64_e32 vcc, 0, v[48:49]
	v_ashrrev_i32_e32 v3, 31, v3
	v_and_b32_e32 v1, v1, v26
	v_xor_b32_e32 v26, vcc_hi, v3
	v_xor_b32_e32 v3, vcc_lo, v3
	v_lshlrev_b32_e32 v49, 25, v0
	v_and_b32_e32 v2, v2, v3
	v_cmp_gt_i64_e32 vcc, 0, v[48:49]
	v_not_b32_e32 v3, v49
	v_lshlrev_b32_e32 v49, 24, v0
	v_ashrrev_i32_e32 v3, 31, v3
	v_not_b32_e32 v0, v49
	v_and_b32_e32 v1, v1, v26
	v_xor_b32_e32 v26, vcc_hi, v3
	v_xor_b32_e32 v3, vcc_lo, v3
	v_cmp_gt_i64_e32 vcc, 0, v[48:49]
	v_ashrrev_i32_e32 v0, 31, v0
	v_and_b32_e32 v2, v2, v3
	v_xor_b32_e32 v3, vcc_hi, v0
	v_xor_b32_e32 v0, vcc_lo, v0
	v_and_b32_e32 v1, v1, v26
	v_and_b32_e32 v0, v2, v0
	;; [unrolled: 1-line block ×3, first 2 shown]
	v_mbcnt_lo_u32_b32 v2, v0, 0
	v_mbcnt_hi_u32_b32 v26, v1, v2
	v_cmp_eq_u32_e32 vcc, 0, v26
	v_cmp_ne_u64_e64 s[4:5], 0, v[0:1]
	s_and_b64 s[60:61], s[4:5], vcc
	; wave barrier
	s_and_saveexec_b64 s[4:5], s[60:61]
	s_cbranch_execz .LBB196_97
; %bb.96:                               ;   in Loop: Header=BB196_81 Depth=1
	v_bcnt_u32_b32 v0, v0, 0
	v_bcnt_u32_b32 v0, v1, v0
	s_waitcnt lgkmcnt(0)
	v_add_u32_e32 v0, v24, v0
	ds_write_b32 v25, v0
.LBB196_97:                             ;   in Loop: Header=BB196_81 Depth=1
	s_or_b64 exec, exec, s[4:5]
	; wave barrier
	s_waitcnt lgkmcnt(0)
	s_barrier
	ds_read2_b32 v[2:3], v110 offset0:4 offset1:5
	ds_read2_b32 v[0:1], v69 offset0:2 offset1:3
	s_waitcnt lgkmcnt(1)
	v_add_u32_e32 v27, v3, v2
	s_waitcnt lgkmcnt(0)
	v_add3_u32 v1, v27, v0, v1
	s_nop 1
	v_mov_b32_dpp v27, v1 row_shr:1 row_mask:0xf bank_mask:0xf
	v_cndmask_b32_e64 v27, v27, 0, s[16:17]
	v_add_u32_e32 v1, v27, v1
	s_nop 1
	v_mov_b32_dpp v27, v1 row_shr:2 row_mask:0xf bank_mask:0xf
	v_cndmask_b32_e64 v27, 0, v27, s[18:19]
	v_add_u32_e32 v1, v1, v27
	;; [unrolled: 4-line block ×4, first 2 shown]
	s_nop 1
	v_mov_b32_dpp v27, v1 row_bcast:15 row_mask:0xf bank_mask:0xf
	v_cndmask_b32_e64 v27, v27, 0, s[24:25]
	v_add_u32_e32 v1, v1, v27
	s_nop 1
	v_mov_b32_dpp v27, v1 row_bcast:31 row_mask:0xf bank_mask:0xf
	v_cndmask_b32_e64 v27, 0, v27, s[26:27]
	v_add_u32_e32 v1, v1, v27
	s_and_saveexec_b64 s[4:5], s[28:29]
	s_cbranch_execz .LBB196_99
; %bb.98:                               ;   in Loop: Header=BB196_81 Depth=1
	ds_write_b32 v72, v1
.LBB196_99:                             ;   in Loop: Header=BB196_81 Depth=1
	s_or_b64 exec, exec, s[4:5]
	s_waitcnt lgkmcnt(0)
	s_barrier
	s_and_saveexec_b64 s[4:5], s[30:31]
	s_cbranch_execz .LBB196_101
; %bb.100:                              ;   in Loop: Header=BB196_81 Depth=1
	ds_read_b32 v27, v109
	s_waitcnt lgkmcnt(0)
	s_nop 0
	v_mov_b32_dpp v28, v27 row_shr:1 row_mask:0xf bank_mask:0xf
	v_cndmask_b32_e64 v28, v28, 0, s[40:41]
	v_add_u32_e32 v27, v28, v27
	s_nop 1
	v_mov_b32_dpp v28, v27 row_shr:2 row_mask:0xf bank_mask:0xf
	v_cndmask_b32_e64 v28, 0, v28, s[42:43]
	v_add_u32_e32 v27, v27, v28
	ds_write_b32 v109, v27
.LBB196_101:                            ;   in Loop: Header=BB196_81 Depth=1
	s_or_b64 exec, exec, s[4:5]
	v_mov_b32_e32 v27, 0
	s_waitcnt lgkmcnt(0)
	s_barrier
	s_and_saveexec_b64 s[4:5], s[34:35]
	s_cbranch_execz .LBB196_103
; %bb.102:                              ;   in Loop: Header=BB196_81 Depth=1
	ds_read_b32 v27, v73
.LBB196_103:                            ;   in Loop: Header=BB196_81 Depth=1
	s_or_b64 exec, exec, s[4:5]
	s_waitcnt lgkmcnt(0)
	v_add_u32_e32 v1, v27, v1
	ds_bpermute_b32 v1, v71, v1
	s_cmp_gt_u32 s52, 55
	s_waitcnt lgkmcnt(0)
	v_cndmask_b32_e64 v1, v1, v27, s[36:37]
	v_cndmask_b32_e64 v1, v1, 0, s[38:39]
	v_add_u32_e32 v2, v1, v2
	v_add_u32_e32 v3, v2, v3
	;; [unrolled: 1-line block ×3, first 2 shown]
	ds_write2_b32 v110, v1, v2 offset0:4 offset1:5
	ds_write2_b32 v69, v3, v0 offset0:2 offset1:3
	s_waitcnt lgkmcnt(0)
	s_barrier
	ds_read_b32 v0, v4
	ds_read_b32 v1, v7
	;; [unrolled: 1-line block ×8, first 2 shown]
	s_waitcnt lgkmcnt(7)
	v_add_u32_e32 v81, v0, v5
	s_waitcnt lgkmcnt(6)
	v_add3_u32 v80, v8, v6, v1
	s_waitcnt lgkmcnt(5)
	v_add3_u32 v79, v11, v9, v2
	;; [unrolled: 2-line block ×7, first 2 shown]
	s_cbranch_scc0 .LBB196_80
; %bb.104:
                                        ; implicit-def: $vgpr14_vgpr15
                                        ; implicit-def: $vgpr10_vgpr11
                                        ; implicit-def: $vgpr6_vgpr7
                                        ; implicit-def: $vgpr2_vgpr3
                                        ; implicit-def: $vgpr30_vgpr31
                                        ; implicit-def: $vgpr26_vgpr27
                                        ; implicit-def: $vgpr22_vgpr23
                                        ; implicit-def: $vgpr18_vgpr19
                                        ; implicit-def: $sgpr52_sgpr53
                                        ; implicit-def: $sgpr55
.LBB196_105:
	v_lshlrev_b32_e32 v16, 3, v81
	v_lshlrev_b32_e32 v17, 3, v80
	;; [unrolled: 1-line block ×9, first 2 shown]
	s_barrier
	ds_write_b64 v16, v[64:65]
	ds_write_b64 v17, v[62:63]
	;; [unrolled: 1-line block ×8, first 2 shown]
	s_waitcnt lgkmcnt(0)
	s_barrier
	ds_read2_b64 v[0:3], v24 offset1:1
	ds_read2_b64 v[4:7], v24 offset0:2 offset1:3
	ds_read2_b64 v[8:11], v24 offset0:4 offset1:5
	;; [unrolled: 1-line block ×3, first 2 shown]
	s_waitcnt lgkmcnt(0)
	s_barrier
	ds_write_b64 v16, v[46:47]
	ds_write_b64 v17, v[44:45]
	;; [unrolled: 1-line block ×8, first 2 shown]
	v_ashrrev_i32_e32 v18, 31, v1
	v_not_b32_e32 v18, v18
	v_cmp_gt_i64_e32 vcc, 0, v[0:1]
	v_xor_b32_e32 v0, v18, v0
	v_ashrrev_i32_e32 v18, 31, v3
	v_bfrev_b32_e32 v16, -2
	v_not_b32_e32 v18, v18
	v_cndmask_b32_e64 v17, v16, 0, vcc
	v_cmp_gt_i64_e32 vcc, 0, v[2:3]
	v_xor_b32_e32 v2, v18, v2
	v_ashrrev_i32_e32 v18, 31, v5
	v_not_b32_e32 v18, v18
	v_xor_b32_e32 v1, v17, v1
	v_cndmask_b32_e64 v17, v16, 0, vcc
	v_cmp_gt_i64_e32 vcc, 0, v[4:5]
	v_xor_b32_e32 v4, v18, v4
	v_ashrrev_i32_e32 v18, 31, v7
	s_waitcnt lgkmcnt(0)
	s_barrier
	ds_read2_b64 v[50:53], v24 offset1:1
	ds_read2_b64 v[54:57], v24 offset0:2 offset1:3
	ds_read2_b64 v[58:61], v24 offset0:4 offset1:5
	;; [unrolled: 1-line block ×3, first 2 shown]
	v_xor_b32_e32 v3, v17, v3
	v_cndmask_b32_e64 v17, v16, 0, vcc
	v_cmp_gt_i64_e32 vcc, 0, v[6:7]
	v_not_b32_e32 v18, v18
	v_xor_b32_e32 v5, v17, v5
	v_cndmask_b32_e64 v17, v16, 0, vcc
	v_xor_b32_e32 v6, v18, v6
	v_cmp_gt_i64_e32 vcc, 0, v[8:9]
	v_ashrrev_i32_e32 v18, 31, v9
	v_xor_b32_e32 v7, v17, v7
	v_cndmask_b32_e64 v17, v16, 0, vcc
	v_not_b32_e32 v18, v18
	v_cmp_gt_i64_e32 vcc, 0, v[10:11]
	v_xor_b32_e32 v9, v17, v9
	v_xor_b32_e32 v8, v18, v8
	v_cndmask_b32_e64 v17, v16, 0, vcc
	v_ashrrev_i32_e32 v18, 31, v11
	v_cmp_gt_i64_e32 vcc, 0, v[12:13]
	v_not_b32_e32 v18, v18
	v_xor_b32_e32 v11, v17, v11
	v_cndmask_b32_e64 v17, v16, 0, vcc
	v_xor_b32_e32 v10, v18, v10
	v_ashrrev_i32_e32 v18, 31, v13
	v_xor_b32_e32 v13, v17, v13
	v_cmp_gt_i64_e32 vcc, 0, v[14:15]
	v_ashrrev_i32_e32 v17, 31, v15
	v_not_b32_e32 v18, v18
	v_cndmask_b32_e64 v16, v16, 0, vcc
	v_not_b32_e32 v17, v17
	v_xor_b32_e32 v12, v18, v12
	v_xor_b32_e32 v15, v16, v15
	;; [unrolled: 1-line block ×3, first 2 shown]
.LBB196_106:
	s_waitcnt lgkmcnt(0)
	s_barrier
	ds_write2_b64 v107, v[0:1], v[2:3] offset1:1
	ds_write2_b64 v107, v[4:5], v[6:7] offset0:2 offset1:3
	ds_write2_b64 v107, v[8:9], v[10:11] offset0:4 offset1:5
	;; [unrolled: 1-line block ×3, first 2 shown]
	s_waitcnt lgkmcnt(0)
	s_barrier
	ds_read_b64 v[14:15], v100 offset:2048
	ds_read_b64 v[12:13], v101 offset:4096
	;; [unrolled: 1-line block ×7, first 2 shown]
	v_mad_u64_u32 v[4:5], s[4:5], v66, s46, 0
	v_mov_b32_e32 v16, v5
	v_mad_u64_u32 v[16:17], s[4:5], v66, s47, v[16:17]
	v_mov_b32_e32 v5, v16
	v_lshlrev_b64 v[4:5], 3, v[4:5]
	v_mov_b32_e32 v16, s56
	v_add_co_u32_e32 v4, vcc, s33, v4
	v_addc_co_u32_e32 v5, vcc, v16, v5, vcc
	s_and_saveexec_b64 s[4:5], s[0:1]
	s_cbranch_execnz .LBB196_125
; %bb.107:
	s_or_b64 exec, exec, s[4:5]
	s_and_saveexec_b64 s[4:5], s[2:3]
	s_cbranch_execnz .LBB196_126
.LBB196_108:
	s_or_b64 exec, exec, s[4:5]
	s_and_saveexec_b64 s[4:5], s[44:45]
	s_cbranch_execnz .LBB196_127
.LBB196_109:
	s_or_b64 exec, exec, s[4:5]
	s_and_saveexec_b64 s[4:5], s[6:7]
	s_cbranch_execnz .LBB196_128
.LBB196_110:
	s_or_b64 exec, exec, s[4:5]
	s_and_saveexec_b64 s[4:5], s[8:9]
	s_cbranch_execnz .LBB196_129
.LBB196_111:
	s_or_b64 exec, exec, s[4:5]
	s_and_saveexec_b64 s[4:5], s[10:11]
	s_cbranch_execnz .LBB196_130
.LBB196_112:
	s_or_b64 exec, exec, s[4:5]
	s_and_saveexec_b64 s[4:5], s[12:13]
	s_cbranch_execnz .LBB196_131
.LBB196_113:
	s_or_b64 exec, exec, s[4:5]
	s_and_saveexec_b64 s[4:5], s[14:15]
	s_cbranch_execz .LBB196_115
.LBB196_114:
	s_waitcnt lgkmcnt(1)
	v_mov_b32_e32 v2, 0x3800
	v_mad_u64_u32 v[2:3], s[16:17], s46, v2, v[4:5]
	s_mul_i32 s16, s47, 0x3800
	v_add_u32_e32 v3, s16, v3
	s_waitcnt lgkmcnt(0)
	global_store_dwordx2 v[2:3], v[0:1], off
.LBB196_115:
	s_or_b64 exec, exec, s[4:5]
	s_waitcnt lgkmcnt(0)
	s_barrier
	ds_write2_b64 v107, v[50:51], v[52:53] offset1:1
	ds_write2_b64 v107, v[54:55], v[56:57] offset0:2 offset1:3
	ds_write2_b64 v107, v[58:59], v[60:61] offset0:4 offset1:5
	;; [unrolled: 1-line block ×3, first 2 shown]
	s_waitcnt lgkmcnt(0)
	s_barrier
	ds_read_b64 v[14:15], v100 offset:2048
	ds_read_b64 v[12:13], v101 offset:4096
	;; [unrolled: 1-line block ×7, first 2 shown]
	v_mad_u64_u32 v[4:5], s[4:5], v66, s48, 0
	v_mov_b32_e32 v16, v5
	v_mad_u64_u32 v[16:17], s[4:5], v66, s49, v[16:17]
	v_mov_b32_e32 v5, v16
	v_lshlrev_b64 v[4:5], 3, v[4:5]
	v_mov_b32_e32 v16, s58
	v_add_co_u32_e32 v4, vcc, s57, v4
	v_addc_co_u32_e32 v5, vcc, v16, v5, vcc
	s_and_saveexec_b64 s[4:5], s[0:1]
	s_cbranch_execnz .LBB196_132
; %bb.116:
	s_or_b64 exec, exec, s[4:5]
	s_and_saveexec_b64 s[0:1], s[2:3]
	s_cbranch_execnz .LBB196_133
.LBB196_117:
	s_or_b64 exec, exec, s[0:1]
	s_and_saveexec_b64 s[0:1], s[44:45]
	s_cbranch_execnz .LBB196_134
.LBB196_118:
	s_or_b64 exec, exec, s[0:1]
	s_and_saveexec_b64 s[0:1], s[6:7]
	s_cbranch_execnz .LBB196_135
.LBB196_119:
	s_or_b64 exec, exec, s[0:1]
	s_and_saveexec_b64 s[0:1], s[8:9]
	s_cbranch_execnz .LBB196_136
.LBB196_120:
	s_or_b64 exec, exec, s[0:1]
	s_and_saveexec_b64 s[0:1], s[10:11]
	s_cbranch_execnz .LBB196_137
.LBB196_121:
	s_or_b64 exec, exec, s[0:1]
	s_and_saveexec_b64 s[0:1], s[12:13]
	s_cbranch_execnz .LBB196_138
.LBB196_122:
	s_or_b64 exec, exec, s[0:1]
	s_and_saveexec_b64 s[0:1], s[14:15]
	s_cbranch_execz .LBB196_124
.LBB196_123:
	s_waitcnt lgkmcnt(1)
	v_mov_b32_e32 v2, 0x3800
	v_mad_u64_u32 v[2:3], s[0:1], s48, v2, v[4:5]
	s_mul_i32 s0, s49, 0x3800
	v_add_u32_e32 v3, s0, v3
	s_waitcnt lgkmcnt(0)
	global_store_dwordx2 v[2:3], v[0:1], off
.LBB196_124:
	s_endpgm
.LBB196_125:
	ds_read_b64 v[16:17], v67
	s_waitcnt lgkmcnt(0)
	global_store_dwordx2 v[4:5], v[16:17], off
	s_or_b64 exec, exec, s[4:5]
	s_and_saveexec_b64 s[4:5], s[2:3]
	s_cbranch_execz .LBB196_108
.LBB196_126:
	s_lshl_b64 s[16:17], s[46:47], 11
	v_mov_b32_e32 v17, s17
	v_add_co_u32_e32 v16, vcc, s16, v4
	v_addc_co_u32_e32 v17, vcc, v5, v17, vcc
	s_waitcnt lgkmcnt(6)
	global_store_dwordx2 v[16:17], v[14:15], off
	s_or_b64 exec, exec, s[4:5]
	s_and_saveexec_b64 s[4:5], s[44:45]
	s_cbranch_execz .LBB196_109
.LBB196_127:
	s_lshl_b64 s[16:17], s[46:47], 12
	s_waitcnt lgkmcnt(6)
	v_mov_b32_e32 v15, s17
	v_add_co_u32_e32 v14, vcc, s16, v4
	v_addc_co_u32_e32 v15, vcc, v5, v15, vcc
	s_waitcnt lgkmcnt(5)
	global_store_dwordx2 v[14:15], v[12:13], off
	s_or_b64 exec, exec, s[4:5]
	s_and_saveexec_b64 s[4:5], s[6:7]
	s_cbranch_execz .LBB196_110
.LBB196_128:
	s_waitcnt lgkmcnt(5)
	v_mov_b32_e32 v12, 0x1800
	v_mad_u64_u32 v[12:13], s[16:17], s46, v12, v[4:5]
	s_mul_i32 s16, s47, 0x1800
	v_add_u32_e32 v13, s16, v13
	s_waitcnt lgkmcnt(4)
	global_store_dwordx2 v[12:13], v[10:11], off
	s_or_b64 exec, exec, s[4:5]
	s_and_saveexec_b64 s[4:5], s[8:9]
	s_cbranch_execz .LBB196_111
.LBB196_129:
	s_lshl_b64 s[16:17], s[46:47], 13
	s_waitcnt lgkmcnt(4)
	v_mov_b32_e32 v11, s17
	v_add_co_u32_e32 v10, vcc, s16, v4
	v_addc_co_u32_e32 v11, vcc, v5, v11, vcc
	s_waitcnt lgkmcnt(3)
	global_store_dwordx2 v[10:11], v[8:9], off
	s_or_b64 exec, exec, s[4:5]
	s_and_saveexec_b64 s[4:5], s[10:11]
	s_cbranch_execz .LBB196_112
.LBB196_130:
	s_waitcnt lgkmcnt(3)
	v_mov_b32_e32 v8, 0x2800
	v_mad_u64_u32 v[8:9], s[16:17], s46, v8, v[4:5]
	s_mul_i32 s16, s47, 0x2800
	v_add_u32_e32 v9, s16, v9
	s_waitcnt lgkmcnt(2)
	global_store_dwordx2 v[8:9], v[6:7], off
	s_or_b64 exec, exec, s[4:5]
	s_and_saveexec_b64 s[4:5], s[12:13]
	s_cbranch_execz .LBB196_113
.LBB196_131:
	s_waitcnt lgkmcnt(2)
	v_mov_b32_e32 v6, 0x3000
	v_mad_u64_u32 v[6:7], s[16:17], s46, v6, v[4:5]
	s_mul_i32 s16, s47, 0x3000
	v_add_u32_e32 v7, s16, v7
	s_waitcnt lgkmcnt(1)
	global_store_dwordx2 v[6:7], v[2:3], off
	s_or_b64 exec, exec, s[4:5]
	s_and_saveexec_b64 s[4:5], s[14:15]
	s_cbranch_execnz .LBB196_114
	s_branch .LBB196_115
.LBB196_132:
	ds_read_b64 v[16:17], v67
	s_waitcnt lgkmcnt(0)
	global_store_dwordx2 v[4:5], v[16:17], off
	s_or_b64 exec, exec, s[4:5]
	s_and_saveexec_b64 s[0:1], s[2:3]
	s_cbranch_execz .LBB196_117
.LBB196_133:
	s_lshl_b64 s[2:3], s[48:49], 11
	v_mov_b32_e32 v17, s3
	v_add_co_u32_e32 v16, vcc, s2, v4
	v_addc_co_u32_e32 v17, vcc, v5, v17, vcc
	s_waitcnt lgkmcnt(6)
	global_store_dwordx2 v[16:17], v[14:15], off
	s_or_b64 exec, exec, s[0:1]
	s_and_saveexec_b64 s[0:1], s[44:45]
	s_cbranch_execz .LBB196_118
.LBB196_134:
	s_lshl_b64 s[2:3], s[48:49], 12
	s_waitcnt lgkmcnt(6)
	v_mov_b32_e32 v15, s3
	v_add_co_u32_e32 v14, vcc, s2, v4
	v_addc_co_u32_e32 v15, vcc, v5, v15, vcc
	s_waitcnt lgkmcnt(5)
	global_store_dwordx2 v[14:15], v[12:13], off
	s_or_b64 exec, exec, s[0:1]
	s_and_saveexec_b64 s[0:1], s[6:7]
	s_cbranch_execz .LBB196_119
.LBB196_135:
	s_waitcnt lgkmcnt(5)
	v_mov_b32_e32 v12, 0x1800
	v_mad_u64_u32 v[12:13], s[2:3], s48, v12, v[4:5]
	s_mul_i32 s2, s49, 0x1800
	v_add_u32_e32 v13, s2, v13
	s_waitcnt lgkmcnt(4)
	global_store_dwordx2 v[12:13], v[10:11], off
	s_or_b64 exec, exec, s[0:1]
	s_and_saveexec_b64 s[0:1], s[8:9]
	s_cbranch_execz .LBB196_120
.LBB196_136:
	s_lshl_b64 s[2:3], s[48:49], 13
	s_waitcnt lgkmcnt(4)
	v_mov_b32_e32 v11, s3
	v_add_co_u32_e32 v10, vcc, s2, v4
	v_addc_co_u32_e32 v11, vcc, v5, v11, vcc
	s_waitcnt lgkmcnt(3)
	global_store_dwordx2 v[10:11], v[8:9], off
	s_or_b64 exec, exec, s[0:1]
	s_and_saveexec_b64 s[0:1], s[10:11]
	s_cbranch_execz .LBB196_121
.LBB196_137:
	s_waitcnt lgkmcnt(3)
	v_mov_b32_e32 v8, 0x2800
	v_mad_u64_u32 v[8:9], s[2:3], s48, v8, v[4:5]
	s_mul_i32 s2, s49, 0x2800
	v_add_u32_e32 v9, s2, v9
	s_waitcnt lgkmcnt(2)
	global_store_dwordx2 v[8:9], v[6:7], off
	s_or_b64 exec, exec, s[0:1]
	s_and_saveexec_b64 s[0:1], s[12:13]
	s_cbranch_execz .LBB196_122
.LBB196_138:
	s_waitcnt lgkmcnt(2)
	v_mov_b32_e32 v6, 0x3000
	v_mad_u64_u32 v[6:7], s[2:3], s48, v6, v[4:5]
	s_mul_i32 s2, s49, 0x3000
	v_add_u32_e32 v7, s2, v7
	s_waitcnt lgkmcnt(1)
	global_store_dwordx2 v[6:7], v[2:3], off
	s_or_b64 exec, exec, s[0:1]
	s_and_saveexec_b64 s[0:1], s[14:15]
	s_cbranch_execnz .LBB196_123
	s_branch .LBB196_124
	.section	.rodata,"a",@progbits
	.p2align	6, 0x0
	.amdhsa_kernel _ZN2at6native18radixSortKVInPlaceILin1ELin1ELi256ELi8EdlmEEvNS_4cuda6detail10TensorInfoIT3_T5_EES6_S6_S6_NS4_IT4_S6_EES6_b
		.amdhsa_group_segment_fixed_size 16896
		.amdhsa_private_segment_fixed_size 0
		.amdhsa_kernarg_size 1128
		.amdhsa_user_sgpr_count 6
		.amdhsa_user_sgpr_private_segment_buffer 1
		.amdhsa_user_sgpr_dispatch_ptr 0
		.amdhsa_user_sgpr_queue_ptr 0
		.amdhsa_user_sgpr_kernarg_segment_ptr 1
		.amdhsa_user_sgpr_dispatch_id 0
		.amdhsa_user_sgpr_flat_scratch_init 0
		.amdhsa_user_sgpr_kernarg_preload_length 0
		.amdhsa_user_sgpr_kernarg_preload_offset 0
		.amdhsa_user_sgpr_private_segment_size 0
		.amdhsa_uses_dynamic_stack 0
		.amdhsa_system_sgpr_private_segment_wavefront_offset 0
		.amdhsa_system_sgpr_workgroup_id_x 1
		.amdhsa_system_sgpr_workgroup_id_y 1
		.amdhsa_system_sgpr_workgroup_id_z 1
		.amdhsa_system_sgpr_workgroup_info 0
		.amdhsa_system_vgpr_workitem_id 2
		.amdhsa_next_free_vgpr 137
		.amdhsa_next_free_sgpr 64
		.amdhsa_accum_offset 140
		.amdhsa_reserve_vcc 1
		.amdhsa_reserve_flat_scratch 0
		.amdhsa_float_round_mode_32 0
		.amdhsa_float_round_mode_16_64 0
		.amdhsa_float_denorm_mode_32 3
		.amdhsa_float_denorm_mode_16_64 3
		.amdhsa_dx10_clamp 1
		.amdhsa_ieee_mode 1
		.amdhsa_fp16_overflow 0
		.amdhsa_tg_split 0
		.amdhsa_exception_fp_ieee_invalid_op 0
		.amdhsa_exception_fp_denorm_src 0
		.amdhsa_exception_fp_ieee_div_zero 0
		.amdhsa_exception_fp_ieee_overflow 0
		.amdhsa_exception_fp_ieee_underflow 0
		.amdhsa_exception_fp_ieee_inexact 0
		.amdhsa_exception_int_div_zero 0
	.end_amdhsa_kernel
	.section	.text._ZN2at6native18radixSortKVInPlaceILin1ELin1ELi256ELi8EdlmEEvNS_4cuda6detail10TensorInfoIT3_T5_EES6_S6_S6_NS4_IT4_S6_EES6_b,"axG",@progbits,_ZN2at6native18radixSortKVInPlaceILin1ELin1ELi256ELi8EdlmEEvNS_4cuda6detail10TensorInfoIT3_T5_EES6_S6_S6_NS4_IT4_S6_EES6_b,comdat
.Lfunc_end196:
	.size	_ZN2at6native18radixSortKVInPlaceILin1ELin1ELi256ELi8EdlmEEvNS_4cuda6detail10TensorInfoIT3_T5_EES6_S6_S6_NS4_IT4_S6_EES6_b, .Lfunc_end196-_ZN2at6native18radixSortKVInPlaceILin1ELin1ELi256ELi8EdlmEEvNS_4cuda6detail10TensorInfoIT3_T5_EES6_S6_S6_NS4_IT4_S6_EES6_b
                                        ; -- End function
	.section	.AMDGPU.csdata,"",@progbits
; Kernel info:
; codeLenInByte = 15428
; NumSgprs: 68
; NumVgprs: 137
; NumAgprs: 0
; TotalNumVgprs: 137
; ScratchSize: 0
; MemoryBound: 0
; FloatMode: 240
; IeeeMode: 1
; LDSByteSize: 16896 bytes/workgroup (compile time only)
; SGPRBlocks: 8
; VGPRBlocks: 17
; NumSGPRsForWavesPerEU: 68
; NumVGPRsForWavesPerEU: 137
; AccumOffset: 140
; Occupancy: 3
; WaveLimiterHint : 1
; COMPUTE_PGM_RSRC2:SCRATCH_EN: 0
; COMPUTE_PGM_RSRC2:USER_SGPR: 6
; COMPUTE_PGM_RSRC2:TRAP_HANDLER: 0
; COMPUTE_PGM_RSRC2:TGID_X_EN: 1
; COMPUTE_PGM_RSRC2:TGID_Y_EN: 1
; COMPUTE_PGM_RSRC2:TGID_Z_EN: 1
; COMPUTE_PGM_RSRC2:TIDIG_COMP_CNT: 2
; COMPUTE_PGM_RSRC3_GFX90A:ACCUM_OFFSET: 34
; COMPUTE_PGM_RSRC3_GFX90A:TG_SPLIT: 0
	.section	.text._ZN2at6native18radixSortKVInPlaceILin1ELin1ELi128ELi8EdlmEEvNS_4cuda6detail10TensorInfoIT3_T5_EES6_S6_S6_NS4_IT4_S6_EES6_b,"axG",@progbits,_ZN2at6native18radixSortKVInPlaceILin1ELin1ELi128ELi8EdlmEEvNS_4cuda6detail10TensorInfoIT3_T5_EES6_S6_S6_NS4_IT4_S6_EES6_b,comdat
	.protected	_ZN2at6native18radixSortKVInPlaceILin1ELin1ELi128ELi8EdlmEEvNS_4cuda6detail10TensorInfoIT3_T5_EES6_S6_S6_NS4_IT4_S6_EES6_b ; -- Begin function _ZN2at6native18radixSortKVInPlaceILin1ELin1ELi128ELi8EdlmEEvNS_4cuda6detail10TensorInfoIT3_T5_EES6_S6_S6_NS4_IT4_S6_EES6_b
	.globl	_ZN2at6native18radixSortKVInPlaceILin1ELin1ELi128ELi8EdlmEEvNS_4cuda6detail10TensorInfoIT3_T5_EES6_S6_S6_NS4_IT4_S6_EES6_b
	.p2align	8
	.type	_ZN2at6native18radixSortKVInPlaceILin1ELin1ELi128ELi8EdlmEEvNS_4cuda6detail10TensorInfoIT3_T5_EES6_S6_S6_NS4_IT4_S6_EES6_b,@function
_ZN2at6native18radixSortKVInPlaceILin1ELin1ELi128ELi8EdlmEEvNS_4cuda6detail10TensorInfoIT3_T5_EES6_S6_S6_NS4_IT4_S6_EES6_b: ; @_ZN2at6native18radixSortKVInPlaceILin1ELin1ELi128ELi8EdlmEEvNS_4cuda6detail10TensorInfoIT3_T5_EES6_S6_S6_NS4_IT4_S6_EES6_b
; %bb.0:
	s_load_dwordx4 s[24:27], s[4:5], 0x1a0
	s_load_dwordx2 s[0:1], s[4:5], 0x368
	s_add_u32 s48, s4, 0x368
	s_addc_u32 s49, s5, 0
	s_waitcnt lgkmcnt(0)
	v_mov_b32_e32 v2, s24
	s_mul_i32 s1, s1, s8
	s_add_i32 s1, s1, s7
	s_mul_i32 s0, s1, s0
	v_mov_b32_e32 v3, s25
	s_add_i32 s6, s0, s6
	s_mov_b32 s7, 0
	v_cmp_ge_u64_e32 vcc, s[6:7], v[2:3]
	s_cbranch_vccnz .LBB197_124
; %bb.1:
	s_load_dword s0, s[4:5], 0x198
	s_load_dwordx2 s[44:45], s[4:5], 0x1b0
	s_mov_b64 s[2:3], 0
	s_mov_b64 s[8:9], s[6:7]
	s_waitcnt lgkmcnt(0)
	s_cmp_lt_i32 s0, 2
	s_cbranch_scc1 .LBB197_9
; %bb.2:
	s_mov_b32 s10, 0
	s_add_i32 s18, s0, 1
	s_add_i32 s0, s0, -1
	s_mov_b32 s1, s10
	s_lshl_b64 s[0:1], s[0:1], 3
	s_add_u32 s0, s0, s4
	s_addc_u32 s1, s1, s5
	s_add_u32 s12, s0, 8
	s_addc_u32 s13, s1, 0
	s_mov_b64 s[14:15], s[6:7]
.LBB197_3:                              ; =>This Inner Loop Header: Depth=1
	s_load_dwordx2 s[16:17], s[12:13], 0x0
	s_waitcnt lgkmcnt(0)
	s_or_b64 s[0:1], s[14:15], s[16:17]
	s_mov_b32 s11, s1
	s_cmp_lg_u64 s[10:11], 0
	s_cbranch_scc0 .LBB197_8
; %bb.4:                                ;   in Loop: Header=BB197_3 Depth=1
	v_cvt_f32_u32_e32 v1, s16
	v_cvt_f32_u32_e32 v2, s17
	s_sub_u32 s0, 0, s16
	s_subb_u32 s1, 0, s17
	v_mac_f32_e32 v1, 0x4f800000, v2
	v_rcp_f32_e32 v1, v1
	v_mul_f32_e32 v1, 0x5f7ffffc, v1
	v_mul_f32_e32 v2, 0x2f800000, v1
	v_trunc_f32_e32 v2, v2
	v_mac_f32_e32 v1, 0xcf800000, v2
	v_cvt_u32_f32_e32 v2, v2
	v_cvt_u32_f32_e32 v1, v1
	v_readfirstlane_b32 s8, v2
	v_readfirstlane_b32 s9, v1
	s_mul_i32 s11, s0, s8
	s_mul_hi_u32 s20, s0, s9
	s_mul_i32 s19, s1, s9
	s_add_i32 s11, s20, s11
	s_mul_i32 s21, s0, s9
	s_add_i32 s11, s11, s19
	s_mul_hi_u32 s19, s9, s11
	s_mul_i32 s20, s9, s11
	s_mul_hi_u32 s9, s9, s21
	s_add_u32 s9, s9, s20
	s_addc_u32 s19, 0, s19
	s_mul_hi_u32 s22, s8, s21
	s_mul_i32 s21, s8, s21
	s_add_u32 s9, s9, s21
	s_mul_hi_u32 s20, s8, s11
	s_addc_u32 s9, s19, s22
	s_addc_u32 s19, s20, 0
	s_mul_i32 s11, s8, s11
	s_add_u32 s9, s9, s11
	s_addc_u32 s11, 0, s19
	v_add_co_u32_e32 v1, vcc, s9, v1
	s_cmp_lg_u64 vcc, 0
	s_addc_u32 s8, s8, s11
	v_readfirstlane_b32 s11, v1
	s_mul_i32 s9, s0, s8
	s_mul_hi_u32 s19, s0, s11
	s_add_i32 s9, s19, s9
	s_mul_i32 s1, s1, s11
	s_add_i32 s9, s9, s1
	s_mul_i32 s0, s0, s11
	s_mul_hi_u32 s19, s8, s0
	s_mul_i32 s20, s8, s0
	s_mul_i32 s22, s11, s9
	s_mul_hi_u32 s0, s11, s0
	s_mul_hi_u32 s21, s11, s9
	s_add_u32 s0, s0, s22
	s_addc_u32 s11, 0, s21
	s_add_u32 s0, s0, s20
	s_mul_hi_u32 s1, s8, s9
	s_addc_u32 s0, s11, s19
	s_addc_u32 s1, s1, 0
	s_mul_i32 s9, s8, s9
	s_add_u32 s0, s0, s9
	s_addc_u32 s1, 0, s1
	v_add_co_u32_e32 v1, vcc, s0, v1
	s_cmp_lg_u64 vcc, 0
	s_addc_u32 s0, s8, s1
	v_readfirstlane_b32 s9, v1
	s_mul_i32 s8, s14, s0
	s_mul_hi_u32 s11, s14, s9
	s_mul_hi_u32 s1, s14, s0
	s_add_u32 s8, s11, s8
	s_addc_u32 s1, 0, s1
	s_mul_hi_u32 s19, s15, s9
	s_mul_i32 s9, s15, s9
	s_add_u32 s8, s8, s9
	s_mul_hi_u32 s11, s15, s0
	s_addc_u32 s1, s1, s19
	s_addc_u32 s8, s11, 0
	s_mul_i32 s0, s15, s0
	s_add_u32 s11, s1, s0
	s_addc_u32 s8, 0, s8
	s_mul_i32 s0, s16, s8
	s_mul_hi_u32 s1, s16, s11
	s_add_i32 s0, s1, s0
	s_mul_i32 s1, s17, s11
	s_add_i32 s9, s0, s1
	s_mul_i32 s1, s16, s11
	v_mov_b32_e32 v1, s1
	s_sub_i32 s0, s15, s9
	v_sub_co_u32_e32 v1, vcc, s14, v1
	s_cmp_lg_u64 vcc, 0
	s_subb_u32 s19, s0, s17
	v_subrev_co_u32_e64 v2, s[0:1], s16, v1
	s_cmp_lg_u64 s[0:1], 0
	s_subb_u32 s0, s19, 0
	s_cmp_ge_u32 s0, s17
	v_readfirstlane_b32 s19, v2
	s_cselect_b32 s1, -1, 0
	s_cmp_ge_u32 s19, s16
	s_cselect_b32 s19, -1, 0
	s_cmp_eq_u32 s0, s17
	s_cselect_b32 s0, s19, s1
	s_add_u32 s1, s11, 1
	s_addc_u32 s19, s8, 0
	s_add_u32 s20, s11, 2
	s_addc_u32 s21, s8, 0
	s_cmp_lg_u32 s0, 0
	s_cselect_b32 s0, s20, s1
	s_cselect_b32 s1, s21, s19
	s_cmp_lg_u64 vcc, 0
	s_subb_u32 s9, s15, s9
	s_cmp_ge_u32 s9, s17
	v_readfirstlane_b32 s20, v1
	s_cselect_b32 s19, -1, 0
	s_cmp_ge_u32 s20, s16
	s_cselect_b32 s20, -1, 0
	s_cmp_eq_u32 s9, s17
	s_cselect_b32 s9, s20, s19
	s_cmp_lg_u32 s9, 0
	s_cselect_b32 s9, s1, s8
	s_cselect_b32 s8, s0, s11
	s_cbranch_execnz .LBB197_6
.LBB197_5:                              ;   in Loop: Header=BB197_3 Depth=1
	v_cvt_f32_u32_e32 v1, s16
	s_sub_i32 s0, 0, s16
	v_rcp_iflag_f32_e32 v1, v1
	v_mul_f32_e32 v1, 0x4f7ffffe, v1
	v_cvt_u32_f32_e32 v1, v1
	v_readfirstlane_b32 s1, v1
	s_mul_i32 s0, s0, s1
	s_mul_hi_u32 s0, s1, s0
	s_add_i32 s1, s1, s0
	s_mul_hi_u32 s0, s14, s1
	s_mul_i32 s8, s0, s16
	s_sub_i32 s8, s14, s8
	s_add_i32 s1, s0, 1
	s_sub_i32 s9, s8, s16
	s_cmp_ge_u32 s8, s16
	s_cselect_b32 s0, s1, s0
	s_cselect_b32 s8, s9, s8
	s_add_i32 s1, s0, 1
	s_cmp_ge_u32 s8, s16
	s_cselect_b32 s8, s1, s0
	s_mov_b32 s9, s10
.LBB197_6:                              ;   in Loop: Header=BB197_3 Depth=1
	s_mul_i32 s0, s8, s17
	s_mul_hi_u32 s1, s8, s16
	s_add_i32 s11, s1, s0
	s_load_dwordx2 s[0:1], s[12:13], 0xc8
	s_mul_i32 s17, s9, s16
	s_add_i32 s11, s11, s17
	s_mul_i32 s16, s8, s16
	s_sub_u32 s14, s14, s16
	s_subb_u32 s11, s15, s11
	s_waitcnt lgkmcnt(0)
	s_mul_i32 s11, s0, s11
	s_mul_hi_u32 s15, s0, s14
	s_add_i32 s11, s15, s11
	s_mul_i32 s1, s1, s14
	s_add_i32 s11, s11, s1
	s_mul_i32 s0, s0, s14
	s_add_u32 s2, s0, s2
	s_addc_u32 s3, s11, s3
	s_add_i32 s18, s18, -1
	s_add_u32 s12, s12, -8
	s_addc_u32 s13, s13, -1
	s_cmp_gt_u32 s18, 2
	s_cbranch_scc0 .LBB197_9
; %bb.7:                                ;   in Loop: Header=BB197_3 Depth=1
	s_mov_b64 s[14:15], s[8:9]
	s_branch .LBB197_3
.LBB197_8:                              ;   in Loop: Header=BB197_3 Depth=1
                                        ; implicit-def: $sgpr8_sgpr9
	s_branch .LBB197_5
.LBB197_9:
	s_load_dword s0, s[4:5], 0x350
	s_load_dwordx2 s[10:11], s[4:5], 0xd0
	s_mov_b64 s[24:25], 0
	s_waitcnt lgkmcnt(0)
	s_cmp_lt_i32 s0, 2
	s_cbranch_scc1 .LBB197_17
; %bb.10:
	s_mov_b32 s12, 0
	s_add_i32 s18, s0, 1
	s_add_i32 s0, s0, -1
	s_mov_b32 s1, s12
	s_lshl_b64 s[0:1], s[0:1], 3
	s_add_u32 s0, s0, s4
	s_addc_u32 s1, s1, s5
	s_add_u32 s14, s0, 0x1c0
	s_addc_u32 s15, s1, 0
.LBB197_11:                             ; =>This Inner Loop Header: Depth=1
	s_load_dwordx2 s[16:17], s[14:15], 0x0
	s_waitcnt lgkmcnt(0)
	s_or_b64 s[0:1], s[6:7], s[16:17]
	s_mov_b32 s13, s1
	s_cmp_lg_u64 s[12:13], 0
	s_cbranch_scc0 .LBB197_16
; %bb.12:                               ;   in Loop: Header=BB197_11 Depth=1
	v_cvt_f32_u32_e32 v1, s16
	v_cvt_f32_u32_e32 v2, s17
	s_sub_u32 s0, 0, s16
	s_subb_u32 s1, 0, s17
	v_mac_f32_e32 v1, 0x4f800000, v2
	v_rcp_f32_e32 v1, v1
	v_mul_f32_e32 v1, 0x5f7ffffc, v1
	v_mul_f32_e32 v2, 0x2f800000, v1
	v_trunc_f32_e32 v2, v2
	v_mac_f32_e32 v1, 0xcf800000, v2
	v_cvt_u32_f32_e32 v2, v2
	v_cvt_u32_f32_e32 v1, v1
	v_readfirstlane_b32 s13, v2
	v_readfirstlane_b32 s19, v1
	s_mul_i32 s20, s0, s13
	s_mul_hi_u32 s22, s0, s19
	s_mul_i32 s21, s1, s19
	s_add_i32 s20, s22, s20
	s_mul_i32 s23, s0, s19
	s_add_i32 s20, s20, s21
	s_mul_hi_u32 s21, s19, s20
	s_mul_i32 s22, s19, s20
	s_mul_hi_u32 s19, s19, s23
	s_add_u32 s19, s19, s22
	s_addc_u32 s21, 0, s21
	s_mul_hi_u32 s27, s13, s23
	s_mul_i32 s23, s13, s23
	s_add_u32 s19, s19, s23
	s_mul_hi_u32 s22, s13, s20
	s_addc_u32 s19, s21, s27
	s_addc_u32 s21, s22, 0
	s_mul_i32 s20, s13, s20
	s_add_u32 s19, s19, s20
	s_addc_u32 s20, 0, s21
	v_add_co_u32_e32 v1, vcc, s19, v1
	s_cmp_lg_u64 vcc, 0
	s_addc_u32 s13, s13, s20
	v_readfirstlane_b32 s20, v1
	s_mul_i32 s19, s0, s13
	s_mul_hi_u32 s21, s0, s20
	s_add_i32 s19, s21, s19
	s_mul_i32 s1, s1, s20
	s_add_i32 s19, s19, s1
	s_mul_i32 s0, s0, s20
	s_mul_hi_u32 s21, s13, s0
	s_mul_i32 s22, s13, s0
	s_mul_i32 s27, s20, s19
	s_mul_hi_u32 s0, s20, s0
	s_mul_hi_u32 s23, s20, s19
	s_add_u32 s0, s0, s27
	s_addc_u32 s20, 0, s23
	s_add_u32 s0, s0, s22
	s_mul_hi_u32 s1, s13, s19
	s_addc_u32 s0, s20, s21
	s_addc_u32 s1, s1, 0
	s_mul_i32 s19, s13, s19
	s_add_u32 s0, s0, s19
	s_addc_u32 s1, 0, s1
	v_add_co_u32_e32 v1, vcc, s0, v1
	s_cmp_lg_u64 vcc, 0
	s_addc_u32 s0, s13, s1
	v_readfirstlane_b32 s19, v1
	s_mul_i32 s13, s6, s0
	s_mul_hi_u32 s20, s6, s19
	s_mul_hi_u32 s1, s6, s0
	s_add_u32 s13, s20, s13
	s_addc_u32 s1, 0, s1
	s_mul_hi_u32 s21, s7, s19
	s_mul_i32 s19, s7, s19
	s_add_u32 s13, s13, s19
	s_mul_hi_u32 s20, s7, s0
	s_addc_u32 s1, s1, s21
	s_addc_u32 s13, s20, 0
	s_mul_i32 s0, s7, s0
	s_add_u32 s19, s1, s0
	s_addc_u32 s13, 0, s13
	s_mul_i32 s0, s16, s13
	s_mul_hi_u32 s1, s16, s19
	s_add_i32 s0, s1, s0
	s_mul_i32 s1, s17, s19
	s_add_i32 s20, s0, s1
	s_mul_i32 s1, s16, s19
	v_mov_b32_e32 v1, s1
	s_sub_i32 s0, s7, s20
	v_sub_co_u32_e32 v1, vcc, s6, v1
	s_cmp_lg_u64 vcc, 0
	s_subb_u32 s21, s0, s17
	v_subrev_co_u32_e64 v2, s[0:1], s16, v1
	s_cmp_lg_u64 s[0:1], 0
	s_subb_u32 s0, s21, 0
	s_cmp_ge_u32 s0, s17
	v_readfirstlane_b32 s21, v2
	s_cselect_b32 s1, -1, 0
	s_cmp_ge_u32 s21, s16
	s_cselect_b32 s21, -1, 0
	s_cmp_eq_u32 s0, s17
	s_cselect_b32 s0, s21, s1
	s_add_u32 s1, s19, 1
	s_addc_u32 s21, s13, 0
	s_add_u32 s22, s19, 2
	s_addc_u32 s23, s13, 0
	s_cmp_lg_u32 s0, 0
	s_cselect_b32 s0, s22, s1
	s_cselect_b32 s1, s23, s21
	s_cmp_lg_u64 vcc, 0
	s_subb_u32 s20, s7, s20
	s_cmp_ge_u32 s20, s17
	v_readfirstlane_b32 s22, v1
	s_cselect_b32 s21, -1, 0
	s_cmp_ge_u32 s22, s16
	s_cselect_b32 s22, -1, 0
	s_cmp_eq_u32 s20, s17
	s_cselect_b32 s20, s22, s21
	s_cmp_lg_u32 s20, 0
	s_cselect_b32 s29, s1, s13
	s_cselect_b32 s28, s0, s19
	s_cbranch_execnz .LBB197_14
.LBB197_13:                             ;   in Loop: Header=BB197_11 Depth=1
	v_cvt_f32_u32_e32 v1, s16
	s_sub_i32 s0, 0, s16
	s_mov_b32 s29, s12
	v_rcp_iflag_f32_e32 v1, v1
	v_mul_f32_e32 v1, 0x4f7ffffe, v1
	v_cvt_u32_f32_e32 v1, v1
	v_readfirstlane_b32 s1, v1
	s_mul_i32 s0, s0, s1
	s_mul_hi_u32 s0, s1, s0
	s_add_i32 s1, s1, s0
	s_mul_hi_u32 s0, s6, s1
	s_mul_i32 s13, s0, s16
	s_sub_i32 s13, s6, s13
	s_add_i32 s1, s0, 1
	s_sub_i32 s19, s13, s16
	s_cmp_ge_u32 s13, s16
	s_cselect_b32 s0, s1, s0
	s_cselect_b32 s13, s19, s13
	s_add_i32 s1, s0, 1
	s_cmp_ge_u32 s13, s16
	s_cselect_b32 s28, s1, s0
.LBB197_14:                             ;   in Loop: Header=BB197_11 Depth=1
	s_mul_i32 s0, s28, s17
	s_mul_hi_u32 s1, s28, s16
	s_add_i32 s13, s1, s0
	s_load_dwordx2 s[0:1], s[14:15], 0xc8
	s_mul_i32 s17, s29, s16
	s_add_i32 s13, s13, s17
	s_mul_i32 s16, s28, s16
	s_sub_u32 s6, s6, s16
	s_subb_u32 s7, s7, s13
	s_waitcnt lgkmcnt(0)
	s_mul_i32 s7, s0, s7
	s_mul_hi_u32 s13, s0, s6
	s_add_i32 s7, s13, s7
	s_mul_i32 s1, s1, s6
	s_add_i32 s7, s7, s1
	s_mul_i32 s0, s0, s6
	s_add_u32 s24, s0, s24
	s_addc_u32 s25, s7, s25
	s_add_i32 s18, s18, -1
	s_add_u32 s14, s14, -8
	s_addc_u32 s15, s15, -1
	s_cmp_gt_u32 s18, 2
	s_cbranch_scc0 .LBB197_18
; %bb.15:                               ;   in Loop: Header=BB197_11 Depth=1
	s_mov_b64 s[6:7], s[28:29]
	s_branch .LBB197_11
.LBB197_16:                             ;   in Loop: Header=BB197_11 Depth=1
                                        ; implicit-def: $sgpr28_sgpr29
	s_branch .LBB197_13
.LBB197_17:
	s_mov_b64 s[28:29], s[6:7]
.LBB197_18:
	s_mul_i32 s0, s10, s9
	s_load_dword s9, s[4:5], 0x360
	s_load_dwordx2 s[6:7], s[4:5], 0x0
	s_mul_hi_u32 s1, s10, s8
	s_add_i32 s0, s1, s0
	s_mul_i32 s1, s11, s8
	s_add_i32 s1, s0, s1
	s_waitcnt lgkmcnt(0)
	s_bitcmp1_b32 s9, 0
	s_cselect_b64 s[34:35], -1, 0
	s_mul_i32 s0, s10, s8
	s_and_b64 s[10:11], s[34:35], exec
	s_cselect_b32 s9, -1, 0x7fffffff
	s_lshl_b64 s[0:1], s[0:1], 3
	s_add_u32 s6, s6, s0
	s_mov_b32 s8, -1
	s_addc_u32 s7, s7, s1
	s_lshl_b64 s[0:1], s[2:3], 3
	s_add_u32 s33, s6, s0
	v_and_b32_e32 v66, 0x3ff, v0
	s_mov_b32 s10, s8
	s_mov_b32 s11, s9
	;; [unrolled: 1-line block ×14, first 2 shown]
	v_pk_mov_b32 v[2:3], s[8:9], s[8:9] op_sel:[0,1]
	s_addc_u32 s54, s7, s1
	v_cmp_gt_u32_e64 s[0:1], s26, v66
	v_pk_mov_b32 v[4:5], s[10:11], s[10:11] op_sel:[0,1]
	v_pk_mov_b32 v[6:7], s[12:13], s[12:13] op_sel:[0,1]
	;; [unrolled: 1-line block ×8, first 2 shown]
	s_and_saveexec_b64 s[2:3], s[0:1]
	s_cbranch_execz .LBB197_20
; %bb.19:
	v_mad_u64_u32 v[2:3], s[6:7], v66, s44, 0
	v_mov_b32_e32 v4, v3
	v_mad_u64_u32 v[4:5], s[6:7], v66, s45, v[4:5]
	v_mov_b32_e32 v3, v4
	v_lshlrev_b64 v[2:3], 3, v[2:3]
	v_mov_b32_e32 v1, s54
	v_add_co_u32_e32 v2, vcc, s33, v2
	v_addc_co_u32_e32 v3, vcc, v1, v3, vcc
	global_load_dwordx2 v[18:19], v[2:3], off
	v_pk_mov_b32 v[2:3], s[8:9], s[8:9] op_sel:[0,1]
	v_pk_mov_b32 v[4:5], s[10:11], s[10:11] op_sel:[0,1]
	;; [unrolled: 1-line block ×8, first 2 shown]
.LBB197_20:
	s_or_b64 exec, exec, s[2:3]
	v_add_u32_e32 v1, 0x80, v66
	v_cmp_gt_u32_e64 s[2:3], s26, v1
	s_and_saveexec_b64 s[6:7], s[2:3]
	s_cbranch_execz .LBB197_22
; %bb.21:
	v_mad_u64_u32 v[2:3], s[8:9], v1, s44, 0
	v_mov_b32_e32 v4, v3
	v_mad_u64_u32 v[4:5], s[8:9], v1, s45, v[4:5]
	v_mov_b32_e32 v3, v4
	v_lshlrev_b64 v[2:3], 3, v[2:3]
	v_mov_b32_e32 v4, s54
	v_add_co_u32_e32 v2, vcc, s33, v2
	v_addc_co_u32_e32 v3, vcc, v4, v3, vcc
	global_load_dwordx2 v[4:5], v[2:3], off
.LBB197_22:
	s_or_b64 exec, exec, s[6:7]
	v_add_u32_e32 v34, 0x100, v66
	v_cmp_gt_u32_e64 s[42:43], s26, v34
	s_and_saveexec_b64 s[6:7], s[42:43]
	s_cbranch_execz .LBB197_24
; %bb.23:
	v_mad_u64_u32 v[2:3], s[8:9], v34, s44, 0
	v_mov_b32_e32 v6, v3
	v_mad_u64_u32 v[6:7], s[8:9], v34, s45, v[6:7]
	v_mov_b32_e32 v3, v6
	v_lshlrev_b64 v[2:3], 3, v[2:3]
	v_mov_b32_e32 v6, s54
	v_add_co_u32_e32 v2, vcc, s33, v2
	v_addc_co_u32_e32 v3, vcc, v6, v3, vcc
	global_load_dwordx2 v[6:7], v[2:3], off
.LBB197_24:
	;; [unrolled: 16-line block ×5, first 2 shown]
	s_or_b64 exec, exec, s[12:13]
	s_load_dwordx2 s[18:19], s[4:5], 0x288
	s_load_dwordx2 s[16:17], s[4:5], 0x1b8
	v_add_u32_e32 v38, 0x300, v66
	v_cmp_gt_u32_e64 s[12:13], s26, v38
	s_and_saveexec_b64 s[14:15], s[12:13]
	s_cbranch_execz .LBB197_32
; %bb.31:
	v_mad_u64_u32 v[2:3], s[20:21], v38, s44, 0
	v_mov_b32_e32 v14, v3
	v_mad_u64_u32 v[14:15], s[20:21], v38, s45, v[14:15]
	v_mov_b32_e32 v3, v14
	v_lshlrev_b64 v[2:3], 3, v[2:3]
	v_mov_b32_e32 v14, s54
	v_add_co_u32_e32 v2, vcc, s33, v2
	v_addc_co_u32_e32 v3, vcc, v14, v3, vcc
	global_load_dwordx2 v[14:15], v[2:3], off
.LBB197_32:
	s_or_b64 exec, exec, s[14:15]
	v_add_u32_e32 v39, 0x380, v66
	v_cmp_gt_u32_e64 s[14:15], s26, v39
	s_and_saveexec_b64 s[20:21], s[14:15]
	s_cbranch_execz .LBB197_34
; %bb.33:
	v_mad_u64_u32 v[2:3], s[22:23], v39, s44, 0
	v_mov_b32_e32 v16, v3
	v_mad_u64_u32 v[16:17], s[22:23], v39, s45, v[16:17]
	v_mov_b32_e32 v3, v16
	v_lshlrev_b64 v[2:3], 3, v[2:3]
	v_mov_b32_e32 v16, s54
	v_add_co_u32_e32 v2, vcc, s33, v2
	v_addc_co_u32_e32 v3, vcc, v16, v3, vcc
	global_load_dwordx2 v[16:17], v[2:3], off
.LBB197_34:
	s_or_b64 exec, exec, s[20:21]
	v_lshrrev_b32_e32 v2, 5, v66
	v_add_lshl_u32 v67, v2, v66, 3
	v_lshrrev_b32_e32 v2, 5, v1
	v_add_lshl_u32 v100, v2, v66, 3
	;; [unrolled: 2-line block ×6, first 2 shown]
	v_lshrrev_b32_e32 v2, 5, v38
	s_waitcnt lgkmcnt(0)
	s_mul_i32 s20, s18, s29
	s_mul_hi_u32 s21, s18, s28
	v_add_lshl_u32 v105, v2, v66, 3
	v_lshrrev_b32_e32 v2, 5, v39
	s_add_i32 s20, s21, s20
	s_mul_i32 s19, s19, s28
	v_add_lshl_u32 v106, v2, v66, 3
	v_lshlrev_b32_e32 v108, 3, v66
	v_lshrrev_b32_e32 v2, 2, v66
	s_add_i32 s19, s20, s19
	s_mul_i32 s18, s18, s28
	v_add_lshl_u32 v107, v2, v108, 3
	s_lshl_b64 s[18:19], s[18:19], 3
	s_waitcnt vmcnt(0)
	ds_write_b64 v67, v[18:19]
	ds_write_b64 v100, v[4:5] offset:1024
	ds_write_b64 v101, v[6:7] offset:2048
	;; [unrolled: 1-line block ×7, first 2 shown]
	s_waitcnt lgkmcnt(0)
	s_barrier
	ds_read2_b64 v[30:33], v107 offset1:1
	ds_read2_b64 v[26:29], v107 offset0:2 offset1:3
	ds_read2_b64 v[22:25], v107 offset0:4 offset1:5
	;; [unrolled: 1-line block ×3, first 2 shown]
	s_add_u32 s18, s16, s18
	s_addc_u32 s19, s17, s19
	s_lshl_b64 s[16:17], s[24:25], 3
	s_load_dwordx2 s[46:47], s[4:5], 0x358
	s_add_u32 s55, s18, s16
	s_mov_b32 s16, 0
	s_addc_u32 s56, s19, s17
	s_mov_b32 s17, s16
	s_mov_b32 s18, s16
	;; [unrolled: 1-line block ×15, first 2 shown]
	v_pk_mov_b32 v[2:3], s[16:17], s[16:17] op_sel:[0,1]
	v_pk_mov_b32 v[4:5], s[18:19], s[18:19] op_sel:[0,1]
	;; [unrolled: 1-line block ×8, first 2 shown]
	v_pk_mov_b32 v[2:3], 0, 0
	s_waitcnt lgkmcnt(0)
	s_barrier
	s_and_saveexec_b64 s[4:5], s[0:1]
	s_cbranch_execnz .LBB197_71
; %bb.35:
	s_or_b64 exec, exec, s[4:5]
	s_and_saveexec_b64 s[4:5], s[2:3]
	s_cbranch_execnz .LBB197_72
.LBB197_36:
	s_or_b64 exec, exec, s[4:5]
	s_and_saveexec_b64 s[4:5], s[42:43]
	s_cbranch_execnz .LBB197_73
.LBB197_37:
	s_or_b64 exec, exec, s[4:5]
	s_and_saveexec_b64 s[4:5], s[6:7]
	s_cbranch_execnz .LBB197_74
.LBB197_38:
	s_or_b64 exec, exec, s[4:5]
	s_and_saveexec_b64 s[4:5], s[8:9]
	s_cbranch_execnz .LBB197_75
.LBB197_39:
	s_or_b64 exec, exec, s[4:5]
	s_and_saveexec_b64 s[4:5], s[10:11]
	s_cbranch_execnz .LBB197_76
.LBB197_40:
	s_or_b64 exec, exec, s[4:5]
	s_and_saveexec_b64 s[4:5], s[12:13]
	s_cbranch_execnz .LBB197_77
.LBB197_41:
	s_or_b64 exec, exec, s[4:5]
	s_xor_b64 s[4:5], s[34:35], -1
	s_and_saveexec_b64 s[16:17], s[14:15]
	s_cbranch_execz .LBB197_43
.LBB197_42:
	v_mad_u64_u32 v[16:17], s[18:19], v39, s46, 0
	v_mov_b32_e32 v34, v17
	v_mad_u64_u32 v[34:35], s[18:19], v39, s47, v[34:35]
	v_mov_b32_e32 v17, v34
	v_lshlrev_b64 v[16:17], 3, v[16:17]
	v_mov_b32_e32 v1, s56
	v_add_co_u32_e32 v16, vcc, s55, v16
	v_addc_co_u32_e32 v17, vcc, v1, v17, vcc
	global_load_dwordx2 v[16:17], v[16:17], off
.LBB197_43:
	s_or_b64 exec, exec, s[16:17]
	s_waitcnt vmcnt(0)
	ds_write_b64 v67, v[2:3]
	ds_write_b64 v100, v[4:5] offset:1024
	ds_write_b64 v101, v[6:7] offset:2048
	;; [unrolled: 1-line block ×7, first 2 shown]
	s_waitcnt lgkmcnt(0)
	s_barrier
	ds_read2_b64 v[46:49], v107 offset1:1
	ds_read2_b64 v[42:45], v107 offset0:2 offset1:3
	ds_read2_b64 v[38:41], v107 offset0:4 offset1:5
	;; [unrolled: 1-line block ×3, first 2 shown]
	s_and_b64 vcc, exec, s[4:5]
	v_bfe_u32 v112, v0, 10, 10
	v_bfe_u32 v113, v0, 20, 10
	v_ashrrev_i32_e32 v122, 31, v31
	v_ashrrev_i32_e32 v121, 31, v33
	v_ashrrev_i32_e32 v120, 31, v27
	v_ashrrev_i32_e32 v119, 31, v29
	v_ashrrev_i32_e32 v118, 31, v23
	v_ashrrev_i32_e32 v117, 31, v25
	v_ashrrev_i32_e32 v116, 31, v19
	v_ashrrev_i32_e32 v115, 31, v21
	v_mbcnt_lo_u32_b32 v114, -1, 0
	v_lshlrev_b32_e32 v109, 2, v66
	v_lshlrev_b32_e32 v110, 4, v66
	v_cmp_gt_u32_e64 s[16:17], 2, v66
	v_cmp_lt_u32_e64 s[18:19], 63, v66
	v_cmp_eq_u32_e64 s[20:21], 0, v66
	v_lshrrev_b32_e32 v111, 4, v66
	s_waitcnt lgkmcnt(0)
	s_barrier
	s_cbranch_vccz .LBB197_78
; %bb.44:
	v_bfrev_b32_e32 v123, 1
	v_cmp_lt_i64_e32 vcc, -1, v[30:31]
	v_cndmask_b32_e32 v0, -1, v123, vcc
	v_cmp_lt_i64_e32 vcc, -1, v[32:33]
	v_cndmask_b32_e32 v2, -1, v123, vcc
	;; [unrolled: 2-line block ×7, first 2 shown]
	v_cmp_lt_i64_e32 vcc, -1, v[20:21]
	v_mbcnt_hi_u32_b32 v68, -1, v114
	v_and_b32_e32 v69, 0x3c0, v66
	v_xor_b32_e32 v1, v0, v31
	v_xor_b32_e32 v0, v122, v30
	;; [unrolled: 1-line block ×4, first 2 shown]
	v_cndmask_b32_e32 v14, -1, v123, vcc
	v_add_lshl_u32 v16, v68, v69, 6
	v_and_b32_e32 v70, 0x1e00, v108
	v_xor_b32_e32 v5, v4, v27
	v_xor_b32_e32 v4, v120, v26
	;; [unrolled: 1-line block ×12, first 2 shown]
	ds_write2_b64 v16, v[0:1], v[2:3] offset1:1
	ds_write2_b64 v16, v[4:5], v[6:7] offset0:2 offset1:3
	ds_write2_b64 v16, v[8:9], v[10:11] offset0:4 offset1:5
	;; [unrolled: 1-line block ×3, first 2 shown]
	v_or_b32_e32 v0, v68, v70
	v_lshlrev_b32_e32 v17, 3, v0
	; wave barrier
	ds_read2st64_b64 v[0:3], v17 offset1:1
	ds_read2st64_b64 v[4:7], v17 offset0:2 offset1:3
	ds_read2st64_b64 v[8:11], v17 offset0:4 offset1:5
	ds_read2st64_b64 v[12:15], v17 offset0:6 offset1:7
	; wave barrier
	ds_write2_b64 v16, v[46:47], v[48:49] offset1:1
	ds_write2_b64 v16, v[42:43], v[44:45] offset0:2 offset1:3
	ds_write2_b64 v16, v[38:39], v[40:41] offset0:4 offset1:5
	;; [unrolled: 1-line block ×3, first 2 shown]
	; wave barrier
	ds_read2st64_b64 v[50:53], v17 offset1:1
	ds_read2st64_b64 v[54:57], v17 offset0:2 offset1:3
	ds_read2st64_b64 v[58:61], v17 offset0:4 offset1:5
	;; [unrolled: 1-line block ×3, first 2 shown]
	s_waitcnt lgkmcnt(0)
	s_barrier
	s_load_dword s22, s[48:49], 0xc
	s_getpc_b64 s[4:5]
	s_add_u32 s4, s4, _ZN7rocprim17ROCPRIM_400000_NS16block_radix_sortIdLj128ELj8ElLj1ELj1ELj0ELNS0_26block_radix_rank_algorithmE1ELNS0_18block_padding_hintE2ELNS0_4arch9wavefront6targetE1EE19radix_bits_per_passE@rel32@lo+4
	s_addc_u32 s5, s5, _ZN7rocprim17ROCPRIM_400000_NS16block_radix_sortIdLj128ELj8ElLj1ELj1ELj0ELNS0_26block_radix_rank_algorithmE1ELNS0_18block_padding_hintE2ELNS0_4arch9wavefront6targetE1EE19radix_bits_per_passE@rel32@hi+12
	s_load_dword s57, s[4:5], 0x0
	s_mov_b32 s50, -1
	v_and_b32_e32 v127, 60, v111
	s_waitcnt lgkmcnt(0)
	s_lshr_b32 s4, s22, 16
	s_and_b32 s5, s22, 0xffff
	v_mad_u32_u24 v16, v113, s4, v112
	v_mad_u64_u32 v[16:17], s[4:5], v16, s5, v[66:67]
	v_lshrrev_b32_e32 v125, 6, v16
	v_and_b32_e32 v16, 15, v68
	v_cmp_eq_u32_e64 s[22:23], 0, v16
	v_cmp_lt_u32_e64 s[24:25], 1, v16
	v_cmp_lt_u32_e64 s[26:27], 3, v16
	v_cmp_lt_u32_e64 s[28:29], 7, v16
	v_and_b32_e32 v16, 16, v68
	v_cmp_eq_u32_e64 s[30:31], 0, v16
	v_min_u32_e32 v16, 64, v69
	v_or_b32_e32 v16, 63, v16
	v_cmp_eq_u32_e64 s[36:37], v16, v66
	v_add_u32_e32 v16, -1, v68
	v_and_b32_e32 v17, 64, v68
	v_cmp_lt_i32_e32 vcc, v16, v17
	v_cndmask_b32_e32 v16, v16, v68, vcc
	v_lshlrev_b32_e32 v126, 2, v16
	v_and_b32_e32 v16, 1, v68
	v_cmp_eq_u32_e64 s[40:41], 0, v16
	v_and_or_b32 v16, v68, 63, v70
	s_brev_b32 s51, -2
	v_or_b32_e32 v124, 8, v110
	v_cmp_lt_u32_e64 s[34:35], 31, v68
	s_mov_b32 s58, 64
	v_cmp_eq_u32_e64 s[38:39], 0, v68
	v_add_u32_e32 v128, -4, v127
	v_lshlrev_b32_e32 v129, 3, v16
	s_mov_b64 s[52:53], 0
	v_mov_b32_e32 v82, 0
	s_branch .LBB197_46
.LBB197_45:                             ;   in Loop: Header=BB197_46 Depth=1
	v_lshlrev_b32_e32 v50, 3, v136
	v_lshlrev_b32_e32 v51, 3, v135
	;; [unrolled: 1-line block ×8, first 2 shown]
	s_barrier
	ds_write_b64 v50, v[98:99]
	ds_write_b64 v51, v[96:97]
	ds_write_b64 v52, v[94:95]
	ds_write_b64 v53, v[92:93]
	ds_write_b64 v54, v[90:91]
	ds_write_b64 v55, v[88:89]
	ds_write_b64 v56, v[86:87]
	ds_write_b64 v57, v[84:85]
	s_waitcnt lgkmcnt(0)
	s_barrier
	ds_read2st64_b64 v[0:3], v129 offset1:1
	ds_read2st64_b64 v[4:7], v129 offset0:2 offset1:3
	ds_read2st64_b64 v[8:11], v129 offset0:4 offset1:5
	;; [unrolled: 1-line block ×3, first 2 shown]
	s_waitcnt lgkmcnt(0)
	s_barrier
	ds_write_b64 v50, v[80:81]
	ds_write_b64 v51, v[78:79]
	;; [unrolled: 1-line block ×8, first 2 shown]
	s_waitcnt lgkmcnt(0)
	s_barrier
	ds_read2st64_b64 v[50:53], v129 offset1:1
	ds_read2st64_b64 v[54:57], v129 offset0:2 offset1:3
	ds_read2st64_b64 v[58:61], v129 offset0:4 offset1:5
	ds_read2st64_b64 v[62:65], v129 offset0:6 offset1:7
	s_add_u32 s52, s52, 8
	s_addc_u32 s53, s53, 0
	s_add_i32 s58, s58, -8
	s_waitcnt lgkmcnt(0)
	s_barrier
	s_cbranch_execz .LBB197_70
.LBB197_46:                             ; =>This Inner Loop Header: Depth=1
	v_pk_mov_b32 v[98:99], v[0:1], v[0:1] op_sel:[0,1]
	s_min_u32 s4, s57, s58
	v_cmp_ne_u64_e32 vcc, s[50:51], v[98:99]
	s_lshl_b32 s4, -1, s4
	v_cndmask_b32_e32 v1, v123, v99, vcc
	v_cndmask_b32_e32 v0, 0, v98, vcc
	s_not_b32 s59, s4
	v_lshrrev_b64 v[0:1], s52, v[0:1]
	v_and_b32_e32 v0, s59, v0
	v_lshl_add_u32 v1, v0, 1, v125
	v_pk_mov_b32 v[94:95], v[4:5], v[4:5] op_sel:[0,1]
	v_lshl_add_u32 v4, v1, 2, 8
	v_and_b32_e32 v1, 1, v0
	v_pk_mov_b32 v[96:97], v[2:3], v[2:3] op_sel:[0,1]
	v_add_co_u32_e32 v2, vcc, -1, v1
	v_addc_co_u32_e64 v3, s[4:5], 0, -1, vcc
	v_cmp_ne_u32_e32 vcc, 0, v1
	v_lshlrev_b32_e32 v83, 30, v0
	v_xor_b32_e32 v1, vcc_hi, v3
	v_not_b32_e32 v3, v83
	v_xor_b32_e32 v2, vcc_lo, v2
	v_cmp_gt_i64_e32 vcc, 0, v[82:83]
	v_ashrrev_i32_e32 v3, 31, v3
	v_and_b32_e32 v2, exec_lo, v2
	v_xor_b32_e32 v5, vcc_hi, v3
	v_xor_b32_e32 v3, vcc_lo, v3
	v_lshlrev_b32_e32 v83, 29, v0
	v_and_b32_e32 v2, v2, v3
	v_not_b32_e32 v3, v83
	v_and_b32_e32 v1, exec_hi, v1
	v_cmp_gt_i64_e32 vcc, 0, v[82:83]
	v_ashrrev_i32_e32 v3, 31, v3
	v_and_b32_e32 v1, v1, v5
	v_xor_b32_e32 v5, vcc_hi, v3
	v_xor_b32_e32 v3, vcc_lo, v3
	v_lshlrev_b32_e32 v83, 28, v0
	v_and_b32_e32 v2, v2, v3
	v_not_b32_e32 v3, v83
	v_cmp_gt_i64_e32 vcc, 0, v[82:83]
	v_ashrrev_i32_e32 v3, 31, v3
	v_and_b32_e32 v1, v1, v5
	v_xor_b32_e32 v5, vcc_hi, v3
	v_xor_b32_e32 v3, vcc_lo, v3
	v_lshlrev_b32_e32 v83, 27, v0
	v_and_b32_e32 v2, v2, v3
	v_not_b32_e32 v3, v83
	;; [unrolled: 8-line block ×3, first 2 shown]
	v_cmp_gt_i64_e32 vcc, 0, v[82:83]
	v_ashrrev_i32_e32 v3, 31, v3
	v_and_b32_e32 v1, v1, v5
	v_xor_b32_e32 v5, vcc_hi, v3
	v_xor_b32_e32 v3, vcc_lo, v3
	v_lshlrev_b32_e32 v83, 25, v0
	v_and_b32_e32 v2, v2, v3
	v_cmp_gt_i64_e32 vcc, 0, v[82:83]
	v_not_b32_e32 v3, v83
	v_lshlrev_b32_e32 v83, 24, v0
	v_ashrrev_i32_e32 v3, 31, v3
	v_not_b32_e32 v0, v83
	v_and_b32_e32 v1, v1, v5
	v_xor_b32_e32 v5, vcc_hi, v3
	v_xor_b32_e32 v3, vcc_lo, v3
	v_cmp_gt_i64_e32 vcc, 0, v[82:83]
	v_ashrrev_i32_e32 v0, 31, v0
	v_and_b32_e32 v2, v2, v3
	v_xor_b32_e32 v3, vcc_hi, v0
	v_xor_b32_e32 v0, vcc_lo, v0
	v_and_b32_e32 v1, v1, v5
	v_and_b32_e32 v0, v2, v0
	;; [unrolled: 1-line block ×3, first 2 shown]
	v_mbcnt_lo_u32_b32 v2, v0, 0
	v_mbcnt_hi_u32_b32 v5, v1, v2
	v_cmp_eq_u32_e32 vcc, 0, v5
	v_cmp_ne_u64_e64 s[4:5], 0, v[0:1]
	v_pk_mov_b32 v[84:85], v[14:15], v[14:15] op_sel:[0,1]
	v_pk_mov_b32 v[86:87], v[12:13], v[12:13] op_sel:[0,1]
	;; [unrolled: 1-line block ×13, first 2 shown]
	s_and_b64 s[60:61], s[4:5], vcc
	ds_write2_b32 v110, v82, v82 offset0:2 offset1:3
	ds_write2_b32 v124, v82, v82 offset0:2 offset1:3
	s_waitcnt lgkmcnt(0)
	s_barrier
	s_waitcnt lgkmcnt(0)
	; wave barrier
	s_and_saveexec_b64 s[4:5], s[60:61]
	s_cbranch_execz .LBB197_48
; %bb.47:                               ;   in Loop: Header=BB197_46 Depth=1
	v_bcnt_u32_b32 v0, v0, 0
	v_bcnt_u32_b32 v0, v1, v0
	ds_write_b32 v4, v0
.LBB197_48:                             ;   in Loop: Header=BB197_46 Depth=1
	s_or_b64 exec, exec, s[4:5]
	v_cmp_ne_u64_e32 vcc, s[50:51], v[96:97]
	v_cndmask_b32_e32 v1, v123, v97, vcc
	v_cndmask_b32_e32 v0, 0, v96, vcc
	v_lshrrev_b64 v[0:1], s52, v[0:1]
	v_and_b32_e32 v0, s59, v0
	v_lshlrev_b32_e32 v1, 1, v0
	v_add_lshl_u32 v1, v1, v125, 2
	; wave barrier
	v_add_u32_e32 v7, 8, v1
	ds_read_b32 v6, v1 offset:8
	v_and_b32_e32 v1, 1, v0
	v_add_co_u32_e32 v2, vcc, -1, v1
	v_addc_co_u32_e64 v3, s[4:5], 0, -1, vcc
	v_cmp_ne_u32_e32 vcc, 0, v1
	v_lshlrev_b32_e32 v83, 30, v0
	v_xor_b32_e32 v1, vcc_hi, v3
	v_not_b32_e32 v3, v83
	v_xor_b32_e32 v2, vcc_lo, v2
	v_cmp_gt_i64_e32 vcc, 0, v[82:83]
	v_ashrrev_i32_e32 v3, 31, v3
	v_and_b32_e32 v2, exec_lo, v2
	v_xor_b32_e32 v8, vcc_hi, v3
	v_xor_b32_e32 v3, vcc_lo, v3
	v_lshlrev_b32_e32 v83, 29, v0
	v_and_b32_e32 v2, v2, v3
	v_not_b32_e32 v3, v83
	v_and_b32_e32 v1, exec_hi, v1
	v_cmp_gt_i64_e32 vcc, 0, v[82:83]
	v_ashrrev_i32_e32 v3, 31, v3
	v_and_b32_e32 v1, v1, v8
	v_xor_b32_e32 v8, vcc_hi, v3
	v_xor_b32_e32 v3, vcc_lo, v3
	v_lshlrev_b32_e32 v83, 28, v0
	v_and_b32_e32 v2, v2, v3
	v_not_b32_e32 v3, v83
	v_cmp_gt_i64_e32 vcc, 0, v[82:83]
	v_ashrrev_i32_e32 v3, 31, v3
	v_and_b32_e32 v1, v1, v8
	v_xor_b32_e32 v8, vcc_hi, v3
	v_xor_b32_e32 v3, vcc_lo, v3
	v_lshlrev_b32_e32 v83, 27, v0
	v_and_b32_e32 v2, v2, v3
	v_not_b32_e32 v3, v83
	;; [unrolled: 8-line block ×3, first 2 shown]
	v_cmp_gt_i64_e32 vcc, 0, v[82:83]
	v_ashrrev_i32_e32 v3, 31, v3
	v_and_b32_e32 v1, v1, v8
	v_xor_b32_e32 v8, vcc_hi, v3
	v_xor_b32_e32 v3, vcc_lo, v3
	v_lshlrev_b32_e32 v83, 25, v0
	v_and_b32_e32 v2, v2, v3
	v_cmp_gt_i64_e32 vcc, 0, v[82:83]
	v_not_b32_e32 v3, v83
	v_lshlrev_b32_e32 v83, 24, v0
	v_ashrrev_i32_e32 v3, 31, v3
	v_not_b32_e32 v0, v83
	v_and_b32_e32 v1, v1, v8
	v_xor_b32_e32 v8, vcc_hi, v3
	v_xor_b32_e32 v3, vcc_lo, v3
	v_cmp_gt_i64_e32 vcc, 0, v[82:83]
	v_ashrrev_i32_e32 v0, 31, v0
	v_and_b32_e32 v2, v2, v3
	v_xor_b32_e32 v3, vcc_hi, v0
	v_xor_b32_e32 v0, vcc_lo, v0
	v_and_b32_e32 v1, v1, v8
	v_and_b32_e32 v0, v2, v0
	;; [unrolled: 1-line block ×3, first 2 shown]
	v_mbcnt_lo_u32_b32 v2, v0, 0
	v_mbcnt_hi_u32_b32 v8, v1, v2
	v_cmp_eq_u32_e32 vcc, 0, v8
	v_cmp_ne_u64_e64 s[4:5], 0, v[0:1]
	s_and_b64 s[60:61], s[4:5], vcc
	; wave barrier
	s_and_saveexec_b64 s[4:5], s[60:61]
	s_cbranch_execz .LBB197_50
; %bb.49:                               ;   in Loop: Header=BB197_46 Depth=1
	v_bcnt_u32_b32 v0, v0, 0
	v_bcnt_u32_b32 v0, v1, v0
	s_waitcnt lgkmcnt(0)
	v_add_u32_e32 v0, v6, v0
	ds_write_b32 v7, v0
.LBB197_50:                             ;   in Loop: Header=BB197_46 Depth=1
	s_or_b64 exec, exec, s[4:5]
	v_cmp_ne_u64_e32 vcc, s[50:51], v[94:95]
	v_cndmask_b32_e32 v1, v123, v95, vcc
	v_cndmask_b32_e32 v0, 0, v94, vcc
	v_lshrrev_b64 v[0:1], s52, v[0:1]
	v_and_b32_e32 v0, s59, v0
	v_lshlrev_b32_e32 v1, 1, v0
	v_add_lshl_u32 v1, v1, v125, 2
	; wave barrier
	v_add_u32_e32 v10, 8, v1
	ds_read_b32 v9, v1 offset:8
	v_and_b32_e32 v1, 1, v0
	v_add_co_u32_e32 v2, vcc, -1, v1
	v_addc_co_u32_e64 v3, s[4:5], 0, -1, vcc
	v_cmp_ne_u32_e32 vcc, 0, v1
	v_lshlrev_b32_e32 v83, 30, v0
	v_xor_b32_e32 v1, vcc_hi, v3
	v_not_b32_e32 v3, v83
	v_xor_b32_e32 v2, vcc_lo, v2
	v_cmp_gt_i64_e32 vcc, 0, v[82:83]
	v_ashrrev_i32_e32 v3, 31, v3
	v_and_b32_e32 v2, exec_lo, v2
	v_xor_b32_e32 v11, vcc_hi, v3
	v_xor_b32_e32 v3, vcc_lo, v3
	v_lshlrev_b32_e32 v83, 29, v0
	v_and_b32_e32 v2, v2, v3
	v_not_b32_e32 v3, v83
	v_and_b32_e32 v1, exec_hi, v1
	v_cmp_gt_i64_e32 vcc, 0, v[82:83]
	v_ashrrev_i32_e32 v3, 31, v3
	v_and_b32_e32 v1, v1, v11
	v_xor_b32_e32 v11, vcc_hi, v3
	v_xor_b32_e32 v3, vcc_lo, v3
	v_lshlrev_b32_e32 v83, 28, v0
	v_and_b32_e32 v2, v2, v3
	v_not_b32_e32 v3, v83
	v_cmp_gt_i64_e32 vcc, 0, v[82:83]
	v_ashrrev_i32_e32 v3, 31, v3
	v_and_b32_e32 v1, v1, v11
	v_xor_b32_e32 v11, vcc_hi, v3
	v_xor_b32_e32 v3, vcc_lo, v3
	v_lshlrev_b32_e32 v83, 27, v0
	v_and_b32_e32 v2, v2, v3
	v_not_b32_e32 v3, v83
	;; [unrolled: 8-line block ×3, first 2 shown]
	v_cmp_gt_i64_e32 vcc, 0, v[82:83]
	v_ashrrev_i32_e32 v3, 31, v3
	v_and_b32_e32 v1, v1, v11
	v_xor_b32_e32 v11, vcc_hi, v3
	v_xor_b32_e32 v3, vcc_lo, v3
	v_lshlrev_b32_e32 v83, 25, v0
	v_and_b32_e32 v2, v2, v3
	v_cmp_gt_i64_e32 vcc, 0, v[82:83]
	v_not_b32_e32 v3, v83
	v_lshlrev_b32_e32 v83, 24, v0
	v_ashrrev_i32_e32 v3, 31, v3
	v_not_b32_e32 v0, v83
	v_and_b32_e32 v1, v1, v11
	v_xor_b32_e32 v11, vcc_hi, v3
	v_xor_b32_e32 v3, vcc_lo, v3
	v_cmp_gt_i64_e32 vcc, 0, v[82:83]
	v_ashrrev_i32_e32 v0, 31, v0
	v_and_b32_e32 v2, v2, v3
	v_xor_b32_e32 v3, vcc_hi, v0
	v_xor_b32_e32 v0, vcc_lo, v0
	v_and_b32_e32 v1, v1, v11
	v_and_b32_e32 v0, v2, v0
	;; [unrolled: 1-line block ×3, first 2 shown]
	v_mbcnt_lo_u32_b32 v2, v0, 0
	v_mbcnt_hi_u32_b32 v11, v1, v2
	v_cmp_eq_u32_e32 vcc, 0, v11
	v_cmp_ne_u64_e64 s[4:5], 0, v[0:1]
	s_and_b64 s[60:61], s[4:5], vcc
	; wave barrier
	s_and_saveexec_b64 s[4:5], s[60:61]
	s_cbranch_execz .LBB197_52
; %bb.51:                               ;   in Loop: Header=BB197_46 Depth=1
	v_bcnt_u32_b32 v0, v0, 0
	v_bcnt_u32_b32 v0, v1, v0
	s_waitcnt lgkmcnt(0)
	v_add_u32_e32 v0, v9, v0
	ds_write_b32 v10, v0
.LBB197_52:                             ;   in Loop: Header=BB197_46 Depth=1
	s_or_b64 exec, exec, s[4:5]
	v_cmp_ne_u64_e32 vcc, s[50:51], v[92:93]
	v_cndmask_b32_e32 v1, v123, v93, vcc
	v_cndmask_b32_e32 v0, 0, v92, vcc
	v_lshrrev_b64 v[0:1], s52, v[0:1]
	v_and_b32_e32 v0, s59, v0
	v_lshlrev_b32_e32 v1, 1, v0
	v_add_lshl_u32 v1, v1, v125, 2
	; wave barrier
	v_add_u32_e32 v13, 8, v1
	ds_read_b32 v12, v1 offset:8
	v_and_b32_e32 v1, 1, v0
	v_add_co_u32_e32 v2, vcc, -1, v1
	v_addc_co_u32_e64 v3, s[4:5], 0, -1, vcc
	v_cmp_ne_u32_e32 vcc, 0, v1
	v_lshlrev_b32_e32 v83, 30, v0
	v_xor_b32_e32 v1, vcc_hi, v3
	v_not_b32_e32 v3, v83
	v_xor_b32_e32 v2, vcc_lo, v2
	v_cmp_gt_i64_e32 vcc, 0, v[82:83]
	v_ashrrev_i32_e32 v3, 31, v3
	v_and_b32_e32 v2, exec_lo, v2
	v_xor_b32_e32 v14, vcc_hi, v3
	v_xor_b32_e32 v3, vcc_lo, v3
	v_lshlrev_b32_e32 v83, 29, v0
	v_and_b32_e32 v2, v2, v3
	v_not_b32_e32 v3, v83
	v_and_b32_e32 v1, exec_hi, v1
	v_cmp_gt_i64_e32 vcc, 0, v[82:83]
	v_ashrrev_i32_e32 v3, 31, v3
	v_and_b32_e32 v1, v1, v14
	v_xor_b32_e32 v14, vcc_hi, v3
	v_xor_b32_e32 v3, vcc_lo, v3
	v_lshlrev_b32_e32 v83, 28, v0
	v_and_b32_e32 v2, v2, v3
	v_not_b32_e32 v3, v83
	v_cmp_gt_i64_e32 vcc, 0, v[82:83]
	v_ashrrev_i32_e32 v3, 31, v3
	v_and_b32_e32 v1, v1, v14
	v_xor_b32_e32 v14, vcc_hi, v3
	v_xor_b32_e32 v3, vcc_lo, v3
	v_lshlrev_b32_e32 v83, 27, v0
	v_and_b32_e32 v2, v2, v3
	v_not_b32_e32 v3, v83
	;; [unrolled: 8-line block ×3, first 2 shown]
	v_cmp_gt_i64_e32 vcc, 0, v[82:83]
	v_ashrrev_i32_e32 v3, 31, v3
	v_and_b32_e32 v1, v1, v14
	v_xor_b32_e32 v14, vcc_hi, v3
	v_xor_b32_e32 v3, vcc_lo, v3
	v_lshlrev_b32_e32 v83, 25, v0
	v_and_b32_e32 v2, v2, v3
	v_cmp_gt_i64_e32 vcc, 0, v[82:83]
	v_not_b32_e32 v3, v83
	v_lshlrev_b32_e32 v83, 24, v0
	v_ashrrev_i32_e32 v3, 31, v3
	v_not_b32_e32 v0, v83
	v_and_b32_e32 v1, v1, v14
	v_xor_b32_e32 v14, vcc_hi, v3
	v_xor_b32_e32 v3, vcc_lo, v3
	v_cmp_gt_i64_e32 vcc, 0, v[82:83]
	v_ashrrev_i32_e32 v0, 31, v0
	v_and_b32_e32 v2, v2, v3
	v_xor_b32_e32 v3, vcc_hi, v0
	v_xor_b32_e32 v0, vcc_lo, v0
	v_and_b32_e32 v1, v1, v14
	v_and_b32_e32 v0, v2, v0
	;; [unrolled: 1-line block ×3, first 2 shown]
	v_mbcnt_lo_u32_b32 v2, v0, 0
	v_mbcnt_hi_u32_b32 v14, v1, v2
	v_cmp_eq_u32_e32 vcc, 0, v14
	v_cmp_ne_u64_e64 s[4:5], 0, v[0:1]
	s_and_b64 s[60:61], s[4:5], vcc
	; wave barrier
	s_and_saveexec_b64 s[4:5], s[60:61]
	s_cbranch_execz .LBB197_54
; %bb.53:                               ;   in Loop: Header=BB197_46 Depth=1
	v_bcnt_u32_b32 v0, v0, 0
	v_bcnt_u32_b32 v0, v1, v0
	s_waitcnt lgkmcnt(0)
	v_add_u32_e32 v0, v12, v0
	ds_write_b32 v13, v0
.LBB197_54:                             ;   in Loop: Header=BB197_46 Depth=1
	s_or_b64 exec, exec, s[4:5]
	v_cmp_ne_u64_e32 vcc, s[50:51], v[90:91]
	v_cndmask_b32_e32 v1, v123, v91, vcc
	v_cndmask_b32_e32 v0, 0, v90, vcc
	v_lshrrev_b64 v[0:1], s52, v[0:1]
	v_and_b32_e32 v0, s59, v0
	v_lshlrev_b32_e32 v1, 1, v0
	v_add_lshl_u32 v1, v1, v125, 2
	; wave barrier
	v_add_u32_e32 v50, 8, v1
	ds_read_b32 v15, v1 offset:8
	v_and_b32_e32 v1, 1, v0
	v_add_co_u32_e32 v2, vcc, -1, v1
	v_addc_co_u32_e64 v3, s[4:5], 0, -1, vcc
	v_cmp_ne_u32_e32 vcc, 0, v1
	v_lshlrev_b32_e32 v83, 30, v0
	v_xor_b32_e32 v1, vcc_hi, v3
	v_not_b32_e32 v3, v83
	v_xor_b32_e32 v2, vcc_lo, v2
	v_cmp_gt_i64_e32 vcc, 0, v[82:83]
	v_ashrrev_i32_e32 v3, 31, v3
	v_and_b32_e32 v2, exec_lo, v2
	v_xor_b32_e32 v51, vcc_hi, v3
	v_xor_b32_e32 v3, vcc_lo, v3
	v_lshlrev_b32_e32 v83, 29, v0
	v_and_b32_e32 v2, v2, v3
	v_not_b32_e32 v3, v83
	v_and_b32_e32 v1, exec_hi, v1
	v_cmp_gt_i64_e32 vcc, 0, v[82:83]
	v_ashrrev_i32_e32 v3, 31, v3
	v_and_b32_e32 v1, v1, v51
	v_xor_b32_e32 v51, vcc_hi, v3
	v_xor_b32_e32 v3, vcc_lo, v3
	v_lshlrev_b32_e32 v83, 28, v0
	v_and_b32_e32 v2, v2, v3
	v_not_b32_e32 v3, v83
	v_cmp_gt_i64_e32 vcc, 0, v[82:83]
	v_ashrrev_i32_e32 v3, 31, v3
	v_and_b32_e32 v1, v1, v51
	v_xor_b32_e32 v51, vcc_hi, v3
	v_xor_b32_e32 v3, vcc_lo, v3
	v_lshlrev_b32_e32 v83, 27, v0
	v_and_b32_e32 v2, v2, v3
	v_not_b32_e32 v3, v83
	;; [unrolled: 8-line block ×3, first 2 shown]
	v_cmp_gt_i64_e32 vcc, 0, v[82:83]
	v_ashrrev_i32_e32 v3, 31, v3
	v_and_b32_e32 v1, v1, v51
	v_xor_b32_e32 v51, vcc_hi, v3
	v_xor_b32_e32 v3, vcc_lo, v3
	v_lshlrev_b32_e32 v83, 25, v0
	v_and_b32_e32 v2, v2, v3
	v_cmp_gt_i64_e32 vcc, 0, v[82:83]
	v_not_b32_e32 v3, v83
	v_lshlrev_b32_e32 v83, 24, v0
	v_ashrrev_i32_e32 v3, 31, v3
	v_not_b32_e32 v0, v83
	v_and_b32_e32 v1, v1, v51
	v_xor_b32_e32 v51, vcc_hi, v3
	v_xor_b32_e32 v3, vcc_lo, v3
	v_cmp_gt_i64_e32 vcc, 0, v[82:83]
	v_ashrrev_i32_e32 v0, 31, v0
	v_and_b32_e32 v2, v2, v3
	v_xor_b32_e32 v3, vcc_hi, v0
	v_xor_b32_e32 v0, vcc_lo, v0
	v_and_b32_e32 v1, v1, v51
	v_and_b32_e32 v0, v2, v0
	v_and_b32_e32 v1, v1, v3
	v_mbcnt_lo_u32_b32 v2, v0, 0
	v_mbcnt_hi_u32_b32 v51, v1, v2
	v_cmp_eq_u32_e32 vcc, 0, v51
	v_cmp_ne_u64_e64 s[4:5], 0, v[0:1]
	s_and_b64 s[60:61], s[4:5], vcc
	; wave barrier
	s_and_saveexec_b64 s[4:5], s[60:61]
	s_cbranch_execz .LBB197_56
; %bb.55:                               ;   in Loop: Header=BB197_46 Depth=1
	v_bcnt_u32_b32 v0, v0, 0
	v_bcnt_u32_b32 v0, v1, v0
	s_waitcnt lgkmcnt(0)
	v_add_u32_e32 v0, v15, v0
	ds_write_b32 v50, v0
.LBB197_56:                             ;   in Loop: Header=BB197_46 Depth=1
	s_or_b64 exec, exec, s[4:5]
	v_cmp_ne_u64_e32 vcc, s[50:51], v[88:89]
	v_cndmask_b32_e32 v1, v123, v89, vcc
	v_cndmask_b32_e32 v0, 0, v88, vcc
	v_lshrrev_b64 v[0:1], s52, v[0:1]
	v_and_b32_e32 v0, s59, v0
	v_lshlrev_b32_e32 v1, 1, v0
	v_add_lshl_u32 v1, v1, v125, 2
	; wave barrier
	v_add_u32_e32 v53, 8, v1
	ds_read_b32 v52, v1 offset:8
	v_and_b32_e32 v1, 1, v0
	v_add_co_u32_e32 v2, vcc, -1, v1
	v_addc_co_u32_e64 v3, s[4:5], 0, -1, vcc
	v_cmp_ne_u32_e32 vcc, 0, v1
	v_lshlrev_b32_e32 v83, 30, v0
	v_xor_b32_e32 v1, vcc_hi, v3
	v_not_b32_e32 v3, v83
	v_xor_b32_e32 v2, vcc_lo, v2
	v_cmp_gt_i64_e32 vcc, 0, v[82:83]
	v_ashrrev_i32_e32 v3, 31, v3
	v_and_b32_e32 v2, exec_lo, v2
	v_xor_b32_e32 v54, vcc_hi, v3
	v_xor_b32_e32 v3, vcc_lo, v3
	v_lshlrev_b32_e32 v83, 29, v0
	v_and_b32_e32 v2, v2, v3
	v_not_b32_e32 v3, v83
	v_and_b32_e32 v1, exec_hi, v1
	v_cmp_gt_i64_e32 vcc, 0, v[82:83]
	v_ashrrev_i32_e32 v3, 31, v3
	v_and_b32_e32 v1, v1, v54
	v_xor_b32_e32 v54, vcc_hi, v3
	v_xor_b32_e32 v3, vcc_lo, v3
	v_lshlrev_b32_e32 v83, 28, v0
	v_and_b32_e32 v2, v2, v3
	v_not_b32_e32 v3, v83
	v_cmp_gt_i64_e32 vcc, 0, v[82:83]
	v_ashrrev_i32_e32 v3, 31, v3
	v_and_b32_e32 v1, v1, v54
	v_xor_b32_e32 v54, vcc_hi, v3
	v_xor_b32_e32 v3, vcc_lo, v3
	v_lshlrev_b32_e32 v83, 27, v0
	v_and_b32_e32 v2, v2, v3
	v_not_b32_e32 v3, v83
	;; [unrolled: 8-line block ×3, first 2 shown]
	v_cmp_gt_i64_e32 vcc, 0, v[82:83]
	v_ashrrev_i32_e32 v3, 31, v3
	v_and_b32_e32 v1, v1, v54
	v_xor_b32_e32 v54, vcc_hi, v3
	v_xor_b32_e32 v3, vcc_lo, v3
	v_lshlrev_b32_e32 v83, 25, v0
	v_and_b32_e32 v2, v2, v3
	v_cmp_gt_i64_e32 vcc, 0, v[82:83]
	v_not_b32_e32 v3, v83
	v_lshlrev_b32_e32 v83, 24, v0
	v_ashrrev_i32_e32 v3, 31, v3
	v_not_b32_e32 v0, v83
	v_and_b32_e32 v1, v1, v54
	v_xor_b32_e32 v54, vcc_hi, v3
	v_xor_b32_e32 v3, vcc_lo, v3
	v_cmp_gt_i64_e32 vcc, 0, v[82:83]
	v_ashrrev_i32_e32 v0, 31, v0
	v_and_b32_e32 v2, v2, v3
	v_xor_b32_e32 v3, vcc_hi, v0
	v_xor_b32_e32 v0, vcc_lo, v0
	v_and_b32_e32 v1, v1, v54
	v_and_b32_e32 v0, v2, v0
	;; [unrolled: 1-line block ×3, first 2 shown]
	v_mbcnt_lo_u32_b32 v2, v0, 0
	v_mbcnt_hi_u32_b32 v54, v1, v2
	v_cmp_eq_u32_e32 vcc, 0, v54
	v_cmp_ne_u64_e64 s[4:5], 0, v[0:1]
	s_and_b64 s[60:61], s[4:5], vcc
	; wave barrier
	s_and_saveexec_b64 s[4:5], s[60:61]
	s_cbranch_execz .LBB197_58
; %bb.57:                               ;   in Loop: Header=BB197_46 Depth=1
	v_bcnt_u32_b32 v0, v0, 0
	v_bcnt_u32_b32 v0, v1, v0
	s_waitcnt lgkmcnt(0)
	v_add_u32_e32 v0, v52, v0
	ds_write_b32 v53, v0
.LBB197_58:                             ;   in Loop: Header=BB197_46 Depth=1
	s_or_b64 exec, exec, s[4:5]
	v_cmp_ne_u64_e32 vcc, s[50:51], v[86:87]
	v_cndmask_b32_e32 v1, v123, v87, vcc
	v_cndmask_b32_e32 v0, 0, v86, vcc
	v_lshrrev_b64 v[0:1], s52, v[0:1]
	v_and_b32_e32 v0, s59, v0
	v_lshlrev_b32_e32 v1, 1, v0
	v_add_lshl_u32 v1, v1, v125, 2
	; wave barrier
	v_add_u32_e32 v56, 8, v1
	ds_read_b32 v55, v1 offset:8
	v_and_b32_e32 v1, 1, v0
	v_add_co_u32_e32 v2, vcc, -1, v1
	v_addc_co_u32_e64 v3, s[4:5], 0, -1, vcc
	v_cmp_ne_u32_e32 vcc, 0, v1
	v_lshlrev_b32_e32 v83, 30, v0
	v_xor_b32_e32 v1, vcc_hi, v3
	v_not_b32_e32 v3, v83
	v_xor_b32_e32 v2, vcc_lo, v2
	v_cmp_gt_i64_e32 vcc, 0, v[82:83]
	v_ashrrev_i32_e32 v3, 31, v3
	v_and_b32_e32 v2, exec_lo, v2
	v_xor_b32_e32 v57, vcc_hi, v3
	v_xor_b32_e32 v3, vcc_lo, v3
	v_lshlrev_b32_e32 v83, 29, v0
	v_and_b32_e32 v2, v2, v3
	v_not_b32_e32 v3, v83
	v_and_b32_e32 v1, exec_hi, v1
	v_cmp_gt_i64_e32 vcc, 0, v[82:83]
	v_ashrrev_i32_e32 v3, 31, v3
	v_and_b32_e32 v1, v1, v57
	v_xor_b32_e32 v57, vcc_hi, v3
	v_xor_b32_e32 v3, vcc_lo, v3
	v_lshlrev_b32_e32 v83, 28, v0
	v_and_b32_e32 v2, v2, v3
	v_not_b32_e32 v3, v83
	v_cmp_gt_i64_e32 vcc, 0, v[82:83]
	v_ashrrev_i32_e32 v3, 31, v3
	v_and_b32_e32 v1, v1, v57
	v_xor_b32_e32 v57, vcc_hi, v3
	v_xor_b32_e32 v3, vcc_lo, v3
	v_lshlrev_b32_e32 v83, 27, v0
	v_and_b32_e32 v2, v2, v3
	v_not_b32_e32 v3, v83
	;; [unrolled: 8-line block ×3, first 2 shown]
	v_cmp_gt_i64_e32 vcc, 0, v[82:83]
	v_ashrrev_i32_e32 v3, 31, v3
	v_and_b32_e32 v1, v1, v57
	v_xor_b32_e32 v57, vcc_hi, v3
	v_xor_b32_e32 v3, vcc_lo, v3
	v_lshlrev_b32_e32 v83, 25, v0
	v_and_b32_e32 v2, v2, v3
	v_cmp_gt_i64_e32 vcc, 0, v[82:83]
	v_not_b32_e32 v3, v83
	v_lshlrev_b32_e32 v83, 24, v0
	v_ashrrev_i32_e32 v3, 31, v3
	v_not_b32_e32 v0, v83
	v_and_b32_e32 v1, v1, v57
	v_xor_b32_e32 v57, vcc_hi, v3
	v_xor_b32_e32 v3, vcc_lo, v3
	v_cmp_gt_i64_e32 vcc, 0, v[82:83]
	v_ashrrev_i32_e32 v0, 31, v0
	v_and_b32_e32 v2, v2, v3
	v_xor_b32_e32 v3, vcc_hi, v0
	v_xor_b32_e32 v0, vcc_lo, v0
	v_and_b32_e32 v1, v1, v57
	v_and_b32_e32 v0, v2, v0
	;; [unrolled: 1-line block ×3, first 2 shown]
	v_mbcnt_lo_u32_b32 v2, v0, 0
	v_mbcnt_hi_u32_b32 v57, v1, v2
	v_cmp_eq_u32_e32 vcc, 0, v57
	v_cmp_ne_u64_e64 s[4:5], 0, v[0:1]
	s_and_b64 s[60:61], s[4:5], vcc
	; wave barrier
	s_and_saveexec_b64 s[4:5], s[60:61]
	s_cbranch_execz .LBB197_60
; %bb.59:                               ;   in Loop: Header=BB197_46 Depth=1
	v_bcnt_u32_b32 v0, v0, 0
	v_bcnt_u32_b32 v0, v1, v0
	s_waitcnt lgkmcnt(0)
	v_add_u32_e32 v0, v55, v0
	ds_write_b32 v56, v0
.LBB197_60:                             ;   in Loop: Header=BB197_46 Depth=1
	s_or_b64 exec, exec, s[4:5]
	v_cmp_ne_u64_e32 vcc, s[50:51], v[84:85]
	v_cndmask_b32_e32 v1, v123, v85, vcc
	v_cndmask_b32_e32 v0, 0, v84, vcc
	v_lshrrev_b64 v[0:1], s52, v[0:1]
	v_and_b32_e32 v0, s59, v0
	v_lshlrev_b32_e32 v1, 1, v0
	v_add_lshl_u32 v1, v1, v125, 2
	; wave barrier
	v_add_u32_e32 v59, 8, v1
	ds_read_b32 v58, v1 offset:8
	v_and_b32_e32 v1, 1, v0
	v_add_co_u32_e32 v2, vcc, -1, v1
	v_addc_co_u32_e64 v3, s[4:5], 0, -1, vcc
	v_cmp_ne_u32_e32 vcc, 0, v1
	v_lshlrev_b32_e32 v83, 30, v0
	v_xor_b32_e32 v1, vcc_hi, v3
	v_not_b32_e32 v3, v83
	v_xor_b32_e32 v2, vcc_lo, v2
	v_cmp_gt_i64_e32 vcc, 0, v[82:83]
	v_ashrrev_i32_e32 v3, 31, v3
	v_and_b32_e32 v2, exec_lo, v2
	v_xor_b32_e32 v60, vcc_hi, v3
	v_xor_b32_e32 v3, vcc_lo, v3
	v_lshlrev_b32_e32 v83, 29, v0
	v_and_b32_e32 v2, v2, v3
	v_not_b32_e32 v3, v83
	v_and_b32_e32 v1, exec_hi, v1
	v_cmp_gt_i64_e32 vcc, 0, v[82:83]
	v_ashrrev_i32_e32 v3, 31, v3
	v_and_b32_e32 v1, v1, v60
	v_xor_b32_e32 v60, vcc_hi, v3
	v_xor_b32_e32 v3, vcc_lo, v3
	v_lshlrev_b32_e32 v83, 28, v0
	v_and_b32_e32 v2, v2, v3
	v_not_b32_e32 v3, v83
	v_cmp_gt_i64_e32 vcc, 0, v[82:83]
	v_ashrrev_i32_e32 v3, 31, v3
	v_and_b32_e32 v1, v1, v60
	v_xor_b32_e32 v60, vcc_hi, v3
	v_xor_b32_e32 v3, vcc_lo, v3
	v_lshlrev_b32_e32 v83, 27, v0
	v_and_b32_e32 v2, v2, v3
	v_not_b32_e32 v3, v83
	;; [unrolled: 8-line block ×3, first 2 shown]
	v_cmp_gt_i64_e32 vcc, 0, v[82:83]
	v_ashrrev_i32_e32 v3, 31, v3
	v_and_b32_e32 v1, v1, v60
	v_xor_b32_e32 v60, vcc_hi, v3
	v_xor_b32_e32 v3, vcc_lo, v3
	v_lshlrev_b32_e32 v83, 25, v0
	v_and_b32_e32 v2, v2, v3
	v_cmp_gt_i64_e32 vcc, 0, v[82:83]
	v_not_b32_e32 v3, v83
	v_lshlrev_b32_e32 v83, 24, v0
	v_ashrrev_i32_e32 v3, 31, v3
	v_not_b32_e32 v0, v83
	v_and_b32_e32 v1, v1, v60
	v_xor_b32_e32 v60, vcc_hi, v3
	v_xor_b32_e32 v3, vcc_lo, v3
	v_cmp_gt_i64_e32 vcc, 0, v[82:83]
	v_ashrrev_i32_e32 v0, 31, v0
	v_and_b32_e32 v2, v2, v3
	v_xor_b32_e32 v3, vcc_hi, v0
	v_xor_b32_e32 v0, vcc_lo, v0
	v_and_b32_e32 v1, v1, v60
	v_and_b32_e32 v0, v2, v0
	;; [unrolled: 1-line block ×3, first 2 shown]
	v_mbcnt_lo_u32_b32 v2, v0, 0
	v_mbcnt_hi_u32_b32 v60, v1, v2
	v_cmp_eq_u32_e32 vcc, 0, v60
	v_cmp_ne_u64_e64 s[4:5], 0, v[0:1]
	s_and_b64 s[60:61], s[4:5], vcc
	; wave barrier
	s_and_saveexec_b64 s[4:5], s[60:61]
	s_cbranch_execz .LBB197_62
; %bb.61:                               ;   in Loop: Header=BB197_46 Depth=1
	v_bcnt_u32_b32 v0, v0, 0
	v_bcnt_u32_b32 v0, v1, v0
	s_waitcnt lgkmcnt(0)
	v_add_u32_e32 v0, v58, v0
	ds_write_b32 v59, v0
.LBB197_62:                             ;   in Loop: Header=BB197_46 Depth=1
	s_or_b64 exec, exec, s[4:5]
	; wave barrier
	s_waitcnt lgkmcnt(0)
	s_barrier
	ds_read2_b32 v[2:3], v110 offset0:2 offset1:3
	ds_read2_b32 v[0:1], v124 offset0:2 offset1:3
	s_waitcnt lgkmcnt(1)
	v_add_u32_e32 v61, v3, v2
	s_waitcnt lgkmcnt(0)
	v_add3_u32 v1, v61, v0, v1
	s_nop 1
	v_mov_b32_dpp v61, v1 row_shr:1 row_mask:0xf bank_mask:0xf
	v_cndmask_b32_e64 v61, v61, 0, s[22:23]
	v_add_u32_e32 v1, v61, v1
	s_nop 1
	v_mov_b32_dpp v61, v1 row_shr:2 row_mask:0xf bank_mask:0xf
	v_cndmask_b32_e64 v61, 0, v61, s[24:25]
	v_add_u32_e32 v1, v1, v61
	;; [unrolled: 4-line block ×4, first 2 shown]
	s_nop 1
	v_mov_b32_dpp v61, v1 row_bcast:15 row_mask:0xf bank_mask:0xf
	v_cndmask_b32_e64 v61, v61, 0, s[30:31]
	v_add_u32_e32 v1, v1, v61
	s_nop 1
	v_mov_b32_dpp v61, v1 row_bcast:31 row_mask:0xf bank_mask:0xf
	v_cndmask_b32_e64 v61, 0, v61, s[34:35]
	v_add_u32_e32 v1, v1, v61
	s_and_saveexec_b64 s[4:5], s[36:37]
	s_cbranch_execz .LBB197_64
; %bb.63:                               ;   in Loop: Header=BB197_46 Depth=1
	ds_write_b32 v127, v1
.LBB197_64:                             ;   in Loop: Header=BB197_46 Depth=1
	s_or_b64 exec, exec, s[4:5]
	s_waitcnt lgkmcnt(0)
	s_barrier
	s_and_saveexec_b64 s[4:5], s[16:17]
	s_cbranch_execz .LBB197_66
; %bb.65:                               ;   in Loop: Header=BB197_46 Depth=1
	ds_read_b32 v61, v109
	s_waitcnt lgkmcnt(0)
	s_nop 0
	v_mov_b32_dpp v62, v61 row_shr:1 row_mask:0xf bank_mask:0xf
	v_cndmask_b32_e64 v62, v62, 0, s[40:41]
	v_add_u32_e32 v61, v62, v61
	ds_write_b32 v109, v61
.LBB197_66:                             ;   in Loop: Header=BB197_46 Depth=1
	s_or_b64 exec, exec, s[4:5]
	v_mov_b32_e32 v61, 0
	s_waitcnt lgkmcnt(0)
	s_barrier
	s_and_saveexec_b64 s[4:5], s[18:19]
	s_cbranch_execz .LBB197_68
; %bb.67:                               ;   in Loop: Header=BB197_46 Depth=1
	ds_read_b32 v61, v128
.LBB197_68:                             ;   in Loop: Header=BB197_46 Depth=1
	s_or_b64 exec, exec, s[4:5]
	s_waitcnt lgkmcnt(0)
	v_add_u32_e32 v1, v61, v1
	ds_bpermute_b32 v1, v126, v1
	s_cmp_gt_u32 s52, 55
	s_waitcnt lgkmcnt(0)
	v_cndmask_b32_e64 v1, v1, v61, s[38:39]
	v_cndmask_b32_e64 v1, v1, 0, s[20:21]
	v_add_u32_e32 v2, v1, v2
	v_add_u32_e32 v3, v2, v3
	;; [unrolled: 1-line block ×3, first 2 shown]
	ds_write2_b32 v110, v1, v2 offset0:2 offset1:3
	ds_write2_b32 v124, v3, v0 offset0:2 offset1:3
	s_waitcnt lgkmcnt(0)
	s_barrier
	ds_read_b32 v0, v4
	ds_read_b32 v1, v7
	;; [unrolled: 1-line block ×8, first 2 shown]
	s_waitcnt lgkmcnt(7)
	v_add_u32_e32 v136, v0, v5
	s_waitcnt lgkmcnt(6)
	v_add3_u32 v135, v8, v6, v1
	s_waitcnt lgkmcnt(5)
	v_add3_u32 v134, v11, v9, v2
	s_waitcnt lgkmcnt(4)
	v_add3_u32 v133, v14, v12, v3
	s_waitcnt lgkmcnt(3)
	v_add3_u32 v132, v51, v15, v4
	s_waitcnt lgkmcnt(2)
	v_add3_u32 v130, v54, v52, v7
	s_waitcnt lgkmcnt(1)
	v_add3_u32 v83, v57, v55, v10
	s_waitcnt lgkmcnt(0)
	v_add3_u32 v131, v60, v58, v13
	s_cbranch_scc0 .LBB197_45
; %bb.69:
                                        ; implicit-def: $vgpr14_vgpr15
                                        ; implicit-def: $vgpr10_vgpr11
                                        ; implicit-def: $vgpr6_vgpr7
                                        ; implicit-def: $vgpr2_vgpr3
                                        ; implicit-def: $vgpr64_vgpr65
                                        ; implicit-def: $vgpr60_vgpr61
                                        ; implicit-def: $vgpr56_vgpr57
                                        ; implicit-def: $vgpr52_vgpr53
                                        ; implicit-def: $sgpr52_sgpr53
                                        ; implicit-def: $sgpr58
.LBB197_70:
	v_lshlrev_b32_e32 v50, 3, v136
	v_lshlrev_b32_e32 v51, 3, v135
	;; [unrolled: 1-line block ×9, first 2 shown]
	s_barrier
	ds_write_b64 v50, v[98:99]
	ds_write_b64 v51, v[96:97]
	;; [unrolled: 1-line block ×8, first 2 shown]
	s_waitcnt lgkmcnt(0)
	s_barrier
	ds_read2_b64 v[0:3], v62 offset1:1
	ds_read2_b64 v[4:7], v62 offset0:2 offset1:3
	ds_read2_b64 v[8:11], v62 offset0:4 offset1:5
	ds_read2_b64 v[12:15], v62 offset0:6 offset1:7
	s_waitcnt lgkmcnt(0)
	s_barrier
	ds_write_b64 v50, v[80:81]
	ds_write_b64 v51, v[78:79]
	;; [unrolled: 1-line block ×8, first 2 shown]
	v_ashrrev_i32_e32 v68, 31, v1
	v_not_b32_e32 v68, v68
	v_cmp_lt_i64_e32 vcc, -1, v[0:1]
	v_xor_b32_e32 v0, v68, v0
	v_ashrrev_i32_e32 v68, 31, v3
	v_bfrev_b32_e32 v16, 1
	v_not_b32_e32 v68, v68
	v_cndmask_b32_e64 v17, v16, -1, vcc
	v_cmp_lt_i64_e32 vcc, -1, v[2:3]
	v_xor_b32_e32 v2, v68, v2
	v_ashrrev_i32_e32 v68, 31, v5
	v_not_b32_e32 v68, v68
	v_xor_b32_e32 v1, v17, v1
	v_cndmask_b32_e64 v17, v16, -1, vcc
	v_cmp_lt_i64_e32 vcc, -1, v[4:5]
	v_xor_b32_e32 v4, v68, v4
	v_ashrrev_i32_e32 v68, 31, v7
	s_waitcnt lgkmcnt(0)
	s_barrier
	ds_read2_b64 v[50:53], v62 offset1:1
	ds_read2_b64 v[54:57], v62 offset0:2 offset1:3
	ds_read2_b64 v[58:61], v62 offset0:4 offset1:5
	;; [unrolled: 1-line block ×3, first 2 shown]
	v_xor_b32_e32 v3, v17, v3
	v_cndmask_b32_e64 v17, v16, -1, vcc
	v_cmp_lt_i64_e32 vcc, -1, v[6:7]
	v_not_b32_e32 v68, v68
	v_xor_b32_e32 v5, v17, v5
	v_cndmask_b32_e64 v17, v16, -1, vcc
	v_xor_b32_e32 v6, v68, v6
	v_cmp_lt_i64_e32 vcc, -1, v[8:9]
	v_ashrrev_i32_e32 v68, 31, v9
	v_xor_b32_e32 v7, v17, v7
	v_cndmask_b32_e64 v17, v16, -1, vcc
	v_not_b32_e32 v68, v68
	v_cmp_lt_i64_e32 vcc, -1, v[10:11]
	v_xor_b32_e32 v9, v17, v9
	v_xor_b32_e32 v8, v68, v8
	v_cndmask_b32_e64 v17, v16, -1, vcc
	v_ashrrev_i32_e32 v68, 31, v11
	v_cmp_lt_i64_e32 vcc, -1, v[12:13]
	v_not_b32_e32 v68, v68
	v_xor_b32_e32 v11, v17, v11
	v_cndmask_b32_e64 v17, v16, -1, vcc
	v_xor_b32_e32 v10, v68, v10
	v_ashrrev_i32_e32 v68, 31, v13
	v_xor_b32_e32 v13, v17, v13
	v_cmp_lt_i64_e32 vcc, -1, v[14:15]
	v_ashrrev_i32_e32 v17, 31, v15
	v_not_b32_e32 v68, v68
	v_cndmask_b32_e64 v16, v16, -1, vcc
	v_not_b32_e32 v17, v17
	v_xor_b32_e32 v12, v68, v12
	v_xor_b32_e32 v15, v16, v15
	v_xor_b32_e32 v14, v17, v14
	s_branch .LBB197_106
.LBB197_71:
	v_mad_u64_u32 v[2:3], s[16:17], v66, s46, 0
	v_mov_b32_e32 v4, v3
	v_mad_u64_u32 v[4:5], s[16:17], v66, s47, v[4:5]
	v_mov_b32_e32 v3, v4
	v_lshlrev_b64 v[2:3], 3, v[2:3]
	v_mov_b32_e32 v4, s56
	v_add_co_u32_e32 v2, vcc, s55, v2
	v_addc_co_u32_e32 v3, vcc, v4, v3, vcc
	global_load_dwordx2 v[2:3], v[2:3], off
	v_mov_b32_e32 v4, 0
	v_mov_b32_e32 v5, v4
	;; [unrolled: 1-line block ×14, first 2 shown]
	s_or_b64 exec, exec, s[4:5]
	s_and_saveexec_b64 s[4:5], s[2:3]
	s_cbranch_execz .LBB197_36
.LBB197_72:
	v_mad_u64_u32 v[4:5], s[16:17], v1, s46, 0
	v_mov_b32_e32 v40, v5
	v_mad_u64_u32 v[40:41], s[16:17], v1, s47, v[40:41]
	v_mov_b32_e32 v5, v40
	v_lshlrev_b64 v[4:5], 3, v[4:5]
	v_mov_b32_e32 v1, s56
	v_add_co_u32_e32 v4, vcc, s55, v4
	v_addc_co_u32_e32 v5, vcc, v1, v5, vcc
	global_load_dwordx2 v[4:5], v[4:5], off
	s_or_b64 exec, exec, s[4:5]
	s_and_saveexec_b64 s[4:5], s[42:43]
	s_cbranch_execz .LBB197_37
.LBB197_73:
	v_mad_u64_u32 v[6:7], s[16:17], v34, s46, 0
	v_mov_b32_e32 v40, v7
	v_mad_u64_u32 v[40:41], s[16:17], v34, s47, v[40:41]
	v_mov_b32_e32 v7, v40
	v_lshlrev_b64 v[6:7], 3, v[6:7]
	v_mov_b32_e32 v1, s56
	v_add_co_u32_e32 v6, vcc, s55, v6
	v_addc_co_u32_e32 v7, vcc, v1, v7, vcc
	global_load_dwordx2 v[6:7], v[6:7], off
	s_or_b64 exec, exec, s[4:5]
	s_and_saveexec_b64 s[4:5], s[6:7]
	s_cbranch_execz .LBB197_38
.LBB197_74:
	v_mad_u64_u32 v[8:9], s[16:17], v35, s46, 0
	v_mov_b32_e32 v34, v9
	v_mad_u64_u32 v[34:35], s[16:17], v35, s47, v[34:35]
	v_mov_b32_e32 v9, v34
	v_lshlrev_b64 v[8:9], 3, v[8:9]
	v_mov_b32_e32 v1, s56
	v_add_co_u32_e32 v8, vcc, s55, v8
	v_addc_co_u32_e32 v9, vcc, v1, v9, vcc
	global_load_dwordx2 v[8:9], v[8:9], off
	s_or_b64 exec, exec, s[4:5]
	s_and_saveexec_b64 s[4:5], s[8:9]
	s_cbranch_execz .LBB197_39
.LBB197_75:
	v_mad_u64_u32 v[10:11], s[16:17], v36, s46, 0
	v_mov_b32_e32 v34, v11
	v_mad_u64_u32 v[34:35], s[16:17], v36, s47, v[34:35]
	v_mov_b32_e32 v11, v34
	v_lshlrev_b64 v[10:11], 3, v[10:11]
	v_mov_b32_e32 v1, s56
	v_add_co_u32_e32 v10, vcc, s55, v10
	v_addc_co_u32_e32 v11, vcc, v1, v11, vcc
	global_load_dwordx2 v[10:11], v[10:11], off
	s_or_b64 exec, exec, s[4:5]
	s_and_saveexec_b64 s[4:5], s[10:11]
	s_cbranch_execz .LBB197_40
.LBB197_76:
	v_mad_u64_u32 v[12:13], s[16:17], v37, s46, 0
	v_mov_b32_e32 v34, v13
	v_mad_u64_u32 v[34:35], s[16:17], v37, s47, v[34:35]
	v_mov_b32_e32 v13, v34
	v_lshlrev_b64 v[12:13], 3, v[12:13]
	v_mov_b32_e32 v1, s56
	v_add_co_u32_e32 v12, vcc, s55, v12
	v_addc_co_u32_e32 v13, vcc, v1, v13, vcc
	global_load_dwordx2 v[12:13], v[12:13], off
	s_or_b64 exec, exec, s[4:5]
	s_and_saveexec_b64 s[4:5], s[12:13]
	s_cbranch_execz .LBB197_41
.LBB197_77:
	v_mad_u64_u32 v[14:15], s[16:17], v38, s46, 0
	v_mov_b32_e32 v34, v15
	v_mad_u64_u32 v[34:35], s[16:17], v38, s47, v[34:35]
	v_mov_b32_e32 v15, v34
	v_lshlrev_b64 v[14:15], 3, v[14:15]
	v_mov_b32_e32 v1, s56
	v_add_co_u32_e32 v14, vcc, s55, v14
	v_addc_co_u32_e32 v15, vcc, v1, v15, vcc
	global_load_dwordx2 v[14:15], v[14:15], off
	s_or_b64 exec, exec, s[4:5]
	s_xor_b64 s[4:5], s[34:35], -1
	s_and_saveexec_b64 s[16:17], s[14:15]
	s_cbranch_execnz .LBB197_42
	s_branch .LBB197_43
.LBB197_78:
                                        ; implicit-def: $vgpr64_vgpr65
                                        ; implicit-def: $vgpr60_vgpr61
                                        ; implicit-def: $vgpr56_vgpr57
                                        ; implicit-def: $vgpr52_vgpr53
                                        ; implicit-def: $vgpr0_vgpr1_vgpr2_vgpr3_vgpr4_vgpr5_vgpr6_vgpr7_vgpr8_vgpr9_vgpr10_vgpr11_vgpr12_vgpr13_vgpr14_vgpr15
	s_cbranch_execz .LBB197_106
; %bb.79:
	v_bfrev_b32_e32 v68, -2
	v_cmp_gt_i64_e32 vcc, 0, v[30:31]
	v_cndmask_b32_e64 v0, v68, 0, vcc
	v_not_b32_e32 v2, v122
	v_cmp_gt_i64_e32 vcc, 0, v[32:33]
	v_xor_b32_e32 v1, v0, v31
	v_xor_b32_e32 v0, v2, v30
	v_cndmask_b32_e64 v2, v68, 0, vcc
	v_not_b32_e32 v4, v121
	v_cmp_gt_i64_e32 vcc, 0, v[26:27]
	v_xor_b32_e32 v3, v2, v33
	v_xor_b32_e32 v2, v4, v32
	;; [unrolled: 5-line block ×7, first 2 shown]
	v_cndmask_b32_e64 v14, v68, 0, vcc
	v_not_b32_e32 v16, v115
	s_waitcnt lgkmcnt(3)
	v_mbcnt_hi_u32_b32 v50, -1, v114
	v_and_b32_e32 v51, 0x3c0, v66
	v_xor_b32_e32 v15, v14, v21
	v_xor_b32_e32 v14, v16, v20
	v_add_lshl_u32 v16, v50, v51, 6
	v_and_b32_e32 v52, 0x1e00, v108
	ds_write2_b64 v16, v[0:1], v[2:3] offset1:1
	ds_write2_b64 v16, v[4:5], v[6:7] offset0:2 offset1:3
	ds_write2_b64 v16, v[8:9], v[10:11] offset0:4 offset1:5
	;; [unrolled: 1-line block ×3, first 2 shown]
	v_or_b32_e32 v0, v50, v52
	v_lshlrev_b32_e32 v28, 3, v0
	; wave barrier
	ds_read2st64_b64 v[0:3], v28 offset1:1
	ds_read2st64_b64 v[4:7], v28 offset0:2 offset1:3
	ds_read2st64_b64 v[8:11], v28 offset0:4 offset1:5
	;; [unrolled: 1-line block ×3, first 2 shown]
	; wave barrier
	ds_write2_b64 v16, v[46:47], v[48:49] offset1:1
	ds_write2_b64 v16, v[42:43], v[44:45] offset0:2 offset1:3
	ds_write2_b64 v16, v[38:39], v[40:41] offset0:4 offset1:5
	;; [unrolled: 1-line block ×3, first 2 shown]
	; wave barrier
	ds_read2st64_b64 v[16:19], v28 offset1:1
	ds_read2st64_b64 v[20:23], v28 offset0:2 offset1:3
	ds_read2st64_b64 v[24:27], v28 offset0:4 offset1:5
	;; [unrolled: 1-line block ×3, first 2 shown]
	s_waitcnt lgkmcnt(0)
	s_barrier
	s_load_dword s16, s[48:49], 0xc
	s_getpc_b64 s[4:5]
	s_add_u32 s4, s4, _ZN7rocprim17ROCPRIM_400000_NS16block_radix_sortIdLj128ELj8ElLj1ELj1ELj0ELNS0_26block_radix_rank_algorithmE1ELNS0_18block_padding_hintE2ELNS0_4arch9wavefront6targetE1EE19radix_bits_per_passE@rel32@lo+4
	s_addc_u32 s5, s5, _ZN7rocprim17ROCPRIM_400000_NS16block_radix_sortIdLj128ELj8ElLj1ELj1ELj0ELNS0_26block_radix_rank_algorithmE1ELNS0_18block_padding_hintE2ELNS0_4arch9wavefront6targetE1EE19radix_bits_per_passE@rel32@hi+12
	s_load_dword s52, s[4:5], 0x0
	s_mov_b32 s48, 0
	v_and_b32_e32 v72, 60, v111
	s_waitcnt lgkmcnt(0)
	s_lshr_b32 s4, s16, 16
	s_and_b32 s5, s16, 0xffff
	v_mad_u32_u24 v32, v113, s4, v112
	v_mad_u64_u32 v[32:33], s[4:5], v32, s5, v[66:67]
	v_lshrrev_b32_e32 v70, 6, v32
	v_and_b32_e32 v32, 15, v50
	v_cmp_eq_u32_e64 s[16:17], 0, v32
	v_cmp_lt_u32_e64 s[18:19], 1, v32
	v_cmp_lt_u32_e64 s[20:21], 3, v32
	;; [unrolled: 1-line block ×3, first 2 shown]
	v_and_b32_e32 v32, 16, v50
	v_cmp_eq_u32_e64 s[24:25], 0, v32
	v_min_u32_e32 v32, 64, v51
	v_or_b32_e32 v32, 63, v32
	v_cmp_eq_u32_e64 s[28:29], v32, v66
	v_add_u32_e32 v32, -1, v50
	v_and_b32_e32 v33, 64, v50
	v_cmp_lt_i32_e32 vcc, v32, v33
	v_cndmask_b32_e32 v32, v32, v50, vcc
	v_lshlrev_b32_e32 v71, 2, v32
	v_and_b32_e32 v32, 1, v50
	v_cmp_eq_u32_e64 s[40:41], 0, v32
	v_and_or_b32 v32, v50, 63, v52
	s_mov_b64 s[50:51], 0
	s_brev_b32 s49, 1
	v_or_b32_e32 v69, 8, v110
	v_cmp_lt_u32_e64 s[26:27], 31, v50
	s_mov_b32 s53, 64
	v_cmp_gt_u32_e64 s[30:31], 2, v66
	v_cmp_lt_u32_e64 s[34:35], 63, v66
	v_cmp_eq_u32_e64 s[36:37], 0, v50
	v_cmp_eq_u32_e64 s[38:39], 0, v66
	v_add_u32_e32 v73, -4, v72
	v_lshlrev_b32_e32 v74, 3, v32
	v_mov_b32_e32 v48, 0
	s_branch .LBB197_81
.LBB197_80:                             ;   in Loop: Header=BB197_81 Depth=1
	v_lshlrev_b32_e32 v16, 3, v81
	v_lshlrev_b32_e32 v17, 3, v80
	;; [unrolled: 1-line block ×8, first 2 shown]
	s_barrier
	ds_write_b64 v16, v[64:65]
	ds_write_b64 v17, v[62:63]
	;; [unrolled: 1-line block ×8, first 2 shown]
	s_waitcnt lgkmcnt(0)
	s_barrier
	ds_read2st64_b64 v[0:3], v74 offset1:1
	ds_read2st64_b64 v[4:7], v74 offset0:2 offset1:3
	ds_read2st64_b64 v[8:11], v74 offset0:4 offset1:5
	;; [unrolled: 1-line block ×3, first 2 shown]
	s_waitcnt lgkmcnt(0)
	s_barrier
	ds_write_b64 v16, v[46:47]
	ds_write_b64 v17, v[44:45]
	;; [unrolled: 1-line block ×8, first 2 shown]
	s_waitcnt lgkmcnt(0)
	s_barrier
	ds_read2st64_b64 v[16:19], v74 offset1:1
	ds_read2st64_b64 v[20:23], v74 offset0:2 offset1:3
	ds_read2st64_b64 v[24:27], v74 offset0:4 offset1:5
	;; [unrolled: 1-line block ×3, first 2 shown]
	s_add_u32 s50, s50, 8
	s_addc_u32 s51, s51, 0
	s_add_i32 s53, s53, -8
	s_waitcnt lgkmcnt(0)
	s_barrier
	s_cbranch_execz .LBB197_105
.LBB197_81:                             ; =>This Inner Loop Header: Depth=1
	v_pk_mov_b32 v[64:65], v[0:1], v[0:1] op_sel:[0,1]
	s_min_u32 s4, s52, s53
	v_cmp_ne_u64_e32 vcc, s[48:49], v[64:65]
	s_lshl_b32 s4, -1, s4
	v_cndmask_b32_e32 v1, v68, v65, vcc
	v_cndmask_b32_e32 v0, -1, v64, vcc
	s_not_b32 s57, s4
	v_lshrrev_b64 v[0:1], s50, v[0:1]
	v_and_b32_e32 v0, s57, v0
	v_lshl_add_u32 v1, v0, 1, v70
	v_pk_mov_b32 v[60:61], v[4:5], v[4:5] op_sel:[0,1]
	v_lshl_add_u32 v4, v1, 2, 8
	v_and_b32_e32 v1, 1, v0
	v_pk_mov_b32 v[62:63], v[2:3], v[2:3] op_sel:[0,1]
	v_add_co_u32_e32 v2, vcc, -1, v1
	v_addc_co_u32_e64 v3, s[4:5], 0, -1, vcc
	v_cmp_ne_u32_e32 vcc, 0, v1
	v_lshlrev_b32_e32 v49, 30, v0
	v_xor_b32_e32 v1, vcc_hi, v3
	v_not_b32_e32 v3, v49
	v_xor_b32_e32 v2, vcc_lo, v2
	v_cmp_gt_i64_e32 vcc, 0, v[48:49]
	v_ashrrev_i32_e32 v3, 31, v3
	v_and_b32_e32 v2, exec_lo, v2
	v_xor_b32_e32 v5, vcc_hi, v3
	v_xor_b32_e32 v3, vcc_lo, v3
	v_lshlrev_b32_e32 v49, 29, v0
	v_and_b32_e32 v2, v2, v3
	v_not_b32_e32 v3, v49
	v_and_b32_e32 v1, exec_hi, v1
	v_cmp_gt_i64_e32 vcc, 0, v[48:49]
	v_ashrrev_i32_e32 v3, 31, v3
	v_and_b32_e32 v1, v1, v5
	v_xor_b32_e32 v5, vcc_hi, v3
	v_xor_b32_e32 v3, vcc_lo, v3
	v_lshlrev_b32_e32 v49, 28, v0
	v_and_b32_e32 v2, v2, v3
	v_not_b32_e32 v3, v49
	v_cmp_gt_i64_e32 vcc, 0, v[48:49]
	v_ashrrev_i32_e32 v3, 31, v3
	v_and_b32_e32 v1, v1, v5
	v_xor_b32_e32 v5, vcc_hi, v3
	v_xor_b32_e32 v3, vcc_lo, v3
	v_lshlrev_b32_e32 v49, 27, v0
	v_and_b32_e32 v2, v2, v3
	v_not_b32_e32 v3, v49
	;; [unrolled: 8-line block ×3, first 2 shown]
	v_cmp_gt_i64_e32 vcc, 0, v[48:49]
	v_ashrrev_i32_e32 v3, 31, v3
	v_and_b32_e32 v1, v1, v5
	v_xor_b32_e32 v5, vcc_hi, v3
	v_xor_b32_e32 v3, vcc_lo, v3
	v_lshlrev_b32_e32 v49, 25, v0
	v_and_b32_e32 v2, v2, v3
	v_cmp_gt_i64_e32 vcc, 0, v[48:49]
	v_not_b32_e32 v3, v49
	v_lshlrev_b32_e32 v49, 24, v0
	v_ashrrev_i32_e32 v3, 31, v3
	v_not_b32_e32 v0, v49
	v_and_b32_e32 v1, v1, v5
	v_xor_b32_e32 v5, vcc_hi, v3
	v_xor_b32_e32 v3, vcc_lo, v3
	v_cmp_gt_i64_e32 vcc, 0, v[48:49]
	v_ashrrev_i32_e32 v0, 31, v0
	v_and_b32_e32 v2, v2, v3
	v_xor_b32_e32 v3, vcc_hi, v0
	v_xor_b32_e32 v0, vcc_lo, v0
	v_and_b32_e32 v1, v1, v5
	v_and_b32_e32 v0, v2, v0
	;; [unrolled: 1-line block ×3, first 2 shown]
	v_mbcnt_lo_u32_b32 v2, v0, 0
	v_mbcnt_hi_u32_b32 v5, v1, v2
	v_cmp_eq_u32_e32 vcc, 0, v5
	v_cmp_ne_u64_e64 s[4:5], 0, v[0:1]
	v_pk_mov_b32 v[50:51], v[14:15], v[14:15] op_sel:[0,1]
	v_pk_mov_b32 v[52:53], v[12:13], v[12:13] op_sel:[0,1]
	;; [unrolled: 1-line block ×13, first 2 shown]
	s_and_b64 s[58:59], s[4:5], vcc
	ds_write2_b32 v110, v48, v48 offset0:2 offset1:3
	ds_write2_b32 v69, v48, v48 offset0:2 offset1:3
	s_waitcnt lgkmcnt(0)
	s_barrier
	s_waitcnt lgkmcnt(0)
	; wave barrier
	s_and_saveexec_b64 s[4:5], s[58:59]
	s_cbranch_execz .LBB197_83
; %bb.82:                               ;   in Loop: Header=BB197_81 Depth=1
	v_bcnt_u32_b32 v0, v0, 0
	v_bcnt_u32_b32 v0, v1, v0
	ds_write_b32 v4, v0
.LBB197_83:                             ;   in Loop: Header=BB197_81 Depth=1
	s_or_b64 exec, exec, s[4:5]
	v_cmp_ne_u64_e32 vcc, s[48:49], v[62:63]
	v_cndmask_b32_e32 v1, v68, v63, vcc
	v_cndmask_b32_e32 v0, -1, v62, vcc
	v_lshrrev_b64 v[0:1], s50, v[0:1]
	v_and_b32_e32 v0, s57, v0
	v_lshlrev_b32_e32 v1, 1, v0
	v_add_lshl_u32 v1, v1, v70, 2
	; wave barrier
	v_add_u32_e32 v7, 8, v1
	ds_read_b32 v6, v1 offset:8
	v_and_b32_e32 v1, 1, v0
	v_add_co_u32_e32 v2, vcc, -1, v1
	v_addc_co_u32_e64 v3, s[4:5], 0, -1, vcc
	v_cmp_ne_u32_e32 vcc, 0, v1
	v_lshlrev_b32_e32 v49, 30, v0
	v_xor_b32_e32 v1, vcc_hi, v3
	v_not_b32_e32 v3, v49
	v_xor_b32_e32 v2, vcc_lo, v2
	v_cmp_gt_i64_e32 vcc, 0, v[48:49]
	v_ashrrev_i32_e32 v3, 31, v3
	v_and_b32_e32 v2, exec_lo, v2
	v_xor_b32_e32 v8, vcc_hi, v3
	v_xor_b32_e32 v3, vcc_lo, v3
	v_lshlrev_b32_e32 v49, 29, v0
	v_and_b32_e32 v2, v2, v3
	v_not_b32_e32 v3, v49
	v_and_b32_e32 v1, exec_hi, v1
	v_cmp_gt_i64_e32 vcc, 0, v[48:49]
	v_ashrrev_i32_e32 v3, 31, v3
	v_and_b32_e32 v1, v1, v8
	v_xor_b32_e32 v8, vcc_hi, v3
	v_xor_b32_e32 v3, vcc_lo, v3
	v_lshlrev_b32_e32 v49, 28, v0
	v_and_b32_e32 v2, v2, v3
	v_not_b32_e32 v3, v49
	v_cmp_gt_i64_e32 vcc, 0, v[48:49]
	v_ashrrev_i32_e32 v3, 31, v3
	v_and_b32_e32 v1, v1, v8
	v_xor_b32_e32 v8, vcc_hi, v3
	v_xor_b32_e32 v3, vcc_lo, v3
	v_lshlrev_b32_e32 v49, 27, v0
	v_and_b32_e32 v2, v2, v3
	v_not_b32_e32 v3, v49
	;; [unrolled: 8-line block ×3, first 2 shown]
	v_cmp_gt_i64_e32 vcc, 0, v[48:49]
	v_ashrrev_i32_e32 v3, 31, v3
	v_and_b32_e32 v1, v1, v8
	v_xor_b32_e32 v8, vcc_hi, v3
	v_xor_b32_e32 v3, vcc_lo, v3
	v_lshlrev_b32_e32 v49, 25, v0
	v_and_b32_e32 v2, v2, v3
	v_cmp_gt_i64_e32 vcc, 0, v[48:49]
	v_not_b32_e32 v3, v49
	v_lshlrev_b32_e32 v49, 24, v0
	v_ashrrev_i32_e32 v3, 31, v3
	v_not_b32_e32 v0, v49
	v_and_b32_e32 v1, v1, v8
	v_xor_b32_e32 v8, vcc_hi, v3
	v_xor_b32_e32 v3, vcc_lo, v3
	v_cmp_gt_i64_e32 vcc, 0, v[48:49]
	v_ashrrev_i32_e32 v0, 31, v0
	v_and_b32_e32 v2, v2, v3
	v_xor_b32_e32 v3, vcc_hi, v0
	v_xor_b32_e32 v0, vcc_lo, v0
	v_and_b32_e32 v1, v1, v8
	v_and_b32_e32 v0, v2, v0
	;; [unrolled: 1-line block ×3, first 2 shown]
	v_mbcnt_lo_u32_b32 v2, v0, 0
	v_mbcnt_hi_u32_b32 v8, v1, v2
	v_cmp_eq_u32_e32 vcc, 0, v8
	v_cmp_ne_u64_e64 s[4:5], 0, v[0:1]
	s_and_b64 s[58:59], s[4:5], vcc
	; wave barrier
	s_and_saveexec_b64 s[4:5], s[58:59]
	s_cbranch_execz .LBB197_85
; %bb.84:                               ;   in Loop: Header=BB197_81 Depth=1
	v_bcnt_u32_b32 v0, v0, 0
	v_bcnt_u32_b32 v0, v1, v0
	s_waitcnt lgkmcnt(0)
	v_add_u32_e32 v0, v6, v0
	ds_write_b32 v7, v0
.LBB197_85:                             ;   in Loop: Header=BB197_81 Depth=1
	s_or_b64 exec, exec, s[4:5]
	v_cmp_ne_u64_e32 vcc, s[48:49], v[60:61]
	v_cndmask_b32_e32 v1, v68, v61, vcc
	v_cndmask_b32_e32 v0, -1, v60, vcc
	v_lshrrev_b64 v[0:1], s50, v[0:1]
	v_and_b32_e32 v0, s57, v0
	v_lshlrev_b32_e32 v1, 1, v0
	v_add_lshl_u32 v1, v1, v70, 2
	; wave barrier
	v_add_u32_e32 v10, 8, v1
	ds_read_b32 v9, v1 offset:8
	v_and_b32_e32 v1, 1, v0
	v_add_co_u32_e32 v2, vcc, -1, v1
	v_addc_co_u32_e64 v3, s[4:5], 0, -1, vcc
	v_cmp_ne_u32_e32 vcc, 0, v1
	v_lshlrev_b32_e32 v49, 30, v0
	v_xor_b32_e32 v1, vcc_hi, v3
	v_not_b32_e32 v3, v49
	v_xor_b32_e32 v2, vcc_lo, v2
	v_cmp_gt_i64_e32 vcc, 0, v[48:49]
	v_ashrrev_i32_e32 v3, 31, v3
	v_and_b32_e32 v2, exec_lo, v2
	v_xor_b32_e32 v11, vcc_hi, v3
	v_xor_b32_e32 v3, vcc_lo, v3
	v_lshlrev_b32_e32 v49, 29, v0
	v_and_b32_e32 v2, v2, v3
	v_not_b32_e32 v3, v49
	v_and_b32_e32 v1, exec_hi, v1
	v_cmp_gt_i64_e32 vcc, 0, v[48:49]
	v_ashrrev_i32_e32 v3, 31, v3
	v_and_b32_e32 v1, v1, v11
	v_xor_b32_e32 v11, vcc_hi, v3
	v_xor_b32_e32 v3, vcc_lo, v3
	v_lshlrev_b32_e32 v49, 28, v0
	v_and_b32_e32 v2, v2, v3
	v_not_b32_e32 v3, v49
	v_cmp_gt_i64_e32 vcc, 0, v[48:49]
	v_ashrrev_i32_e32 v3, 31, v3
	v_and_b32_e32 v1, v1, v11
	v_xor_b32_e32 v11, vcc_hi, v3
	v_xor_b32_e32 v3, vcc_lo, v3
	v_lshlrev_b32_e32 v49, 27, v0
	v_and_b32_e32 v2, v2, v3
	v_not_b32_e32 v3, v49
	;; [unrolled: 8-line block ×3, first 2 shown]
	v_cmp_gt_i64_e32 vcc, 0, v[48:49]
	v_ashrrev_i32_e32 v3, 31, v3
	v_and_b32_e32 v1, v1, v11
	v_xor_b32_e32 v11, vcc_hi, v3
	v_xor_b32_e32 v3, vcc_lo, v3
	v_lshlrev_b32_e32 v49, 25, v0
	v_and_b32_e32 v2, v2, v3
	v_cmp_gt_i64_e32 vcc, 0, v[48:49]
	v_not_b32_e32 v3, v49
	v_lshlrev_b32_e32 v49, 24, v0
	v_ashrrev_i32_e32 v3, 31, v3
	v_not_b32_e32 v0, v49
	v_and_b32_e32 v1, v1, v11
	v_xor_b32_e32 v11, vcc_hi, v3
	v_xor_b32_e32 v3, vcc_lo, v3
	v_cmp_gt_i64_e32 vcc, 0, v[48:49]
	v_ashrrev_i32_e32 v0, 31, v0
	v_and_b32_e32 v2, v2, v3
	v_xor_b32_e32 v3, vcc_hi, v0
	v_xor_b32_e32 v0, vcc_lo, v0
	v_and_b32_e32 v1, v1, v11
	v_and_b32_e32 v0, v2, v0
	;; [unrolled: 1-line block ×3, first 2 shown]
	v_mbcnt_lo_u32_b32 v2, v0, 0
	v_mbcnt_hi_u32_b32 v11, v1, v2
	v_cmp_eq_u32_e32 vcc, 0, v11
	v_cmp_ne_u64_e64 s[4:5], 0, v[0:1]
	s_and_b64 s[58:59], s[4:5], vcc
	; wave barrier
	s_and_saveexec_b64 s[4:5], s[58:59]
	s_cbranch_execz .LBB197_87
; %bb.86:                               ;   in Loop: Header=BB197_81 Depth=1
	v_bcnt_u32_b32 v0, v0, 0
	v_bcnt_u32_b32 v0, v1, v0
	s_waitcnt lgkmcnt(0)
	v_add_u32_e32 v0, v9, v0
	ds_write_b32 v10, v0
.LBB197_87:                             ;   in Loop: Header=BB197_81 Depth=1
	s_or_b64 exec, exec, s[4:5]
	v_cmp_ne_u64_e32 vcc, s[48:49], v[58:59]
	v_cndmask_b32_e32 v1, v68, v59, vcc
	v_cndmask_b32_e32 v0, -1, v58, vcc
	v_lshrrev_b64 v[0:1], s50, v[0:1]
	v_and_b32_e32 v0, s57, v0
	v_lshlrev_b32_e32 v1, 1, v0
	v_add_lshl_u32 v1, v1, v70, 2
	; wave barrier
	v_add_u32_e32 v13, 8, v1
	ds_read_b32 v12, v1 offset:8
	v_and_b32_e32 v1, 1, v0
	v_add_co_u32_e32 v2, vcc, -1, v1
	v_addc_co_u32_e64 v3, s[4:5], 0, -1, vcc
	v_cmp_ne_u32_e32 vcc, 0, v1
	v_lshlrev_b32_e32 v49, 30, v0
	v_xor_b32_e32 v1, vcc_hi, v3
	v_not_b32_e32 v3, v49
	v_xor_b32_e32 v2, vcc_lo, v2
	v_cmp_gt_i64_e32 vcc, 0, v[48:49]
	v_ashrrev_i32_e32 v3, 31, v3
	v_and_b32_e32 v2, exec_lo, v2
	v_xor_b32_e32 v14, vcc_hi, v3
	v_xor_b32_e32 v3, vcc_lo, v3
	v_lshlrev_b32_e32 v49, 29, v0
	v_and_b32_e32 v2, v2, v3
	v_not_b32_e32 v3, v49
	v_and_b32_e32 v1, exec_hi, v1
	v_cmp_gt_i64_e32 vcc, 0, v[48:49]
	v_ashrrev_i32_e32 v3, 31, v3
	v_and_b32_e32 v1, v1, v14
	v_xor_b32_e32 v14, vcc_hi, v3
	v_xor_b32_e32 v3, vcc_lo, v3
	v_lshlrev_b32_e32 v49, 28, v0
	v_and_b32_e32 v2, v2, v3
	v_not_b32_e32 v3, v49
	v_cmp_gt_i64_e32 vcc, 0, v[48:49]
	v_ashrrev_i32_e32 v3, 31, v3
	v_and_b32_e32 v1, v1, v14
	v_xor_b32_e32 v14, vcc_hi, v3
	v_xor_b32_e32 v3, vcc_lo, v3
	v_lshlrev_b32_e32 v49, 27, v0
	v_and_b32_e32 v2, v2, v3
	v_not_b32_e32 v3, v49
	;; [unrolled: 8-line block ×3, first 2 shown]
	v_cmp_gt_i64_e32 vcc, 0, v[48:49]
	v_ashrrev_i32_e32 v3, 31, v3
	v_and_b32_e32 v1, v1, v14
	v_xor_b32_e32 v14, vcc_hi, v3
	v_xor_b32_e32 v3, vcc_lo, v3
	v_lshlrev_b32_e32 v49, 25, v0
	v_and_b32_e32 v2, v2, v3
	v_cmp_gt_i64_e32 vcc, 0, v[48:49]
	v_not_b32_e32 v3, v49
	v_lshlrev_b32_e32 v49, 24, v0
	v_ashrrev_i32_e32 v3, 31, v3
	v_not_b32_e32 v0, v49
	v_and_b32_e32 v1, v1, v14
	v_xor_b32_e32 v14, vcc_hi, v3
	v_xor_b32_e32 v3, vcc_lo, v3
	v_cmp_gt_i64_e32 vcc, 0, v[48:49]
	v_ashrrev_i32_e32 v0, 31, v0
	v_and_b32_e32 v2, v2, v3
	v_xor_b32_e32 v3, vcc_hi, v0
	v_xor_b32_e32 v0, vcc_lo, v0
	v_and_b32_e32 v1, v1, v14
	v_and_b32_e32 v0, v2, v0
	;; [unrolled: 1-line block ×3, first 2 shown]
	v_mbcnt_lo_u32_b32 v2, v0, 0
	v_mbcnt_hi_u32_b32 v14, v1, v2
	v_cmp_eq_u32_e32 vcc, 0, v14
	v_cmp_ne_u64_e64 s[4:5], 0, v[0:1]
	s_and_b64 s[58:59], s[4:5], vcc
	; wave barrier
	s_and_saveexec_b64 s[4:5], s[58:59]
	s_cbranch_execz .LBB197_89
; %bb.88:                               ;   in Loop: Header=BB197_81 Depth=1
	v_bcnt_u32_b32 v0, v0, 0
	v_bcnt_u32_b32 v0, v1, v0
	s_waitcnt lgkmcnt(0)
	v_add_u32_e32 v0, v12, v0
	ds_write_b32 v13, v0
.LBB197_89:                             ;   in Loop: Header=BB197_81 Depth=1
	s_or_b64 exec, exec, s[4:5]
	v_cmp_ne_u64_e32 vcc, s[48:49], v[56:57]
	v_cndmask_b32_e32 v1, v68, v57, vcc
	v_cndmask_b32_e32 v0, -1, v56, vcc
	v_lshrrev_b64 v[0:1], s50, v[0:1]
	v_and_b32_e32 v0, s57, v0
	v_lshlrev_b32_e32 v1, 1, v0
	v_add_lshl_u32 v1, v1, v70, 2
	; wave barrier
	v_add_u32_e32 v16, 8, v1
	ds_read_b32 v15, v1 offset:8
	v_and_b32_e32 v1, 1, v0
	v_add_co_u32_e32 v2, vcc, -1, v1
	v_addc_co_u32_e64 v3, s[4:5], 0, -1, vcc
	v_cmp_ne_u32_e32 vcc, 0, v1
	v_lshlrev_b32_e32 v49, 30, v0
	v_xor_b32_e32 v1, vcc_hi, v3
	v_not_b32_e32 v3, v49
	v_xor_b32_e32 v2, vcc_lo, v2
	v_cmp_gt_i64_e32 vcc, 0, v[48:49]
	v_ashrrev_i32_e32 v3, 31, v3
	v_and_b32_e32 v2, exec_lo, v2
	v_xor_b32_e32 v17, vcc_hi, v3
	v_xor_b32_e32 v3, vcc_lo, v3
	v_lshlrev_b32_e32 v49, 29, v0
	v_and_b32_e32 v2, v2, v3
	v_not_b32_e32 v3, v49
	v_and_b32_e32 v1, exec_hi, v1
	v_cmp_gt_i64_e32 vcc, 0, v[48:49]
	v_ashrrev_i32_e32 v3, 31, v3
	v_and_b32_e32 v1, v1, v17
	v_xor_b32_e32 v17, vcc_hi, v3
	v_xor_b32_e32 v3, vcc_lo, v3
	v_lshlrev_b32_e32 v49, 28, v0
	v_and_b32_e32 v2, v2, v3
	v_not_b32_e32 v3, v49
	v_cmp_gt_i64_e32 vcc, 0, v[48:49]
	v_ashrrev_i32_e32 v3, 31, v3
	v_and_b32_e32 v1, v1, v17
	v_xor_b32_e32 v17, vcc_hi, v3
	v_xor_b32_e32 v3, vcc_lo, v3
	v_lshlrev_b32_e32 v49, 27, v0
	v_and_b32_e32 v2, v2, v3
	v_not_b32_e32 v3, v49
	;; [unrolled: 8-line block ×3, first 2 shown]
	v_cmp_gt_i64_e32 vcc, 0, v[48:49]
	v_ashrrev_i32_e32 v3, 31, v3
	v_and_b32_e32 v1, v1, v17
	v_xor_b32_e32 v17, vcc_hi, v3
	v_xor_b32_e32 v3, vcc_lo, v3
	v_lshlrev_b32_e32 v49, 25, v0
	v_and_b32_e32 v2, v2, v3
	v_cmp_gt_i64_e32 vcc, 0, v[48:49]
	v_not_b32_e32 v3, v49
	v_lshlrev_b32_e32 v49, 24, v0
	v_ashrrev_i32_e32 v3, 31, v3
	v_not_b32_e32 v0, v49
	v_and_b32_e32 v1, v1, v17
	v_xor_b32_e32 v17, vcc_hi, v3
	v_xor_b32_e32 v3, vcc_lo, v3
	v_cmp_gt_i64_e32 vcc, 0, v[48:49]
	v_ashrrev_i32_e32 v0, 31, v0
	v_and_b32_e32 v2, v2, v3
	v_xor_b32_e32 v3, vcc_hi, v0
	v_xor_b32_e32 v0, vcc_lo, v0
	v_and_b32_e32 v1, v1, v17
	v_and_b32_e32 v0, v2, v0
	;; [unrolled: 1-line block ×3, first 2 shown]
	v_mbcnt_lo_u32_b32 v2, v0, 0
	v_mbcnt_hi_u32_b32 v17, v1, v2
	v_cmp_eq_u32_e32 vcc, 0, v17
	v_cmp_ne_u64_e64 s[4:5], 0, v[0:1]
	s_and_b64 s[58:59], s[4:5], vcc
	; wave barrier
	s_and_saveexec_b64 s[4:5], s[58:59]
	s_cbranch_execz .LBB197_91
; %bb.90:                               ;   in Loop: Header=BB197_81 Depth=1
	v_bcnt_u32_b32 v0, v0, 0
	v_bcnt_u32_b32 v0, v1, v0
	s_waitcnt lgkmcnt(0)
	v_add_u32_e32 v0, v15, v0
	ds_write_b32 v16, v0
.LBB197_91:                             ;   in Loop: Header=BB197_81 Depth=1
	s_or_b64 exec, exec, s[4:5]
	v_cmp_ne_u64_e32 vcc, s[48:49], v[54:55]
	v_cndmask_b32_e32 v1, v68, v55, vcc
	v_cndmask_b32_e32 v0, -1, v54, vcc
	v_lshrrev_b64 v[0:1], s50, v[0:1]
	v_and_b32_e32 v0, s57, v0
	v_lshlrev_b32_e32 v1, 1, v0
	v_add_lshl_u32 v1, v1, v70, 2
	; wave barrier
	v_add_u32_e32 v19, 8, v1
	ds_read_b32 v18, v1 offset:8
	v_and_b32_e32 v1, 1, v0
	v_add_co_u32_e32 v2, vcc, -1, v1
	v_addc_co_u32_e64 v3, s[4:5], 0, -1, vcc
	v_cmp_ne_u32_e32 vcc, 0, v1
	v_lshlrev_b32_e32 v49, 30, v0
	v_xor_b32_e32 v1, vcc_hi, v3
	v_not_b32_e32 v3, v49
	v_xor_b32_e32 v2, vcc_lo, v2
	v_cmp_gt_i64_e32 vcc, 0, v[48:49]
	v_ashrrev_i32_e32 v3, 31, v3
	v_and_b32_e32 v2, exec_lo, v2
	v_xor_b32_e32 v20, vcc_hi, v3
	v_xor_b32_e32 v3, vcc_lo, v3
	v_lshlrev_b32_e32 v49, 29, v0
	v_and_b32_e32 v2, v2, v3
	v_not_b32_e32 v3, v49
	v_and_b32_e32 v1, exec_hi, v1
	v_cmp_gt_i64_e32 vcc, 0, v[48:49]
	v_ashrrev_i32_e32 v3, 31, v3
	v_and_b32_e32 v1, v1, v20
	v_xor_b32_e32 v20, vcc_hi, v3
	v_xor_b32_e32 v3, vcc_lo, v3
	v_lshlrev_b32_e32 v49, 28, v0
	v_and_b32_e32 v2, v2, v3
	v_not_b32_e32 v3, v49
	v_cmp_gt_i64_e32 vcc, 0, v[48:49]
	v_ashrrev_i32_e32 v3, 31, v3
	v_and_b32_e32 v1, v1, v20
	v_xor_b32_e32 v20, vcc_hi, v3
	v_xor_b32_e32 v3, vcc_lo, v3
	v_lshlrev_b32_e32 v49, 27, v0
	v_and_b32_e32 v2, v2, v3
	v_not_b32_e32 v3, v49
	;; [unrolled: 8-line block ×3, first 2 shown]
	v_cmp_gt_i64_e32 vcc, 0, v[48:49]
	v_ashrrev_i32_e32 v3, 31, v3
	v_and_b32_e32 v1, v1, v20
	v_xor_b32_e32 v20, vcc_hi, v3
	v_xor_b32_e32 v3, vcc_lo, v3
	v_lshlrev_b32_e32 v49, 25, v0
	v_and_b32_e32 v2, v2, v3
	v_cmp_gt_i64_e32 vcc, 0, v[48:49]
	v_not_b32_e32 v3, v49
	v_lshlrev_b32_e32 v49, 24, v0
	v_ashrrev_i32_e32 v3, 31, v3
	v_not_b32_e32 v0, v49
	v_and_b32_e32 v1, v1, v20
	v_xor_b32_e32 v20, vcc_hi, v3
	v_xor_b32_e32 v3, vcc_lo, v3
	v_cmp_gt_i64_e32 vcc, 0, v[48:49]
	v_ashrrev_i32_e32 v0, 31, v0
	v_and_b32_e32 v2, v2, v3
	v_xor_b32_e32 v3, vcc_hi, v0
	v_xor_b32_e32 v0, vcc_lo, v0
	v_and_b32_e32 v1, v1, v20
	v_and_b32_e32 v0, v2, v0
	;; [unrolled: 1-line block ×3, first 2 shown]
	v_mbcnt_lo_u32_b32 v2, v0, 0
	v_mbcnt_hi_u32_b32 v20, v1, v2
	v_cmp_eq_u32_e32 vcc, 0, v20
	v_cmp_ne_u64_e64 s[4:5], 0, v[0:1]
	s_and_b64 s[58:59], s[4:5], vcc
	; wave barrier
	s_and_saveexec_b64 s[4:5], s[58:59]
	s_cbranch_execz .LBB197_93
; %bb.92:                               ;   in Loop: Header=BB197_81 Depth=1
	v_bcnt_u32_b32 v0, v0, 0
	v_bcnt_u32_b32 v0, v1, v0
	s_waitcnt lgkmcnt(0)
	v_add_u32_e32 v0, v18, v0
	ds_write_b32 v19, v0
.LBB197_93:                             ;   in Loop: Header=BB197_81 Depth=1
	s_or_b64 exec, exec, s[4:5]
	v_cmp_ne_u64_e32 vcc, s[48:49], v[52:53]
	v_cndmask_b32_e32 v1, v68, v53, vcc
	v_cndmask_b32_e32 v0, -1, v52, vcc
	v_lshrrev_b64 v[0:1], s50, v[0:1]
	v_and_b32_e32 v0, s57, v0
	v_lshlrev_b32_e32 v1, 1, v0
	v_add_lshl_u32 v1, v1, v70, 2
	; wave barrier
	v_add_u32_e32 v22, 8, v1
	ds_read_b32 v21, v1 offset:8
	v_and_b32_e32 v1, 1, v0
	v_add_co_u32_e32 v2, vcc, -1, v1
	v_addc_co_u32_e64 v3, s[4:5], 0, -1, vcc
	v_cmp_ne_u32_e32 vcc, 0, v1
	v_lshlrev_b32_e32 v49, 30, v0
	v_xor_b32_e32 v1, vcc_hi, v3
	v_not_b32_e32 v3, v49
	v_xor_b32_e32 v2, vcc_lo, v2
	v_cmp_gt_i64_e32 vcc, 0, v[48:49]
	v_ashrrev_i32_e32 v3, 31, v3
	v_and_b32_e32 v2, exec_lo, v2
	v_xor_b32_e32 v23, vcc_hi, v3
	v_xor_b32_e32 v3, vcc_lo, v3
	v_lshlrev_b32_e32 v49, 29, v0
	v_and_b32_e32 v2, v2, v3
	v_not_b32_e32 v3, v49
	v_and_b32_e32 v1, exec_hi, v1
	v_cmp_gt_i64_e32 vcc, 0, v[48:49]
	v_ashrrev_i32_e32 v3, 31, v3
	v_and_b32_e32 v1, v1, v23
	v_xor_b32_e32 v23, vcc_hi, v3
	v_xor_b32_e32 v3, vcc_lo, v3
	v_lshlrev_b32_e32 v49, 28, v0
	v_and_b32_e32 v2, v2, v3
	v_not_b32_e32 v3, v49
	v_cmp_gt_i64_e32 vcc, 0, v[48:49]
	v_ashrrev_i32_e32 v3, 31, v3
	v_and_b32_e32 v1, v1, v23
	v_xor_b32_e32 v23, vcc_hi, v3
	v_xor_b32_e32 v3, vcc_lo, v3
	v_lshlrev_b32_e32 v49, 27, v0
	v_and_b32_e32 v2, v2, v3
	v_not_b32_e32 v3, v49
	;; [unrolled: 8-line block ×3, first 2 shown]
	v_cmp_gt_i64_e32 vcc, 0, v[48:49]
	v_ashrrev_i32_e32 v3, 31, v3
	v_and_b32_e32 v1, v1, v23
	v_xor_b32_e32 v23, vcc_hi, v3
	v_xor_b32_e32 v3, vcc_lo, v3
	v_lshlrev_b32_e32 v49, 25, v0
	v_and_b32_e32 v2, v2, v3
	v_cmp_gt_i64_e32 vcc, 0, v[48:49]
	v_not_b32_e32 v3, v49
	v_lshlrev_b32_e32 v49, 24, v0
	v_ashrrev_i32_e32 v3, 31, v3
	v_not_b32_e32 v0, v49
	v_and_b32_e32 v1, v1, v23
	v_xor_b32_e32 v23, vcc_hi, v3
	v_xor_b32_e32 v3, vcc_lo, v3
	v_cmp_gt_i64_e32 vcc, 0, v[48:49]
	v_ashrrev_i32_e32 v0, 31, v0
	v_and_b32_e32 v2, v2, v3
	v_xor_b32_e32 v3, vcc_hi, v0
	v_xor_b32_e32 v0, vcc_lo, v0
	v_and_b32_e32 v1, v1, v23
	v_and_b32_e32 v0, v2, v0
	;; [unrolled: 1-line block ×3, first 2 shown]
	v_mbcnt_lo_u32_b32 v2, v0, 0
	v_mbcnt_hi_u32_b32 v23, v1, v2
	v_cmp_eq_u32_e32 vcc, 0, v23
	v_cmp_ne_u64_e64 s[4:5], 0, v[0:1]
	s_and_b64 s[58:59], s[4:5], vcc
	; wave barrier
	s_and_saveexec_b64 s[4:5], s[58:59]
	s_cbranch_execz .LBB197_95
; %bb.94:                               ;   in Loop: Header=BB197_81 Depth=1
	v_bcnt_u32_b32 v0, v0, 0
	v_bcnt_u32_b32 v0, v1, v0
	s_waitcnt lgkmcnt(0)
	v_add_u32_e32 v0, v21, v0
	ds_write_b32 v22, v0
.LBB197_95:                             ;   in Loop: Header=BB197_81 Depth=1
	s_or_b64 exec, exec, s[4:5]
	v_cmp_ne_u64_e32 vcc, s[48:49], v[50:51]
	v_cndmask_b32_e32 v1, v68, v51, vcc
	v_cndmask_b32_e32 v0, -1, v50, vcc
	v_lshrrev_b64 v[0:1], s50, v[0:1]
	v_and_b32_e32 v0, s57, v0
	v_lshlrev_b32_e32 v1, 1, v0
	v_add_lshl_u32 v1, v1, v70, 2
	; wave barrier
	v_add_u32_e32 v25, 8, v1
	ds_read_b32 v24, v1 offset:8
	v_and_b32_e32 v1, 1, v0
	v_add_co_u32_e32 v2, vcc, -1, v1
	v_addc_co_u32_e64 v3, s[4:5], 0, -1, vcc
	v_cmp_ne_u32_e32 vcc, 0, v1
	v_lshlrev_b32_e32 v49, 30, v0
	v_xor_b32_e32 v1, vcc_hi, v3
	v_not_b32_e32 v3, v49
	v_xor_b32_e32 v2, vcc_lo, v2
	v_cmp_gt_i64_e32 vcc, 0, v[48:49]
	v_ashrrev_i32_e32 v3, 31, v3
	v_and_b32_e32 v2, exec_lo, v2
	v_xor_b32_e32 v26, vcc_hi, v3
	v_xor_b32_e32 v3, vcc_lo, v3
	v_lshlrev_b32_e32 v49, 29, v0
	v_and_b32_e32 v2, v2, v3
	v_not_b32_e32 v3, v49
	v_and_b32_e32 v1, exec_hi, v1
	v_cmp_gt_i64_e32 vcc, 0, v[48:49]
	v_ashrrev_i32_e32 v3, 31, v3
	v_and_b32_e32 v1, v1, v26
	v_xor_b32_e32 v26, vcc_hi, v3
	v_xor_b32_e32 v3, vcc_lo, v3
	v_lshlrev_b32_e32 v49, 28, v0
	v_and_b32_e32 v2, v2, v3
	v_not_b32_e32 v3, v49
	v_cmp_gt_i64_e32 vcc, 0, v[48:49]
	v_ashrrev_i32_e32 v3, 31, v3
	v_and_b32_e32 v1, v1, v26
	v_xor_b32_e32 v26, vcc_hi, v3
	v_xor_b32_e32 v3, vcc_lo, v3
	v_lshlrev_b32_e32 v49, 27, v0
	v_and_b32_e32 v2, v2, v3
	v_not_b32_e32 v3, v49
	;; [unrolled: 8-line block ×3, first 2 shown]
	v_cmp_gt_i64_e32 vcc, 0, v[48:49]
	v_ashrrev_i32_e32 v3, 31, v3
	v_and_b32_e32 v1, v1, v26
	v_xor_b32_e32 v26, vcc_hi, v3
	v_xor_b32_e32 v3, vcc_lo, v3
	v_lshlrev_b32_e32 v49, 25, v0
	v_and_b32_e32 v2, v2, v3
	v_cmp_gt_i64_e32 vcc, 0, v[48:49]
	v_not_b32_e32 v3, v49
	v_lshlrev_b32_e32 v49, 24, v0
	v_ashrrev_i32_e32 v3, 31, v3
	v_not_b32_e32 v0, v49
	v_and_b32_e32 v1, v1, v26
	v_xor_b32_e32 v26, vcc_hi, v3
	v_xor_b32_e32 v3, vcc_lo, v3
	v_cmp_gt_i64_e32 vcc, 0, v[48:49]
	v_ashrrev_i32_e32 v0, 31, v0
	v_and_b32_e32 v2, v2, v3
	v_xor_b32_e32 v3, vcc_hi, v0
	v_xor_b32_e32 v0, vcc_lo, v0
	v_and_b32_e32 v1, v1, v26
	v_and_b32_e32 v0, v2, v0
	;; [unrolled: 1-line block ×3, first 2 shown]
	v_mbcnt_lo_u32_b32 v2, v0, 0
	v_mbcnt_hi_u32_b32 v26, v1, v2
	v_cmp_eq_u32_e32 vcc, 0, v26
	v_cmp_ne_u64_e64 s[4:5], 0, v[0:1]
	s_and_b64 s[58:59], s[4:5], vcc
	; wave barrier
	s_and_saveexec_b64 s[4:5], s[58:59]
	s_cbranch_execz .LBB197_97
; %bb.96:                               ;   in Loop: Header=BB197_81 Depth=1
	v_bcnt_u32_b32 v0, v0, 0
	v_bcnt_u32_b32 v0, v1, v0
	s_waitcnt lgkmcnt(0)
	v_add_u32_e32 v0, v24, v0
	ds_write_b32 v25, v0
.LBB197_97:                             ;   in Loop: Header=BB197_81 Depth=1
	s_or_b64 exec, exec, s[4:5]
	; wave barrier
	s_waitcnt lgkmcnt(0)
	s_barrier
	ds_read2_b32 v[2:3], v110 offset0:2 offset1:3
	ds_read2_b32 v[0:1], v69 offset0:2 offset1:3
	s_waitcnt lgkmcnt(1)
	v_add_u32_e32 v27, v3, v2
	s_waitcnt lgkmcnt(0)
	v_add3_u32 v1, v27, v0, v1
	s_nop 1
	v_mov_b32_dpp v27, v1 row_shr:1 row_mask:0xf bank_mask:0xf
	v_cndmask_b32_e64 v27, v27, 0, s[16:17]
	v_add_u32_e32 v1, v27, v1
	s_nop 1
	v_mov_b32_dpp v27, v1 row_shr:2 row_mask:0xf bank_mask:0xf
	v_cndmask_b32_e64 v27, 0, v27, s[18:19]
	v_add_u32_e32 v1, v1, v27
	;; [unrolled: 4-line block ×4, first 2 shown]
	s_nop 1
	v_mov_b32_dpp v27, v1 row_bcast:15 row_mask:0xf bank_mask:0xf
	v_cndmask_b32_e64 v27, v27, 0, s[24:25]
	v_add_u32_e32 v1, v1, v27
	s_nop 1
	v_mov_b32_dpp v27, v1 row_bcast:31 row_mask:0xf bank_mask:0xf
	v_cndmask_b32_e64 v27, 0, v27, s[26:27]
	v_add_u32_e32 v1, v1, v27
	s_and_saveexec_b64 s[4:5], s[28:29]
	s_cbranch_execz .LBB197_99
; %bb.98:                               ;   in Loop: Header=BB197_81 Depth=1
	ds_write_b32 v72, v1
.LBB197_99:                             ;   in Loop: Header=BB197_81 Depth=1
	s_or_b64 exec, exec, s[4:5]
	s_waitcnt lgkmcnt(0)
	s_barrier
	s_and_saveexec_b64 s[4:5], s[30:31]
	s_cbranch_execz .LBB197_101
; %bb.100:                              ;   in Loop: Header=BB197_81 Depth=1
	ds_read_b32 v27, v109
	s_waitcnt lgkmcnt(0)
	s_nop 0
	v_mov_b32_dpp v28, v27 row_shr:1 row_mask:0xf bank_mask:0xf
	v_cndmask_b32_e64 v28, v28, 0, s[40:41]
	v_add_u32_e32 v27, v28, v27
	ds_write_b32 v109, v27
.LBB197_101:                            ;   in Loop: Header=BB197_81 Depth=1
	s_or_b64 exec, exec, s[4:5]
	v_mov_b32_e32 v27, 0
	s_waitcnt lgkmcnt(0)
	s_barrier
	s_and_saveexec_b64 s[4:5], s[34:35]
	s_cbranch_execz .LBB197_103
; %bb.102:                              ;   in Loop: Header=BB197_81 Depth=1
	ds_read_b32 v27, v73
.LBB197_103:                            ;   in Loop: Header=BB197_81 Depth=1
	s_or_b64 exec, exec, s[4:5]
	s_waitcnt lgkmcnt(0)
	v_add_u32_e32 v1, v27, v1
	ds_bpermute_b32 v1, v71, v1
	s_cmp_gt_u32 s50, 55
	s_waitcnt lgkmcnt(0)
	v_cndmask_b32_e64 v1, v1, v27, s[36:37]
	v_cndmask_b32_e64 v1, v1, 0, s[38:39]
	v_add_u32_e32 v2, v1, v2
	v_add_u32_e32 v3, v2, v3
	;; [unrolled: 1-line block ×3, first 2 shown]
	ds_write2_b32 v110, v1, v2 offset0:2 offset1:3
	ds_write2_b32 v69, v3, v0 offset0:2 offset1:3
	s_waitcnt lgkmcnt(0)
	s_barrier
	ds_read_b32 v0, v4
	ds_read_b32 v1, v7
	;; [unrolled: 1-line block ×8, first 2 shown]
	s_waitcnt lgkmcnt(7)
	v_add_u32_e32 v81, v0, v5
	s_waitcnt lgkmcnt(6)
	v_add3_u32 v80, v8, v6, v1
	s_waitcnt lgkmcnt(5)
	v_add3_u32 v79, v11, v9, v2
	s_waitcnt lgkmcnt(4)
	v_add3_u32 v78, v14, v12, v3
	s_waitcnt lgkmcnt(3)
	v_add3_u32 v77, v17, v15, v4
	s_waitcnt lgkmcnt(2)
	v_add3_u32 v75, v20, v18, v7
	s_waitcnt lgkmcnt(1)
	v_add3_u32 v49, v23, v21, v10
	s_waitcnt lgkmcnt(0)
	v_add3_u32 v76, v26, v24, v13
	s_cbranch_scc0 .LBB197_80
; %bb.104:
                                        ; implicit-def: $vgpr14_vgpr15
                                        ; implicit-def: $vgpr10_vgpr11
                                        ; implicit-def: $vgpr6_vgpr7
                                        ; implicit-def: $vgpr2_vgpr3
                                        ; implicit-def: $vgpr30_vgpr31
                                        ; implicit-def: $vgpr26_vgpr27
                                        ; implicit-def: $vgpr22_vgpr23
                                        ; implicit-def: $vgpr18_vgpr19
                                        ; implicit-def: $sgpr50_sgpr51
                                        ; implicit-def: $sgpr53
.LBB197_105:
	v_lshlrev_b32_e32 v16, 3, v81
	v_lshlrev_b32_e32 v17, 3, v80
	;; [unrolled: 1-line block ×9, first 2 shown]
	s_barrier
	ds_write_b64 v16, v[64:65]
	ds_write_b64 v17, v[62:63]
	;; [unrolled: 1-line block ×8, first 2 shown]
	s_waitcnt lgkmcnt(0)
	s_barrier
	ds_read2_b64 v[0:3], v24 offset1:1
	ds_read2_b64 v[4:7], v24 offset0:2 offset1:3
	ds_read2_b64 v[8:11], v24 offset0:4 offset1:5
	;; [unrolled: 1-line block ×3, first 2 shown]
	s_waitcnt lgkmcnt(0)
	s_barrier
	ds_write_b64 v16, v[46:47]
	ds_write_b64 v17, v[44:45]
	;; [unrolled: 1-line block ×8, first 2 shown]
	v_ashrrev_i32_e32 v18, 31, v1
	v_not_b32_e32 v18, v18
	v_cmp_gt_i64_e32 vcc, 0, v[0:1]
	v_xor_b32_e32 v0, v18, v0
	v_ashrrev_i32_e32 v18, 31, v3
	v_bfrev_b32_e32 v16, -2
	v_not_b32_e32 v18, v18
	v_cndmask_b32_e64 v17, v16, 0, vcc
	v_cmp_gt_i64_e32 vcc, 0, v[2:3]
	v_xor_b32_e32 v2, v18, v2
	v_ashrrev_i32_e32 v18, 31, v5
	v_not_b32_e32 v18, v18
	v_xor_b32_e32 v1, v17, v1
	v_cndmask_b32_e64 v17, v16, 0, vcc
	v_cmp_gt_i64_e32 vcc, 0, v[4:5]
	v_xor_b32_e32 v4, v18, v4
	v_ashrrev_i32_e32 v18, 31, v7
	s_waitcnt lgkmcnt(0)
	s_barrier
	ds_read2_b64 v[50:53], v24 offset1:1
	ds_read2_b64 v[54:57], v24 offset0:2 offset1:3
	ds_read2_b64 v[58:61], v24 offset0:4 offset1:5
	;; [unrolled: 1-line block ×3, first 2 shown]
	v_xor_b32_e32 v3, v17, v3
	v_cndmask_b32_e64 v17, v16, 0, vcc
	v_cmp_gt_i64_e32 vcc, 0, v[6:7]
	v_not_b32_e32 v18, v18
	v_xor_b32_e32 v5, v17, v5
	v_cndmask_b32_e64 v17, v16, 0, vcc
	v_xor_b32_e32 v6, v18, v6
	v_cmp_gt_i64_e32 vcc, 0, v[8:9]
	v_ashrrev_i32_e32 v18, 31, v9
	v_xor_b32_e32 v7, v17, v7
	v_cndmask_b32_e64 v17, v16, 0, vcc
	v_not_b32_e32 v18, v18
	v_cmp_gt_i64_e32 vcc, 0, v[10:11]
	v_xor_b32_e32 v9, v17, v9
	v_xor_b32_e32 v8, v18, v8
	v_cndmask_b32_e64 v17, v16, 0, vcc
	v_ashrrev_i32_e32 v18, 31, v11
	v_cmp_gt_i64_e32 vcc, 0, v[12:13]
	v_not_b32_e32 v18, v18
	v_xor_b32_e32 v11, v17, v11
	v_cndmask_b32_e64 v17, v16, 0, vcc
	v_xor_b32_e32 v10, v18, v10
	v_ashrrev_i32_e32 v18, 31, v13
	v_xor_b32_e32 v13, v17, v13
	v_cmp_gt_i64_e32 vcc, 0, v[14:15]
	v_ashrrev_i32_e32 v17, 31, v15
	v_not_b32_e32 v18, v18
	v_cndmask_b32_e64 v16, v16, 0, vcc
	v_not_b32_e32 v17, v17
	v_xor_b32_e32 v12, v18, v12
	v_xor_b32_e32 v15, v16, v15
	;; [unrolled: 1-line block ×3, first 2 shown]
.LBB197_106:
	s_waitcnt lgkmcnt(0)
	s_barrier
	ds_write2_b64 v107, v[0:1], v[2:3] offset1:1
	ds_write2_b64 v107, v[4:5], v[6:7] offset0:2 offset1:3
	ds_write2_b64 v107, v[8:9], v[10:11] offset0:4 offset1:5
	;; [unrolled: 1-line block ×3, first 2 shown]
	s_waitcnt lgkmcnt(0)
	s_barrier
	ds_read_b64 v[14:15], v100 offset:1024
	ds_read_b64 v[12:13], v101 offset:2048
	;; [unrolled: 1-line block ×7, first 2 shown]
	v_mad_u64_u32 v[4:5], s[4:5], v66, s44, 0
	v_mov_b32_e32 v16, v5
	v_mad_u64_u32 v[16:17], s[4:5], v66, s45, v[16:17]
	v_mov_b32_e32 v5, v16
	v_lshlrev_b64 v[4:5], 3, v[4:5]
	v_mov_b32_e32 v16, s54
	v_add_co_u32_e32 v4, vcc, s33, v4
	v_addc_co_u32_e32 v5, vcc, v16, v5, vcc
	s_and_saveexec_b64 s[4:5], s[0:1]
	s_cbranch_execnz .LBB197_125
; %bb.107:
	s_or_b64 exec, exec, s[4:5]
	s_and_saveexec_b64 s[4:5], s[2:3]
	s_cbranch_execnz .LBB197_126
.LBB197_108:
	s_or_b64 exec, exec, s[4:5]
	s_and_saveexec_b64 s[4:5], s[42:43]
	s_cbranch_execnz .LBB197_127
.LBB197_109:
	s_or_b64 exec, exec, s[4:5]
	s_and_saveexec_b64 s[4:5], s[6:7]
	s_cbranch_execnz .LBB197_128
.LBB197_110:
	s_or_b64 exec, exec, s[4:5]
	s_and_saveexec_b64 s[4:5], s[8:9]
	s_cbranch_execnz .LBB197_129
.LBB197_111:
	s_or_b64 exec, exec, s[4:5]
	s_and_saveexec_b64 s[4:5], s[10:11]
	s_cbranch_execnz .LBB197_130
.LBB197_112:
	s_or_b64 exec, exec, s[4:5]
	s_and_saveexec_b64 s[4:5], s[12:13]
	s_cbranch_execnz .LBB197_131
.LBB197_113:
	s_or_b64 exec, exec, s[4:5]
	s_and_saveexec_b64 s[4:5], s[14:15]
	s_cbranch_execz .LBB197_115
.LBB197_114:
	s_waitcnt lgkmcnt(1)
	v_mov_b32_e32 v2, 0x1c00
	v_mad_u64_u32 v[2:3], s[16:17], s44, v2, v[4:5]
	s_mul_i32 s16, s45, 0x1c00
	v_add_u32_e32 v3, s16, v3
	s_waitcnt lgkmcnt(0)
	global_store_dwordx2 v[2:3], v[0:1], off
.LBB197_115:
	s_or_b64 exec, exec, s[4:5]
	s_waitcnt lgkmcnt(0)
	s_barrier
	ds_write2_b64 v107, v[50:51], v[52:53] offset1:1
	ds_write2_b64 v107, v[54:55], v[56:57] offset0:2 offset1:3
	ds_write2_b64 v107, v[58:59], v[60:61] offset0:4 offset1:5
	;; [unrolled: 1-line block ×3, first 2 shown]
	s_waitcnt lgkmcnt(0)
	s_barrier
	ds_read_b64 v[14:15], v100 offset:1024
	ds_read_b64 v[12:13], v101 offset:2048
	;; [unrolled: 1-line block ×7, first 2 shown]
	v_mad_u64_u32 v[4:5], s[4:5], v66, s46, 0
	v_mov_b32_e32 v16, v5
	v_mad_u64_u32 v[16:17], s[4:5], v66, s47, v[16:17]
	v_mov_b32_e32 v5, v16
	v_lshlrev_b64 v[4:5], 3, v[4:5]
	v_mov_b32_e32 v16, s56
	v_add_co_u32_e32 v4, vcc, s55, v4
	v_addc_co_u32_e32 v5, vcc, v16, v5, vcc
	s_and_saveexec_b64 s[4:5], s[0:1]
	s_cbranch_execnz .LBB197_132
; %bb.116:
	s_or_b64 exec, exec, s[4:5]
	s_and_saveexec_b64 s[0:1], s[2:3]
	s_cbranch_execnz .LBB197_133
.LBB197_117:
	s_or_b64 exec, exec, s[0:1]
	s_and_saveexec_b64 s[0:1], s[42:43]
	s_cbranch_execnz .LBB197_134
.LBB197_118:
	s_or_b64 exec, exec, s[0:1]
	s_and_saveexec_b64 s[0:1], s[6:7]
	s_cbranch_execnz .LBB197_135
.LBB197_119:
	s_or_b64 exec, exec, s[0:1]
	s_and_saveexec_b64 s[0:1], s[8:9]
	s_cbranch_execnz .LBB197_136
.LBB197_120:
	s_or_b64 exec, exec, s[0:1]
	s_and_saveexec_b64 s[0:1], s[10:11]
	s_cbranch_execnz .LBB197_137
.LBB197_121:
	s_or_b64 exec, exec, s[0:1]
	s_and_saveexec_b64 s[0:1], s[12:13]
	s_cbranch_execnz .LBB197_138
.LBB197_122:
	s_or_b64 exec, exec, s[0:1]
	s_and_saveexec_b64 s[0:1], s[14:15]
	s_cbranch_execz .LBB197_124
.LBB197_123:
	s_waitcnt lgkmcnt(1)
	v_mov_b32_e32 v2, 0x1c00
	v_mad_u64_u32 v[2:3], s[0:1], s46, v2, v[4:5]
	s_mul_i32 s0, s47, 0x1c00
	v_add_u32_e32 v3, s0, v3
	s_waitcnt lgkmcnt(0)
	global_store_dwordx2 v[2:3], v[0:1], off
.LBB197_124:
	s_endpgm
.LBB197_125:
	ds_read_b64 v[16:17], v67
	s_waitcnt lgkmcnt(0)
	global_store_dwordx2 v[4:5], v[16:17], off
	s_or_b64 exec, exec, s[4:5]
	s_and_saveexec_b64 s[4:5], s[2:3]
	s_cbranch_execz .LBB197_108
.LBB197_126:
	s_lshl_b64 s[16:17], s[44:45], 10
	v_mov_b32_e32 v17, s17
	v_add_co_u32_e32 v16, vcc, s16, v4
	v_addc_co_u32_e32 v17, vcc, v5, v17, vcc
	s_waitcnt lgkmcnt(6)
	global_store_dwordx2 v[16:17], v[14:15], off
	s_or_b64 exec, exec, s[4:5]
	s_and_saveexec_b64 s[4:5], s[42:43]
	s_cbranch_execz .LBB197_109
.LBB197_127:
	s_lshl_b64 s[16:17], s[44:45], 11
	s_waitcnt lgkmcnt(6)
	v_mov_b32_e32 v15, s17
	v_add_co_u32_e32 v14, vcc, s16, v4
	v_addc_co_u32_e32 v15, vcc, v5, v15, vcc
	s_waitcnt lgkmcnt(5)
	global_store_dwordx2 v[14:15], v[12:13], off
	s_or_b64 exec, exec, s[4:5]
	s_and_saveexec_b64 s[4:5], s[6:7]
	s_cbranch_execz .LBB197_110
.LBB197_128:
	s_waitcnt lgkmcnt(5)
	v_mov_b32_e32 v12, 0xc00
	v_mad_u64_u32 v[12:13], s[16:17], s44, v12, v[4:5]
	s_mul_i32 s16, s45, 0xc00
	v_add_u32_e32 v13, s16, v13
	s_waitcnt lgkmcnt(4)
	global_store_dwordx2 v[12:13], v[10:11], off
	s_or_b64 exec, exec, s[4:5]
	s_and_saveexec_b64 s[4:5], s[8:9]
	s_cbranch_execz .LBB197_111
.LBB197_129:
	s_lshl_b64 s[16:17], s[44:45], 12
	s_waitcnt lgkmcnt(4)
	v_mov_b32_e32 v11, s17
	v_add_co_u32_e32 v10, vcc, s16, v4
	v_addc_co_u32_e32 v11, vcc, v5, v11, vcc
	s_waitcnt lgkmcnt(3)
	global_store_dwordx2 v[10:11], v[8:9], off
	s_or_b64 exec, exec, s[4:5]
	s_and_saveexec_b64 s[4:5], s[10:11]
	s_cbranch_execz .LBB197_112
.LBB197_130:
	s_waitcnt lgkmcnt(3)
	v_mov_b32_e32 v8, 0x1400
	v_mad_u64_u32 v[8:9], s[16:17], s44, v8, v[4:5]
	s_mul_i32 s16, s45, 0x1400
	v_add_u32_e32 v9, s16, v9
	s_waitcnt lgkmcnt(2)
	global_store_dwordx2 v[8:9], v[6:7], off
	s_or_b64 exec, exec, s[4:5]
	s_and_saveexec_b64 s[4:5], s[12:13]
	s_cbranch_execz .LBB197_113
.LBB197_131:
	s_waitcnt lgkmcnt(2)
	v_mov_b32_e32 v6, 0x1800
	v_mad_u64_u32 v[6:7], s[16:17], s44, v6, v[4:5]
	s_mul_i32 s16, s45, 0x1800
	v_add_u32_e32 v7, s16, v7
	s_waitcnt lgkmcnt(1)
	global_store_dwordx2 v[6:7], v[2:3], off
	s_or_b64 exec, exec, s[4:5]
	s_and_saveexec_b64 s[4:5], s[14:15]
	s_cbranch_execnz .LBB197_114
	s_branch .LBB197_115
.LBB197_132:
	ds_read_b64 v[16:17], v67
	s_waitcnt lgkmcnt(0)
	global_store_dwordx2 v[4:5], v[16:17], off
	s_or_b64 exec, exec, s[4:5]
	s_and_saveexec_b64 s[0:1], s[2:3]
	s_cbranch_execz .LBB197_117
.LBB197_133:
	s_lshl_b64 s[2:3], s[46:47], 10
	v_mov_b32_e32 v17, s3
	v_add_co_u32_e32 v16, vcc, s2, v4
	v_addc_co_u32_e32 v17, vcc, v5, v17, vcc
	s_waitcnt lgkmcnt(6)
	global_store_dwordx2 v[16:17], v[14:15], off
	s_or_b64 exec, exec, s[0:1]
	s_and_saveexec_b64 s[0:1], s[42:43]
	s_cbranch_execz .LBB197_118
.LBB197_134:
	s_lshl_b64 s[2:3], s[46:47], 11
	s_waitcnt lgkmcnt(6)
	v_mov_b32_e32 v15, s3
	v_add_co_u32_e32 v14, vcc, s2, v4
	v_addc_co_u32_e32 v15, vcc, v5, v15, vcc
	s_waitcnt lgkmcnt(5)
	global_store_dwordx2 v[14:15], v[12:13], off
	s_or_b64 exec, exec, s[0:1]
	s_and_saveexec_b64 s[0:1], s[6:7]
	s_cbranch_execz .LBB197_119
.LBB197_135:
	s_waitcnt lgkmcnt(5)
	v_mov_b32_e32 v12, 0xc00
	v_mad_u64_u32 v[12:13], s[2:3], s46, v12, v[4:5]
	s_mul_i32 s2, s47, 0xc00
	v_add_u32_e32 v13, s2, v13
	s_waitcnt lgkmcnt(4)
	global_store_dwordx2 v[12:13], v[10:11], off
	s_or_b64 exec, exec, s[0:1]
	s_and_saveexec_b64 s[0:1], s[8:9]
	s_cbranch_execz .LBB197_120
.LBB197_136:
	s_lshl_b64 s[2:3], s[46:47], 12
	s_waitcnt lgkmcnt(4)
	v_mov_b32_e32 v11, s3
	v_add_co_u32_e32 v10, vcc, s2, v4
	v_addc_co_u32_e32 v11, vcc, v5, v11, vcc
	s_waitcnt lgkmcnt(3)
	global_store_dwordx2 v[10:11], v[8:9], off
	s_or_b64 exec, exec, s[0:1]
	s_and_saveexec_b64 s[0:1], s[10:11]
	s_cbranch_execz .LBB197_121
.LBB197_137:
	s_waitcnt lgkmcnt(3)
	v_mov_b32_e32 v8, 0x1400
	v_mad_u64_u32 v[8:9], s[2:3], s46, v8, v[4:5]
	s_mul_i32 s2, s47, 0x1400
	v_add_u32_e32 v9, s2, v9
	s_waitcnt lgkmcnt(2)
	global_store_dwordx2 v[8:9], v[6:7], off
	s_or_b64 exec, exec, s[0:1]
	s_and_saveexec_b64 s[0:1], s[12:13]
	s_cbranch_execz .LBB197_122
.LBB197_138:
	s_waitcnt lgkmcnt(2)
	v_mov_b32_e32 v6, 0x1800
	v_mad_u64_u32 v[6:7], s[2:3], s46, v6, v[4:5]
	s_mul_i32 s2, s47, 0x1800
	v_add_u32_e32 v7, s2, v7
	s_waitcnt lgkmcnt(1)
	global_store_dwordx2 v[6:7], v[2:3], off
	s_or_b64 exec, exec, s[0:1]
	s_and_saveexec_b64 s[0:1], s[14:15]
	s_cbranch_execnz .LBB197_123
	s_branch .LBB197_124
	.section	.rodata,"a",@progbits
	.p2align	6, 0x0
	.amdhsa_kernel _ZN2at6native18radixSortKVInPlaceILin1ELin1ELi128ELi8EdlmEEvNS_4cuda6detail10TensorInfoIT3_T5_EES6_S6_S6_NS4_IT4_S6_EES6_b
		.amdhsa_group_segment_fixed_size 8448
		.amdhsa_private_segment_fixed_size 0
		.amdhsa_kernarg_size 1128
		.amdhsa_user_sgpr_count 6
		.amdhsa_user_sgpr_private_segment_buffer 1
		.amdhsa_user_sgpr_dispatch_ptr 0
		.amdhsa_user_sgpr_queue_ptr 0
		.amdhsa_user_sgpr_kernarg_segment_ptr 1
		.amdhsa_user_sgpr_dispatch_id 0
		.amdhsa_user_sgpr_flat_scratch_init 0
		.amdhsa_user_sgpr_kernarg_preload_length 0
		.amdhsa_user_sgpr_kernarg_preload_offset 0
		.amdhsa_user_sgpr_private_segment_size 0
		.amdhsa_uses_dynamic_stack 0
		.amdhsa_system_sgpr_private_segment_wavefront_offset 0
		.amdhsa_system_sgpr_workgroup_id_x 1
		.amdhsa_system_sgpr_workgroup_id_y 1
		.amdhsa_system_sgpr_workgroup_id_z 1
		.amdhsa_system_sgpr_workgroup_info 0
		.amdhsa_system_vgpr_workitem_id 2
		.amdhsa_next_free_vgpr 137
		.amdhsa_next_free_sgpr 62
		.amdhsa_accum_offset 140
		.amdhsa_reserve_vcc 1
		.amdhsa_reserve_flat_scratch 0
		.amdhsa_float_round_mode_32 0
		.amdhsa_float_round_mode_16_64 0
		.amdhsa_float_denorm_mode_32 3
		.amdhsa_float_denorm_mode_16_64 3
		.amdhsa_dx10_clamp 1
		.amdhsa_ieee_mode 1
		.amdhsa_fp16_overflow 0
		.amdhsa_tg_split 0
		.amdhsa_exception_fp_ieee_invalid_op 0
		.amdhsa_exception_fp_denorm_src 0
		.amdhsa_exception_fp_ieee_div_zero 0
		.amdhsa_exception_fp_ieee_overflow 0
		.amdhsa_exception_fp_ieee_underflow 0
		.amdhsa_exception_fp_ieee_inexact 0
		.amdhsa_exception_int_div_zero 0
	.end_amdhsa_kernel
	.section	.text._ZN2at6native18radixSortKVInPlaceILin1ELin1ELi128ELi8EdlmEEvNS_4cuda6detail10TensorInfoIT3_T5_EES6_S6_S6_NS4_IT4_S6_EES6_b,"axG",@progbits,_ZN2at6native18radixSortKVInPlaceILin1ELin1ELi128ELi8EdlmEEvNS_4cuda6detail10TensorInfoIT3_T5_EES6_S6_S6_NS4_IT4_S6_EES6_b,comdat
.Lfunc_end197:
	.size	_ZN2at6native18radixSortKVInPlaceILin1ELin1ELi128ELi8EdlmEEvNS_4cuda6detail10TensorInfoIT3_T5_EES6_S6_S6_NS4_IT4_S6_EES6_b, .Lfunc_end197-_ZN2at6native18radixSortKVInPlaceILin1ELin1ELi128ELi8EdlmEEvNS_4cuda6detail10TensorInfoIT3_T5_EES6_S6_S6_NS4_IT4_S6_EES6_b
                                        ; -- End function
	.section	.AMDGPU.csdata,"",@progbits
; Kernel info:
; codeLenInByte = 15356
; NumSgprs: 66
; NumVgprs: 137
; NumAgprs: 0
; TotalNumVgprs: 137
; ScratchSize: 0
; MemoryBound: 0
; FloatMode: 240
; IeeeMode: 1
; LDSByteSize: 8448 bytes/workgroup (compile time only)
; SGPRBlocks: 8
; VGPRBlocks: 17
; NumSGPRsForWavesPerEU: 66
; NumVGPRsForWavesPerEU: 137
; AccumOffset: 140
; Occupancy: 3
; WaveLimiterHint : 1
; COMPUTE_PGM_RSRC2:SCRATCH_EN: 0
; COMPUTE_PGM_RSRC2:USER_SGPR: 6
; COMPUTE_PGM_RSRC2:TRAP_HANDLER: 0
; COMPUTE_PGM_RSRC2:TGID_X_EN: 1
; COMPUTE_PGM_RSRC2:TGID_Y_EN: 1
; COMPUTE_PGM_RSRC2:TGID_Z_EN: 1
; COMPUTE_PGM_RSRC2:TIDIG_COMP_CNT: 2
; COMPUTE_PGM_RSRC3_GFX90A:ACCUM_OFFSET: 34
; COMPUTE_PGM_RSRC3_GFX90A:TG_SPLIT: 0
	.section	.text._ZN2at6native18radixSortKVInPlaceILin1ELin1ELi32ELi4EdlmEEvNS_4cuda6detail10TensorInfoIT3_T5_EES6_S6_S6_NS4_IT4_S6_EES6_b,"axG",@progbits,_ZN2at6native18radixSortKVInPlaceILin1ELin1ELi32ELi4EdlmEEvNS_4cuda6detail10TensorInfoIT3_T5_EES6_S6_S6_NS4_IT4_S6_EES6_b,comdat
	.protected	_ZN2at6native18radixSortKVInPlaceILin1ELin1ELi32ELi4EdlmEEvNS_4cuda6detail10TensorInfoIT3_T5_EES6_S6_S6_NS4_IT4_S6_EES6_b ; -- Begin function _ZN2at6native18radixSortKVInPlaceILin1ELin1ELi32ELi4EdlmEEvNS_4cuda6detail10TensorInfoIT3_T5_EES6_S6_S6_NS4_IT4_S6_EES6_b
	.globl	_ZN2at6native18radixSortKVInPlaceILin1ELin1ELi32ELi4EdlmEEvNS_4cuda6detail10TensorInfoIT3_T5_EES6_S6_S6_NS4_IT4_S6_EES6_b
	.p2align	8
	.type	_ZN2at6native18radixSortKVInPlaceILin1ELin1ELi32ELi4EdlmEEvNS_4cuda6detail10TensorInfoIT3_T5_EES6_S6_S6_NS4_IT4_S6_EES6_b,@function
_ZN2at6native18radixSortKVInPlaceILin1ELin1ELi32ELi4EdlmEEvNS_4cuda6detail10TensorInfoIT3_T5_EES6_S6_S6_NS4_IT4_S6_EES6_b: ; @_ZN2at6native18radixSortKVInPlaceILin1ELin1ELi32ELi4EdlmEEvNS_4cuda6detail10TensorInfoIT3_T5_EES6_S6_S6_NS4_IT4_S6_EES6_b
; %bb.0:
	s_load_dwordx4 s[16:19], s[4:5], 0x1a0
	s_load_dwordx2 s[0:1], s[4:5], 0x368
	s_waitcnt lgkmcnt(0)
	v_mov_b32_e32 v2, s16
	s_mul_i32 s1, s1, s8
	s_add_i32 s1, s1, s7
	s_mul_i32 s0, s1, s0
	v_mov_b32_e32 v3, s17
	s_add_i32 s6, s0, s6
	s_mov_b32 s7, 0
	v_cmp_ge_u64_e32 vcc, s[6:7], v[2:3]
	s_cbranch_vccnz .LBB198_74
; %bb.1:
	s_load_dword s0, s[4:5], 0x198
	s_load_dwordx2 s[26:27], s[4:5], 0x1b0
	s_mov_b64 s[2:3], 0
	s_mov_b64 s[8:9], s[6:7]
	s_waitcnt lgkmcnt(0)
	s_cmp_lt_i32 s0, 2
	s_cbranch_scc1 .LBB198_9
; %bb.2:
	s_mov_b32 s10, 0
	s_add_i32 s19, s0, 1
	s_add_i32 s0, s0, -1
	s_mov_b32 s1, s10
	s_lshl_b64 s[0:1], s[0:1], 3
	s_add_u32 s0, s0, s4
	s_addc_u32 s1, s1, s5
	s_add_u32 s12, s0, 8
	s_addc_u32 s13, s1, 0
	s_mov_b64 s[14:15], s[6:7]
.LBB198_3:                              ; =>This Inner Loop Header: Depth=1
	s_load_dwordx2 s[16:17], s[12:13], 0x0
	s_waitcnt lgkmcnt(0)
	s_or_b64 s[0:1], s[14:15], s[16:17]
	s_mov_b32 s11, s1
	s_cmp_lg_u64 s[10:11], 0
	s_cbranch_scc0 .LBB198_8
; %bb.4:                                ;   in Loop: Header=BB198_3 Depth=1
	v_cvt_f32_u32_e32 v1, s16
	v_cvt_f32_u32_e32 v2, s17
	s_sub_u32 s0, 0, s16
	s_subb_u32 s1, 0, s17
	v_mac_f32_e32 v1, 0x4f800000, v2
	v_rcp_f32_e32 v1, v1
	v_mul_f32_e32 v1, 0x5f7ffffc, v1
	v_mul_f32_e32 v2, 0x2f800000, v1
	v_trunc_f32_e32 v2, v2
	v_mac_f32_e32 v1, 0xcf800000, v2
	v_cvt_u32_f32_e32 v2, v2
	v_cvt_u32_f32_e32 v1, v1
	v_readfirstlane_b32 s8, v2
	v_readfirstlane_b32 s9, v1
	s_mul_i32 s11, s0, s8
	s_mul_hi_u32 s21, s0, s9
	s_mul_i32 s20, s1, s9
	s_add_i32 s11, s21, s11
	s_mul_i32 s22, s0, s9
	s_add_i32 s11, s11, s20
	s_mul_hi_u32 s20, s9, s11
	s_mul_i32 s21, s9, s11
	s_mul_hi_u32 s9, s9, s22
	s_add_u32 s9, s9, s21
	s_addc_u32 s20, 0, s20
	s_mul_hi_u32 s23, s8, s22
	s_mul_i32 s22, s8, s22
	s_add_u32 s9, s9, s22
	s_mul_hi_u32 s21, s8, s11
	s_addc_u32 s9, s20, s23
	s_addc_u32 s20, s21, 0
	s_mul_i32 s11, s8, s11
	s_add_u32 s9, s9, s11
	s_addc_u32 s11, 0, s20
	v_add_co_u32_e32 v1, vcc, s9, v1
	s_cmp_lg_u64 vcc, 0
	s_addc_u32 s8, s8, s11
	v_readfirstlane_b32 s11, v1
	s_mul_i32 s9, s0, s8
	s_mul_hi_u32 s20, s0, s11
	s_add_i32 s9, s20, s9
	s_mul_i32 s1, s1, s11
	s_add_i32 s9, s9, s1
	s_mul_i32 s0, s0, s11
	s_mul_hi_u32 s20, s8, s0
	s_mul_i32 s21, s8, s0
	s_mul_i32 s23, s11, s9
	s_mul_hi_u32 s0, s11, s0
	s_mul_hi_u32 s22, s11, s9
	s_add_u32 s0, s0, s23
	s_addc_u32 s11, 0, s22
	s_add_u32 s0, s0, s21
	s_mul_hi_u32 s1, s8, s9
	s_addc_u32 s0, s11, s20
	s_addc_u32 s1, s1, 0
	s_mul_i32 s9, s8, s9
	s_add_u32 s0, s0, s9
	s_addc_u32 s1, 0, s1
	v_add_co_u32_e32 v1, vcc, s0, v1
	s_cmp_lg_u64 vcc, 0
	s_addc_u32 s0, s8, s1
	v_readfirstlane_b32 s9, v1
	s_mul_i32 s8, s14, s0
	s_mul_hi_u32 s11, s14, s9
	s_mul_hi_u32 s1, s14, s0
	s_add_u32 s8, s11, s8
	s_addc_u32 s1, 0, s1
	s_mul_hi_u32 s20, s15, s9
	s_mul_i32 s9, s15, s9
	s_add_u32 s8, s8, s9
	s_mul_hi_u32 s11, s15, s0
	s_addc_u32 s1, s1, s20
	s_addc_u32 s8, s11, 0
	s_mul_i32 s0, s15, s0
	s_add_u32 s11, s1, s0
	s_addc_u32 s8, 0, s8
	s_mul_i32 s0, s16, s8
	s_mul_hi_u32 s1, s16, s11
	s_add_i32 s0, s1, s0
	s_mul_i32 s1, s17, s11
	s_add_i32 s9, s0, s1
	s_mul_i32 s1, s16, s11
	v_mov_b32_e32 v1, s1
	s_sub_i32 s0, s15, s9
	v_sub_co_u32_e32 v1, vcc, s14, v1
	s_cmp_lg_u64 vcc, 0
	s_subb_u32 s20, s0, s17
	v_subrev_co_u32_e64 v2, s[0:1], s16, v1
	s_cmp_lg_u64 s[0:1], 0
	s_subb_u32 s0, s20, 0
	s_cmp_ge_u32 s0, s17
	v_readfirstlane_b32 s20, v2
	s_cselect_b32 s1, -1, 0
	s_cmp_ge_u32 s20, s16
	s_cselect_b32 s20, -1, 0
	s_cmp_eq_u32 s0, s17
	s_cselect_b32 s0, s20, s1
	s_add_u32 s1, s11, 1
	s_addc_u32 s20, s8, 0
	s_add_u32 s21, s11, 2
	s_addc_u32 s22, s8, 0
	s_cmp_lg_u32 s0, 0
	s_cselect_b32 s0, s21, s1
	s_cselect_b32 s1, s22, s20
	s_cmp_lg_u64 vcc, 0
	s_subb_u32 s9, s15, s9
	s_cmp_ge_u32 s9, s17
	v_readfirstlane_b32 s21, v1
	s_cselect_b32 s20, -1, 0
	s_cmp_ge_u32 s21, s16
	s_cselect_b32 s21, -1, 0
	s_cmp_eq_u32 s9, s17
	s_cselect_b32 s9, s21, s20
	s_cmp_lg_u32 s9, 0
	s_cselect_b32 s9, s1, s8
	s_cselect_b32 s8, s0, s11
	s_cbranch_execnz .LBB198_6
.LBB198_5:                              ;   in Loop: Header=BB198_3 Depth=1
	v_cvt_f32_u32_e32 v1, s16
	s_sub_i32 s0, 0, s16
	v_rcp_iflag_f32_e32 v1, v1
	v_mul_f32_e32 v1, 0x4f7ffffe, v1
	v_cvt_u32_f32_e32 v1, v1
	v_readfirstlane_b32 s1, v1
	s_mul_i32 s0, s0, s1
	s_mul_hi_u32 s0, s1, s0
	s_add_i32 s1, s1, s0
	s_mul_hi_u32 s0, s14, s1
	s_mul_i32 s8, s0, s16
	s_sub_i32 s8, s14, s8
	s_add_i32 s1, s0, 1
	s_sub_i32 s9, s8, s16
	s_cmp_ge_u32 s8, s16
	s_cselect_b32 s0, s1, s0
	s_cselect_b32 s8, s9, s8
	s_add_i32 s1, s0, 1
	s_cmp_ge_u32 s8, s16
	s_cselect_b32 s8, s1, s0
	s_mov_b32 s9, s10
.LBB198_6:                              ;   in Loop: Header=BB198_3 Depth=1
	s_mul_i32 s0, s8, s17
	s_mul_hi_u32 s1, s8, s16
	s_add_i32 s11, s1, s0
	s_load_dwordx2 s[0:1], s[12:13], 0xc8
	s_mul_i32 s17, s9, s16
	s_add_i32 s11, s11, s17
	s_mul_i32 s16, s8, s16
	s_sub_u32 s14, s14, s16
	s_subb_u32 s11, s15, s11
	s_waitcnt lgkmcnt(0)
	s_mul_i32 s11, s0, s11
	s_mul_hi_u32 s15, s0, s14
	s_add_i32 s11, s15, s11
	s_mul_i32 s1, s1, s14
	s_add_i32 s11, s11, s1
	s_mul_i32 s0, s0, s14
	s_add_u32 s2, s0, s2
	s_addc_u32 s3, s11, s3
	s_add_i32 s19, s19, -1
	s_add_u32 s12, s12, -8
	s_addc_u32 s13, s13, -1
	s_cmp_gt_u32 s19, 2
	s_cbranch_scc0 .LBB198_9
; %bb.7:                                ;   in Loop: Header=BB198_3 Depth=1
	s_mov_b64 s[14:15], s[8:9]
	s_branch .LBB198_3
.LBB198_8:                              ;   in Loop: Header=BB198_3 Depth=1
                                        ; implicit-def: $sgpr8_sgpr9
	s_branch .LBB198_5
.LBB198_9:
	s_load_dword s0, s[4:5], 0x350
	s_load_dwordx2 s[10:11], s[4:5], 0xd0
	s_mov_b64 s[16:17], 0
	s_waitcnt lgkmcnt(0)
	s_cmp_lt_i32 s0, 2
	s_cbranch_scc1 .LBB198_17
; %bb.10:
	s_mov_b32 s12, 0
	s_add_i32 s19, s0, 1
	s_add_i32 s0, s0, -1
	s_mov_b32 s1, s12
	s_lshl_b64 s[0:1], s[0:1], 3
	s_add_u32 s0, s0, s4
	s_addc_u32 s1, s1, s5
	s_add_u32 s14, s0, 0x1c0
	s_addc_u32 s15, s1, 0
.LBB198_11:                             ; =>This Inner Loop Header: Depth=1
	s_load_dwordx2 s[20:21], s[14:15], 0x0
	s_waitcnt lgkmcnt(0)
	s_or_b64 s[0:1], s[6:7], s[20:21]
	s_mov_b32 s13, s1
	s_cmp_lg_u64 s[12:13], 0
	s_cbranch_scc0 .LBB198_16
; %bb.12:                               ;   in Loop: Header=BB198_11 Depth=1
	v_cvt_f32_u32_e32 v1, s20
	v_cvt_f32_u32_e32 v2, s21
	s_sub_u32 s0, 0, s20
	s_subb_u32 s1, 0, s21
	v_mac_f32_e32 v1, 0x4f800000, v2
	v_rcp_f32_e32 v1, v1
	v_mul_f32_e32 v1, 0x5f7ffffc, v1
	v_mul_f32_e32 v2, 0x2f800000, v1
	v_trunc_f32_e32 v2, v2
	v_mac_f32_e32 v1, 0xcf800000, v2
	v_cvt_u32_f32_e32 v2, v2
	v_cvt_u32_f32_e32 v1, v1
	v_readfirstlane_b32 s13, v2
	v_readfirstlane_b32 s22, v1
	s_mul_i32 s23, s0, s13
	s_mul_hi_u32 s25, s0, s22
	s_mul_i32 s24, s1, s22
	s_add_i32 s23, s25, s23
	s_mul_i32 s28, s0, s22
	s_add_i32 s23, s23, s24
	s_mul_hi_u32 s24, s22, s23
	s_mul_i32 s25, s22, s23
	s_mul_hi_u32 s22, s22, s28
	s_add_u32 s22, s22, s25
	s_addc_u32 s24, 0, s24
	s_mul_hi_u32 s29, s13, s28
	s_mul_i32 s28, s13, s28
	s_add_u32 s22, s22, s28
	s_mul_hi_u32 s25, s13, s23
	s_addc_u32 s22, s24, s29
	s_addc_u32 s24, s25, 0
	s_mul_i32 s23, s13, s23
	s_add_u32 s22, s22, s23
	s_addc_u32 s23, 0, s24
	v_add_co_u32_e32 v1, vcc, s22, v1
	s_cmp_lg_u64 vcc, 0
	s_addc_u32 s13, s13, s23
	v_readfirstlane_b32 s23, v1
	s_mul_i32 s22, s0, s13
	s_mul_hi_u32 s24, s0, s23
	s_add_i32 s22, s24, s22
	s_mul_i32 s1, s1, s23
	s_add_i32 s22, s22, s1
	s_mul_i32 s0, s0, s23
	s_mul_hi_u32 s24, s13, s0
	s_mul_i32 s25, s13, s0
	s_mul_i32 s29, s23, s22
	s_mul_hi_u32 s0, s23, s0
	s_mul_hi_u32 s28, s23, s22
	s_add_u32 s0, s0, s29
	s_addc_u32 s23, 0, s28
	s_add_u32 s0, s0, s25
	s_mul_hi_u32 s1, s13, s22
	s_addc_u32 s0, s23, s24
	s_addc_u32 s1, s1, 0
	s_mul_i32 s22, s13, s22
	s_add_u32 s0, s0, s22
	s_addc_u32 s1, 0, s1
	v_add_co_u32_e32 v1, vcc, s0, v1
	s_cmp_lg_u64 vcc, 0
	s_addc_u32 s0, s13, s1
	v_readfirstlane_b32 s22, v1
	s_mul_i32 s13, s6, s0
	s_mul_hi_u32 s23, s6, s22
	s_mul_hi_u32 s1, s6, s0
	s_add_u32 s13, s23, s13
	s_addc_u32 s1, 0, s1
	s_mul_hi_u32 s24, s7, s22
	s_mul_i32 s22, s7, s22
	s_add_u32 s13, s13, s22
	s_mul_hi_u32 s23, s7, s0
	s_addc_u32 s1, s1, s24
	s_addc_u32 s13, s23, 0
	s_mul_i32 s0, s7, s0
	s_add_u32 s22, s1, s0
	s_addc_u32 s13, 0, s13
	s_mul_i32 s0, s20, s13
	s_mul_hi_u32 s1, s20, s22
	s_add_i32 s0, s1, s0
	s_mul_i32 s1, s21, s22
	s_add_i32 s23, s0, s1
	s_mul_i32 s1, s20, s22
	v_mov_b32_e32 v1, s1
	s_sub_i32 s0, s7, s23
	v_sub_co_u32_e32 v1, vcc, s6, v1
	s_cmp_lg_u64 vcc, 0
	s_subb_u32 s24, s0, s21
	v_subrev_co_u32_e64 v2, s[0:1], s20, v1
	s_cmp_lg_u64 s[0:1], 0
	s_subb_u32 s0, s24, 0
	s_cmp_ge_u32 s0, s21
	v_readfirstlane_b32 s24, v2
	s_cselect_b32 s1, -1, 0
	s_cmp_ge_u32 s24, s20
	s_cselect_b32 s24, -1, 0
	s_cmp_eq_u32 s0, s21
	s_cselect_b32 s0, s24, s1
	s_add_u32 s1, s22, 1
	s_addc_u32 s24, s13, 0
	s_add_u32 s25, s22, 2
	s_addc_u32 s28, s13, 0
	s_cmp_lg_u32 s0, 0
	s_cselect_b32 s0, s25, s1
	s_cselect_b32 s1, s28, s24
	s_cmp_lg_u64 vcc, 0
	s_subb_u32 s23, s7, s23
	s_cmp_ge_u32 s23, s21
	v_readfirstlane_b32 s25, v1
	s_cselect_b32 s24, -1, 0
	s_cmp_ge_u32 s25, s20
	s_cselect_b32 s25, -1, 0
	s_cmp_eq_u32 s23, s21
	s_cselect_b32 s23, s25, s24
	s_cmp_lg_u32 s23, 0
	s_cselect_b32 s23, s1, s13
	s_cselect_b32 s22, s0, s22
	s_cbranch_execnz .LBB198_14
.LBB198_13:                             ;   in Loop: Header=BB198_11 Depth=1
	v_cvt_f32_u32_e32 v1, s20
	s_sub_i32 s0, 0, s20
	s_mov_b32 s23, s12
	v_rcp_iflag_f32_e32 v1, v1
	v_mul_f32_e32 v1, 0x4f7ffffe, v1
	v_cvt_u32_f32_e32 v1, v1
	v_readfirstlane_b32 s1, v1
	s_mul_i32 s0, s0, s1
	s_mul_hi_u32 s0, s1, s0
	s_add_i32 s1, s1, s0
	s_mul_hi_u32 s0, s6, s1
	s_mul_i32 s13, s0, s20
	s_sub_i32 s13, s6, s13
	s_add_i32 s1, s0, 1
	s_sub_i32 s22, s13, s20
	s_cmp_ge_u32 s13, s20
	s_cselect_b32 s0, s1, s0
	s_cselect_b32 s13, s22, s13
	s_add_i32 s1, s0, 1
	s_cmp_ge_u32 s13, s20
	s_cselect_b32 s22, s1, s0
.LBB198_14:                             ;   in Loop: Header=BB198_11 Depth=1
	s_mul_i32 s0, s22, s21
	s_mul_hi_u32 s1, s22, s20
	s_add_i32 s13, s1, s0
	s_load_dwordx2 s[0:1], s[14:15], 0xc8
	s_mul_i32 s21, s23, s20
	s_add_i32 s13, s13, s21
	s_mul_i32 s20, s22, s20
	s_sub_u32 s6, s6, s20
	s_subb_u32 s7, s7, s13
	s_waitcnt lgkmcnt(0)
	s_mul_i32 s7, s0, s7
	s_mul_hi_u32 s13, s0, s6
	s_add_i32 s7, s13, s7
	s_mul_i32 s1, s1, s6
	s_add_i32 s7, s7, s1
	s_mul_i32 s0, s0, s6
	s_add_u32 s16, s0, s16
	s_addc_u32 s17, s7, s17
	s_add_i32 s19, s19, -1
	s_add_u32 s14, s14, -8
	s_addc_u32 s15, s15, -1
	s_cmp_gt_u32 s19, 2
	s_cbranch_scc0 .LBB198_18
; %bb.15:                               ;   in Loop: Header=BB198_11 Depth=1
	s_mov_b64 s[6:7], s[22:23]
	s_branch .LBB198_11
.LBB198_16:                             ;   in Loop: Header=BB198_11 Depth=1
                                        ; implicit-def: $sgpr22_sgpr23
	s_branch .LBB198_13
.LBB198_17:
	s_mov_b64 s[22:23], s[6:7]
.LBB198_18:
	s_mul_i32 s0, s10, s9
	s_load_dword s9, s[4:5], 0x360
	s_load_dwordx2 s[6:7], s[4:5], 0x0
	s_mul_hi_u32 s1, s10, s8
	s_add_i32 s0, s1, s0
	s_mul_i32 s1, s11, s8
	s_add_i32 s1, s0, s1
	s_waitcnt lgkmcnt(0)
	s_bitcmp1_b32 s9, 0
	s_cselect_b64 s[20:21], -1, 0
	s_mul_i32 s0, s10, s8
	s_and_b64 s[10:11], s[20:21], exec
	s_cselect_b32 s9, -1, 0x7fffffff
	s_lshl_b64 s[0:1], s[0:1], 3
	s_add_u32 s6, s6, s0
	s_mov_b32 s8, -1
	s_addc_u32 s7, s7, s1
	s_lshl_b64 s[0:1], s[2:3], 3
	s_add_u32 s33, s6, s0
	s_mov_b32 s10, s8
	s_mov_b32 s11, s9
	;; [unrolled: 1-line block ×6, first 2 shown]
	v_pk_mov_b32 v[2:3], s[8:9], s[8:9] op_sel:[0,1]
	s_addc_u32 s40, s7, s1
	v_cmp_gt_u32_e64 s[0:1], s18, v0
	v_pk_mov_b32 v[4:5], s[10:11], s[10:11] op_sel:[0,1]
	v_pk_mov_b32 v[6:7], s[12:13], s[12:13] op_sel:[0,1]
	v_pk_mov_b32 v[8:9], s[14:15], s[14:15] op_sel:[0,1]
	v_pk_mov_b32 v[10:11], s[8:9], s[8:9] op_sel:[0,1]
	s_and_saveexec_b64 s[2:3], s[0:1]
	s_cbranch_execz .LBB198_20
; %bb.19:
	v_mad_u64_u32 v[2:3], s[6:7], v0, s26, 0
	v_mov_b32_e32 v4, v3
	v_mad_u64_u32 v[4:5], s[6:7], v0, s27, v[4:5]
	v_mov_b32_e32 v3, v4
	v_lshlrev_b64 v[2:3], 3, v[2:3]
	v_mov_b32_e32 v1, s40
	v_add_co_u32_e32 v2, vcc, s33, v2
	v_addc_co_u32_e32 v3, vcc, v1, v3, vcc
	global_load_dwordx2 v[10:11], v[2:3], off
	v_pk_mov_b32 v[2:3], s[8:9], s[8:9] op_sel:[0,1]
	v_pk_mov_b32 v[4:5], s[10:11], s[10:11] op_sel:[0,1]
	;; [unrolled: 1-line block ×4, first 2 shown]
.LBB198_20:
	s_or_b64 exec, exec, s[2:3]
	v_or_b32_e32 v1, 32, v0
	v_cmp_gt_u32_e64 s[2:3], s18, v1
	s_and_saveexec_b64 s[6:7], s[2:3]
	s_cbranch_execz .LBB198_22
; %bb.21:
	v_mad_u64_u32 v[2:3], s[8:9], v1, s26, 0
	v_mov_b32_e32 v4, v3
	v_mad_u64_u32 v[4:5], s[8:9], v1, s27, v[4:5]
	v_mov_b32_e32 v3, v4
	v_lshlrev_b64 v[2:3], 3, v[2:3]
	v_mov_b32_e32 v4, s40
	v_add_co_u32_e32 v2, vcc, s33, v2
	v_addc_co_u32_e32 v3, vcc, v4, v3, vcc
	global_load_dwordx2 v[4:5], v[2:3], off
.LBB198_22:
	s_or_b64 exec, exec, s[6:7]
	s_load_dwordx2 s[10:11], s[4:5], 0x288
	s_load_dwordx2 s[8:9], s[4:5], 0x1b8
	v_or_b32_e32 v18, 64, v0
	v_cmp_gt_u32_e64 s[24:25], s18, v18
	s_and_saveexec_b64 s[6:7], s[24:25]
	s_cbranch_execz .LBB198_24
; %bb.23:
	v_mad_u64_u32 v[2:3], s[12:13], v18, s26, 0
	v_mov_b32_e32 v6, v3
	v_mad_u64_u32 v[6:7], s[12:13], v18, s27, v[6:7]
	v_mov_b32_e32 v3, v6
	v_lshlrev_b64 v[2:3], 3, v[2:3]
	v_mov_b32_e32 v6, s40
	v_add_co_u32_e32 v2, vcc, s33, v2
	v_addc_co_u32_e32 v3, vcc, v6, v3, vcc
	global_load_dwordx2 v[6:7], v[2:3], off
.LBB198_24:
	s_or_b64 exec, exec, s[6:7]
	v_or_b32_e32 v19, 0x60, v0
	v_cmp_gt_u32_e64 s[6:7], s18, v19
	s_and_saveexec_b64 s[12:13], s[6:7]
	s_cbranch_execz .LBB198_26
; %bb.25:
	v_mad_u64_u32 v[2:3], s[14:15], v19, s26, 0
	v_mov_b32_e32 v8, v3
	v_mad_u64_u32 v[8:9], s[14:15], v19, s27, v[8:9]
	v_mov_b32_e32 v3, v8
	v_lshlrev_b64 v[2:3], 3, v[2:3]
	v_mov_b32_e32 v8, s40
	v_add_co_u32_e32 v2, vcc, s33, v2
	v_addc_co_u32_e32 v3, vcc, v8, v3, vcc
	global_load_dwordx2 v[8:9], v[2:3], off
.LBB198_26:
	s_or_b64 exec, exec, s[12:13]
	v_lshrrev_b32_e32 v2, 5, v1
	s_waitcnt lgkmcnt(0)
	s_mul_i32 s12, s10, s23
	s_mul_hi_u32 s13, s10, s22
	v_add_lshl_u32 v51, v2, v0, 3
	v_lshrrev_b32_e32 v2, 5, v18
	s_add_i32 s12, s13, s12
	s_mul_i32 s11, s11, s22
	v_add_lshl_u32 v52, v2, v0, 3
	v_lshrrev_b32_e32 v2, 5, v19
	s_add_i32 s11, s12, s11
	s_mul_i32 s10, s10, s22
	v_add_lshl_u32 v53, v2, v0, 3
	v_lshlrev_b32_e32 v26, 2, v0
	v_lshrrev_b32_e32 v2, 3, v0
	s_lshl_b64 s[10:11], s[10:11], 3
	v_or_b32_e32 v2, v2, v26
	s_add_u32 s10, s8, s10
	v_lshlrev_b32_e32 v50, 3, v0
	v_lshlrev_b32_e32 v54, 3, v2
	s_addc_u32 s11, s9, s11
	s_lshl_b64 s[8:9], s[16:17], 3
	s_load_dwordx2 s[4:5], s[4:5], 0x358
	s_waitcnt vmcnt(0)
	ds_write_b64 v50, v[10:11]
	ds_write_b64 v51, v[4:5] offset:256
	ds_write_b64 v52, v[6:7] offset:512
	;; [unrolled: 1-line block ×3, first 2 shown]
	s_waitcnt lgkmcnt(0)
	; wave barrier
	s_waitcnt lgkmcnt(0)
	ds_read2_b64 v[14:17], v54 offset1:1
	ds_read2_b64 v[10:13], v54 offset0:2 offset1:3
	s_add_u32 s41, s10, s8
	s_mov_b32 s8, 0
	s_addc_u32 s42, s11, s9
	s_mov_b32 s9, s8
	s_mov_b32 s10, s8
	;; [unrolled: 1-line block ×7, first 2 shown]
	v_pk_mov_b32 v[2:3], s[8:9], s[8:9] op_sel:[0,1]
	v_pk_mov_b32 v[4:5], s[10:11], s[10:11] op_sel:[0,1]
	;; [unrolled: 1-line block ×4, first 2 shown]
	v_pk_mov_b32 v[2:3], 0, 0
	s_waitcnt lgkmcnt(0)
	; wave barrier
	s_waitcnt lgkmcnt(0)
	s_and_saveexec_b64 s[8:9], s[0:1]
	s_cbranch_execnz .LBB198_46
; %bb.27:
	s_or_b64 exec, exec, s[8:9]
	s_and_saveexec_b64 s[8:9], s[2:3]
	s_cbranch_execnz .LBB198_47
.LBB198_28:
	s_or_b64 exec, exec, s[8:9]
	s_and_saveexec_b64 s[8:9], s[24:25]
	s_cbranch_execnz .LBB198_48
.LBB198_29:
	s_or_b64 exec, exec, s[8:9]
	s_xor_b64 s[30:31], s[20:21], -1
	s_and_saveexec_b64 s[8:9], s[6:7]
	s_cbranch_execz .LBB198_31
.LBB198_30:
	v_mad_u64_u32 v[8:9], s[10:11], v19, s4, 0
	v_mov_b32_e32 v18, v9
	v_mad_u64_u32 v[18:19], s[10:11], v19, s5, v[18:19]
	v_mov_b32_e32 v9, v18
	v_lshlrev_b64 v[8:9], 3, v[8:9]
	v_mov_b32_e32 v18, s42
	v_add_co_u32_e32 v8, vcc, s41, v8
	v_addc_co_u32_e32 v9, vcc, v18, v9, vcc
	global_load_dwordx2 v[8:9], v[8:9], off
.LBB198_31:
	s_or_b64 exec, exec, s[8:9]
	s_waitcnt vmcnt(0)
	ds_write_b64 v50, v[2:3]
	ds_write_b64 v51, v[4:5] offset:256
	ds_write_b64 v52, v[6:7] offset:512
	;; [unrolled: 1-line block ×3, first 2 shown]
	v_mbcnt_lo_u32_b32 v2, -1, 0
	v_mbcnt_hi_u32_b32 v2, -1, v2
	s_getpc_b64 s[8:9]
	s_add_u32 s8, s8, _ZN7rocprim17ROCPRIM_400000_NS16block_radix_sortIdLj32ELj4ElLj1ELj1ELj0ELNS0_26block_radix_rank_algorithmE1ELNS0_18block_padding_hintE2ELNS0_4arch9wavefront6targetE1EE19radix_bits_per_passE@rel32@lo+4
	s_addc_u32 s9, s9, _ZN7rocprim17ROCPRIM_400000_NS16block_radix_sortIdLj32ELj4ElLj1ELj1ELj0ELNS0_26block_radix_rank_algorithmE1ELNS0_18block_padding_hintE2ELNS0_4arch9wavefront6targetE1EE19radix_bits_per_passE@rel32@hi+12
	v_and_b32_e32 v3, 15, v2
	s_waitcnt lgkmcnt(0)
	; wave barrier
	s_waitcnt lgkmcnt(0)
	ds_read2_b64 v[18:21], v54 offset1:1
	ds_read2_b64 v[22:25], v54 offset0:2 offset1:3
	s_load_dword s43, s[8:9], 0x0
	v_cmp_eq_u32_e64 s[10:11], 0, v3
	v_cmp_lt_u32_e64 s[12:13], 1, v3
	v_cmp_lt_u32_e64 s[14:15], 3, v3
	;; [unrolled: 1-line block ×3, first 2 shown]
	v_and_b32_e32 v3, 16, v2
	v_cmp_eq_u32_e64 s[18:19], 0, v3
	v_add_u32_e32 v3, -1, v2
	v_and_b32_e32 v4, 0x60, v2
	v_cmp_lt_i32_e32 vcc, v3, v4
	s_movk_i32 s8, 0x100
	v_cndmask_b32_e32 v3, v3, v2, vcc
	v_cmp_gt_u32_e64 s[8:9], s8, v0
	v_lshlrev_b32_e32 v56, 5, v0
	s_mov_b32 s44, 0
	s_mov_b32 s28, -1
	v_cmp_eq_u32_e64 s[20:21], 31, v0
	v_lshlrev_b32_e32 v57, 2, v3
	v_cmp_eq_u32_e64 s[22:23], 0, v2
	v_lshlrev_b32_e32 v55, 3, v26
	s_and_b64 vcc, exec, s[30:31]
	v_ashrrev_i32_e32 v62, 31, v15
	v_ashrrev_i32_e32 v61, 31, v17
	;; [unrolled: 1-line block ×4, first 2 shown]
	v_add_u32_e64 v58, 7, 2
	s_waitcnt lgkmcnt(0)
	; wave barrier
	s_waitcnt lgkmcnt(0)
	s_cbranch_vccz .LBB198_49
; %bb.32:
	v_bfrev_b32_e32 v63, 1
	v_cmp_lt_i64_e32 vcc, -1, v[14:15]
	v_cndmask_b32_e32 v2, -1, v63, vcc
	v_cmp_lt_i64_e32 vcc, -1, v[16:17]
	v_cndmask_b32_e32 v4, -1, v63, vcc
	;; [unrolled: 2-line block ×4, first 2 shown]
	v_xor_b32_e32 v3, v2, v15
	v_xor_b32_e32 v2, v62, v14
	;; [unrolled: 1-line block ×8, first 2 shown]
	v_and_b32_e32 v64, 14, v58
	v_mov_b32_e32 v65, 0
	s_brev_b32 s29, -2
	s_movk_i32 s45, 0xe0
	v_pk_mov_b32 v[26:27], v[18:19], v[18:19] op_sel:[0,1]
	v_pk_mov_b32 v[28:29], v[20:21], v[20:21] op_sel:[0,1]
	;; [unrolled: 1-line block ×4, first 2 shown]
	s_branch .LBB198_34
.LBB198_33:                             ;   in Loop: Header=BB198_34 Depth=1
	v_lshlrev_b32_e32 v26, 3, v69
	v_lshlrev_b32_e32 v27, 3, v67
	;; [unrolled: 1-line block ×4, first 2 shown]
	s_waitcnt lgkmcnt(0)
	; wave barrier
	ds_write_b64 v26, v[48:49]
	ds_write_b64 v27, v[46:47]
	;; [unrolled: 1-line block ×4, first 2 shown]
	s_waitcnt lgkmcnt(0)
	; wave barrier
	s_waitcnt lgkmcnt(0)
	ds_read2_b64 v[2:5], v55 offset1:1
	ds_read2_b64 v[6:9], v55 offset0:2 offset1:3
	s_waitcnt lgkmcnt(0)
	; wave barrier
	s_waitcnt lgkmcnt(0)
	ds_write_b64 v26, v[40:41]
	ds_write_b64 v27, v[38:39]
	;; [unrolled: 1-line block ×4, first 2 shown]
	s_waitcnt lgkmcnt(0)
	; wave barrier
	s_waitcnt lgkmcnt(0)
	ds_read2_b64 v[26:29], v55 offset1:1
	ds_read2_b64 v[30:33], v55 offset0:2 offset1:3
	s_add_i32 s44, s44, 4
	s_waitcnt lgkmcnt(0)
	; wave barrier
	s_waitcnt lgkmcnt(0)
	s_cbranch_execz .LBB198_45
.LBB198_34:                             ; =>This Loop Header: Depth=1
                                        ;     Child Loop BB198_37 Depth 2
	v_pk_mov_b32 v[42:43], v[8:9], v[8:9] op_sel:[0,1]
	v_pk_mov_b32 v[44:45], v[6:7], v[6:7] op_sel:[0,1]
	;; [unrolled: 1-line block ×8, first 2 shown]
	s_and_saveexec_b64 s[30:31], s[8:9]
	s_cbranch_execz .LBB198_41
; %bb.35:                               ;   in Loop: Header=BB198_34 Depth=1
	s_mov_b32 s46, 0
	s_mov_b64 s[34:35], 0
	v_pk_mov_b32 v[2:3], v[0:1], v[0:1] op_sel:[0,1]
	s_branch .LBB198_37
.LBB198_36:                             ;   in Loop: Header=BB198_37 Depth=2
	s_or_b64 exec, exec, s[38:39]
	s_add_i32 s46, s46, 2
	v_cmp_eq_u32_e32 vcc, s46, v64
	v_add_u32_e32 v3, 64, v3
	s_or_b64 s[34:35], vcc, s[34:35]
	v_add_u32_e32 v2, 64, v2
	s_andn2_b64 exec, exec, s[34:35]
	s_cbranch_execz .LBB198_41
.LBB198_37:                             ;   Parent Loop BB198_34 Depth=1
                                        ; =>  This Inner Loop Header: Depth=2
	s_or_b32 s36, s46, 1
	v_cmp_le_u32_e64 s[36:37], s36, 7
	v_cmp_le_u32_e64 s[48:49], s46, 7
	s_and_saveexec_b64 s[38:39], s[48:49]
	s_cbranch_execz .LBB198_39
; %bb.38:                               ;   in Loop: Header=BB198_37 Depth=2
	v_lshlrev_b32_e32 v4, 2, v2
	ds_write_b32 v4, v65
.LBB198_39:                             ;   in Loop: Header=BB198_37 Depth=2
	s_or_b64 exec, exec, s[38:39]
	s_and_saveexec_b64 s[38:39], s[36:37]
	s_cbranch_execz .LBB198_36
; %bb.40:                               ;   in Loop: Header=BB198_37 Depth=2
	v_lshlrev_b32_e32 v4, 2, v3
	ds_write_b32 v4, v65
	s_branch .LBB198_36
.LBB198_41:                             ;   in Loop: Header=BB198_34 Depth=1
	s_or_b64 exec, exec, s[30:31]
	s_sub_i32 s30, 64, s44
	s_min_u32 s30, s43, s30
	v_cmp_ne_u64_e32 vcc, s[28:29], v[48:49]
	s_lshl_b32 s30, -1, s30
	v_cndmask_b32_e32 v3, v63, v49, vcc
	v_cndmask_b32_e32 v2, 0, v48, vcc
	s_not_b32 s30, s30
	v_lshrrev_b64 v[2:3], s44, v[2:3]
	v_and_b32_e32 v2, s30, v2
	v_lshrrev_b32_e32 v3, 3, v2
	v_lshlrev_b32_e32 v2, 5, v2
	v_and_or_b32 v2, v2, s45, v0
	v_lshlrev_b32_e32 v2, 1, v2
	v_add_lshl_u32 v27, v2, v3, 1
	ds_read_u16 v26, v27
	v_cmp_ne_u64_e32 vcc, s[28:29], v[46:47]
	v_cndmask_b32_e32 v3, v63, v47, vcc
	s_waitcnt lgkmcnt(0)
	v_add_u16_e32 v2, 1, v26
	ds_write_b16 v27, v2
	v_cndmask_b32_e32 v2, 0, v46, vcc
	v_lshrrev_b64 v[2:3], s44, v[2:3]
	v_and_b32_e32 v2, s30, v2
	v_lshrrev_b32_e32 v3, 3, v2
	v_lshlrev_b32_e32 v2, 5, v2
	v_and_or_b32 v2, v2, s45, v0
	v_lshlrev_b32_e32 v2, 1, v2
	v_add_lshl_u32 v29, v2, v3, 1
	ds_read_u16 v28, v29
	v_cmp_ne_u64_e32 vcc, s[28:29], v[44:45]
	v_cndmask_b32_e32 v3, v63, v45, vcc
	s_waitcnt lgkmcnt(0)
	v_add_u16_e32 v2, 1, v28
	ds_write_b16 v29, v2
	v_cndmask_b32_e32 v2, 0, v44, vcc
	;; [unrolled: 14-line block ×3, first 2 shown]
	v_lshrrev_b64 v[2:3], s44, v[2:3]
	v_and_b32_e32 v2, s30, v2
	v_lshrrev_b32_e32 v3, 3, v2
	v_lshlrev_b32_e32 v2, 5, v2
	v_and_or_b32 v2, v2, s45, v0
	v_lshlrev_b32_e32 v2, 1, v2
	v_add_lshl_u32 v33, v2, v3, 1
	ds_read_u16 v32, v33
	s_waitcnt lgkmcnt(0)
	v_add_u16_e32 v2, 1, v32
	ds_write_b16 v33, v2
	s_waitcnt lgkmcnt(0)
	; wave barrier
	s_waitcnt lgkmcnt(0)
	ds_read2_b32 v[8:9], v56 offset1:1
	ds_read2_b32 v[6:7], v56 offset0:2 offset1:3
	ds_read2_b32 v[2:3], v56 offset0:4 offset1:5
	;; [unrolled: 1-line block ×3, first 2 shown]
	s_waitcnt lgkmcnt(3)
	v_add_u32_e32 v66, v9, v8
	s_waitcnt lgkmcnt(2)
	v_add3_u32 v66, v66, v6, v7
	s_waitcnt lgkmcnt(1)
	v_add3_u32 v66, v66, v2, v3
	;; [unrolled: 2-line block ×3, first 2 shown]
	s_nop 1
	v_mov_b32_dpp v66, v5 row_shr:1 row_mask:0xf bank_mask:0xf
	v_cndmask_b32_e64 v66, v66, 0, s[10:11]
	v_add_u32_e32 v5, v66, v5
	s_nop 1
	v_mov_b32_dpp v66, v5 row_shr:2 row_mask:0xf bank_mask:0xf
	v_cndmask_b32_e64 v66, 0, v66, s[12:13]
	v_add_u32_e32 v5, v5, v66
	;; [unrolled: 4-line block ×4, first 2 shown]
	s_nop 1
	v_mov_b32_dpp v66, v5 row_bcast:15 row_mask:0xf bank_mask:0xf
	v_cndmask_b32_e64 v66, v66, 0, s[18:19]
	v_add_u32_e32 v5, v5, v66
	s_and_saveexec_b64 s[30:31], s[20:21]
	s_cbranch_execz .LBB198_43
; %bb.42:                               ;   in Loop: Header=BB198_34 Depth=1
	ds_write_b32 v65, v5 offset:1024
.LBB198_43:                             ;   in Loop: Header=BB198_34 Depth=1
	s_or_b64 exec, exec, s[30:31]
	ds_bpermute_b32 v5, v57, v5
	s_waitcnt lgkmcnt(0)
	; wave barrier
	s_waitcnt lgkmcnt(0)
	ds_read_b32 v66, v65 offset:1024
	s_cmp_gt_u32 s44, 59
	v_cndmask_b32_e64 v5, v5, 0, s[22:23]
	s_waitcnt lgkmcnt(0)
	v_lshl_add_u32 v5, v66, 16, v5
	v_add_u32_e32 v8, v5, v8
	v_add_u32_e32 v9, v8, v9
	ds_write2_b32 v56, v5, v8 offset1:1
	v_add_u32_e32 v5, v9, v6
	v_add_u32_e32 v6, v5, v7
	v_add_u32_e32 v2, v6, v2
	v_add_u32_e32 v3, v2, v3
	v_add_u32_e32 v4, v3, v4
	ds_write2_b32 v56, v9, v5 offset0:2 offset1:3
	ds_write2_b32 v56, v6, v2 offset0:4 offset1:5
	;; [unrolled: 1-line block ×3, first 2 shown]
	s_waitcnt lgkmcnt(0)
	; wave barrier
	s_waitcnt lgkmcnt(0)
	ds_read_u16 v2, v27
	ds_read_u16 v3, v29
	;; [unrolled: 1-line block ×4, first 2 shown]
	s_waitcnt lgkmcnt(3)
	v_add_u32_sdwa v69, v2, v26 dst_sel:DWORD dst_unused:UNUSED_PAD src0_sel:DWORD src1_sel:WORD_0
	s_waitcnt lgkmcnt(2)
	v_add_u32_sdwa v67, v3, v28 dst_sel:DWORD dst_unused:UNUSED_PAD src0_sel:DWORD src1_sel:WORD_0
	;; [unrolled: 2-line block ×4, first 2 shown]
	s_cbranch_scc0 .LBB198_33
; %bb.44:
                                        ; implicit-def: $vgpr8_vgpr9
                                        ; implicit-def: $vgpr4_vgpr5
                                        ; implicit-def: $vgpr32_vgpr33
                                        ; implicit-def: $vgpr28_vgpr29
                                        ; implicit-def: $sgpr44
.LBB198_45:
	v_lshlrev_b32_e32 v26, 3, v69
	v_lshlrev_b32_e32 v27, 3, v67
	;; [unrolled: 1-line block ×4, first 2 shown]
	s_waitcnt lgkmcnt(0)
	; wave barrier
	ds_write_b64 v26, v[48:49]
	ds_write_b64 v27, v[46:47]
	;; [unrolled: 1-line block ×4, first 2 shown]
	s_waitcnt lgkmcnt(0)
	; wave barrier
	s_waitcnt lgkmcnt(0)
	ds_read2_b64 v[2:5], v55 offset1:1
	ds_read2_b64 v[6:9], v55 offset0:2 offset1:3
	s_waitcnt lgkmcnt(0)
	; wave barrier
	s_waitcnt lgkmcnt(0)
	ds_write_b64 v26, v[40:41]
	ds_write_b64 v27, v[38:39]
	;; [unrolled: 1-line block ×4, first 2 shown]
	v_bfrev_b32_e32 v34, 1
	v_cmp_lt_i64_e32 vcc, -1, v[2:3]
	v_ashrrev_i32_e32 v36, 31, v3
	s_waitcnt lgkmcnt(0)
	; wave barrier
	s_waitcnt lgkmcnt(0)
	ds_read2_b64 v[26:29], v55 offset1:1
	ds_read2_b64 v[30:33], v55 offset0:2 offset1:3
	v_cndmask_b32_e64 v35, v34, -1, vcc
	v_not_b32_e32 v36, v36
	v_cmp_lt_i64_e32 vcc, -1, v[4:5]
	v_xor_b32_e32 v3, v35, v3
	v_xor_b32_e32 v2, v36, v2
	v_cndmask_b32_e64 v35, v34, -1, vcc
	v_ashrrev_i32_e32 v36, 31, v5
	v_cmp_lt_i64_e32 vcc, -1, v[6:7]
	v_not_b32_e32 v36, v36
	v_xor_b32_e32 v5, v35, v5
	v_cndmask_b32_e64 v35, v34, -1, vcc
	v_xor_b32_e32 v4, v36, v4
	v_ashrrev_i32_e32 v36, 31, v7
	v_xor_b32_e32 v7, v35, v7
	v_cmp_lt_i64_e32 vcc, -1, v[8:9]
	v_ashrrev_i32_e32 v35, 31, v9
	v_not_b32_e32 v36, v36
	v_cndmask_b32_e64 v34, v34, -1, vcc
	v_not_b32_e32 v35, v35
	v_xor_b32_e32 v6, v36, v6
	v_xor_b32_e32 v9, v34, v9
	;; [unrolled: 1-line block ×3, first 2 shown]
	s_branch .LBB198_64
.LBB198_46:
	v_mad_u64_u32 v[2:3], s[10:11], v0, s4, 0
	v_mov_b32_e32 v4, v3
	v_mad_u64_u32 v[4:5], s[10:11], v0, s5, v[4:5]
	v_mov_b32_e32 v3, v4
	v_lshlrev_b64 v[2:3], 3, v[2:3]
	v_mov_b32_e32 v4, s42
	v_add_co_u32_e32 v2, vcc, s41, v2
	v_addc_co_u32_e32 v3, vcc, v4, v3, vcc
	global_load_dwordx2 v[2:3], v[2:3], off
	v_mov_b32_e32 v4, 0
	v_mov_b32_e32 v5, v4
	;; [unrolled: 1-line block ×6, first 2 shown]
	s_or_b64 exec, exec, s[8:9]
	s_and_saveexec_b64 s[8:9], s[2:3]
	s_cbranch_execz .LBB198_28
.LBB198_47:
	v_mad_u64_u32 v[4:5], s[10:11], v1, s4, 0
	v_mov_b32_e32 v20, v5
	v_mad_u64_u32 v[20:21], s[10:11], v1, s5, v[20:21]
	v_mov_b32_e32 v5, v20
	v_lshlrev_b64 v[4:5], 3, v[4:5]
	v_mov_b32_e32 v20, s42
	v_add_co_u32_e32 v4, vcc, s41, v4
	v_addc_co_u32_e32 v5, vcc, v20, v5, vcc
	global_load_dwordx2 v[4:5], v[4:5], off
	s_or_b64 exec, exec, s[8:9]
	s_and_saveexec_b64 s[8:9], s[24:25]
	s_cbranch_execz .LBB198_29
.LBB198_48:
	v_mad_u64_u32 v[6:7], s[10:11], v18, s4, 0
	v_mov_b32_e32 v20, v7
	v_mad_u64_u32 v[20:21], s[10:11], v18, s5, v[20:21]
	v_mov_b32_e32 v7, v20
	v_lshlrev_b64 v[6:7], 3, v[6:7]
	v_mov_b32_e32 v18, s42
	v_add_co_u32_e32 v6, vcc, s41, v6
	v_addc_co_u32_e32 v7, vcc, v18, v7, vcc
	global_load_dwordx2 v[6:7], v[6:7], off
	s_or_b64 exec, exec, s[8:9]
	s_xor_b64 s[30:31], s[20:21], -1
	s_and_saveexec_b64 s[8:9], s[6:7]
	s_cbranch_execnz .LBB198_30
	s_branch .LBB198_31
.LBB198_49:
                                        ; implicit-def: $vgpr32_vgpr33
                                        ; implicit-def: $vgpr28_vgpr29
                                        ; implicit-def: $vgpr2_vgpr3_vgpr4_vgpr5_vgpr6_vgpr7_vgpr8_vgpr9
	s_cbranch_execz .LBB198_64
; %bb.50:
	v_bfrev_b32_e32 v34, -2
	v_cmp_gt_i64_e32 vcc, 0, v[14:15]
	v_cndmask_b32_e64 v2, v34, 0, vcc
	v_not_b32_e32 v4, v62
	v_cmp_gt_i64_e32 vcc, 0, v[16:17]
	v_xor_b32_e32 v3, v2, v15
	v_xor_b32_e32 v2, v4, v14
	v_cndmask_b32_e64 v4, v34, 0, vcc
	v_not_b32_e32 v6, v61
	v_cmp_gt_i64_e32 vcc, 0, v[10:11]
	v_xor_b32_e32 v5, v4, v17
	v_xor_b32_e32 v4, v6, v16
	v_cndmask_b32_e64 v6, v34, 0, vcc
	v_not_b32_e32 v8, v60
	v_cmp_gt_i64_e32 vcc, 0, v[12:13]
	s_mov_b32 s28, 0
	v_xor_b32_e32 v7, v6, v11
	v_xor_b32_e32 v6, v8, v10
	v_cndmask_b32_e64 v8, v34, 0, vcc
	v_not_b32_e32 v10, v59
	s_brev_b32 s29, 1
	v_xor_b32_e32 v9, v8, v13
	v_xor_b32_e32 v8, v10, v12
	v_and_b32_e32 v35, 14, v58
	v_mov_b32_e32 v36, 0
	s_movk_i32 s44, 0xe0
	s_mov_b32 s45, s28
	s_branch .LBB198_52
.LBB198_51:                             ;   in Loop: Header=BB198_52 Depth=1
	v_lshlrev_b32_e32 v18, 3, v40
	v_lshlrev_b32_e32 v19, 3, v38
	v_lshlrev_b32_e32 v20, 3, v37
	v_lshlrev_b32_e32 v21, 3, v39
	s_waitcnt lgkmcnt(0)
	; wave barrier
	ds_write_b64 v18, v[32:33]
	ds_write_b64 v19, v[30:31]
	ds_write_b64 v20, v[28:29]
	ds_write_b64 v21, v[26:27]
	s_waitcnt lgkmcnt(0)
	; wave barrier
	s_waitcnt lgkmcnt(0)
	ds_read2_b64 v[2:5], v55 offset1:1
	ds_read2_b64 v[6:9], v55 offset0:2 offset1:3
	s_waitcnt lgkmcnt(0)
	; wave barrier
	s_waitcnt lgkmcnt(0)
	ds_write_b64 v18, v[16:17]
	ds_write_b64 v19, v[14:15]
	;; [unrolled: 1-line block ×4, first 2 shown]
	s_waitcnt lgkmcnt(0)
	; wave barrier
	s_waitcnt lgkmcnt(0)
	ds_read2_b64 v[18:21], v55 offset1:1
	ds_read2_b64 v[22:25], v55 offset0:2 offset1:3
	s_add_i32 s45, s45, 4
	s_waitcnt lgkmcnt(0)
	; wave barrier
	s_waitcnt lgkmcnt(0)
	s_cbranch_execz .LBB198_63
.LBB198_52:                             ; =>This Loop Header: Depth=1
                                        ;     Child Loop BB198_55 Depth 2
	s_waitcnt lgkmcnt(1)
	v_pk_mov_b32 v[26:27], v[8:9], v[8:9] op_sel:[0,1]
	v_pk_mov_b32 v[28:29], v[6:7], v[6:7] op_sel:[0,1]
	s_waitcnt lgkmcnt(0)
	v_pk_mov_b32 v[30:31], v[4:5], v[4:5] op_sel:[0,1]
	v_pk_mov_b32 v[32:33], v[2:3], v[2:3] op_sel:[0,1]
	;; [unrolled: 1-line block ×6, first 2 shown]
	s_and_saveexec_b64 s[30:31], s[8:9]
	s_cbranch_execz .LBB198_59
; %bb.53:                               ;   in Loop: Header=BB198_52 Depth=1
	s_mov_b32 s46, 0
	s_mov_b64 s[34:35], 0
	v_pk_mov_b32 v[2:3], v[0:1], v[0:1] op_sel:[0,1]
	s_branch .LBB198_55
.LBB198_54:                             ;   in Loop: Header=BB198_55 Depth=2
	s_or_b64 exec, exec, s[38:39]
	s_add_i32 s46, s46, 2
	v_cmp_eq_u32_e32 vcc, s46, v35
	v_add_u32_e32 v3, 64, v3
	s_or_b64 s[34:35], vcc, s[34:35]
	v_add_u32_e32 v2, 64, v2
	s_andn2_b64 exec, exec, s[34:35]
	s_cbranch_execz .LBB198_59
.LBB198_55:                             ;   Parent Loop BB198_52 Depth=1
                                        ; =>  This Inner Loop Header: Depth=2
	s_or_b32 s36, s46, 1
	v_cmp_le_u32_e64 s[36:37], s36, 7
	v_cmp_le_u32_e64 s[48:49], s46, 7
	s_and_saveexec_b64 s[38:39], s[48:49]
	s_cbranch_execz .LBB198_57
; %bb.56:                               ;   in Loop: Header=BB198_55 Depth=2
	v_lshlrev_b32_e32 v4, 2, v2
	ds_write_b32 v4, v36
.LBB198_57:                             ;   in Loop: Header=BB198_55 Depth=2
	s_or_b64 exec, exec, s[38:39]
	s_and_saveexec_b64 s[38:39], s[36:37]
	s_cbranch_execz .LBB198_54
; %bb.58:                               ;   in Loop: Header=BB198_55 Depth=2
	v_lshlrev_b32_e32 v4, 2, v3
	ds_write_b32 v4, v36
	s_branch .LBB198_54
.LBB198_59:                             ;   in Loop: Header=BB198_52 Depth=1
	s_or_b64 exec, exec, s[30:31]
	s_sub_i32 s30, 64, s45
	s_min_u32 s30, s43, s30
	v_cmp_ne_u64_e32 vcc, s[28:29], v[32:33]
	s_lshl_b32 s30, -1, s30
	v_cndmask_b32_e32 v3, v34, v33, vcc
	v_cndmask_b32_e32 v2, -1, v32, vcc
	s_not_b32 s30, s30
	v_lshrrev_b64 v[2:3], s45, v[2:3]
	v_and_b32_e32 v2, s30, v2
	v_lshrrev_b32_e32 v3, 3, v2
	v_lshlrev_b32_e32 v2, 5, v2
	v_and_or_b32 v2, v2, s44, v0
	v_lshlrev_b32_e32 v2, 1, v2
	v_add_lshl_u32 v19, v2, v3, 1
	ds_read_u16 v18, v19
	v_cmp_ne_u64_e32 vcc, s[28:29], v[30:31]
	v_cndmask_b32_e32 v3, v34, v31, vcc
	s_waitcnt lgkmcnt(0)
	v_add_u16_e32 v2, 1, v18
	ds_write_b16 v19, v2
	v_cndmask_b32_e32 v2, -1, v30, vcc
	v_lshrrev_b64 v[2:3], s45, v[2:3]
	v_and_b32_e32 v2, s30, v2
	v_lshrrev_b32_e32 v3, 3, v2
	v_lshlrev_b32_e32 v2, 5, v2
	v_and_or_b32 v2, v2, s44, v0
	v_lshlrev_b32_e32 v2, 1, v2
	v_add_lshl_u32 v21, v2, v3, 1
	ds_read_u16 v20, v21
	v_cmp_ne_u64_e32 vcc, s[28:29], v[28:29]
	v_cndmask_b32_e32 v3, v34, v29, vcc
	s_waitcnt lgkmcnt(0)
	v_add_u16_e32 v2, 1, v20
	ds_write_b16 v21, v2
	v_cndmask_b32_e32 v2, -1, v28, vcc
	;; [unrolled: 14-line block ×3, first 2 shown]
	v_lshrrev_b64 v[2:3], s45, v[2:3]
	v_and_b32_e32 v2, s30, v2
	v_lshrrev_b32_e32 v3, 3, v2
	v_lshlrev_b32_e32 v2, 5, v2
	v_and_or_b32 v2, v2, s44, v0
	v_lshlrev_b32_e32 v2, 1, v2
	v_add_lshl_u32 v25, v2, v3, 1
	ds_read_u16 v24, v25
	s_waitcnt lgkmcnt(0)
	v_add_u16_e32 v2, 1, v24
	ds_write_b16 v25, v2
	s_waitcnt lgkmcnt(0)
	; wave barrier
	s_waitcnt lgkmcnt(0)
	ds_read2_b32 v[8:9], v56 offset1:1
	ds_read2_b32 v[6:7], v56 offset0:2 offset1:3
	ds_read2_b32 v[2:3], v56 offset0:4 offset1:5
	;; [unrolled: 1-line block ×3, first 2 shown]
	s_waitcnt lgkmcnt(3)
	v_add_u32_e32 v37, v9, v8
	s_waitcnt lgkmcnt(2)
	v_add3_u32 v37, v37, v6, v7
	s_waitcnt lgkmcnt(1)
	v_add3_u32 v37, v37, v2, v3
	;; [unrolled: 2-line block ×3, first 2 shown]
	s_nop 1
	v_mov_b32_dpp v37, v5 row_shr:1 row_mask:0xf bank_mask:0xf
	v_cndmask_b32_e64 v37, v37, 0, s[10:11]
	v_add_u32_e32 v5, v37, v5
	s_nop 1
	v_mov_b32_dpp v37, v5 row_shr:2 row_mask:0xf bank_mask:0xf
	v_cndmask_b32_e64 v37, 0, v37, s[12:13]
	v_add_u32_e32 v5, v5, v37
	;; [unrolled: 4-line block ×4, first 2 shown]
	s_nop 1
	v_mov_b32_dpp v37, v5 row_bcast:15 row_mask:0xf bank_mask:0xf
	v_cndmask_b32_e64 v37, v37, 0, s[18:19]
	v_add_u32_e32 v5, v5, v37
	s_and_saveexec_b64 s[30:31], s[20:21]
	s_cbranch_execz .LBB198_61
; %bb.60:                               ;   in Loop: Header=BB198_52 Depth=1
	ds_write_b32 v36, v5 offset:1024
.LBB198_61:                             ;   in Loop: Header=BB198_52 Depth=1
	s_or_b64 exec, exec, s[30:31]
	ds_bpermute_b32 v5, v57, v5
	s_waitcnt lgkmcnt(0)
	; wave barrier
	s_waitcnt lgkmcnt(0)
	ds_read_b32 v37, v36 offset:1024
	s_cmp_gt_u32 s45, 59
	v_cndmask_b32_e64 v5, v5, 0, s[22:23]
	s_waitcnt lgkmcnt(0)
	v_lshl_add_u32 v5, v37, 16, v5
	v_add_u32_e32 v8, v5, v8
	v_add_u32_e32 v9, v8, v9
	ds_write2_b32 v56, v5, v8 offset1:1
	v_add_u32_e32 v5, v9, v6
	v_add_u32_e32 v6, v5, v7
	;; [unrolled: 1-line block ×5, first 2 shown]
	ds_write2_b32 v56, v9, v5 offset0:2 offset1:3
	ds_write2_b32 v56, v6, v2 offset0:4 offset1:5
	ds_write2_b32 v56, v3, v4 offset0:6 offset1:7
	s_waitcnt lgkmcnt(0)
	; wave barrier
	s_waitcnt lgkmcnt(0)
	ds_read_u16 v2, v19
	ds_read_u16 v3, v21
	;; [unrolled: 1-line block ×4, first 2 shown]
	s_waitcnt lgkmcnt(3)
	v_add_u32_sdwa v40, v2, v18 dst_sel:DWORD dst_unused:UNUSED_PAD src0_sel:DWORD src1_sel:WORD_0
	s_waitcnt lgkmcnt(2)
	v_add_u32_sdwa v38, v3, v20 dst_sel:DWORD dst_unused:UNUSED_PAD src0_sel:DWORD src1_sel:WORD_0
	;; [unrolled: 2-line block ×4, first 2 shown]
	s_cbranch_scc0 .LBB198_51
; %bb.62:
                                        ; implicit-def: $vgpr8_vgpr9
                                        ; implicit-def: $vgpr4_vgpr5
                                        ; implicit-def: $vgpr24_vgpr25
                                        ; implicit-def: $vgpr20_vgpr21
                                        ; implicit-def: $sgpr45
.LBB198_63:
	v_lshlrev_b32_e32 v1, 3, v40
	v_lshlrev_b32_e32 v18, 3, v38
	;; [unrolled: 1-line block ×4, first 2 shown]
	s_waitcnt lgkmcnt(0)
	; wave barrier
	ds_write_b64 v1, v[32:33]
	ds_write_b64 v18, v[30:31]
	;; [unrolled: 1-line block ×4, first 2 shown]
	s_waitcnt lgkmcnt(0)
	; wave barrier
	s_waitcnt lgkmcnt(0)
	ds_read2_b64 v[2:5], v55 offset1:1
	ds_read2_b64 v[6:9], v55 offset0:2 offset1:3
	s_waitcnt lgkmcnt(0)
	; wave barrier
	s_waitcnt lgkmcnt(0)
	ds_write_b64 v1, v[16:17]
	ds_write_b64 v18, v[14:15]
	;; [unrolled: 1-line block ×4, first 2 shown]
	v_bfrev_b32_e32 v1, -2
	v_cmp_gt_i64_e32 vcc, 0, v[2:3]
	v_ashrrev_i32_e32 v11, 31, v3
	s_waitcnt lgkmcnt(0)
	; wave barrier
	s_waitcnt lgkmcnt(0)
	ds_read2_b64 v[26:29], v55 offset1:1
	ds_read2_b64 v[30:33], v55 offset0:2 offset1:3
	v_cndmask_b32_e64 v10, v1, 0, vcc
	v_not_b32_e32 v11, v11
	v_cmp_gt_i64_e32 vcc, 0, v[4:5]
	v_xor_b32_e32 v3, v10, v3
	v_xor_b32_e32 v2, v11, v2
	v_cndmask_b32_e64 v10, v1, 0, vcc
	v_ashrrev_i32_e32 v11, 31, v5
	v_cmp_gt_i64_e32 vcc, 0, v[6:7]
	v_not_b32_e32 v11, v11
	v_xor_b32_e32 v5, v10, v5
	v_cndmask_b32_e64 v10, v1, 0, vcc
	v_xor_b32_e32 v4, v11, v4
	v_ashrrev_i32_e32 v11, 31, v7
	v_xor_b32_e32 v7, v10, v7
	v_cmp_gt_i64_e32 vcc, 0, v[8:9]
	v_ashrrev_i32_e32 v10, 31, v9
	v_not_b32_e32 v11, v11
	v_cndmask_b32_e64 v1, v1, 0, vcc
	v_not_b32_e32 v10, v10
	v_xor_b32_e32 v6, v11, v6
	v_xor_b32_e32 v9, v1, v9
	;; [unrolled: 1-line block ×3, first 2 shown]
.LBB198_64:
	s_waitcnt lgkmcnt(0)
	; wave barrier
	s_waitcnt lgkmcnt(0)
	ds_write2_b64 v54, v[2:3], v[4:5] offset1:1
	ds_write2_b64 v54, v[6:7], v[8:9] offset0:2 offset1:3
	v_mad_u64_u32 v[6:7], s[8:9], v0, s26, 0
	s_waitcnt lgkmcnt(0)
	; wave barrier
	s_waitcnt lgkmcnt(0)
	ds_read_b64 v[8:9], v51 offset:256
	ds_read_b64 v[4:5], v52 offset:512
	;; [unrolled: 1-line block ×3, first 2 shown]
	v_mov_b32_e32 v10, v7
	v_mad_u64_u32 v[10:11], s[8:9], v0, s27, v[10:11]
	v_mov_b32_e32 v7, v10
	v_lshlrev_b64 v[6:7], 3, v[6:7]
	v_mov_b32_e32 v1, s40
	v_add_co_u32_e32 v6, vcc, s33, v6
	v_addc_co_u32_e32 v7, vcc, v1, v7, vcc
	s_and_saveexec_b64 s[8:9], s[0:1]
	s_cbranch_execnz .LBB198_75
; %bb.65:
	s_or_b64 exec, exec, s[8:9]
	s_and_saveexec_b64 s[8:9], s[2:3]
	s_cbranch_execnz .LBB198_76
.LBB198_66:
	s_or_b64 exec, exec, s[8:9]
	s_and_saveexec_b64 s[8:9], s[24:25]
	s_cbranch_execnz .LBB198_77
.LBB198_67:
	s_or_b64 exec, exec, s[8:9]
	s_and_saveexec_b64 s[8:9], s[6:7]
	s_cbranch_execz .LBB198_69
.LBB198_68:
	v_mov_b32_e32 v1, 0x300
	s_waitcnt lgkmcnt(1)
	v_mad_u64_u32 v[4:5], s[10:11], s26, v1, v[6:7]
	s_mul_i32 s10, s27, 0x300
	v_add_u32_e32 v5, s10, v5
	s_waitcnt lgkmcnt(0)
	global_store_dwordx2 v[4:5], v[2:3], off
.LBB198_69:
	s_or_b64 exec, exec, s[8:9]
	s_waitcnt lgkmcnt(2)
	v_mad_u64_u32 v[8:9], s[8:9], v0, s4, 0
	s_waitcnt lgkmcnt(0)
	; wave barrier
	s_waitcnt lgkmcnt(0)
	ds_write2_b64 v54, v[26:27], v[28:29] offset1:1
	ds_write2_b64 v54, v[30:31], v[32:33] offset0:2 offset1:3
	s_waitcnt lgkmcnt(0)
	; wave barrier
	s_waitcnt lgkmcnt(0)
	ds_read_b64 v[6:7], v51 offset:256
	ds_read_b64 v[4:5], v52 offset:512
	;; [unrolled: 1-line block ×3, first 2 shown]
	v_mov_b32_e32 v10, v9
	v_mad_u64_u32 v[0:1], s[8:9], v0, s5, v[10:11]
	v_mov_b32_e32 v9, v0
	v_lshlrev_b64 v[0:1], 3, v[8:9]
	v_mov_b32_e32 v8, s42
	v_add_co_u32_e32 v0, vcc, s41, v0
	v_addc_co_u32_e32 v1, vcc, v8, v1, vcc
	s_and_saveexec_b64 s[8:9], s[0:1]
	s_cbranch_execnz .LBB198_78
; %bb.70:
	s_or_b64 exec, exec, s[8:9]
	s_and_saveexec_b64 s[0:1], s[2:3]
	s_cbranch_execnz .LBB198_79
.LBB198_71:
	s_or_b64 exec, exec, s[0:1]
	s_and_saveexec_b64 s[0:1], s[24:25]
	s_cbranch_execnz .LBB198_80
.LBB198_72:
	s_or_b64 exec, exec, s[0:1]
	s_and_saveexec_b64 s[0:1], s[6:7]
	s_cbranch_execz .LBB198_74
.LBB198_73:
	s_waitcnt lgkmcnt(1)
	v_mov_b32_e32 v4, 0x300
	v_mad_u64_u32 v[0:1], s[0:1], s4, v4, v[0:1]
	s_mul_i32 s0, s5, 0x300
	v_add_u32_e32 v1, s0, v1
	s_waitcnt lgkmcnt(0)
	global_store_dwordx2 v[0:1], v[2:3], off
.LBB198_74:
	s_endpgm
.LBB198_75:
	ds_read_b64 v[10:11], v50
	s_waitcnt lgkmcnt(0)
	global_store_dwordx2 v[6:7], v[10:11], off
	s_or_b64 exec, exec, s[8:9]
	s_and_saveexec_b64 s[8:9], s[2:3]
	s_cbranch_execz .LBB198_66
.LBB198_76:
	s_lshl_b64 s[10:11], s[26:27], 8
	v_mov_b32_e32 v1, s11
	v_add_co_u32_e32 v10, vcc, s10, v6
	v_addc_co_u32_e32 v11, vcc, v7, v1, vcc
	s_waitcnt lgkmcnt(2)
	global_store_dwordx2 v[10:11], v[8:9], off
	s_or_b64 exec, exec, s[8:9]
	s_and_saveexec_b64 s[8:9], s[24:25]
	s_cbranch_execz .LBB198_67
.LBB198_77:
	s_lshl_b64 s[10:11], s[26:27], 9
	v_mov_b32_e32 v1, s11
	s_waitcnt lgkmcnt(2)
	v_add_co_u32_e32 v8, vcc, s10, v6
	v_addc_co_u32_e32 v9, vcc, v7, v1, vcc
	s_waitcnt lgkmcnt(1)
	global_store_dwordx2 v[8:9], v[4:5], off
	s_or_b64 exec, exec, s[8:9]
	s_and_saveexec_b64 s[8:9], s[6:7]
	s_cbranch_execnz .LBB198_68
	s_branch .LBB198_69
.LBB198_78:
	ds_read_b64 v[8:9], v50
	s_waitcnt lgkmcnt(0)
	global_store_dwordx2 v[0:1], v[8:9], off
	s_or_b64 exec, exec, s[8:9]
	s_and_saveexec_b64 s[0:1], s[2:3]
	s_cbranch_execz .LBB198_71
.LBB198_79:
	s_lshl_b64 s[2:3], s[4:5], 8
	v_mov_b32_e32 v9, s3
	v_add_co_u32_e32 v8, vcc, s2, v0
	v_addc_co_u32_e32 v9, vcc, v1, v9, vcc
	s_waitcnt lgkmcnt(2)
	global_store_dwordx2 v[8:9], v[6:7], off
	s_or_b64 exec, exec, s[0:1]
	s_and_saveexec_b64 s[0:1], s[24:25]
	s_cbranch_execz .LBB198_72
.LBB198_80:
	s_lshl_b64 s[2:3], s[4:5], 9
	s_waitcnt lgkmcnt(2)
	v_mov_b32_e32 v7, s3
	v_add_co_u32_e32 v6, vcc, s2, v0
	v_addc_co_u32_e32 v7, vcc, v1, v7, vcc
	s_waitcnt lgkmcnt(1)
	global_store_dwordx2 v[6:7], v[4:5], off
	s_or_b64 exec, exec, s[0:1]
	s_and_saveexec_b64 s[0:1], s[6:7]
	s_cbranch_execnz .LBB198_73
	s_branch .LBB198_74
	.section	.rodata,"a",@progbits
	.p2align	6, 0x0
	.amdhsa_kernel _ZN2at6native18radixSortKVInPlaceILin1ELin1ELi32ELi4EdlmEEvNS_4cuda6detail10TensorInfoIT3_T5_EES6_S6_S6_NS4_IT4_S6_EES6_b
		.amdhsa_group_segment_fixed_size 1056
		.amdhsa_private_segment_fixed_size 0
		.amdhsa_kernarg_size 1128
		.amdhsa_user_sgpr_count 6
		.amdhsa_user_sgpr_private_segment_buffer 1
		.amdhsa_user_sgpr_dispatch_ptr 0
		.amdhsa_user_sgpr_queue_ptr 0
		.amdhsa_user_sgpr_kernarg_segment_ptr 1
		.amdhsa_user_sgpr_dispatch_id 0
		.amdhsa_user_sgpr_flat_scratch_init 0
		.amdhsa_user_sgpr_kernarg_preload_length 0
		.amdhsa_user_sgpr_kernarg_preload_offset 0
		.amdhsa_user_sgpr_private_segment_size 0
		.amdhsa_uses_dynamic_stack 0
		.amdhsa_system_sgpr_private_segment_wavefront_offset 0
		.amdhsa_system_sgpr_workgroup_id_x 1
		.amdhsa_system_sgpr_workgroup_id_y 1
		.amdhsa_system_sgpr_workgroup_id_z 1
		.amdhsa_system_sgpr_workgroup_info 0
		.amdhsa_system_vgpr_workitem_id 0
		.amdhsa_next_free_vgpr 70
		.amdhsa_next_free_sgpr 50
		.amdhsa_accum_offset 72
		.amdhsa_reserve_vcc 1
		.amdhsa_reserve_flat_scratch 0
		.amdhsa_float_round_mode_32 0
		.amdhsa_float_round_mode_16_64 0
		.amdhsa_float_denorm_mode_32 3
		.amdhsa_float_denorm_mode_16_64 3
		.amdhsa_dx10_clamp 1
		.amdhsa_ieee_mode 1
		.amdhsa_fp16_overflow 0
		.amdhsa_tg_split 0
		.amdhsa_exception_fp_ieee_invalid_op 0
		.amdhsa_exception_fp_denorm_src 0
		.amdhsa_exception_fp_ieee_div_zero 0
		.amdhsa_exception_fp_ieee_overflow 0
		.amdhsa_exception_fp_ieee_underflow 0
		.amdhsa_exception_fp_ieee_inexact 0
		.amdhsa_exception_int_div_zero 0
	.end_amdhsa_kernel
	.section	.text._ZN2at6native18radixSortKVInPlaceILin1ELin1ELi32ELi4EdlmEEvNS_4cuda6detail10TensorInfoIT3_T5_EES6_S6_S6_NS4_IT4_S6_EES6_b,"axG",@progbits,_ZN2at6native18radixSortKVInPlaceILin1ELin1ELi32ELi4EdlmEEvNS_4cuda6detail10TensorInfoIT3_T5_EES6_S6_S6_NS4_IT4_S6_EES6_b,comdat
.Lfunc_end198:
	.size	_ZN2at6native18radixSortKVInPlaceILin1ELin1ELi32ELi4EdlmEEvNS_4cuda6detail10TensorInfoIT3_T5_EES6_S6_S6_NS4_IT4_S6_EES6_b, .Lfunc_end198-_ZN2at6native18radixSortKVInPlaceILin1ELin1ELi32ELi4EdlmEEvNS_4cuda6detail10TensorInfoIT3_T5_EES6_S6_S6_NS4_IT4_S6_EES6_b
                                        ; -- End function
	.section	.AMDGPU.csdata,"",@progbits
; Kernel info:
; codeLenInByte = 6580
; NumSgprs: 54
; NumVgprs: 70
; NumAgprs: 0
; TotalNumVgprs: 70
; ScratchSize: 0
; MemoryBound: 0
; FloatMode: 240
; IeeeMode: 1
; LDSByteSize: 1056 bytes/workgroup (compile time only)
; SGPRBlocks: 6
; VGPRBlocks: 8
; NumSGPRsForWavesPerEU: 54
; NumVGPRsForWavesPerEU: 70
; AccumOffset: 72
; Occupancy: 7
; WaveLimiterHint : 1
; COMPUTE_PGM_RSRC2:SCRATCH_EN: 0
; COMPUTE_PGM_RSRC2:USER_SGPR: 6
; COMPUTE_PGM_RSRC2:TRAP_HANDLER: 0
; COMPUTE_PGM_RSRC2:TGID_X_EN: 1
; COMPUTE_PGM_RSRC2:TGID_Y_EN: 1
; COMPUTE_PGM_RSRC2:TGID_Z_EN: 1
; COMPUTE_PGM_RSRC2:TIDIG_COMP_CNT: 0
; COMPUTE_PGM_RSRC3_GFX90A:ACCUM_OFFSET: 17
; COMPUTE_PGM_RSRC3_GFX90A:TG_SPLIT: 0
	.section	.text._ZN2at6native18radixSortKVInPlaceILin1ELin1ELi16ELi2EdlmEEvNS_4cuda6detail10TensorInfoIT3_T5_EES6_S6_S6_NS4_IT4_S6_EES6_b,"axG",@progbits,_ZN2at6native18radixSortKVInPlaceILin1ELin1ELi16ELi2EdlmEEvNS_4cuda6detail10TensorInfoIT3_T5_EES6_S6_S6_NS4_IT4_S6_EES6_b,comdat
	.protected	_ZN2at6native18radixSortKVInPlaceILin1ELin1ELi16ELi2EdlmEEvNS_4cuda6detail10TensorInfoIT3_T5_EES6_S6_S6_NS4_IT4_S6_EES6_b ; -- Begin function _ZN2at6native18radixSortKVInPlaceILin1ELin1ELi16ELi2EdlmEEvNS_4cuda6detail10TensorInfoIT3_T5_EES6_S6_S6_NS4_IT4_S6_EES6_b
	.globl	_ZN2at6native18radixSortKVInPlaceILin1ELin1ELi16ELi2EdlmEEvNS_4cuda6detail10TensorInfoIT3_T5_EES6_S6_S6_NS4_IT4_S6_EES6_b
	.p2align	8
	.type	_ZN2at6native18radixSortKVInPlaceILin1ELin1ELi16ELi2EdlmEEvNS_4cuda6detail10TensorInfoIT3_T5_EES6_S6_S6_NS4_IT4_S6_EES6_b,@function
_ZN2at6native18radixSortKVInPlaceILin1ELin1ELi16ELi2EdlmEEvNS_4cuda6detail10TensorInfoIT3_T5_EES6_S6_S6_NS4_IT4_S6_EES6_b: ; @_ZN2at6native18radixSortKVInPlaceILin1ELin1ELi16ELi2EdlmEEvNS_4cuda6detail10TensorInfoIT3_T5_EES6_S6_S6_NS4_IT4_S6_EES6_b
; %bb.0:
	s_load_dwordx4 s[0:3], s[4:5], 0x1a0
	s_load_dwordx2 s[10:11], s[4:5], 0x368
	s_mov_b32 s9, 0
	s_waitcnt lgkmcnt(0)
	v_mov_b32_e32 v2, s0
	s_mul_i32 s0, s11, s8
	s_add_i32 s0, s0, s7
	s_mul_i32 s0, s0, s10
	v_mov_b32_e32 v3, s1
	s_add_i32 s8, s0, s6
	v_cmp_ge_u64_e32 vcc, s[8:9], v[2:3]
	s_cbranch_vccnz .LBB199_64
; %bb.1:
	s_load_dword s0, s[4:5], 0x198
	s_load_dwordx2 s[18:19], s[4:5], 0x1b0
	s_mov_b64 s[6:7], 0
	s_mov_b64 s[10:11], s[8:9]
	s_waitcnt lgkmcnt(0)
	s_cmp_lt_i32 s0, 2
	s_cbranch_scc1 .LBB199_9
; %bb.2:
	s_mov_b32 s12, 0
	s_add_i32 s3, s0, 1
	s_add_i32 s0, s0, -1
	s_mov_b32 s1, s12
	s_lshl_b64 s[0:1], s[0:1], 3
	s_add_u32 s0, s0, s4
	s_addc_u32 s1, s1, s5
	s_add_u32 s14, s0, 8
	s_addc_u32 s15, s1, 0
	s_mov_b64 s[16:17], s[8:9]
.LBB199_3:                              ; =>This Inner Loop Header: Depth=1
	s_load_dwordx2 s[20:21], s[14:15], 0x0
	s_waitcnt lgkmcnt(0)
	s_or_b64 s[0:1], s[16:17], s[20:21]
	s_mov_b32 s13, s1
	s_cmp_lg_u64 s[12:13], 0
	s_cbranch_scc0 .LBB199_8
; %bb.4:                                ;   in Loop: Header=BB199_3 Depth=1
	v_cvt_f32_u32_e32 v1, s20
	v_cvt_f32_u32_e32 v2, s21
	s_sub_u32 s0, 0, s20
	s_subb_u32 s1, 0, s21
	v_mac_f32_e32 v1, 0x4f800000, v2
	v_rcp_f32_e32 v1, v1
	v_mul_f32_e32 v1, 0x5f7ffffc, v1
	v_mul_f32_e32 v2, 0x2f800000, v1
	v_trunc_f32_e32 v2, v2
	v_mac_f32_e32 v1, 0xcf800000, v2
	v_cvt_u32_f32_e32 v2, v2
	v_cvt_u32_f32_e32 v1, v1
	v_readfirstlane_b32 s10, v2
	v_readfirstlane_b32 s11, v1
	s_mul_i32 s13, s0, s10
	s_mul_hi_u32 s23, s0, s11
	s_mul_i32 s22, s1, s11
	s_add_i32 s13, s23, s13
	s_mul_i32 s24, s0, s11
	s_add_i32 s13, s13, s22
	s_mul_hi_u32 s22, s11, s13
	s_mul_i32 s23, s11, s13
	s_mul_hi_u32 s11, s11, s24
	s_add_u32 s11, s11, s23
	s_addc_u32 s22, 0, s22
	s_mul_hi_u32 s25, s10, s24
	s_mul_i32 s24, s10, s24
	s_add_u32 s11, s11, s24
	s_mul_hi_u32 s23, s10, s13
	s_addc_u32 s11, s22, s25
	s_addc_u32 s22, s23, 0
	s_mul_i32 s13, s10, s13
	s_add_u32 s11, s11, s13
	s_addc_u32 s13, 0, s22
	v_add_co_u32_e32 v1, vcc, s11, v1
	s_cmp_lg_u64 vcc, 0
	s_addc_u32 s10, s10, s13
	v_readfirstlane_b32 s13, v1
	s_mul_i32 s11, s0, s10
	s_mul_hi_u32 s22, s0, s13
	s_add_i32 s11, s22, s11
	s_mul_i32 s1, s1, s13
	s_add_i32 s11, s11, s1
	s_mul_i32 s0, s0, s13
	s_mul_hi_u32 s22, s10, s0
	s_mul_i32 s23, s10, s0
	s_mul_i32 s25, s13, s11
	s_mul_hi_u32 s0, s13, s0
	s_mul_hi_u32 s24, s13, s11
	s_add_u32 s0, s0, s25
	s_addc_u32 s13, 0, s24
	s_add_u32 s0, s0, s23
	s_mul_hi_u32 s1, s10, s11
	s_addc_u32 s0, s13, s22
	s_addc_u32 s1, s1, 0
	s_mul_i32 s11, s10, s11
	s_add_u32 s0, s0, s11
	s_addc_u32 s1, 0, s1
	v_add_co_u32_e32 v1, vcc, s0, v1
	s_cmp_lg_u64 vcc, 0
	s_addc_u32 s0, s10, s1
	v_readfirstlane_b32 s11, v1
	s_mul_i32 s10, s16, s0
	s_mul_hi_u32 s13, s16, s11
	s_mul_hi_u32 s1, s16, s0
	s_add_u32 s10, s13, s10
	s_addc_u32 s1, 0, s1
	s_mul_hi_u32 s22, s17, s11
	s_mul_i32 s11, s17, s11
	s_add_u32 s10, s10, s11
	s_mul_hi_u32 s13, s17, s0
	s_addc_u32 s1, s1, s22
	s_addc_u32 s10, s13, 0
	s_mul_i32 s0, s17, s0
	s_add_u32 s13, s1, s0
	s_addc_u32 s10, 0, s10
	s_mul_i32 s0, s20, s10
	s_mul_hi_u32 s1, s20, s13
	s_add_i32 s0, s1, s0
	s_mul_i32 s1, s21, s13
	s_add_i32 s11, s0, s1
	s_mul_i32 s1, s20, s13
	v_mov_b32_e32 v1, s1
	s_sub_i32 s0, s17, s11
	v_sub_co_u32_e32 v1, vcc, s16, v1
	s_cmp_lg_u64 vcc, 0
	s_subb_u32 s22, s0, s21
	v_subrev_co_u32_e64 v2, s[0:1], s20, v1
	s_cmp_lg_u64 s[0:1], 0
	s_subb_u32 s0, s22, 0
	s_cmp_ge_u32 s0, s21
	v_readfirstlane_b32 s22, v2
	s_cselect_b32 s1, -1, 0
	s_cmp_ge_u32 s22, s20
	s_cselect_b32 s22, -1, 0
	s_cmp_eq_u32 s0, s21
	s_cselect_b32 s0, s22, s1
	s_add_u32 s1, s13, 1
	s_addc_u32 s22, s10, 0
	s_add_u32 s23, s13, 2
	s_addc_u32 s24, s10, 0
	s_cmp_lg_u32 s0, 0
	s_cselect_b32 s0, s23, s1
	s_cselect_b32 s1, s24, s22
	s_cmp_lg_u64 vcc, 0
	s_subb_u32 s11, s17, s11
	s_cmp_ge_u32 s11, s21
	v_readfirstlane_b32 s23, v1
	s_cselect_b32 s22, -1, 0
	s_cmp_ge_u32 s23, s20
	s_cselect_b32 s23, -1, 0
	s_cmp_eq_u32 s11, s21
	s_cselect_b32 s11, s23, s22
	s_cmp_lg_u32 s11, 0
	s_cselect_b32 s11, s1, s10
	s_cselect_b32 s10, s0, s13
	s_cbranch_execnz .LBB199_6
.LBB199_5:                              ;   in Loop: Header=BB199_3 Depth=1
	v_cvt_f32_u32_e32 v1, s20
	s_sub_i32 s0, 0, s20
	v_rcp_iflag_f32_e32 v1, v1
	v_mul_f32_e32 v1, 0x4f7ffffe, v1
	v_cvt_u32_f32_e32 v1, v1
	v_readfirstlane_b32 s1, v1
	s_mul_i32 s0, s0, s1
	s_mul_hi_u32 s0, s1, s0
	s_add_i32 s1, s1, s0
	s_mul_hi_u32 s0, s16, s1
	s_mul_i32 s10, s0, s20
	s_sub_i32 s10, s16, s10
	s_add_i32 s1, s0, 1
	s_sub_i32 s11, s10, s20
	s_cmp_ge_u32 s10, s20
	s_cselect_b32 s0, s1, s0
	s_cselect_b32 s10, s11, s10
	s_add_i32 s1, s0, 1
	s_cmp_ge_u32 s10, s20
	s_cselect_b32 s10, s1, s0
	s_mov_b32 s11, s12
.LBB199_6:                              ;   in Loop: Header=BB199_3 Depth=1
	s_mul_i32 s0, s10, s21
	s_mul_hi_u32 s1, s10, s20
	s_add_i32 s13, s1, s0
	s_load_dwordx2 s[0:1], s[14:15], 0xc8
	s_mul_i32 s21, s11, s20
	s_add_i32 s13, s13, s21
	s_mul_i32 s20, s10, s20
	s_sub_u32 s16, s16, s20
	s_subb_u32 s13, s17, s13
	s_waitcnt lgkmcnt(0)
	s_mul_i32 s13, s0, s13
	s_mul_hi_u32 s17, s0, s16
	s_add_i32 s13, s17, s13
	s_mul_i32 s1, s1, s16
	s_add_i32 s13, s13, s1
	s_mul_i32 s0, s0, s16
	s_add_u32 s6, s0, s6
	s_addc_u32 s7, s13, s7
	s_add_i32 s3, s3, -1
	s_add_u32 s14, s14, -8
	s_addc_u32 s15, s15, -1
	s_cmp_gt_u32 s3, 2
	s_cbranch_scc0 .LBB199_9
; %bb.7:                                ;   in Loop: Header=BB199_3 Depth=1
	s_mov_b64 s[16:17], s[10:11]
	s_branch .LBB199_3
.LBB199_8:                              ;   in Loop: Header=BB199_3 Depth=1
                                        ; implicit-def: $sgpr10_sgpr11
	s_branch .LBB199_5
.LBB199_9:
	s_load_dword s0, s[4:5], 0x350
	s_load_dwordx2 s[14:15], s[4:5], 0xd0
	s_mov_b64 s[12:13], 0
	s_waitcnt lgkmcnt(0)
	s_cmp_lt_i32 s0, 2
	s_cbranch_scc1 .LBB199_17
; %bb.10:
	s_mov_b32 s16, 0
	s_add_i32 s3, s0, 1
	s_add_i32 s0, s0, -1
	s_mov_b32 s1, s16
	s_lshl_b64 s[0:1], s[0:1], 3
	s_add_u32 s0, s0, s4
	s_addc_u32 s1, s1, s5
	s_add_u32 s20, s0, 0x1c0
	s_addc_u32 s21, s1, 0
.LBB199_11:                             ; =>This Inner Loop Header: Depth=1
	s_load_dwordx2 s[22:23], s[20:21], 0x0
	s_waitcnt lgkmcnt(0)
	s_or_b64 s[0:1], s[8:9], s[22:23]
	s_mov_b32 s17, s1
	s_cmp_lg_u64 s[16:17], 0
	s_cbranch_scc0 .LBB199_16
; %bb.12:                               ;   in Loop: Header=BB199_11 Depth=1
	v_cvt_f32_u32_e32 v1, s22
	v_cvt_f32_u32_e32 v2, s23
	s_sub_u32 s0, 0, s22
	s_subb_u32 s1, 0, s23
	v_mac_f32_e32 v1, 0x4f800000, v2
	v_rcp_f32_e32 v1, v1
	v_mul_f32_e32 v1, 0x5f7ffffc, v1
	v_mul_f32_e32 v2, 0x2f800000, v1
	v_trunc_f32_e32 v2, v2
	v_mac_f32_e32 v1, 0xcf800000, v2
	v_cvt_u32_f32_e32 v2, v2
	v_cvt_u32_f32_e32 v1, v1
	v_readfirstlane_b32 s17, v2
	v_readfirstlane_b32 s24, v1
	s_mul_i32 s25, s0, s17
	s_mul_hi_u32 s27, s0, s24
	s_mul_i32 s26, s1, s24
	s_add_i32 s25, s27, s25
	s_mul_i32 s28, s0, s24
	s_add_i32 s25, s25, s26
	s_mul_hi_u32 s26, s24, s25
	s_mul_i32 s27, s24, s25
	s_mul_hi_u32 s24, s24, s28
	s_add_u32 s24, s24, s27
	s_addc_u32 s26, 0, s26
	s_mul_hi_u32 s29, s17, s28
	s_mul_i32 s28, s17, s28
	s_add_u32 s24, s24, s28
	s_mul_hi_u32 s27, s17, s25
	s_addc_u32 s24, s26, s29
	s_addc_u32 s26, s27, 0
	s_mul_i32 s25, s17, s25
	s_add_u32 s24, s24, s25
	s_addc_u32 s25, 0, s26
	v_add_co_u32_e32 v1, vcc, s24, v1
	s_cmp_lg_u64 vcc, 0
	s_addc_u32 s17, s17, s25
	v_readfirstlane_b32 s25, v1
	s_mul_i32 s24, s0, s17
	s_mul_hi_u32 s26, s0, s25
	s_add_i32 s24, s26, s24
	s_mul_i32 s1, s1, s25
	s_add_i32 s24, s24, s1
	s_mul_i32 s0, s0, s25
	s_mul_hi_u32 s26, s17, s0
	s_mul_i32 s27, s17, s0
	s_mul_i32 s29, s25, s24
	s_mul_hi_u32 s0, s25, s0
	s_mul_hi_u32 s28, s25, s24
	s_add_u32 s0, s0, s29
	s_addc_u32 s25, 0, s28
	s_add_u32 s0, s0, s27
	s_mul_hi_u32 s1, s17, s24
	s_addc_u32 s0, s25, s26
	s_addc_u32 s1, s1, 0
	s_mul_i32 s24, s17, s24
	s_add_u32 s0, s0, s24
	s_addc_u32 s1, 0, s1
	v_add_co_u32_e32 v1, vcc, s0, v1
	s_cmp_lg_u64 vcc, 0
	s_addc_u32 s0, s17, s1
	v_readfirstlane_b32 s24, v1
	s_mul_i32 s17, s8, s0
	s_mul_hi_u32 s25, s8, s24
	s_mul_hi_u32 s1, s8, s0
	s_add_u32 s17, s25, s17
	s_addc_u32 s1, 0, s1
	s_mul_hi_u32 s26, s9, s24
	s_mul_i32 s24, s9, s24
	s_add_u32 s17, s17, s24
	s_mul_hi_u32 s25, s9, s0
	s_addc_u32 s1, s1, s26
	s_addc_u32 s17, s25, 0
	s_mul_i32 s0, s9, s0
	s_add_u32 s24, s1, s0
	s_addc_u32 s17, 0, s17
	s_mul_i32 s0, s22, s17
	s_mul_hi_u32 s1, s22, s24
	s_add_i32 s0, s1, s0
	s_mul_i32 s1, s23, s24
	s_add_i32 s25, s0, s1
	s_mul_i32 s1, s22, s24
	v_mov_b32_e32 v1, s1
	s_sub_i32 s0, s9, s25
	v_sub_co_u32_e32 v1, vcc, s8, v1
	s_cmp_lg_u64 vcc, 0
	s_subb_u32 s26, s0, s23
	v_subrev_co_u32_e64 v2, s[0:1], s22, v1
	s_cmp_lg_u64 s[0:1], 0
	s_subb_u32 s0, s26, 0
	s_cmp_ge_u32 s0, s23
	v_readfirstlane_b32 s26, v2
	s_cselect_b32 s1, -1, 0
	s_cmp_ge_u32 s26, s22
	s_cselect_b32 s26, -1, 0
	s_cmp_eq_u32 s0, s23
	s_cselect_b32 s0, s26, s1
	s_add_u32 s1, s24, 1
	s_addc_u32 s26, s17, 0
	s_add_u32 s27, s24, 2
	s_addc_u32 s28, s17, 0
	s_cmp_lg_u32 s0, 0
	s_cselect_b32 s0, s27, s1
	s_cselect_b32 s1, s28, s26
	s_cmp_lg_u64 vcc, 0
	s_subb_u32 s25, s9, s25
	s_cmp_ge_u32 s25, s23
	v_readfirstlane_b32 s27, v1
	s_cselect_b32 s26, -1, 0
	s_cmp_ge_u32 s27, s22
	s_cselect_b32 s27, -1, 0
	s_cmp_eq_u32 s25, s23
	s_cselect_b32 s25, s27, s26
	s_cmp_lg_u32 s25, 0
	s_cselect_b32 s25, s1, s17
	s_cselect_b32 s24, s0, s24
	s_cbranch_execnz .LBB199_14
.LBB199_13:                             ;   in Loop: Header=BB199_11 Depth=1
	v_cvt_f32_u32_e32 v1, s22
	s_sub_i32 s0, 0, s22
	s_mov_b32 s25, s16
	v_rcp_iflag_f32_e32 v1, v1
	v_mul_f32_e32 v1, 0x4f7ffffe, v1
	v_cvt_u32_f32_e32 v1, v1
	v_readfirstlane_b32 s1, v1
	s_mul_i32 s0, s0, s1
	s_mul_hi_u32 s0, s1, s0
	s_add_i32 s1, s1, s0
	s_mul_hi_u32 s0, s8, s1
	s_mul_i32 s17, s0, s22
	s_sub_i32 s17, s8, s17
	s_add_i32 s1, s0, 1
	s_sub_i32 s24, s17, s22
	s_cmp_ge_u32 s17, s22
	s_cselect_b32 s0, s1, s0
	s_cselect_b32 s17, s24, s17
	s_add_i32 s1, s0, 1
	s_cmp_ge_u32 s17, s22
	s_cselect_b32 s24, s1, s0
.LBB199_14:                             ;   in Loop: Header=BB199_11 Depth=1
	s_mul_i32 s0, s24, s23
	s_mul_hi_u32 s1, s24, s22
	s_add_i32 s17, s1, s0
	s_load_dwordx2 s[0:1], s[20:21], 0xc8
	s_mul_i32 s23, s25, s22
	s_add_i32 s17, s17, s23
	s_mul_i32 s22, s24, s22
	s_sub_u32 s8, s8, s22
	s_subb_u32 s9, s9, s17
	s_waitcnt lgkmcnt(0)
	s_mul_i32 s9, s0, s9
	s_mul_hi_u32 s17, s0, s8
	s_add_i32 s9, s17, s9
	s_mul_i32 s1, s1, s8
	s_add_i32 s9, s9, s1
	s_mul_i32 s0, s0, s8
	s_add_u32 s12, s0, s12
	s_addc_u32 s13, s9, s13
	s_add_i32 s3, s3, -1
	s_add_u32 s20, s20, -8
	s_addc_u32 s21, s21, -1
	s_cmp_gt_u32 s3, 2
	s_cbranch_scc0 .LBB199_18
; %bb.15:                               ;   in Loop: Header=BB199_11 Depth=1
	s_mov_b64 s[8:9], s[24:25]
	s_branch .LBB199_11
.LBB199_16:                             ;   in Loop: Header=BB199_11 Depth=1
                                        ; implicit-def: $sgpr24_sgpr25
	s_branch .LBB199_13
.LBB199_17:
	s_mov_b64 s[24:25], s[8:9]
.LBB199_18:
	s_load_dword s3, s[4:5], 0x360
	s_load_dwordx2 s[16:17], s[4:5], 0x288
	s_mul_i32 s0, s14, s11
	s_mul_hi_u32 s1, s14, s10
	s_add_i32 s0, s1, s0
	s_mul_i32 s1, s15, s10
	s_add_i32 s1, s0, s1
	s_mul_i32 s0, s14, s10
	s_load_dwordx2 s[10:11], s[4:5], 0x0
	s_waitcnt lgkmcnt(0)
	s_bitcmp1_b32 s3, 0
	s_cselect_b64 s[14:15], -1, 0
	s_and_b64 s[20:21], s[14:15], exec
	s_load_dwordx2 s[20:21], s[4:5], 0x1b8
	s_cselect_b32 s9, -1, 0x7fffffff
	s_lshl_b64 s[0:1], s[0:1], 3
	s_add_u32 s3, s10, s0
	s_addc_u32 s10, s11, s1
	s_lshl_b64 s[0:1], s[6:7], 3
	s_mov_b32 s8, -1
	s_add_u32 s33, s3, s0
	s_addc_u32 s34, s10, s1
	s_mov_b32 s10, s8
	s_mov_b32 s11, s9
	v_pk_mov_b32 v[2:3], s[8:9], s[8:9] op_sel:[0,1]
	v_cmp_gt_u32_e64 s[0:1], s2, v0
	v_pk_mov_b32 v[4:5], s[10:11], s[10:11] op_sel:[0,1]
	v_pk_mov_b32 v[6:7], s[8:9], s[8:9] op_sel:[0,1]
	s_and_saveexec_b64 s[6:7], s[0:1]
	s_cbranch_execz .LBB199_20
; %bb.19:
	v_mad_u64_u32 v[2:3], s[22:23], v0, s18, 0
	v_mov_b32_e32 v4, v3
	v_mad_u64_u32 v[4:5], s[22:23], v0, s19, v[4:5]
	v_mov_b32_e32 v3, v4
	v_lshlrev_b64 v[2:3], 3, v[2:3]
	v_mov_b32_e32 v1, s34
	v_add_co_u32_e32 v2, vcc, s33, v2
	v_addc_co_u32_e32 v3, vcc, v1, v3, vcc
	global_load_dwordx2 v[6:7], v[2:3], off
	v_pk_mov_b32 v[2:3], s[8:9], s[8:9] op_sel:[0,1]
	v_pk_mov_b32 v[4:5], s[10:11], s[10:11] op_sel:[0,1]
.LBB199_20:
	s_or_b64 exec, exec, s[6:7]
	v_or_b32_e32 v1, 16, v0
	v_cmp_gt_u32_e64 s[2:3], s2, v1
	s_and_saveexec_b64 s[6:7], s[2:3]
	s_cbranch_execz .LBB199_22
; %bb.21:
	v_mad_u64_u32 v[2:3], s[8:9], v1, s18, 0
	v_mov_b32_e32 v4, v3
	v_mad_u64_u32 v[4:5], s[8:9], v1, s19, v[4:5]
	v_mov_b32_e32 v3, v4
	v_lshlrev_b64 v[2:3], 3, v[2:3]
	v_mov_b32_e32 v4, s34
	v_add_co_u32_e32 v2, vcc, s33, v2
	v_addc_co_u32_e32 v3, vcc, v4, v3, vcc
	global_load_dwordx2 v[4:5], v[2:3], off
.LBB199_22:
	s_or_b64 exec, exec, s[6:7]
	s_mul_i32 s6, s16, s25
	s_mul_hi_u32 s7, s16, s24
	s_add_i32 s6, s7, s6
	s_mul_i32 s7, s17, s24
	s_add_i32 s7, s6, s7
	s_mul_i32 s6, s16, s24
	s_lshl_b64 s[6:7], s[6:7], 3
	s_waitcnt lgkmcnt(0)
	s_add_u32 s8, s20, s6
	s_addc_u32 s9, s21, s7
	s_lshl_b64 s[6:7], s[12:13], 3
	v_lshlrev_b32_e32 v26, 3, v0
	v_lshlrev_b32_e32 v27, 4, v0
	s_add_u32 s35, s8, s6
	s_load_dwordx2 s[20:21], s[4:5], 0x358
	s_waitcnt vmcnt(0)
	ds_write2_b64 v26, v[6:7], v[4:5] offset1:16
	s_waitcnt lgkmcnt(0)
	; wave barrier
	s_waitcnt lgkmcnt(0)
	ds_read2_b64 v[2:5], v27 offset1:1
	s_mov_b32 s4, 0
	s_addc_u32 s36, s9, s7
	s_mov_b32 s6, s4
	s_mov_b32 s7, s4
	;; [unrolled: 1-line block ×3, first 2 shown]
	v_pk_mov_b32 v[8:9], s[6:7], s[6:7] op_sel:[0,1]
	v_pk_mov_b32 v[6:7], s[4:5], s[4:5] op_sel:[0,1]
	v_pk_mov_b32 v[6:7], 0, 0
	s_waitcnt lgkmcnt(0)
	; wave barrier
	s_waitcnt lgkmcnt(0)
	s_and_saveexec_b64 s[4:5], s[0:1]
	s_cbranch_execz .LBB199_24
; %bb.23:
	v_mad_u64_u32 v[6:7], s[6:7], v0, s20, 0
	v_mov_b32_e32 v8, v7
	v_mad_u64_u32 v[8:9], s[6:7], v0, s21, v[8:9]
	v_mov_b32_e32 v7, v8
	v_lshlrev_b64 v[6:7], 3, v[6:7]
	v_mov_b32_e32 v8, s36
	v_add_co_u32_e32 v6, vcc, s35, v6
	v_addc_co_u32_e32 v7, vcc, v8, v7, vcc
	global_load_dwordx2 v[6:7], v[6:7], off
	v_mov_b32_e32 v8, 0
	v_mov_b32_e32 v9, v8
.LBB199_24:
	s_or_b64 exec, exec, s[4:5]
	s_xor_b64 s[24:25], s[14:15], -1
	v_lshlrev_b32_e32 v10, 1, v0
	s_and_saveexec_b64 s[4:5], s[2:3]
	s_cbranch_execz .LBB199_26
; %bb.25:
	v_mad_u64_u32 v[8:9], s[6:7], v1, s20, 0
	v_mov_b32_e32 v12, v9
	v_mad_u64_u32 v[12:13], s[6:7], v1, s21, v[12:13]
	v_mov_b32_e32 v9, v12
	v_lshlrev_b64 v[8:9], 3, v[8:9]
	v_mov_b32_e32 v11, s36
	v_add_co_u32_e32 v8, vcc, s35, v8
	v_addc_co_u32_e32 v9, vcc, v11, v9, vcc
	global_load_dwordx2 v[8:9], v[8:9], off
.LBB199_26:
	s_or_b64 exec, exec, s[4:5]
	v_mbcnt_lo_u32_b32 v11, -1, 0
	s_getpc_b64 s[4:5]
	s_add_u32 s4, s4, _ZN7rocprim17ROCPRIM_400000_NS16block_radix_sortIdLj16ELj2ElLj1ELj1ELj0ELNS0_26block_radix_rank_algorithmE1ELNS0_18block_padding_hintE2ELNS0_4arch9wavefront6targetE1EE19radix_bits_per_passE@rel32@lo+4
	s_addc_u32 s5, s5, _ZN7rocprim17ROCPRIM_400000_NS16block_radix_sortIdLj16ELj2ElLj1ELj1ELj0ELNS0_26block_radix_rank_algorithmE1ELNS0_18block_padding_hintE2ELNS0_4arch9wavefront6targetE1EE19radix_bits_per_passE@rel32@hi+12
	v_mbcnt_hi_u32_b32 v11, -1, v11
	s_waitcnt vmcnt(0)
	ds_write2_b64 v26, v[6:7], v[8:9] offset1:16
	s_waitcnt lgkmcnt(0)
	; wave barrier
	s_waitcnt lgkmcnt(0)
	ds_read2_b64 v[6:9], v27 offset1:1
	s_load_dword s37, s[4:5], 0x0
	v_and_b32_e32 v12, 15, v11
	v_cmp_eq_u32_e64 s[6:7], 0, v12
	v_cmp_lt_u32_e64 s[8:9], 1, v12
	v_cmp_lt_u32_e64 s[10:11], 3, v12
	;; [unrolled: 1-line block ×3, first 2 shown]
	v_add_u32_e32 v12, -1, v11
	v_and_b32_e32 v13, 0x70, v11
	v_cmp_lt_i32_e32 vcc, v12, v13
	s_movk_i32 s4, 0x80
	v_cndmask_b32_e32 v12, v12, v11, vcc
	v_cmp_gt_u32_e64 s[4:5], s4, v0
	v_lshlrev_b32_e32 v29, 5, v0
	s_mov_b32 s38, 0
	s_mov_b32 s22, -1
	v_cmp_eq_u32_e64 s[14:15], 15, v0
	s_movk_i32 s39, 0x70
	v_lshlrev_b32_e32 v30, 2, v12
	v_cmp_eq_u32_e64 s[16:17], 0, v11
	v_lshlrev_b32_e32 v28, 3, v10
	s_and_b64 vcc, exec, s[24:25]
	v_ashrrev_i32_e32 v33, 31, v3
	v_ashrrev_i32_e32 v32, 31, v5
	v_add_u32_e64 v31, 7, 2
	s_waitcnt lgkmcnt(0)
	; wave barrier
	s_waitcnt lgkmcnt(0)
	s_cbranch_vccz .LBB199_41
; %bb.27:
	v_bfrev_b32_e32 v34, 1
	v_cmp_lt_i64_e32 vcc, -1, v[2:3]
	v_cndmask_b32_e32 v10, -1, v34, vcc
	v_cmp_lt_i64_e32 vcc, -1, v[4:5]
	v_cndmask_b32_e32 v12, -1, v34, vcc
	v_xor_b32_e32 v11, v10, v3
	v_xor_b32_e32 v10, v33, v2
	;; [unrolled: 1-line block ×4, first 2 shown]
	v_and_b32_e32 v35, 14, v31
	v_mov_b32_e32 v36, 0
	s_brev_b32 s23, -2
	v_pk_mov_b32 v[14:15], v[6:7], v[6:7] op_sel:[0,1]
	v_pk_mov_b32 v[16:17], v[8:9], v[8:9] op_sel:[0,1]
	s_branch .LBB199_29
.LBB199_28:                             ;   in Loop: Header=BB199_29 Depth=1
	v_lshlrev_b32_e32 v14, 3, v37
	v_lshlrev_b32_e32 v15, 3, v38
	s_waitcnt lgkmcnt(0)
	; wave barrier
	ds_write_b64 v14, v[24:25]
	ds_write_b64 v15, v[22:23]
	s_waitcnt lgkmcnt(0)
	; wave barrier
	s_waitcnt lgkmcnt(0)
	ds_read2_b64 v[10:13], v28 offset1:1
	s_waitcnt lgkmcnt(0)
	; wave barrier
	s_waitcnt lgkmcnt(0)
	ds_write_b64 v14, v[20:21]
	ds_write_b64 v15, v[18:19]
	s_waitcnt lgkmcnt(0)
	; wave barrier
	s_waitcnt lgkmcnt(0)
	ds_read2_b64 v[14:17], v28 offset1:1
	s_add_i32 s38, s38, 4
	s_waitcnt lgkmcnt(0)
	; wave barrier
	s_waitcnt lgkmcnt(0)
	s_cbranch_execz .LBB199_40
.LBB199_29:                             ; =>This Loop Header: Depth=1
                                        ;     Child Loop BB199_32 Depth 2
	v_pk_mov_b32 v[22:23], v[12:13], v[12:13] op_sel:[0,1]
	v_pk_mov_b32 v[24:25], v[10:11], v[10:11] op_sel:[0,1]
	;; [unrolled: 1-line block ×4, first 2 shown]
	s_and_saveexec_b64 s[24:25], s[4:5]
	s_cbranch_execz .LBB199_36
; %bb.30:                               ;   in Loop: Header=BB199_29 Depth=1
	s_mov_b32 s40, 0
	s_mov_b64 s[26:27], 0
	v_pk_mov_b32 v[10:11], v[0:1], v[0:1] op_sel:[0,1]
	s_branch .LBB199_32
.LBB199_31:                             ;   in Loop: Header=BB199_32 Depth=2
	s_or_b64 exec, exec, s[30:31]
	s_add_i32 s40, s40, 2
	v_cmp_eq_u32_e32 vcc, s40, v35
	v_add_u32_e32 v11, 32, v11
	s_or_b64 s[26:27], vcc, s[26:27]
	v_add_u32_e32 v10, 32, v10
	s_andn2_b64 exec, exec, s[26:27]
	s_cbranch_execz .LBB199_36
.LBB199_32:                             ;   Parent Loop BB199_29 Depth=1
                                        ; =>  This Inner Loop Header: Depth=2
	s_or_b32 s28, s40, 1
	v_cmp_le_u32_e64 s[28:29], s28, 7
	v_cmp_le_u32_e64 s[42:43], s40, 7
	s_and_saveexec_b64 s[30:31], s[42:43]
	s_cbranch_execz .LBB199_34
; %bb.33:                               ;   in Loop: Header=BB199_32 Depth=2
	v_lshlrev_b32_e32 v12, 2, v10
	ds_write_b32 v12, v36
.LBB199_34:                             ;   in Loop: Header=BB199_32 Depth=2
	s_or_b64 exec, exec, s[30:31]
	s_and_saveexec_b64 s[30:31], s[28:29]
	s_cbranch_execz .LBB199_31
; %bb.35:                               ;   in Loop: Header=BB199_32 Depth=2
	v_lshlrev_b32_e32 v12, 2, v11
	ds_write_b32 v12, v36
	s_branch .LBB199_31
.LBB199_36:                             ;   in Loop: Header=BB199_29 Depth=1
	s_or_b64 exec, exec, s[24:25]
	s_sub_i32 s24, 64, s38
	s_min_u32 s24, s37, s24
	v_cmp_ne_u64_e32 vcc, s[22:23], v[24:25]
	s_lshl_b32 s24, -1, s24
	v_cndmask_b32_e32 v11, v34, v25, vcc
	v_cndmask_b32_e32 v10, 0, v24, vcc
	s_not_b32 s24, s24
	v_lshrrev_b64 v[10:11], s38, v[10:11]
	v_and_b32_e32 v10, s24, v10
	v_lshrrev_b32_e32 v11, 3, v10
	v_lshlrev_b32_e32 v10, 4, v10
	v_and_or_b32 v10, v10, s39, v0
	v_lshlrev_b32_e32 v10, 1, v10
	v_add_lshl_u32 v38, v10, v11, 1
	ds_read_u16 v37, v38
	v_cmp_ne_u64_e32 vcc, s[22:23], v[22:23]
	v_cndmask_b32_e32 v11, v34, v23, vcc
	s_waitcnt lgkmcnt(0)
	v_add_u16_e32 v10, 1, v37
	ds_write_b16 v38, v10
	v_cndmask_b32_e32 v10, 0, v22, vcc
	v_lshrrev_b64 v[10:11], s38, v[10:11]
	v_and_b32_e32 v10, s24, v10
	v_lshrrev_b32_e32 v11, 3, v10
	v_lshlrev_b32_e32 v10, 4, v10
	v_and_or_b32 v10, v10, s39, v0
	v_lshlrev_b32_e32 v10, 1, v10
	v_add_lshl_u32 v40, v10, v11, 1
	ds_read_u16 v39, v40
	s_waitcnt lgkmcnt(0)
	v_add_u16_e32 v10, 1, v39
	ds_write_b16 v40, v10
	s_waitcnt lgkmcnt(0)
	; wave barrier
	s_waitcnt lgkmcnt(0)
	ds_read2_b32 v[16:17], v29 offset1:1
	ds_read2_b32 v[14:15], v29 offset0:2 offset1:3
	ds_read2_b32 v[10:11], v29 offset0:4 offset1:5
	;; [unrolled: 1-line block ×3, first 2 shown]
	s_waitcnt lgkmcnt(3)
	v_add_u32_e32 v41, v17, v16
	s_waitcnt lgkmcnt(2)
	v_add3_u32 v41, v41, v14, v15
	s_waitcnt lgkmcnt(1)
	v_add3_u32 v41, v41, v10, v11
	;; [unrolled: 2-line block ×3, first 2 shown]
	s_nop 1
	v_mov_b32_dpp v41, v13 row_shr:1 row_mask:0xf bank_mask:0xf
	v_cndmask_b32_e64 v41, v41, 0, s[6:7]
	v_add_u32_e32 v13, v41, v13
	s_nop 1
	v_mov_b32_dpp v41, v13 row_shr:2 row_mask:0xf bank_mask:0xf
	v_cndmask_b32_e64 v41, 0, v41, s[8:9]
	v_add_u32_e32 v13, v13, v41
	;; [unrolled: 4-line block ×4, first 2 shown]
	s_and_saveexec_b64 s[24:25], s[14:15]
	s_cbranch_execz .LBB199_38
; %bb.37:                               ;   in Loop: Header=BB199_29 Depth=1
	ds_write_b32 v36, v13 offset:512
.LBB199_38:                             ;   in Loop: Header=BB199_29 Depth=1
	s_or_b64 exec, exec, s[24:25]
	ds_bpermute_b32 v13, v30, v13
	s_waitcnt lgkmcnt(0)
	; wave barrier
	s_waitcnt lgkmcnt(0)
	ds_read_b32 v41, v36 offset:512
	s_cmp_gt_u32 s38, 59
	v_cndmask_b32_e64 v13, v13, 0, s[16:17]
	s_waitcnt lgkmcnt(0)
	v_lshl_add_u32 v13, v41, 16, v13
	v_add_u32_e32 v16, v13, v16
	v_add_u32_e32 v17, v16, v17
	ds_write2_b32 v29, v13, v16 offset1:1
	v_add_u32_e32 v13, v17, v14
	v_add_u32_e32 v14, v13, v15
	;; [unrolled: 1-line block ×5, first 2 shown]
	ds_write2_b32 v29, v17, v13 offset0:2 offset1:3
	ds_write2_b32 v29, v14, v10 offset0:4 offset1:5
	;; [unrolled: 1-line block ×3, first 2 shown]
	s_waitcnt lgkmcnt(0)
	; wave barrier
	s_waitcnt lgkmcnt(0)
	ds_read_u16 v10, v38
	ds_read_u16 v11, v40
	s_waitcnt lgkmcnt(1)
	v_add_u32_sdwa v37, v10, v37 dst_sel:DWORD dst_unused:UNUSED_PAD src0_sel:DWORD src1_sel:WORD_0
	s_waitcnt lgkmcnt(0)
	v_add_u32_sdwa v38, v11, v39 dst_sel:DWORD dst_unused:UNUSED_PAD src0_sel:DWORD src1_sel:WORD_0
	s_cbranch_scc0 .LBB199_28
; %bb.39:
                                        ; implicit-def: $vgpr12_vgpr13
                                        ; implicit-def: $vgpr16_vgpr17
                                        ; implicit-def: $sgpr38
.LBB199_40:
	v_lshlrev_b32_e32 v10, 3, v37
	v_lshlrev_b32_e32 v11, 3, v38
	s_waitcnt lgkmcnt(0)
	; wave barrier
	ds_write_b64 v10, v[24:25]
	ds_write_b64 v11, v[22:23]
	s_waitcnt lgkmcnt(0)
	; wave barrier
	s_waitcnt lgkmcnt(0)
	ds_read2_b64 v[14:17], v28 offset1:1
	s_waitcnt lgkmcnt(0)
	; wave barrier
	s_waitcnt lgkmcnt(0)
	ds_write_b64 v10, v[20:21]
	ds_write_b64 v11, v[18:19]
	s_waitcnt lgkmcnt(0)
	; wave barrier
	s_waitcnt lgkmcnt(0)
	ds_read2_b64 v[10:13], v28 offset1:1
	v_bfrev_b32_e32 v18, 1
	v_cmp_lt_i64_e32 vcc, -1, v[14:15]
	v_cndmask_b32_e64 v19, v18, -1, vcc
	v_ashrrev_i32_e32 v20, 31, v15
	v_xor_b32_e32 v15, v19, v15
	v_cmp_lt_i64_e32 vcc, -1, v[16:17]
	v_ashrrev_i32_e32 v19, 31, v17
	v_not_b32_e32 v20, v20
	v_cndmask_b32_e64 v18, v18, -1, vcc
	v_not_b32_e32 v19, v19
	v_xor_b32_e32 v14, v20, v14
	v_xor_b32_e32 v17, v18, v17
	;; [unrolled: 1-line block ×3, first 2 shown]
	s_branch .LBB199_56
.LBB199_41:
                                        ; implicit-def: $vgpr12_vgpr13
                                        ; implicit-def: $vgpr14_vgpr15_vgpr16_vgpr17
	s_cbranch_execz .LBB199_56
; %bb.42:
	v_bfrev_b32_e32 v18, -2
	v_cmp_gt_i64_e32 vcc, 0, v[2:3]
	s_waitcnt lgkmcnt(0)
	v_cndmask_b32_e64 v10, v18, 0, vcc
	v_not_b32_e32 v11, v33
	v_cmp_gt_i64_e32 vcc, 0, v[4:5]
	s_mov_b32 s22, 0
	v_xor_b32_e32 v3, v10, v3
	v_xor_b32_e32 v2, v11, v2
	v_cndmask_b32_e64 v10, v18, 0, vcc
	v_not_b32_e32 v11, v32
	s_brev_b32 s23, 1
	v_xor_b32_e32 v5, v10, v5
	v_xor_b32_e32 v4, v11, v4
	v_and_b32_e32 v19, 14, v31
	v_mov_b32_e32 v20, 0
	s_movk_i32 s38, 0x70
	s_mov_b32 s39, s22
	s_branch .LBB199_44
.LBB199_43:                             ;   in Loop: Header=BB199_44 Depth=1
	v_lshlrev_b32_e32 v6, 3, v21
	v_lshlrev_b32_e32 v7, 3, v22
	s_waitcnt lgkmcnt(0)
	; wave barrier
	ds_write_b64 v6, v[16:17]
	ds_write_b64 v7, v[14:15]
	s_waitcnt lgkmcnt(0)
	; wave barrier
	s_waitcnt lgkmcnt(0)
	ds_read2_b64 v[2:5], v28 offset1:1
	s_waitcnt lgkmcnt(0)
	; wave barrier
	s_waitcnt lgkmcnt(0)
	ds_write_b64 v6, v[12:13]
	ds_write_b64 v7, v[10:11]
	s_waitcnt lgkmcnt(0)
	; wave barrier
	s_waitcnt lgkmcnt(0)
	ds_read2_b64 v[6:9], v28 offset1:1
	s_add_i32 s39, s39, 4
	s_waitcnt lgkmcnt(0)
	; wave barrier
	s_waitcnt lgkmcnt(0)
	s_cbranch_execz .LBB199_55
.LBB199_44:                             ; =>This Loop Header: Depth=1
                                        ;     Child Loop BB199_47 Depth 2
	v_pk_mov_b32 v[14:15], v[4:5], v[4:5] op_sel:[0,1]
	v_pk_mov_b32 v[16:17], v[2:3], v[2:3] op_sel:[0,1]
	;; [unrolled: 1-line block ×4, first 2 shown]
	s_and_saveexec_b64 s[24:25], s[4:5]
	s_cbranch_execz .LBB199_51
; %bb.45:                               ;   in Loop: Header=BB199_44 Depth=1
	s_mov_b32 s40, 0
	s_mov_b64 s[26:27], 0
	v_pk_mov_b32 v[2:3], v[0:1], v[0:1] op_sel:[0,1]
	s_branch .LBB199_47
.LBB199_46:                             ;   in Loop: Header=BB199_47 Depth=2
	s_or_b64 exec, exec, s[30:31]
	s_add_i32 s40, s40, 2
	v_cmp_eq_u32_e32 vcc, s40, v19
	v_add_u32_e32 v3, 32, v3
	s_or_b64 s[26:27], vcc, s[26:27]
	v_add_u32_e32 v2, 32, v2
	s_andn2_b64 exec, exec, s[26:27]
	s_cbranch_execz .LBB199_51
.LBB199_47:                             ;   Parent Loop BB199_44 Depth=1
                                        ; =>  This Inner Loop Header: Depth=2
	s_or_b32 s28, s40, 1
	v_cmp_le_u32_e64 s[28:29], s28, 7
	v_cmp_le_u32_e64 s[42:43], s40, 7
	s_and_saveexec_b64 s[30:31], s[42:43]
	s_cbranch_execz .LBB199_49
; %bb.48:                               ;   in Loop: Header=BB199_47 Depth=2
	v_lshlrev_b32_e32 v4, 2, v2
	ds_write_b32 v4, v20
.LBB199_49:                             ;   in Loop: Header=BB199_47 Depth=2
	s_or_b64 exec, exec, s[30:31]
	s_and_saveexec_b64 s[30:31], s[28:29]
	s_cbranch_execz .LBB199_46
; %bb.50:                               ;   in Loop: Header=BB199_47 Depth=2
	v_lshlrev_b32_e32 v4, 2, v3
	ds_write_b32 v4, v20
	s_branch .LBB199_46
.LBB199_51:                             ;   in Loop: Header=BB199_44 Depth=1
	s_or_b64 exec, exec, s[24:25]
	s_sub_i32 s24, 64, s39
	s_min_u32 s24, s37, s24
	v_cmp_ne_u64_e32 vcc, s[22:23], v[16:17]
	s_lshl_b32 s24, -1, s24
	v_cndmask_b32_e32 v3, v18, v17, vcc
	v_cndmask_b32_e32 v2, -1, v16, vcc
	s_not_b32 s24, s24
	v_lshrrev_b64 v[2:3], s39, v[2:3]
	v_and_b32_e32 v2, s24, v2
	v_lshrrev_b32_e32 v3, 3, v2
	v_lshlrev_b32_e32 v2, 4, v2
	v_and_or_b32 v2, v2, s38, v0
	v_lshlrev_b32_e32 v2, 1, v2
	v_add_lshl_u32 v22, v2, v3, 1
	ds_read_u16 v21, v22
	v_cmp_ne_u64_e32 vcc, s[22:23], v[14:15]
	v_cndmask_b32_e32 v3, v18, v15, vcc
	s_waitcnt lgkmcnt(0)
	v_add_u16_e32 v2, 1, v21
	ds_write_b16 v22, v2
	v_cndmask_b32_e32 v2, -1, v14, vcc
	v_lshrrev_b64 v[2:3], s39, v[2:3]
	v_and_b32_e32 v2, s24, v2
	v_lshrrev_b32_e32 v3, 3, v2
	v_lshlrev_b32_e32 v2, 4, v2
	v_and_or_b32 v2, v2, s38, v0
	v_lshlrev_b32_e32 v2, 1, v2
	v_add_lshl_u32 v24, v2, v3, 1
	ds_read_u16 v23, v24
	s_waitcnt lgkmcnt(0)
	v_add_u16_e32 v2, 1, v23
	ds_write_b16 v24, v2
	s_waitcnt lgkmcnt(0)
	; wave barrier
	s_waitcnt lgkmcnt(0)
	ds_read2_b32 v[8:9], v29 offset1:1
	ds_read2_b32 v[6:7], v29 offset0:2 offset1:3
	ds_read2_b32 v[2:3], v29 offset0:4 offset1:5
	;; [unrolled: 1-line block ×3, first 2 shown]
	s_waitcnt lgkmcnt(3)
	v_add_u32_e32 v25, v9, v8
	s_waitcnt lgkmcnt(2)
	v_add3_u32 v25, v25, v6, v7
	s_waitcnt lgkmcnt(1)
	v_add3_u32 v25, v25, v2, v3
	;; [unrolled: 2-line block ×3, first 2 shown]
	s_nop 1
	v_mov_b32_dpp v25, v5 row_shr:1 row_mask:0xf bank_mask:0xf
	v_cndmask_b32_e64 v25, v25, 0, s[6:7]
	v_add_u32_e32 v5, v25, v5
	s_nop 1
	v_mov_b32_dpp v25, v5 row_shr:2 row_mask:0xf bank_mask:0xf
	v_cndmask_b32_e64 v25, 0, v25, s[8:9]
	v_add_u32_e32 v5, v5, v25
	;; [unrolled: 4-line block ×4, first 2 shown]
	s_and_saveexec_b64 s[24:25], s[14:15]
	s_cbranch_execz .LBB199_53
; %bb.52:                               ;   in Loop: Header=BB199_44 Depth=1
	ds_write_b32 v20, v5 offset:512
.LBB199_53:                             ;   in Loop: Header=BB199_44 Depth=1
	s_or_b64 exec, exec, s[24:25]
	ds_bpermute_b32 v5, v30, v5
	s_waitcnt lgkmcnt(0)
	; wave barrier
	s_waitcnt lgkmcnt(0)
	ds_read_b32 v25, v20 offset:512
	s_cmp_gt_u32 s39, 59
	v_cndmask_b32_e64 v5, v5, 0, s[16:17]
	s_waitcnt lgkmcnt(0)
	v_lshl_add_u32 v5, v25, 16, v5
	v_add_u32_e32 v8, v5, v8
	v_add_u32_e32 v9, v8, v9
	ds_write2_b32 v29, v5, v8 offset1:1
	v_add_u32_e32 v5, v9, v6
	v_add_u32_e32 v6, v5, v7
	v_add_u32_e32 v2, v6, v2
	v_add_u32_e32 v3, v2, v3
	v_add_u32_e32 v4, v3, v4
	ds_write2_b32 v29, v9, v5 offset0:2 offset1:3
	ds_write2_b32 v29, v6, v2 offset0:4 offset1:5
	;; [unrolled: 1-line block ×3, first 2 shown]
	s_waitcnt lgkmcnt(0)
	; wave barrier
	s_waitcnt lgkmcnt(0)
	ds_read_u16 v2, v22
	ds_read_u16 v3, v24
	s_waitcnt lgkmcnt(1)
	v_add_u32_sdwa v21, v2, v21 dst_sel:DWORD dst_unused:UNUSED_PAD src0_sel:DWORD src1_sel:WORD_0
	s_waitcnt lgkmcnt(0)
	v_add_u32_sdwa v22, v3, v23 dst_sel:DWORD dst_unused:UNUSED_PAD src0_sel:DWORD src1_sel:WORD_0
	s_cbranch_scc0 .LBB199_43
; %bb.54:
                                        ; implicit-def: $vgpr4_vgpr5
                                        ; implicit-def: $vgpr8_vgpr9
                                        ; implicit-def: $sgpr39
.LBB199_55:
	v_lshlrev_b32_e32 v1, 3, v21
	v_lshlrev_b32_e32 v6, 3, v22
	s_waitcnt lgkmcnt(0)
	; wave barrier
	ds_write_b64 v1, v[16:17]
	ds_write_b64 v6, v[14:15]
	s_waitcnt lgkmcnt(0)
	; wave barrier
	s_waitcnt lgkmcnt(0)
	ds_read2_b64 v[2:5], v28 offset1:1
	s_waitcnt lgkmcnt(0)
	; wave barrier
	s_waitcnt lgkmcnt(0)
	ds_write_b64 v1, v[12:13]
	ds_write_b64 v6, v[10:11]
	s_waitcnt lgkmcnt(0)
	; wave barrier
	s_waitcnt lgkmcnt(0)
	ds_read2_b64 v[10:13], v28 offset1:1
	v_ashrrev_i32_e32 v7, 31, v3
	v_bfrev_b32_e32 v1, -2
	v_cmp_gt_i64_e32 vcc, 0, v[2:3]
	v_not_b32_e32 v7, v7
	v_cndmask_b32_e64 v6, v1, 0, vcc
	v_xor_b32_e32 v14, v7, v2
	v_cmp_gt_i64_e32 vcc, 0, v[4:5]
	v_ashrrev_i32_e32 v2, 31, v5
	v_cndmask_b32_e64 v1, v1, 0, vcc
	v_not_b32_e32 v2, v2
	v_xor_b32_e32 v15, v6, v3
	v_xor_b32_e32 v17, v1, v5
	;; [unrolled: 1-line block ×3, first 2 shown]
.LBB199_56:
	v_mad_u64_u32 v[4:5], s[4:5], v0, s18, 0
	v_mov_b32_e32 v6, v5
	s_waitcnt lgkmcnt(0)
	; wave barrier
	s_waitcnt lgkmcnt(0)
	ds_write2_b64 v27, v[14:15], v[16:17] offset1:1
	s_waitcnt lgkmcnt(0)
	; wave barrier
	s_waitcnt lgkmcnt(0)
	ds_read_b64 v[2:3], v26 offset:128
	v_mad_u64_u32 v[6:7], s[4:5], v0, s19, v[6:7]
	v_mov_b32_e32 v5, v6
	v_lshlrev_b64 v[4:5], 3, v[4:5]
	v_mov_b32_e32 v1, s34
	v_add_co_u32_e32 v4, vcc, s33, v4
	v_addc_co_u32_e32 v5, vcc, v1, v5, vcc
	s_and_saveexec_b64 s[4:5], s[0:1]
	s_cbranch_execz .LBB199_58
; %bb.57:
	ds_read_b64 v[6:7], v26
	s_waitcnt lgkmcnt(0)
	global_store_dwordx2 v[4:5], v[6:7], off
.LBB199_58:
	s_or_b64 exec, exec, s[4:5]
	s_and_saveexec_b64 s[4:5], s[2:3]
	s_cbranch_execz .LBB199_60
; %bb.59:
	s_lshl_b64 s[6:7], s[18:19], 7
	v_mov_b32_e32 v1, s7
	v_add_co_u32_e32 v4, vcc, s6, v4
	v_addc_co_u32_e32 v5, vcc, v5, v1, vcc
	s_waitcnt lgkmcnt(0)
	global_store_dwordx2 v[4:5], v[2:3], off
.LBB199_60:
	s_or_b64 exec, exec, s[4:5]
	v_mad_u64_u32 v[4:5], s[4:5], v0, s20, 0
	v_mov_b32_e32 v6, v5
	s_waitcnt lgkmcnt(0)
	; wave barrier
	s_waitcnt lgkmcnt(0)
	ds_write2_b64 v27, v[10:11], v[12:13] offset1:1
	s_waitcnt lgkmcnt(0)
	; wave barrier
	s_waitcnt lgkmcnt(0)
	ds_read_b64 v[2:3], v26 offset:128
	v_mad_u64_u32 v[0:1], s[4:5], v0, s21, v[6:7]
	v_mov_b32_e32 v5, v0
	v_lshlrev_b64 v[0:1], 3, v[4:5]
	v_mov_b32_e32 v4, s36
	v_add_co_u32_e32 v0, vcc, s35, v0
	v_addc_co_u32_e32 v1, vcc, v4, v1, vcc
	s_and_saveexec_b64 s[4:5], s[0:1]
	s_cbranch_execz .LBB199_62
; %bb.61:
	ds_read_b64 v[4:5], v26
	s_waitcnt lgkmcnt(0)
	global_store_dwordx2 v[0:1], v[4:5], off
.LBB199_62:
	s_or_b64 exec, exec, s[4:5]
	s_and_saveexec_b64 s[0:1], s[2:3]
	s_cbranch_execz .LBB199_64
; %bb.63:
	s_lshl_b64 s[0:1], s[20:21], 7
	v_mov_b32_e32 v4, s1
	v_add_co_u32_e32 v0, vcc, s0, v0
	v_addc_co_u32_e32 v1, vcc, v1, v4, vcc
	s_waitcnt lgkmcnt(0)
	global_store_dwordx2 v[0:1], v[2:3], off
.LBB199_64:
	s_endpgm
	.section	.rodata,"a",@progbits
	.p2align	6, 0x0
	.amdhsa_kernel _ZN2at6native18radixSortKVInPlaceILin1ELin1ELi16ELi2EdlmEEvNS_4cuda6detail10TensorInfoIT3_T5_EES6_S6_S6_NS4_IT4_S6_EES6_b
		.amdhsa_group_segment_fixed_size 528
		.amdhsa_private_segment_fixed_size 0
		.amdhsa_kernarg_size 1128
		.amdhsa_user_sgpr_count 6
		.amdhsa_user_sgpr_private_segment_buffer 1
		.amdhsa_user_sgpr_dispatch_ptr 0
		.amdhsa_user_sgpr_queue_ptr 0
		.amdhsa_user_sgpr_kernarg_segment_ptr 1
		.amdhsa_user_sgpr_dispatch_id 0
		.amdhsa_user_sgpr_flat_scratch_init 0
		.amdhsa_user_sgpr_kernarg_preload_length 0
		.amdhsa_user_sgpr_kernarg_preload_offset 0
		.amdhsa_user_sgpr_private_segment_size 0
		.amdhsa_uses_dynamic_stack 0
		.amdhsa_system_sgpr_private_segment_wavefront_offset 0
		.amdhsa_system_sgpr_workgroup_id_x 1
		.amdhsa_system_sgpr_workgroup_id_y 1
		.amdhsa_system_sgpr_workgroup_id_z 1
		.amdhsa_system_sgpr_workgroup_info 0
		.amdhsa_system_vgpr_workitem_id 0
		.amdhsa_next_free_vgpr 42
		.amdhsa_next_free_sgpr 44
		.amdhsa_accum_offset 44
		.amdhsa_reserve_vcc 1
		.amdhsa_reserve_flat_scratch 0
		.amdhsa_float_round_mode_32 0
		.amdhsa_float_round_mode_16_64 0
		.amdhsa_float_denorm_mode_32 3
		.amdhsa_float_denorm_mode_16_64 3
		.amdhsa_dx10_clamp 1
		.amdhsa_ieee_mode 1
		.amdhsa_fp16_overflow 0
		.amdhsa_tg_split 0
		.amdhsa_exception_fp_ieee_invalid_op 0
		.amdhsa_exception_fp_denorm_src 0
		.amdhsa_exception_fp_ieee_div_zero 0
		.amdhsa_exception_fp_ieee_overflow 0
		.amdhsa_exception_fp_ieee_underflow 0
		.amdhsa_exception_fp_ieee_inexact 0
		.amdhsa_exception_int_div_zero 0
	.end_amdhsa_kernel
	.section	.text._ZN2at6native18radixSortKVInPlaceILin1ELin1ELi16ELi2EdlmEEvNS_4cuda6detail10TensorInfoIT3_T5_EES6_S6_S6_NS4_IT4_S6_EES6_b,"axG",@progbits,_ZN2at6native18radixSortKVInPlaceILin1ELin1ELi16ELi2EdlmEEvNS_4cuda6detail10TensorInfoIT3_T5_EES6_S6_S6_NS4_IT4_S6_EES6_b,comdat
.Lfunc_end199:
	.size	_ZN2at6native18radixSortKVInPlaceILin1ELin1ELi16ELi2EdlmEEvNS_4cuda6detail10TensorInfoIT3_T5_EES6_S6_S6_NS4_IT4_S6_EES6_b, .Lfunc_end199-_ZN2at6native18radixSortKVInPlaceILin1ELin1ELi16ELi2EdlmEEvNS_4cuda6detail10TensorInfoIT3_T5_EES6_S6_S6_NS4_IT4_S6_EES6_b
                                        ; -- End function
	.section	.AMDGPU.csdata,"",@progbits
; Kernel info:
; codeLenInByte = 4764
; NumSgprs: 48
; NumVgprs: 42
; NumAgprs: 0
; TotalNumVgprs: 42
; ScratchSize: 0
; MemoryBound: 0
; FloatMode: 240
; IeeeMode: 1
; LDSByteSize: 528 bytes/workgroup (compile time only)
; SGPRBlocks: 5
; VGPRBlocks: 5
; NumSGPRsForWavesPerEU: 48
; NumVGPRsForWavesPerEU: 42
; AccumOffset: 44
; Occupancy: 8
; WaveLimiterHint : 1
; COMPUTE_PGM_RSRC2:SCRATCH_EN: 0
; COMPUTE_PGM_RSRC2:USER_SGPR: 6
; COMPUTE_PGM_RSRC2:TRAP_HANDLER: 0
; COMPUTE_PGM_RSRC2:TGID_X_EN: 1
; COMPUTE_PGM_RSRC2:TGID_Y_EN: 1
; COMPUTE_PGM_RSRC2:TGID_Z_EN: 1
; COMPUTE_PGM_RSRC2:TIDIG_COMP_CNT: 0
; COMPUTE_PGM_RSRC3_GFX90A:ACCUM_OFFSET: 10
; COMPUTE_PGM_RSRC3_GFX90A:TG_SPLIT: 0
	.section	.text._ZN2at6native18radixSortKVInPlaceILin2ELin1ELi512ELi8EfljEEvNS_4cuda6detail10TensorInfoIT3_T5_EES6_S6_S6_NS4_IT4_S6_EES6_b,"axG",@progbits,_ZN2at6native18radixSortKVInPlaceILin2ELin1ELi512ELi8EfljEEvNS_4cuda6detail10TensorInfoIT3_T5_EES6_S6_S6_NS4_IT4_S6_EES6_b,comdat
	.protected	_ZN2at6native18radixSortKVInPlaceILin2ELin1ELi512ELi8EfljEEvNS_4cuda6detail10TensorInfoIT3_T5_EES6_S6_S6_NS4_IT4_S6_EES6_b ; -- Begin function _ZN2at6native18radixSortKVInPlaceILin2ELin1ELi512ELi8EfljEEvNS_4cuda6detail10TensorInfoIT3_T5_EES6_S6_S6_NS4_IT4_S6_EES6_b
	.globl	_ZN2at6native18radixSortKVInPlaceILin2ELin1ELi512ELi8EfljEEvNS_4cuda6detail10TensorInfoIT3_T5_EES6_S6_S6_NS4_IT4_S6_EES6_b
	.p2align	8
	.type	_ZN2at6native18radixSortKVInPlaceILin2ELin1ELi512ELi8EfljEEvNS_4cuda6detail10TensorInfoIT3_T5_EES6_S6_S6_NS4_IT4_S6_EES6_b,@function
_ZN2at6native18radixSortKVInPlaceILin2ELin1ELi512ELi8EfljEEvNS_4cuda6detail10TensorInfoIT3_T5_EES6_S6_S6_NS4_IT4_S6_EES6_b: ; @_ZN2at6native18radixSortKVInPlaceILin2ELin1ELi512ELi8EfljEEvNS_4cuda6detail10TensorInfoIT3_T5_EES6_S6_S6_NS4_IT4_S6_EES6_b
; %bb.0:
	s_load_dwordx2 s[0:1], s[4:5], 0x1c8
	s_load_dwordx4 s[48:51], s[4:5], 0xd8
	s_add_u32 s54, s4, 0x1c8
	s_addc_u32 s55, s5, 0
	s_waitcnt lgkmcnt(0)
	s_mul_i32 s1, s1, s8
	s_add_i32 s1, s1, s7
	s_mul_i32 s0, s1, s0
	s_add_i32 s6, s0, s6
	s_cmp_ge_u32 s6, s48
	s_cbranch_scc1 .LBB200_110
; %bb.1:
	s_load_dword s2, s[4:5], 0x1b8
	s_load_dwordx2 s[0:1], s[4:5], 0x0
	s_add_u32 s14, s4, 0xe8
	s_addc_u32 s15, s5, 0
	s_mov_b32 s17, 0
	s_waitcnt lgkmcnt(0)
	s_cmp_lt_i32 s2, 2
	s_mov_b32 s16, s6
	s_cbranch_scc1 .LBB200_4
; %bb.2:
	s_add_i32 s16, s2, -1
	s_add_i32 s7, s2, 1
	s_lshl_b64 s[2:3], s[16:17], 2
	s_add_u32 s2, s2, s14
	s_addc_u32 s3, s3, s15
	s_add_u32 s2, s2, 8
	s_addc_u32 s3, s3, 0
	s_mov_b32 s16, s6
.LBB200_3:                              ; =>This Inner Loop Header: Depth=1
	s_load_dword s8, s[2:3], 0x0
	s_load_dword s10, s[2:3], 0x64
	s_mov_b32 s9, s16
	s_waitcnt lgkmcnt(0)
	v_cvt_f32_u32_e32 v1, s8
	s_sub_i32 s11, 0, s8
	v_rcp_iflag_f32_e32 v1, v1
	v_mul_f32_e32 v1, 0x4f7ffffe, v1
	v_cvt_u32_f32_e32 v1, v1
	v_readfirstlane_b32 s12, v1
	s_mul_i32 s11, s11, s12
	s_mul_hi_u32 s11, s12, s11
	s_add_i32 s12, s12, s11
	s_mul_hi_u32 s11, s16, s12
	s_mul_i32 s12, s11, s8
	s_sub_i32 s12, s16, s12
	s_add_i32 s13, s11, 1
	s_sub_i32 s16, s12, s8
	s_cmp_ge_u32 s12, s8
	s_cselect_b32 s11, s13, s11
	s_cselect_b32 s12, s16, s12
	s_add_i32 s13, s11, 1
	s_cmp_ge_u32 s12, s8
	s_cselect_b32 s16, s13, s11
	s_mul_i32 s8, s16, s8
	s_sub_i32 s8, s9, s8
	s_mul_i32 s8, s10, s8
	s_add_i32 s7, s7, -1
	s_add_i32 s17, s8, s17
	s_add_u32 s2, s2, -4
	s_addc_u32 s3, s3, -1
	s_cmp_gt_u32 s7, 2
	s_cbranch_scc1 .LBB200_3
.LBB200_4:
	s_load_dword s2, s[4:5], 0x6c
	s_load_dwordx2 s[52:53], s[4:5], 0x1c0
	s_mov_b32 s3, 0
	v_bfrev_b32_e32 v1, -2
	v_and_b32_e32 v38, 0x3ff, v0
	s_waitcnt lgkmcnt(0)
	s_mul_i32 s2, s2, s6
	s_bitcmp1_b32 s53, 0
	s_cselect_b64 s[34:35], -1, 0
	s_lshl_b64 s[2:3], s[2:3], 2
	s_add_u32 s33, s0, s2
	v_cndmask_b32_e64 v1, v1, -1, s[34:35]
	s_addc_u32 s48, s1, s3
	v_mov_b32_e32 v2, v1
	v_mov_b32_e32 v3, v1
	;; [unrolled: 1-line block ×6, first 2 shown]
	v_cmp_gt_u32_e64 s[0:1], s49, v38
	v_mul_lo_u32 v34, v38, s50
	v_mov_b32_e32 v8, v1
	s_and_saveexec_b64 s[2:3], s[0:1]
	s_cbranch_execz .LBB200_6
; %bb.5:
	v_mov_b32_e32 v35, 0
	v_lshlrev_b64 v[8:9], 2, v[34:35]
	v_mov_b32_e32 v10, s48
	v_add_co_u32_e32 v8, vcc, s33, v8
	v_addc_co_u32_e32 v9, vcc, v10, v9, vcc
	global_load_dword v8, v[8:9], off
.LBB200_6:
	s_or_b64 exec, exec, s[2:3]
	v_add_u32_e32 v30, 0x200, v38
	v_cmp_gt_u32_e64 s[2:3], s49, v30
	s_and_saveexec_b64 s[4:5], s[2:3]
	s_cbranch_execz .LBB200_8
; %bb.7:
	v_mul_lo_u32 v10, v30, s50
	v_mov_b32_e32 v11, 0
	v_lshlrev_b64 v[10:11], 2, v[10:11]
	v_mov_b32_e32 v1, s48
	v_add_co_u32_e32 v10, vcc, s33, v10
	v_addc_co_u32_e32 v11, vcc, v1, v11, vcc
	global_load_dword v1, v[10:11], off
.LBB200_8:
	s_or_b64 exec, exec, s[4:5]
	v_or_b32_e32 v28, 0x400, v38
	v_cmp_gt_u32_e64 s[4:5], s49, v28
	s_and_saveexec_b64 s[6:7], s[4:5]
	s_cbranch_execz .LBB200_10
; %bb.9:
	v_mul_lo_u32 v10, v28, s50
	v_mov_b32_e32 v11, 0
	v_lshlrev_b64 v[10:11], 2, v[10:11]
	v_mov_b32_e32 v2, s48
	v_add_co_u32_e32 v10, vcc, s33, v10
	v_addc_co_u32_e32 v11, vcc, v2, v11, vcc
	global_load_dword v2, v[10:11], off
.LBB200_10:
	s_or_b64 exec, exec, s[6:7]
	v_add_u32_e32 v26, 0x600, v38
	v_cmp_gt_u32_e64 s[6:7], s49, v26
	s_and_saveexec_b64 s[8:9], s[6:7]
	s_cbranch_execz .LBB200_12
; %bb.11:
	v_mul_lo_u32 v10, v26, s50
	v_mov_b32_e32 v11, 0
	v_lshlrev_b64 v[10:11], 2, v[10:11]
	v_mov_b32_e32 v3, s48
	v_add_co_u32_e32 v10, vcc, s33, v10
	v_addc_co_u32_e32 v11, vcc, v3, v11, vcc
	global_load_dword v3, v[10:11], off
.LBB200_12:
	s_or_b64 exec, exec, s[8:9]
	v_or_b32_e32 v24, 0x800, v38
	v_cmp_gt_u32_e64 s[8:9], s49, v24
	s_and_saveexec_b64 s[10:11], s[8:9]
	s_cbranch_execz .LBB200_14
; %bb.13:
	v_mul_lo_u32 v10, v24, s50
	v_mov_b32_e32 v11, 0
	v_lshlrev_b64 v[10:11], 2, v[10:11]
	v_mov_b32_e32 v4, s48
	v_add_co_u32_e32 v10, vcc, s33, v10
	v_addc_co_u32_e32 v11, vcc, v4, v11, vcc
	global_load_dword v4, v[10:11], off
.LBB200_14:
	s_or_b64 exec, exec, s[10:11]
	v_add_u32_e32 v21, 0xa00, v38
	v_cmp_gt_u32_e64 s[10:11], s49, v21
	s_and_saveexec_b64 s[12:13], s[10:11]
	s_cbranch_execz .LBB200_16
; %bb.15:
	v_mul_lo_u32 v10, v21, s50
	v_mov_b32_e32 v11, 0
	v_lshlrev_b64 v[10:11], 2, v[10:11]
	v_mov_b32_e32 v5, s48
	v_add_co_u32_e32 v10, vcc, s33, v10
	v_addc_co_u32_e32 v11, vcc, v5, v11, vcc
	global_load_dword v5, v[10:11], off
.LBB200_16:
	s_or_b64 exec, exec, s[12:13]
	s_load_dwordx2 s[18:19], s[14:15], 0x0
	v_or_b32_e32 v19, 0xc00, v38
	v_cmp_gt_u32_e64 s[12:13], s49, v19
	s_and_saveexec_b64 s[20:21], s[12:13]
	s_cbranch_execz .LBB200_18
; %bb.17:
	v_mul_lo_u32 v10, v19, s50
	v_mov_b32_e32 v11, 0
	v_lshlrev_b64 v[10:11], 2, v[10:11]
	v_mov_b32_e32 v6, s48
	v_add_co_u32_e32 v10, vcc, s33, v10
	v_addc_co_u32_e32 v11, vcc, v6, v11, vcc
	global_load_dword v6, v[10:11], off
.LBB200_18:
	s_or_b64 exec, exec, s[20:21]
	s_load_dword s22, s[14:15], 0x6c
	v_add_u32_e32 v18, 0xe00, v38
	v_cmp_gt_u32_e64 s[14:15], s49, v18
	s_and_saveexec_b64 s[20:21], s[14:15]
	s_cbranch_execz .LBB200_20
; %bb.19:
	v_mul_lo_u32 v10, v18, s50
	v_mov_b32_e32 v11, 0
	v_lshlrev_b64 v[10:11], 2, v[10:11]
	v_mov_b32_e32 v7, s48
	v_add_co_u32_e32 v10, vcc, s33, v10
	v_addc_co_u32_e32 v11, vcc, v7, v11, vcc
	global_load_dword v7, v[10:11], off
.LBB200_20:
	s_or_b64 exec, exec, s[20:21]
	v_lshrrev_b32_e32 v9, 5, v38
	v_add_u32_e32 v32, v9, v38
	v_lshlrev_b32_e32 v39, 2, v32
	s_waitcnt vmcnt(0)
	ds_write_b32 v39, v8
	v_lshrrev_b32_e32 v8, 5, v30
	v_add_u32_e32 v31, v8, v38
	v_lshlrev_b32_e32 v35, 2, v31
	ds_write_b32 v35, v1 offset:2048
	v_lshrrev_b32_e32 v1, 5, v28
	v_add_u32_e32 v29, v1, v38
	v_lshrrev_b32_e32 v1, 5, v26
	v_add_u32_e32 v27, v1, v38
	;; [unrolled: 2-line block ×3, first 2 shown]
	v_lshrrev_b32_e32 v1, 5, v21
	v_lshlrev_b32_e32 v72, 2, v29
	v_add_u32_e32 v23, v1, v38
	v_lshrrev_b32_e32 v1, 5, v19
	ds_write_b32 v72, v2 offset:4096
	v_add_u32_e32 v20, v1, v38
	v_lshrrev_b32_e32 v1, 5, v18
	v_lshlrev_b32_e32 v87, 3, v38
	v_lshrrev_b32_e32 v2, 2, v38
	v_add_u32_e32 v1, v1, v38
	v_add_u32_e32 v22, v2, v87
	v_lshlrev_b32_e32 v73, 2, v27
	v_lshlrev_b32_e32 v74, 2, v25
	;; [unrolled: 1-line block ×6, first 2 shown]
	ds_write_b32 v73, v3 offset:6144
	ds_write_b32 v74, v4 offset:8192
	;; [unrolled: 1-line block ×5, first 2 shown]
	s_waitcnt lgkmcnt(0)
	s_barrier
	ds_read2_b32 v[46:47], v78 offset1:1
	ds_read2_b32 v[44:45], v78 offset0:2 offset1:3
	ds_read2_b32 v[42:43], v78 offset0:4 offset1:5
	;; [unrolled: 1-line block ×3, first 2 shown]
	s_mul_i32 s16, s22, s16
	s_add_i32 s16, s16, s17
	s_mov_b32 s17, 0
	s_lshl_b64 s[20:21], s[16:17], 3
	s_add_u32 s49, s18, s20
	s_mov_b32 s16, s17
	s_addc_u32 s51, s19, s21
	s_mov_b32 s18, s17
	s_mov_b32 s19, s17
	s_mov_b32 s20, s17
	s_mov_b32 s21, s17
	s_mov_b32 s22, s17
	s_mov_b32 s23, s17
	s_mov_b32 s24, s17
	s_mov_b32 s25, s17
	s_mov_b32 s26, s17
	s_mov_b32 s27, s17
	s_mov_b32 s28, s17
	s_mov_b32 s29, s17
	s_mov_b32 s30, s17
	s_mov_b32 s31, s17
	v_pk_mov_b32 v[2:3], s[16:17], s[16:17] op_sel:[0,1]
	v_pk_mov_b32 v[4:5], s[18:19], s[18:19] op_sel:[0,1]
	;; [unrolled: 1-line block ×8, first 2 shown]
	v_pk_mov_b32 v[2:3], 0, 0
	v_mul_lo_u32 v36, v38, s52
	s_waitcnt lgkmcnt(0)
	s_barrier
	s_and_saveexec_b64 s[16:17], s[0:1]
	s_cbranch_execnz .LBB200_57
; %bb.21:
	s_or_b64 exec, exec, s[16:17]
	s_and_saveexec_b64 s[16:17], s[2:3]
	s_cbranch_execnz .LBB200_58
.LBB200_22:
	s_or_b64 exec, exec, s[16:17]
	s_and_saveexec_b64 s[16:17], s[4:5]
	s_cbranch_execnz .LBB200_59
.LBB200_23:
	s_or_b64 exec, exec, s[16:17]
	s_and_saveexec_b64 s[16:17], s[6:7]
	s_cbranch_execnz .LBB200_60
.LBB200_24:
	s_or_b64 exec, exec, s[16:17]
	s_and_saveexec_b64 s[16:17], s[8:9]
	s_cbranch_execnz .LBB200_61
.LBB200_25:
	s_or_b64 exec, exec, s[16:17]
	s_and_saveexec_b64 s[16:17], s[10:11]
	s_cbranch_execnz .LBB200_62
.LBB200_26:
	s_or_b64 exec, exec, s[16:17]
	s_and_saveexec_b64 s[16:17], s[12:13]
	s_cbranch_execnz .LBB200_63
.LBB200_27:
	s_or_b64 exec, exec, s[16:17]
	s_xor_b64 s[16:17], s[34:35], -1
	s_and_saveexec_b64 s[18:19], s[14:15]
	s_cbranch_execz .LBB200_29
.LBB200_28:
	v_mul_lo_u32 v16, v18, s52
	v_mov_b32_e32 v17, 0
	v_lshlrev_b64 v[16:17], 3, v[16:17]
	v_mov_b32_e32 v18, s51
	v_add_co_u32_e32 v16, vcc, s49, v16
	v_addc_co_u32_e32 v17, vcc, v18, v17, vcc
	global_load_dwordx2 v[16:17], v[16:17], off
.LBB200_29:
	s_or_b64 exec, exec, s[18:19]
	v_lshlrev_b32_e32 v79, 3, v32
	v_lshlrev_b32_e32 v37, 3, v31
	;; [unrolled: 1-line block ×9, first 2 shown]
	s_waitcnt vmcnt(0)
	ds_write_b64 v79, v[2:3]
	ds_write_b64 v37, v[4:5] offset:4096
	ds_write_b64 v80, v[6:7] offset:8192
	;; [unrolled: 1-line block ×7, first 2 shown]
	s_waitcnt lgkmcnt(0)
	s_barrier
	ds_read2_b64 v[14:17], v86 offset1:1
	ds_read2_b64 v[10:13], v86 offset0:2 offset1:3
	ds_read2_b64 v[6:9], v86 offset0:4 offset1:5
	ds_read2_b64 v[2:5], v86 offset0:6 offset1:7
	s_and_b64 vcc, exec, s[16:17]
	v_bfe_u32 v91, v0, 10, 10
	v_bfe_u32 v92, v0, 20, 10
	v_mbcnt_lo_u32_b32 v93, -1, 0
	v_lshlrev_b32_e32 v88, 2, v38
	v_lshlrev_b32_e32 v89, 4, v38
	v_cmp_gt_u32_e64 s[16:17], 8, v38
	v_cmp_lt_u32_e64 s[18:19], 63, v38
	v_cmp_eq_u32_e64 s[20:21], 0, v38
	v_lshrrev_b32_e32 v90, 4, v38
	s_waitcnt lgkmcnt(0)
	s_barrier
	s_cbranch_vccz .LBB200_64
; %bb.30:
	v_bfrev_b32_e32 v94, 1
	v_cmp_lt_i32_e32 vcc, -1, v46
	v_mbcnt_hi_u32_b32 v48, -1, v93
	v_and_b32_e32 v49, 0x3c0, v38
	v_cndmask_b32_e32 v18, -1, v94, vcc
	v_cmp_lt_i32_e32 vcc, -1, v47
	v_add_u32_e32 v0, v48, v49
	v_cndmask_b32_e32 v19, -1, v94, vcc
	v_lshlrev_b32_e32 v1, 5, v0
	v_xor_b32_e32 v19, v19, v47
	v_xor_b32_e32 v18, v18, v46
	v_cmp_lt_i32_e32 vcc, -1, v44
	ds_write2_b32 v1, v18, v19 offset1:1
	v_cndmask_b32_e32 v18, -1, v94, vcc
	v_cmp_lt_i32_e32 vcc, -1, v45
	v_cndmask_b32_e32 v19, -1, v94, vcc
	v_xor_b32_e32 v19, v19, v45
	v_xor_b32_e32 v18, v18, v44
	v_cmp_lt_i32_e32 vcc, -1, v42
	ds_write2_b32 v1, v18, v19 offset0:2 offset1:3
	v_cndmask_b32_e32 v18, -1, v94, vcc
	v_cmp_lt_i32_e32 vcc, -1, v43
	v_cndmask_b32_e32 v19, -1, v94, vcc
	v_xor_b32_e32 v19, v19, v43
	v_xor_b32_e32 v18, v18, v42
	v_cmp_lt_i32_e32 vcc, -1, v40
	ds_write2_b32 v1, v18, v19 offset0:4 offset1:5
	v_cndmask_b32_e32 v18, -1, v94, vcc
	v_cmp_lt_i32_e32 vcc, -1, v41
	v_cndmask_b32_e32 v19, -1, v94, vcc
	v_xor_b32_e32 v19, v19, v41
	v_xor_b32_e32 v18, v18, v40
	v_and_b32_e32 v50, 0x1e00, v87
	ds_write2_b32 v1, v18, v19 offset0:6 offset1:7
	v_or_b32_e32 v1, v48, v50
	v_lshlrev_b32_e32 v18, 2, v1
	v_lshlrev_b32_e32 v0, 6, v0
	; wave barrier
	ds_read2st64_b32 v[64:65], v18 offset1:1
	ds_read2st64_b32 v[66:67], v18 offset0:2 offset1:3
	ds_read2st64_b32 v[68:69], v18 offset0:4 offset1:5
	;; [unrolled: 1-line block ×3, first 2 shown]
	s_waitcnt lgkmcnt(0)
	s_barrier
	ds_write2_b64 v0, v[14:15], v[16:17] offset1:1
	ds_write2_b64 v0, v[10:11], v[12:13] offset0:2 offset1:3
	ds_write2_b64 v0, v[6:7], v[8:9] offset0:4 offset1:5
	;; [unrolled: 1-line block ×3, first 2 shown]
	v_lshlrev_b32_e32 v0, 3, v1
	; wave barrier
	ds_read2st64_b64 v[18:21], v0 offset1:1
	ds_read2st64_b64 v[22:25], v0 offset0:2 offset1:3
	ds_read2st64_b64 v[26:29], v0 offset0:4 offset1:5
	;; [unrolled: 1-line block ×3, first 2 shown]
	s_waitcnt lgkmcnt(0)
	s_barrier
	s_load_dword s24, s[54:55], 0xc
	s_getpc_b64 s[22:23]
	s_add_u32 s22, s22, _ZN7rocprim17ROCPRIM_400000_NS16block_radix_sortIfLj512ELj8ElLj1ELj1ELj0ELNS0_26block_radix_rank_algorithmE1ELNS0_18block_padding_hintE2ELNS0_4arch9wavefront6targetE1EE19radix_bits_per_passE@rel32@lo+4
	s_addc_u32 s23, s23, _ZN7rocprim17ROCPRIM_400000_NS16block_radix_sortIfLj512ELj8ElLj1ELj1ELj0ELNS0_26block_radix_rank_algorithmE1ELNS0_18block_padding_hintE2ELNS0_4arch9wavefront6targetE1EE19radix_bits_per_passE@rel32@hi+12
	s_load_dword s53, s[22:23], 0x0
	v_and_b32_e32 v98, 60, v90
	s_mov_b32 s56, 0
	s_waitcnt lgkmcnt(0)
	s_lshr_b32 s22, s24, 16
	s_and_b32 s23, s24, 0xffff
	v_mad_u32_u24 v0, v92, s22, v91
	v_mad_u64_u32 v[0:1], s[22:23], v0, s23, v[38:39]
	v_lshrrev_b32_e32 v96, 6, v0
	v_and_b32_e32 v0, 15, v48
	v_cmp_eq_u32_e64 s[22:23], 0, v0
	v_cmp_lt_u32_e64 s[24:25], 1, v0
	v_cmp_lt_u32_e64 s[26:27], 3, v0
	;; [unrolled: 1-line block ×3, first 2 shown]
	v_and_b32_e32 v0, 16, v48
	v_cmp_eq_u32_e64 s[30:31], 0, v0
	v_min_u32_e32 v0, 0x1c0, v49
	v_or_b32_e32 v0, 63, v0
	v_cmp_eq_u32_e64 s[36:37], v0, v38
	v_add_u32_e32 v0, -1, v48
	v_and_b32_e32 v1, 64, v48
	v_cmp_lt_i32_e32 vcc, v0, v1
	v_cndmask_b32_e32 v0, v0, v48, vcc
	v_lshlrev_b32_e32 v97, 2, v0
	v_and_b32_e32 v0, 7, v48
	v_cmp_eq_u32_e64 s[40:41], 0, v0
	v_cmp_lt_u32_e64 s[42:43], 1, v0
	v_cmp_lt_u32_e64 s[44:45], 3, v0
	v_and_or_b32 v0, v48, 63, v50
	s_mov_b32 s57, 32
	v_add_u32_e32 v95, 32, v89
	v_cmp_lt_u32_e64 s[34:35], 31, v48
	v_cmp_eq_u32_e64 s[38:39], 0, v48
	v_add_u32_e32 v99, -4, v98
	v_lshlrev_b32_e32 v100, 2, v0
	v_lshlrev_b32_e32 v101, 3, v0
	v_mov_b32_e32 v62, 0
	s_brev_b32 s58, -2
	s_branch .LBB200_32
.LBB200_31:                             ;   in Loop: Header=BB200_32 Depth=1
	v_lshlrev_b32_e32 v18, 2, v63
	s_barrier
	ds_write_b32 v18, v109
	v_lshlrev_b32_e32 v18, 2, v111
	ds_write_b32 v18, v108
	v_lshlrev_b32_e32 v18, 2, v112
	;; [unrolled: 2-line block ×8, first 2 shown]
	s_waitcnt lgkmcnt(0)
	s_barrier
	ds_read2st64_b32 v[64:65], v100 offset1:1
	ds_read2st64_b32 v[66:67], v100 offset0:2 offset1:3
	ds_read2st64_b32 v[68:69], v100 offset0:4 offset1:5
	;; [unrolled: 1-line block ×3, first 2 shown]
	s_waitcnt lgkmcnt(0)
	s_barrier
	ds_write_b64 v18, v[60:61]
	v_lshlrev_b32_e32 v18, 3, v111
	ds_write_b64 v18, v[58:59]
	v_lshlrev_b32_e32 v18, 3, v112
	;; [unrolled: 2-line block ×7, first 2 shown]
	ds_write_b64 v18, v[0:1]
	s_waitcnt lgkmcnt(0)
	s_barrier
	ds_read2st64_b64 v[18:21], v101 offset1:1
	ds_read2st64_b64 v[22:25], v101 offset0:2 offset1:3
	ds_read2st64_b64 v[26:29], v101 offset0:4 offset1:5
	;; [unrolled: 1-line block ×3, first 2 shown]
	s_add_i32 s56, s56, 8
	s_add_i32 s57, s57, -8
	s_waitcnt lgkmcnt(0)
	s_barrier
	s_cbranch_execz .LBB200_56
.LBB200_32:                             ; =>This Inner Loop Header: Depth=1
	v_mov_b32_e32 v109, v64
	s_min_u32 s46, s53, s57
	v_cmp_ne_u32_e32 vcc, s58, v109
	v_pk_mov_b32 v[60:61], v[18:19], v[18:19] op_sel:[0,1]
	s_lshl_b32 s46, -1, s46
	v_cndmask_b32_e32 v18, v94, v109, vcc
	s_not_b32 s59, s46
	v_lshrrev_b32_e32 v18, s56, v18
	v_and_b32_e32 v18, s59, v18
	v_lshl_add_u32 v19, v18, 3, v96
	v_pk_mov_b32 v[56:57], v[22:23], v[22:23] op_sel:[0,1]
	v_lshl_add_u32 v22, v19, 2, 32
	v_and_b32_e32 v19, 1, v18
	v_pk_mov_b32 v[58:59], v[20:21], v[20:21] op_sel:[0,1]
	v_add_co_u32_e32 v20, vcc, -1, v19
	v_addc_co_u32_e64 v21, s[46:47], 0, -1, vcc
	v_cmp_ne_u32_e32 vcc, 0, v19
	v_lshlrev_b32_e32 v63, 30, v18
	v_xor_b32_e32 v19, vcc_hi, v21
	v_not_b32_e32 v21, v63
	v_xor_b32_e32 v20, vcc_lo, v20
	v_cmp_gt_i64_e32 vcc, 0, v[62:63]
	v_ashrrev_i32_e32 v21, 31, v21
	v_and_b32_e32 v20, exec_lo, v20
	v_xor_b32_e32 v23, vcc_hi, v21
	v_xor_b32_e32 v21, vcc_lo, v21
	v_lshlrev_b32_e32 v63, 29, v18
	v_and_b32_e32 v20, v20, v21
	v_not_b32_e32 v21, v63
	v_and_b32_e32 v19, exec_hi, v19
	v_cmp_gt_i64_e32 vcc, 0, v[62:63]
	v_ashrrev_i32_e32 v21, 31, v21
	v_and_b32_e32 v19, v19, v23
	v_xor_b32_e32 v23, vcc_hi, v21
	v_xor_b32_e32 v21, vcc_lo, v21
	v_lshlrev_b32_e32 v63, 28, v18
	v_and_b32_e32 v20, v20, v21
	v_not_b32_e32 v21, v63
	v_cmp_gt_i64_e32 vcc, 0, v[62:63]
	v_ashrrev_i32_e32 v21, 31, v21
	v_and_b32_e32 v19, v19, v23
	v_xor_b32_e32 v23, vcc_hi, v21
	v_xor_b32_e32 v21, vcc_lo, v21
	v_lshlrev_b32_e32 v63, 27, v18
	v_and_b32_e32 v20, v20, v21
	v_not_b32_e32 v21, v63
	;; [unrolled: 8-line block ×3, first 2 shown]
	v_cmp_gt_i64_e32 vcc, 0, v[62:63]
	v_ashrrev_i32_e32 v21, 31, v21
	v_and_b32_e32 v19, v19, v23
	v_xor_b32_e32 v23, vcc_hi, v21
	v_xor_b32_e32 v21, vcc_lo, v21
	v_lshlrev_b32_e32 v63, 25, v18
	v_and_b32_e32 v20, v20, v21
	v_cmp_gt_i64_e32 vcc, 0, v[62:63]
	v_not_b32_e32 v21, v63
	v_lshlrev_b32_e32 v63, 24, v18
	v_ashrrev_i32_e32 v21, 31, v21
	v_not_b32_e32 v18, v63
	v_and_b32_e32 v19, v19, v23
	v_xor_b32_e32 v23, vcc_hi, v21
	v_xor_b32_e32 v21, vcc_lo, v21
	v_cmp_gt_i64_e32 vcc, 0, v[62:63]
	v_ashrrev_i32_e32 v18, 31, v18
	v_and_b32_e32 v20, v20, v21
	v_xor_b32_e32 v21, vcc_hi, v18
	v_xor_b32_e32 v18, vcc_lo, v18
	v_and_b32_e32 v19, v19, v23
	v_and_b32_e32 v18, v20, v18
	;; [unrolled: 1-line block ×3, first 2 shown]
	v_mbcnt_lo_u32_b32 v20, v18, 0
	v_mbcnt_hi_u32_b32 v23, v19, v20
	v_cmp_eq_u32_e32 vcc, 0, v23
	v_cmp_ne_u64_e64 s[46:47], 0, v[18:19]
	v_mov_b32_e32 v102, v71
	v_mov_b32_e32 v103, v70
	;; [unrolled: 1-line block ×7, first 2 shown]
	v_pk_mov_b32 v[0:1], v[32:33], v[32:33] op_sel:[0,1]
	v_pk_mov_b32 v[48:49], v[30:31], v[30:31] op_sel:[0,1]
	;; [unrolled: 1-line block ×5, first 2 shown]
	s_and_b64 s[60:61], s[46:47], vcc
	ds_write2_b32 v89, v62, v62 offset0:8 offset1:9
	ds_write2_b32 v95, v62, v62 offset0:2 offset1:3
	s_waitcnt lgkmcnt(0)
	s_barrier
	s_waitcnt lgkmcnt(0)
	; wave barrier
	s_and_saveexec_b64 s[46:47], s[60:61]
	s_cbranch_execz .LBB200_34
; %bb.33:                               ;   in Loop: Header=BB200_32 Depth=1
	v_bcnt_u32_b32 v18, v18, 0
	v_bcnt_u32_b32 v18, v19, v18
	ds_write_b32 v22, v18
.LBB200_34:                             ;   in Loop: Header=BB200_32 Depth=1
	s_or_b64 exec, exec, s[46:47]
	v_cmp_ne_u32_e32 vcc, s58, v108
	v_cndmask_b32_e32 v18, v94, v108, vcc
	v_lshrrev_b32_e32 v18, s56, v18
	v_and_b32_e32 v18, s59, v18
	v_lshlrev_b32_e32 v19, 3, v18
	v_add_lshl_u32 v19, v19, v96, 2
	; wave barrier
	v_add_u32_e32 v25, 32, v19
	ds_read_b32 v24, v19 offset:32
	v_and_b32_e32 v19, 1, v18
	v_add_co_u32_e32 v20, vcc, -1, v19
	v_addc_co_u32_e64 v21, s[46:47], 0, -1, vcc
	v_cmp_ne_u32_e32 vcc, 0, v19
	v_lshlrev_b32_e32 v63, 30, v18
	v_xor_b32_e32 v19, vcc_hi, v21
	v_not_b32_e32 v21, v63
	v_xor_b32_e32 v20, vcc_lo, v20
	v_cmp_gt_i64_e32 vcc, 0, v[62:63]
	v_ashrrev_i32_e32 v21, 31, v21
	v_and_b32_e32 v20, exec_lo, v20
	v_xor_b32_e32 v26, vcc_hi, v21
	v_xor_b32_e32 v21, vcc_lo, v21
	v_lshlrev_b32_e32 v63, 29, v18
	v_and_b32_e32 v20, v20, v21
	v_not_b32_e32 v21, v63
	v_and_b32_e32 v19, exec_hi, v19
	v_cmp_gt_i64_e32 vcc, 0, v[62:63]
	v_ashrrev_i32_e32 v21, 31, v21
	v_and_b32_e32 v19, v19, v26
	v_xor_b32_e32 v26, vcc_hi, v21
	v_xor_b32_e32 v21, vcc_lo, v21
	v_lshlrev_b32_e32 v63, 28, v18
	v_and_b32_e32 v20, v20, v21
	v_not_b32_e32 v21, v63
	v_cmp_gt_i64_e32 vcc, 0, v[62:63]
	v_ashrrev_i32_e32 v21, 31, v21
	v_and_b32_e32 v19, v19, v26
	v_xor_b32_e32 v26, vcc_hi, v21
	v_xor_b32_e32 v21, vcc_lo, v21
	v_lshlrev_b32_e32 v63, 27, v18
	v_and_b32_e32 v20, v20, v21
	v_not_b32_e32 v21, v63
	;; [unrolled: 8-line block ×3, first 2 shown]
	v_cmp_gt_i64_e32 vcc, 0, v[62:63]
	v_ashrrev_i32_e32 v21, 31, v21
	v_and_b32_e32 v19, v19, v26
	v_xor_b32_e32 v26, vcc_hi, v21
	v_xor_b32_e32 v21, vcc_lo, v21
	v_lshlrev_b32_e32 v63, 25, v18
	v_and_b32_e32 v20, v20, v21
	v_cmp_gt_i64_e32 vcc, 0, v[62:63]
	v_not_b32_e32 v21, v63
	v_lshlrev_b32_e32 v63, 24, v18
	v_ashrrev_i32_e32 v21, 31, v21
	v_not_b32_e32 v18, v63
	v_and_b32_e32 v19, v19, v26
	v_xor_b32_e32 v26, vcc_hi, v21
	v_xor_b32_e32 v21, vcc_lo, v21
	v_cmp_gt_i64_e32 vcc, 0, v[62:63]
	v_ashrrev_i32_e32 v18, 31, v18
	v_and_b32_e32 v20, v20, v21
	v_xor_b32_e32 v21, vcc_hi, v18
	v_xor_b32_e32 v18, vcc_lo, v18
	v_and_b32_e32 v19, v19, v26
	v_and_b32_e32 v18, v20, v18
	;; [unrolled: 1-line block ×3, first 2 shown]
	v_mbcnt_lo_u32_b32 v20, v18, 0
	v_mbcnt_hi_u32_b32 v26, v19, v20
	v_cmp_eq_u32_e32 vcc, 0, v26
	v_cmp_ne_u64_e64 s[46:47], 0, v[18:19]
	s_and_b64 s[60:61], s[46:47], vcc
	; wave barrier
	s_and_saveexec_b64 s[46:47], s[60:61]
	s_cbranch_execz .LBB200_36
; %bb.35:                               ;   in Loop: Header=BB200_32 Depth=1
	v_bcnt_u32_b32 v18, v18, 0
	v_bcnt_u32_b32 v18, v19, v18
	s_waitcnt lgkmcnt(0)
	v_add_u32_e32 v18, v24, v18
	ds_write_b32 v25, v18
.LBB200_36:                             ;   in Loop: Header=BB200_32 Depth=1
	s_or_b64 exec, exec, s[46:47]
	v_cmp_ne_u32_e32 vcc, s58, v107
	v_cndmask_b32_e32 v18, v94, v107, vcc
	v_lshrrev_b32_e32 v18, s56, v18
	v_and_b32_e32 v18, s59, v18
	v_lshlrev_b32_e32 v19, 3, v18
	v_add_lshl_u32 v19, v19, v96, 2
	; wave barrier
	v_add_u32_e32 v28, 32, v19
	ds_read_b32 v27, v19 offset:32
	v_and_b32_e32 v19, 1, v18
	v_add_co_u32_e32 v20, vcc, -1, v19
	v_addc_co_u32_e64 v21, s[46:47], 0, -1, vcc
	v_cmp_ne_u32_e32 vcc, 0, v19
	v_lshlrev_b32_e32 v63, 30, v18
	v_xor_b32_e32 v19, vcc_hi, v21
	v_not_b32_e32 v21, v63
	v_xor_b32_e32 v20, vcc_lo, v20
	v_cmp_gt_i64_e32 vcc, 0, v[62:63]
	v_ashrrev_i32_e32 v21, 31, v21
	v_and_b32_e32 v20, exec_lo, v20
	v_xor_b32_e32 v29, vcc_hi, v21
	v_xor_b32_e32 v21, vcc_lo, v21
	v_lshlrev_b32_e32 v63, 29, v18
	v_and_b32_e32 v20, v20, v21
	v_not_b32_e32 v21, v63
	v_and_b32_e32 v19, exec_hi, v19
	v_cmp_gt_i64_e32 vcc, 0, v[62:63]
	v_ashrrev_i32_e32 v21, 31, v21
	v_and_b32_e32 v19, v19, v29
	v_xor_b32_e32 v29, vcc_hi, v21
	v_xor_b32_e32 v21, vcc_lo, v21
	v_lshlrev_b32_e32 v63, 28, v18
	v_and_b32_e32 v20, v20, v21
	v_not_b32_e32 v21, v63
	v_cmp_gt_i64_e32 vcc, 0, v[62:63]
	v_ashrrev_i32_e32 v21, 31, v21
	v_and_b32_e32 v19, v19, v29
	v_xor_b32_e32 v29, vcc_hi, v21
	v_xor_b32_e32 v21, vcc_lo, v21
	v_lshlrev_b32_e32 v63, 27, v18
	v_and_b32_e32 v20, v20, v21
	v_not_b32_e32 v21, v63
	;; [unrolled: 8-line block ×3, first 2 shown]
	v_cmp_gt_i64_e32 vcc, 0, v[62:63]
	v_ashrrev_i32_e32 v21, 31, v21
	v_and_b32_e32 v19, v19, v29
	v_xor_b32_e32 v29, vcc_hi, v21
	v_xor_b32_e32 v21, vcc_lo, v21
	v_lshlrev_b32_e32 v63, 25, v18
	v_and_b32_e32 v20, v20, v21
	v_cmp_gt_i64_e32 vcc, 0, v[62:63]
	v_not_b32_e32 v21, v63
	v_lshlrev_b32_e32 v63, 24, v18
	v_ashrrev_i32_e32 v21, 31, v21
	v_not_b32_e32 v18, v63
	v_and_b32_e32 v19, v19, v29
	v_xor_b32_e32 v29, vcc_hi, v21
	v_xor_b32_e32 v21, vcc_lo, v21
	v_cmp_gt_i64_e32 vcc, 0, v[62:63]
	v_ashrrev_i32_e32 v18, 31, v18
	v_and_b32_e32 v20, v20, v21
	v_xor_b32_e32 v21, vcc_hi, v18
	v_xor_b32_e32 v18, vcc_lo, v18
	v_and_b32_e32 v19, v19, v29
	v_and_b32_e32 v18, v20, v18
	;; [unrolled: 1-line block ×3, first 2 shown]
	v_mbcnt_lo_u32_b32 v20, v18, 0
	v_mbcnt_hi_u32_b32 v29, v19, v20
	v_cmp_eq_u32_e32 vcc, 0, v29
	v_cmp_ne_u64_e64 s[46:47], 0, v[18:19]
	s_and_b64 s[60:61], s[46:47], vcc
	; wave barrier
	s_and_saveexec_b64 s[46:47], s[60:61]
	s_cbranch_execz .LBB200_38
; %bb.37:                               ;   in Loop: Header=BB200_32 Depth=1
	v_bcnt_u32_b32 v18, v18, 0
	v_bcnt_u32_b32 v18, v19, v18
	s_waitcnt lgkmcnt(0)
	v_add_u32_e32 v18, v27, v18
	ds_write_b32 v28, v18
.LBB200_38:                             ;   in Loop: Header=BB200_32 Depth=1
	s_or_b64 exec, exec, s[46:47]
	v_cmp_ne_u32_e32 vcc, s58, v106
	v_cndmask_b32_e32 v18, v94, v106, vcc
	v_lshrrev_b32_e32 v18, s56, v18
	v_and_b32_e32 v18, s59, v18
	v_lshlrev_b32_e32 v19, 3, v18
	v_add_lshl_u32 v19, v19, v96, 2
	; wave barrier
	v_add_u32_e32 v31, 32, v19
	ds_read_b32 v30, v19 offset:32
	v_and_b32_e32 v19, 1, v18
	v_add_co_u32_e32 v20, vcc, -1, v19
	v_addc_co_u32_e64 v21, s[46:47], 0, -1, vcc
	v_cmp_ne_u32_e32 vcc, 0, v19
	v_lshlrev_b32_e32 v63, 30, v18
	v_xor_b32_e32 v19, vcc_hi, v21
	v_not_b32_e32 v21, v63
	v_xor_b32_e32 v20, vcc_lo, v20
	v_cmp_gt_i64_e32 vcc, 0, v[62:63]
	v_ashrrev_i32_e32 v21, 31, v21
	v_and_b32_e32 v20, exec_lo, v20
	v_xor_b32_e32 v32, vcc_hi, v21
	v_xor_b32_e32 v21, vcc_lo, v21
	v_lshlrev_b32_e32 v63, 29, v18
	v_and_b32_e32 v20, v20, v21
	v_not_b32_e32 v21, v63
	v_and_b32_e32 v19, exec_hi, v19
	v_cmp_gt_i64_e32 vcc, 0, v[62:63]
	v_ashrrev_i32_e32 v21, 31, v21
	v_and_b32_e32 v19, v19, v32
	v_xor_b32_e32 v32, vcc_hi, v21
	v_xor_b32_e32 v21, vcc_lo, v21
	v_lshlrev_b32_e32 v63, 28, v18
	v_and_b32_e32 v20, v20, v21
	v_not_b32_e32 v21, v63
	v_cmp_gt_i64_e32 vcc, 0, v[62:63]
	v_ashrrev_i32_e32 v21, 31, v21
	v_and_b32_e32 v19, v19, v32
	v_xor_b32_e32 v32, vcc_hi, v21
	v_xor_b32_e32 v21, vcc_lo, v21
	v_lshlrev_b32_e32 v63, 27, v18
	v_and_b32_e32 v20, v20, v21
	v_not_b32_e32 v21, v63
	;; [unrolled: 8-line block ×3, first 2 shown]
	v_cmp_gt_i64_e32 vcc, 0, v[62:63]
	v_ashrrev_i32_e32 v21, 31, v21
	v_and_b32_e32 v19, v19, v32
	v_xor_b32_e32 v32, vcc_hi, v21
	v_xor_b32_e32 v21, vcc_lo, v21
	v_lshlrev_b32_e32 v63, 25, v18
	v_and_b32_e32 v20, v20, v21
	v_cmp_gt_i64_e32 vcc, 0, v[62:63]
	v_not_b32_e32 v21, v63
	v_lshlrev_b32_e32 v63, 24, v18
	v_ashrrev_i32_e32 v21, 31, v21
	v_not_b32_e32 v18, v63
	v_and_b32_e32 v19, v19, v32
	v_xor_b32_e32 v32, vcc_hi, v21
	v_xor_b32_e32 v21, vcc_lo, v21
	v_cmp_gt_i64_e32 vcc, 0, v[62:63]
	v_ashrrev_i32_e32 v18, 31, v18
	v_and_b32_e32 v20, v20, v21
	v_xor_b32_e32 v21, vcc_hi, v18
	v_xor_b32_e32 v18, vcc_lo, v18
	v_and_b32_e32 v19, v19, v32
	v_and_b32_e32 v18, v20, v18
	;; [unrolled: 1-line block ×3, first 2 shown]
	v_mbcnt_lo_u32_b32 v20, v18, 0
	v_mbcnt_hi_u32_b32 v32, v19, v20
	v_cmp_eq_u32_e32 vcc, 0, v32
	v_cmp_ne_u64_e64 s[46:47], 0, v[18:19]
	s_and_b64 s[60:61], s[46:47], vcc
	; wave barrier
	s_and_saveexec_b64 s[46:47], s[60:61]
	s_cbranch_execz .LBB200_40
; %bb.39:                               ;   in Loop: Header=BB200_32 Depth=1
	v_bcnt_u32_b32 v18, v18, 0
	v_bcnt_u32_b32 v18, v19, v18
	s_waitcnt lgkmcnt(0)
	v_add_u32_e32 v18, v30, v18
	ds_write_b32 v31, v18
.LBB200_40:                             ;   in Loop: Header=BB200_32 Depth=1
	s_or_b64 exec, exec, s[46:47]
	v_cmp_ne_u32_e32 vcc, s58, v105
	v_cndmask_b32_e32 v18, v94, v105, vcc
	v_lshrrev_b32_e32 v18, s56, v18
	v_and_b32_e32 v18, s59, v18
	v_lshlrev_b32_e32 v19, 3, v18
	v_add_lshl_u32 v19, v19, v96, 2
	; wave barrier
	v_add_u32_e32 v64, 32, v19
	ds_read_b32 v33, v19 offset:32
	v_and_b32_e32 v19, 1, v18
	v_add_co_u32_e32 v20, vcc, -1, v19
	v_addc_co_u32_e64 v21, s[46:47], 0, -1, vcc
	v_cmp_ne_u32_e32 vcc, 0, v19
	v_lshlrev_b32_e32 v63, 30, v18
	v_xor_b32_e32 v19, vcc_hi, v21
	v_not_b32_e32 v21, v63
	v_xor_b32_e32 v20, vcc_lo, v20
	v_cmp_gt_i64_e32 vcc, 0, v[62:63]
	v_ashrrev_i32_e32 v21, 31, v21
	v_and_b32_e32 v19, exec_hi, v19
	v_xor_b32_e32 v63, vcc_hi, v21
	v_and_b32_e32 v20, exec_lo, v20
	v_xor_b32_e32 v21, vcc_lo, v21
	v_and_b32_e32 v19, v19, v63
	v_lshlrev_b32_e32 v63, 29, v18
	v_and_b32_e32 v20, v20, v21
	v_not_b32_e32 v21, v63
	v_cmp_gt_i64_e32 vcc, 0, v[62:63]
	v_ashrrev_i32_e32 v21, 31, v21
	v_xor_b32_e32 v63, vcc_hi, v21
	v_xor_b32_e32 v21, vcc_lo, v21
	v_and_b32_e32 v19, v19, v63
	v_lshlrev_b32_e32 v63, 28, v18
	v_and_b32_e32 v20, v20, v21
	v_not_b32_e32 v21, v63
	v_cmp_gt_i64_e32 vcc, 0, v[62:63]
	v_ashrrev_i32_e32 v21, 31, v21
	v_xor_b32_e32 v63, vcc_hi, v21
	;; [unrolled: 8-line block ×5, first 2 shown]
	v_and_b32_e32 v19, v19, v63
	v_lshlrev_b32_e32 v63, 24, v18
	v_not_b32_e32 v18, v63
	v_xor_b32_e32 v21, vcc_lo, v21
	v_cmp_gt_i64_e32 vcc, 0, v[62:63]
	v_ashrrev_i32_e32 v18, 31, v18
	v_and_b32_e32 v20, v20, v21
	v_xor_b32_e32 v21, vcc_hi, v18
	v_xor_b32_e32 v18, vcc_lo, v18
	v_and_b32_e32 v18, v20, v18
	v_and_b32_e32 v19, v19, v21
	v_mbcnt_lo_u32_b32 v20, v18, 0
	v_mbcnt_hi_u32_b32 v65, v19, v20
	v_cmp_eq_u32_e32 vcc, 0, v65
	v_cmp_ne_u64_e64 s[46:47], 0, v[18:19]
	s_and_b64 s[60:61], s[46:47], vcc
	; wave barrier
	s_and_saveexec_b64 s[46:47], s[60:61]
	s_cbranch_execz .LBB200_42
; %bb.41:                               ;   in Loop: Header=BB200_32 Depth=1
	v_bcnt_u32_b32 v18, v18, 0
	v_bcnt_u32_b32 v18, v19, v18
	s_waitcnt lgkmcnt(0)
	v_add_u32_e32 v18, v33, v18
	ds_write_b32 v64, v18
.LBB200_42:                             ;   in Loop: Header=BB200_32 Depth=1
	s_or_b64 exec, exec, s[46:47]
	v_cmp_ne_u32_e32 vcc, s58, v104
	v_cndmask_b32_e32 v18, v94, v104, vcc
	v_lshrrev_b32_e32 v18, s56, v18
	v_and_b32_e32 v18, s59, v18
	v_lshlrev_b32_e32 v19, 3, v18
	v_add_lshl_u32 v19, v19, v96, 2
	; wave barrier
	v_add_u32_e32 v67, 32, v19
	ds_read_b32 v66, v19 offset:32
	v_and_b32_e32 v19, 1, v18
	v_add_co_u32_e32 v20, vcc, -1, v19
	v_addc_co_u32_e64 v21, s[46:47], 0, -1, vcc
	v_cmp_ne_u32_e32 vcc, 0, v19
	v_lshlrev_b32_e32 v63, 30, v18
	v_xor_b32_e32 v19, vcc_hi, v21
	v_not_b32_e32 v21, v63
	v_xor_b32_e32 v20, vcc_lo, v20
	v_cmp_gt_i64_e32 vcc, 0, v[62:63]
	v_ashrrev_i32_e32 v21, 31, v21
	v_and_b32_e32 v19, exec_hi, v19
	v_xor_b32_e32 v63, vcc_hi, v21
	v_and_b32_e32 v20, exec_lo, v20
	v_xor_b32_e32 v21, vcc_lo, v21
	v_and_b32_e32 v19, v19, v63
	v_lshlrev_b32_e32 v63, 29, v18
	v_and_b32_e32 v20, v20, v21
	v_not_b32_e32 v21, v63
	v_cmp_gt_i64_e32 vcc, 0, v[62:63]
	v_ashrrev_i32_e32 v21, 31, v21
	v_xor_b32_e32 v63, vcc_hi, v21
	v_xor_b32_e32 v21, vcc_lo, v21
	v_and_b32_e32 v19, v19, v63
	v_lshlrev_b32_e32 v63, 28, v18
	v_and_b32_e32 v20, v20, v21
	v_not_b32_e32 v21, v63
	v_cmp_gt_i64_e32 vcc, 0, v[62:63]
	v_ashrrev_i32_e32 v21, 31, v21
	v_xor_b32_e32 v63, vcc_hi, v21
	v_xor_b32_e32 v21, vcc_lo, v21
	v_and_b32_e32 v19, v19, v63
	v_lshlrev_b32_e32 v63, 27, v18
	v_and_b32_e32 v20, v20, v21
	v_not_b32_e32 v21, v63
	v_cmp_gt_i64_e32 vcc, 0, v[62:63]
	v_ashrrev_i32_e32 v21, 31, v21
	v_xor_b32_e32 v63, vcc_hi, v21
	v_xor_b32_e32 v21, vcc_lo, v21
	v_and_b32_e32 v19, v19, v63
	v_lshlrev_b32_e32 v63, 26, v18
	v_and_b32_e32 v20, v20, v21
	v_not_b32_e32 v21, v63
	v_cmp_gt_i64_e32 vcc, 0, v[62:63]
	v_ashrrev_i32_e32 v21, 31, v21
	v_xor_b32_e32 v63, vcc_hi, v21
	v_xor_b32_e32 v21, vcc_lo, v21
	v_and_b32_e32 v19, v19, v63
	v_lshlrev_b32_e32 v63, 25, v18
	v_and_b32_e32 v20, v20, v21
	v_not_b32_e32 v21, v63
	v_cmp_gt_i64_e32 vcc, 0, v[62:63]
	v_ashrrev_i32_e32 v21, 31, v21
	v_xor_b32_e32 v63, vcc_hi, v21
	v_and_b32_e32 v19, v19, v63
	v_lshlrev_b32_e32 v63, 24, v18
	v_not_b32_e32 v18, v63
	v_xor_b32_e32 v21, vcc_lo, v21
	v_cmp_gt_i64_e32 vcc, 0, v[62:63]
	v_ashrrev_i32_e32 v18, 31, v18
	v_and_b32_e32 v20, v20, v21
	v_xor_b32_e32 v21, vcc_hi, v18
	v_xor_b32_e32 v18, vcc_lo, v18
	v_and_b32_e32 v18, v20, v18
	v_and_b32_e32 v19, v19, v21
	v_mbcnt_lo_u32_b32 v20, v18, 0
	v_mbcnt_hi_u32_b32 v68, v19, v20
	v_cmp_eq_u32_e32 vcc, 0, v68
	v_cmp_ne_u64_e64 s[46:47], 0, v[18:19]
	s_and_b64 s[60:61], s[46:47], vcc
	; wave barrier
	s_and_saveexec_b64 s[46:47], s[60:61]
	s_cbranch_execz .LBB200_44
; %bb.43:                               ;   in Loop: Header=BB200_32 Depth=1
	v_bcnt_u32_b32 v18, v18, 0
	v_bcnt_u32_b32 v18, v19, v18
	s_waitcnt lgkmcnt(0)
	v_add_u32_e32 v18, v66, v18
	ds_write_b32 v67, v18
.LBB200_44:                             ;   in Loop: Header=BB200_32 Depth=1
	s_or_b64 exec, exec, s[46:47]
	v_cmp_ne_u32_e32 vcc, s58, v103
	v_cndmask_b32_e32 v18, v94, v103, vcc
	v_lshrrev_b32_e32 v18, s56, v18
	v_and_b32_e32 v18, s59, v18
	v_lshlrev_b32_e32 v19, 3, v18
	v_add_lshl_u32 v19, v19, v96, 2
	; wave barrier
	v_add_u32_e32 v70, 32, v19
	ds_read_b32 v69, v19 offset:32
	v_and_b32_e32 v19, 1, v18
	v_add_co_u32_e32 v20, vcc, -1, v19
	v_addc_co_u32_e64 v21, s[46:47], 0, -1, vcc
	v_cmp_ne_u32_e32 vcc, 0, v19
	v_lshlrev_b32_e32 v63, 30, v18
	v_xor_b32_e32 v19, vcc_hi, v21
	v_not_b32_e32 v21, v63
	v_xor_b32_e32 v20, vcc_lo, v20
	v_cmp_gt_i64_e32 vcc, 0, v[62:63]
	v_ashrrev_i32_e32 v21, 31, v21
	v_and_b32_e32 v19, exec_hi, v19
	v_xor_b32_e32 v63, vcc_hi, v21
	v_and_b32_e32 v20, exec_lo, v20
	v_xor_b32_e32 v21, vcc_lo, v21
	v_and_b32_e32 v19, v19, v63
	v_lshlrev_b32_e32 v63, 29, v18
	v_and_b32_e32 v20, v20, v21
	v_not_b32_e32 v21, v63
	v_cmp_gt_i64_e32 vcc, 0, v[62:63]
	v_ashrrev_i32_e32 v21, 31, v21
	v_xor_b32_e32 v63, vcc_hi, v21
	v_xor_b32_e32 v21, vcc_lo, v21
	v_and_b32_e32 v19, v19, v63
	v_lshlrev_b32_e32 v63, 28, v18
	v_and_b32_e32 v20, v20, v21
	v_not_b32_e32 v21, v63
	v_cmp_gt_i64_e32 vcc, 0, v[62:63]
	v_ashrrev_i32_e32 v21, 31, v21
	v_xor_b32_e32 v63, vcc_hi, v21
	;; [unrolled: 8-line block ×5, first 2 shown]
	v_and_b32_e32 v19, v19, v63
	v_lshlrev_b32_e32 v63, 24, v18
	v_not_b32_e32 v18, v63
	v_xor_b32_e32 v21, vcc_lo, v21
	v_cmp_gt_i64_e32 vcc, 0, v[62:63]
	v_ashrrev_i32_e32 v18, 31, v18
	v_and_b32_e32 v20, v20, v21
	v_xor_b32_e32 v21, vcc_hi, v18
	v_xor_b32_e32 v18, vcc_lo, v18
	v_and_b32_e32 v18, v20, v18
	v_and_b32_e32 v19, v19, v21
	v_mbcnt_lo_u32_b32 v20, v18, 0
	v_mbcnt_hi_u32_b32 v71, v19, v20
	v_cmp_eq_u32_e32 vcc, 0, v71
	v_cmp_ne_u64_e64 s[46:47], 0, v[18:19]
	s_and_b64 s[60:61], s[46:47], vcc
	; wave barrier
	s_and_saveexec_b64 s[46:47], s[60:61]
	s_cbranch_execz .LBB200_46
; %bb.45:                               ;   in Loop: Header=BB200_32 Depth=1
	v_bcnt_u32_b32 v18, v18, 0
	v_bcnt_u32_b32 v18, v19, v18
	s_waitcnt lgkmcnt(0)
	v_add_u32_e32 v18, v69, v18
	ds_write_b32 v70, v18
.LBB200_46:                             ;   in Loop: Header=BB200_32 Depth=1
	s_or_b64 exec, exec, s[46:47]
	v_cmp_ne_u32_e32 vcc, s58, v102
	v_cndmask_b32_e32 v18, v94, v102, vcc
	v_lshrrev_b32_e32 v18, s56, v18
	v_and_b32_e32 v18, s59, v18
	v_lshlrev_b32_e32 v19, 3, v18
	v_add_lshl_u32 v19, v19, v96, 2
	; wave barrier
	v_add_u32_e32 v111, 32, v19
	ds_read_b32 v110, v19 offset:32
	v_and_b32_e32 v19, 1, v18
	v_add_co_u32_e32 v20, vcc, -1, v19
	v_addc_co_u32_e64 v21, s[46:47], 0, -1, vcc
	v_cmp_ne_u32_e32 vcc, 0, v19
	v_lshlrev_b32_e32 v63, 30, v18
	v_xor_b32_e32 v19, vcc_hi, v21
	v_not_b32_e32 v21, v63
	v_xor_b32_e32 v20, vcc_lo, v20
	v_cmp_gt_i64_e32 vcc, 0, v[62:63]
	v_ashrrev_i32_e32 v21, 31, v21
	v_and_b32_e32 v19, exec_hi, v19
	v_xor_b32_e32 v63, vcc_hi, v21
	v_and_b32_e32 v20, exec_lo, v20
	v_xor_b32_e32 v21, vcc_lo, v21
	v_and_b32_e32 v19, v19, v63
	v_lshlrev_b32_e32 v63, 29, v18
	v_and_b32_e32 v20, v20, v21
	v_not_b32_e32 v21, v63
	v_cmp_gt_i64_e32 vcc, 0, v[62:63]
	v_ashrrev_i32_e32 v21, 31, v21
	v_xor_b32_e32 v63, vcc_hi, v21
	v_xor_b32_e32 v21, vcc_lo, v21
	v_and_b32_e32 v19, v19, v63
	v_lshlrev_b32_e32 v63, 28, v18
	v_and_b32_e32 v20, v20, v21
	v_not_b32_e32 v21, v63
	v_cmp_gt_i64_e32 vcc, 0, v[62:63]
	v_ashrrev_i32_e32 v21, 31, v21
	v_xor_b32_e32 v63, vcc_hi, v21
	;; [unrolled: 8-line block ×5, first 2 shown]
	v_and_b32_e32 v19, v19, v63
	v_lshlrev_b32_e32 v63, 24, v18
	v_not_b32_e32 v18, v63
	v_xor_b32_e32 v21, vcc_lo, v21
	v_cmp_gt_i64_e32 vcc, 0, v[62:63]
	v_ashrrev_i32_e32 v18, 31, v18
	v_and_b32_e32 v20, v20, v21
	v_xor_b32_e32 v21, vcc_hi, v18
	v_xor_b32_e32 v18, vcc_lo, v18
	v_and_b32_e32 v18, v20, v18
	v_and_b32_e32 v19, v19, v21
	v_mbcnt_lo_u32_b32 v20, v18, 0
	v_mbcnt_hi_u32_b32 v117, v19, v20
	v_cmp_eq_u32_e32 vcc, 0, v117
	v_cmp_ne_u64_e64 s[46:47], 0, v[18:19]
	s_and_b64 s[60:61], s[46:47], vcc
	; wave barrier
	s_and_saveexec_b64 s[46:47], s[60:61]
	s_cbranch_execz .LBB200_48
; %bb.47:                               ;   in Loop: Header=BB200_32 Depth=1
	v_bcnt_u32_b32 v18, v18, 0
	v_bcnt_u32_b32 v18, v19, v18
	s_waitcnt lgkmcnt(0)
	v_add_u32_e32 v18, v110, v18
	ds_write_b32 v111, v18
.LBB200_48:                             ;   in Loop: Header=BB200_32 Depth=1
	s_or_b64 exec, exec, s[46:47]
	; wave barrier
	s_waitcnt lgkmcnt(0)
	s_barrier
	ds_read2_b32 v[20:21], v89 offset0:8 offset1:9
	ds_read2_b32 v[18:19], v95 offset0:2 offset1:3
	s_waitcnt lgkmcnt(1)
	v_add_u32_e32 v63, v21, v20
	s_waitcnt lgkmcnt(0)
	v_add3_u32 v19, v63, v18, v19
	s_nop 1
	v_mov_b32_dpp v63, v19 row_shr:1 row_mask:0xf bank_mask:0xf
	v_cndmask_b32_e64 v63, v63, 0, s[22:23]
	v_add_u32_e32 v19, v63, v19
	s_nop 1
	v_mov_b32_dpp v63, v19 row_shr:2 row_mask:0xf bank_mask:0xf
	v_cndmask_b32_e64 v63, 0, v63, s[24:25]
	v_add_u32_e32 v19, v19, v63
	;; [unrolled: 4-line block ×4, first 2 shown]
	s_nop 1
	v_mov_b32_dpp v63, v19 row_bcast:15 row_mask:0xf bank_mask:0xf
	v_cndmask_b32_e64 v63, v63, 0, s[30:31]
	v_add_u32_e32 v19, v19, v63
	s_nop 1
	v_mov_b32_dpp v63, v19 row_bcast:31 row_mask:0xf bank_mask:0xf
	v_cndmask_b32_e64 v63, 0, v63, s[34:35]
	v_add_u32_e32 v19, v19, v63
	s_and_saveexec_b64 s[46:47], s[36:37]
	s_cbranch_execz .LBB200_50
; %bb.49:                               ;   in Loop: Header=BB200_32 Depth=1
	ds_write_b32 v98, v19
.LBB200_50:                             ;   in Loop: Header=BB200_32 Depth=1
	s_or_b64 exec, exec, s[46:47]
	s_waitcnt lgkmcnt(0)
	s_barrier
	s_and_saveexec_b64 s[46:47], s[16:17]
	s_cbranch_execz .LBB200_52
; %bb.51:                               ;   in Loop: Header=BB200_32 Depth=1
	ds_read_b32 v63, v88
	s_waitcnt lgkmcnt(0)
	s_nop 0
	v_mov_b32_dpp v112, v63 row_shr:1 row_mask:0xf bank_mask:0xf
	v_cndmask_b32_e64 v112, v112, 0, s[40:41]
	v_add_u32_e32 v63, v112, v63
	s_nop 1
	v_mov_b32_dpp v112, v63 row_shr:2 row_mask:0xf bank_mask:0xf
	v_cndmask_b32_e64 v112, 0, v112, s[42:43]
	v_add_u32_e32 v63, v63, v112
	;; [unrolled: 4-line block ×3, first 2 shown]
	ds_write_b32 v88, v63
.LBB200_52:                             ;   in Loop: Header=BB200_32 Depth=1
	s_or_b64 exec, exec, s[46:47]
	v_mov_b32_e32 v63, 0
	s_waitcnt lgkmcnt(0)
	s_barrier
	s_and_saveexec_b64 s[46:47], s[18:19]
	s_cbranch_execz .LBB200_54
; %bb.53:                               ;   in Loop: Header=BB200_32 Depth=1
	ds_read_b32 v63, v99
.LBB200_54:                             ;   in Loop: Header=BB200_32 Depth=1
	s_or_b64 exec, exec, s[46:47]
	s_waitcnt lgkmcnt(0)
	v_add_u32_e32 v19, v63, v19
	ds_bpermute_b32 v19, v97, v19
	s_cmp_gt_u32 s56, 23
	s_waitcnt lgkmcnt(0)
	v_cndmask_b32_e64 v19, v19, v63, s[38:39]
	v_cndmask_b32_e64 v19, v19, 0, s[20:21]
	v_add_u32_e32 v20, v19, v20
	v_add_u32_e32 v21, v20, v21
	;; [unrolled: 1-line block ×3, first 2 shown]
	ds_write2_b32 v89, v19, v20 offset0:8 offset1:9
	ds_write2_b32 v95, v21, v18 offset0:2 offset1:3
	s_waitcnt lgkmcnt(0)
	s_barrier
	ds_read_b32 v18, v22
	ds_read_b32 v19, v25
	ds_read_b32 v20, v28
	ds_read_b32 v21, v31
	ds_read_b32 v22, v64
	ds_read_b32 v25, v67
	ds_read_b32 v28, v70
	ds_read_b32 v31, v111
	s_waitcnt lgkmcnt(7)
	v_add_u32_e32 v63, v18, v23
	s_waitcnt lgkmcnt(6)
	v_add3_u32 v111, v26, v24, v19
	s_waitcnt lgkmcnt(5)
	v_add3_u32 v112, v29, v27, v20
	;; [unrolled: 2-line block ×7, first 2 shown]
	s_cbranch_scc0 .LBB200_31
; %bb.55:
                                        ; implicit-def: $vgpr71
                                        ; implicit-def: $vgpr69
                                        ; implicit-def: $vgpr67
                                        ; implicit-def: $vgpr65
                                        ; implicit-def: $vgpr32_vgpr33
                                        ; implicit-def: $vgpr28_vgpr29
                                        ; implicit-def: $vgpr24_vgpr25
                                        ; implicit-def: $vgpr20_vgpr21
                                        ; implicit-def: $sgpr56
                                        ; implicit-def: $sgpr57
.LBB200_56:
	v_lshlrev_b32_e32 v18, 2, v63
	s_barrier
	ds_write_b32 v18, v109
	v_lshlrev_b32_e32 v18, 2, v111
	ds_write_b32 v18, v108
	v_lshlrev_b32_e32 v18, 2, v112
	ds_write_b32 v18, v107
	v_lshlrev_b32_e32 v18, 2, v113
	ds_write_b32 v18, v106
	v_lshlrev_b32_e32 v18, 2, v114
	ds_write_b32 v18, v105
	v_lshlrev_b32_e32 v18, 2, v115
	ds_write_b32 v18, v104
	v_lshlrev_b32_e32 v18, 2, v116
	ds_write_b32 v18, v103
	v_lshlrev_b32_e32 v18, 2, v110
	v_lshlrev_b32_e32 v24, 2, v87
	ds_write_b32 v18, v102
	s_waitcnt lgkmcnt(0)
	s_barrier
	ds_read2_b32 v[18:19], v24 offset1:1
	ds_read2_b32 v[20:21], v24 offset0:2 offset1:3
	ds_read2_b32 v[22:23], v24 offset0:4 offset1:5
	;; [unrolled: 1-line block ×3, first 2 shown]
	v_bfrev_b32_e32 v70, 1
	v_lshlrev_b32_e32 v25, 3, v63
	v_lshlrev_b32_e32 v26, 3, v111
	s_waitcnt lgkmcnt(3)
	v_cmp_lt_i32_e32 vcc, -1, v19
	v_cndmask_b32_e64 v24, v70, -1, vcc
	v_cmp_lt_i32_e32 vcc, -1, v18
	v_cndmask_b32_e64 v62, v70, -1, vcc
	s_waitcnt lgkmcnt(2)
	v_cmp_lt_i32_e32 vcc, -1, v21
	v_xor_b32_e32 v62, v62, v18
	v_cndmask_b32_e64 v18, v70, -1, vcc
	v_cmp_lt_i32_e32 vcc, -1, v20
	v_xor_b32_e32 v63, v24, v19
	v_cndmask_b32_e64 v19, v70, -1, vcc
	s_waitcnt lgkmcnt(1)
	v_cmp_lt_i32_e32 vcc, -1, v23
	v_xor_b32_e32 v65, v18, v21
	v_cndmask_b32_e64 v18, v70, -1, vcc
	v_cmp_lt_i32_e32 vcc, -1, v22
	v_lshlrev_b32_e32 v27, 3, v112
	v_lshlrev_b32_e32 v28, 3, v113
	;; [unrolled: 1-line block ×7, first 2 shown]
	v_xor_b32_e32 v64, v19, v20
	v_cndmask_b32_e64 v19, v70, -1, vcc
	v_xor_b32_e32 v66, v19, v22
	v_xor_b32_e32 v67, v18, v23
	s_waitcnt lgkmcnt(0)
	s_barrier
	ds_write_b64 v25, v[60:61]
	ds_write_b64 v26, v[58:59]
	ds_write_b64 v27, v[56:57]
	ds_write_b64 v28, v[54:55]
	ds_write_b64 v29, v[52:53]
	ds_write_b64 v30, v[50:51]
	ds_write_b64 v31, v[48:49]
	ds_write_b64 v32, v[0:1]
	s_waitcnt lgkmcnt(0)
	s_barrier
	ds_read2_b64 v[18:21], v33 offset1:1
	ds_read2_b64 v[22:25], v33 offset0:2 offset1:3
	ds_read2_b64 v[26:29], v33 offset0:4 offset1:5
	;; [unrolled: 1-line block ×3, first 2 shown]
	v_cmp_lt_i32_e32 vcc, -1, v69
	v_cndmask_b32_e64 v1, v70, -1, vcc
	v_cmp_lt_i32_e32 vcc, -1, v68
	v_cndmask_b32_e64 v0, v70, -1, vcc
	v_xor_b32_e32 v0, v0, v68
	v_xor_b32_e32 v1, v1, v69
	s_branch .LBB200_92
.LBB200_57:
	v_mov_b32_e32 v37, 0
	v_lshlrev_b64 v[2:3], 3, v[36:37]
	v_mov_b32_e32 v4, s51
	v_add_co_u32_e32 v2, vcc, s49, v2
	v_addc_co_u32_e32 v3, vcc, v4, v3, vcc
	global_load_dwordx2 v[2:3], v[2:3], off
	v_mov_b32_e32 v4, v37
	v_mov_b32_e32 v5, v37
	;; [unrolled: 1-line block ×14, first 2 shown]
	s_or_b64 exec, exec, s[16:17]
	s_and_saveexec_b64 s[16:17], s[2:3]
	s_cbranch_execz .LBB200_22
.LBB200_58:
	v_mul_lo_u32 v4, v30, s52
	v_mov_b32_e32 v5, 0
	v_lshlrev_b64 v[4:5], 3, v[4:5]
	v_mov_b32_e32 v30, s51
	v_add_co_u32_e32 v4, vcc, s49, v4
	v_addc_co_u32_e32 v5, vcc, v30, v5, vcc
	global_load_dwordx2 v[4:5], v[4:5], off
	s_or_b64 exec, exec, s[16:17]
	s_and_saveexec_b64 s[16:17], s[4:5]
	s_cbranch_execz .LBB200_23
.LBB200_59:
	v_mul_lo_u32 v6, v28, s52
	v_mov_b32_e32 v7, 0
	v_lshlrev_b64 v[6:7], 3, v[6:7]
	v_mov_b32_e32 v28, s51
	v_add_co_u32_e32 v6, vcc, s49, v6
	v_addc_co_u32_e32 v7, vcc, v28, v7, vcc
	global_load_dwordx2 v[6:7], v[6:7], off
	s_or_b64 exec, exec, s[16:17]
	s_and_saveexec_b64 s[16:17], s[6:7]
	s_cbranch_execz .LBB200_24
.LBB200_60:
	v_mul_lo_u32 v8, v26, s52
	v_mov_b32_e32 v9, 0
	v_lshlrev_b64 v[8:9], 3, v[8:9]
	v_mov_b32_e32 v26, s51
	v_add_co_u32_e32 v8, vcc, s49, v8
	v_addc_co_u32_e32 v9, vcc, v26, v9, vcc
	global_load_dwordx2 v[8:9], v[8:9], off
	s_or_b64 exec, exec, s[16:17]
	s_and_saveexec_b64 s[16:17], s[8:9]
	s_cbranch_execz .LBB200_25
.LBB200_61:
	v_mul_lo_u32 v10, v24, s52
	v_mov_b32_e32 v11, 0
	v_lshlrev_b64 v[10:11], 3, v[10:11]
	v_mov_b32_e32 v24, s51
	v_add_co_u32_e32 v10, vcc, s49, v10
	v_addc_co_u32_e32 v11, vcc, v24, v11, vcc
	global_load_dwordx2 v[10:11], v[10:11], off
	s_or_b64 exec, exec, s[16:17]
	s_and_saveexec_b64 s[16:17], s[10:11]
	s_cbranch_execz .LBB200_26
.LBB200_62:
	v_mul_lo_u32 v12, v21, s52
	v_mov_b32_e32 v13, 0
	v_lshlrev_b64 v[12:13], 3, v[12:13]
	v_mov_b32_e32 v21, s51
	v_add_co_u32_e32 v12, vcc, s49, v12
	v_addc_co_u32_e32 v13, vcc, v21, v13, vcc
	global_load_dwordx2 v[12:13], v[12:13], off
	s_or_b64 exec, exec, s[16:17]
	s_and_saveexec_b64 s[16:17], s[12:13]
	s_cbranch_execz .LBB200_27
.LBB200_63:
	v_mul_lo_u32 v14, v19, s52
	v_mov_b32_e32 v15, 0
	v_lshlrev_b64 v[14:15], 3, v[14:15]
	v_mov_b32_e32 v19, s51
	v_add_co_u32_e32 v14, vcc, s49, v14
	v_addc_co_u32_e32 v15, vcc, v19, v15, vcc
	global_load_dwordx2 v[14:15], v[14:15], off
	s_or_b64 exec, exec, s[16:17]
	s_xor_b64 s[16:17], s[34:35], -1
	s_and_saveexec_b64 s[18:19], s[14:15]
	s_cbranch_execnz .LBB200_28
	s_branch .LBB200_29
.LBB200_64:
                                        ; implicit-def: $vgpr1
                                        ; implicit-def: $vgpr0
                                        ; implicit-def: $vgpr67
                                        ; implicit-def: $vgpr66
                                        ; implicit-def: $vgpr65
                                        ; implicit-def: $vgpr64
                                        ; implicit-def: $vgpr63
                                        ; implicit-def: $vgpr62
                                        ; implicit-def: $vgpr32_vgpr33
                                        ; implicit-def: $vgpr28_vgpr29
                                        ; implicit-def: $vgpr24_vgpr25
                                        ; implicit-def: $vgpr20_vgpr21
	s_cbranch_execz .LBB200_92
; %bb.65:
	v_bfrev_b32_e32 v48, -2
	v_cmp_gt_i32_e32 vcc, 0, v46
	s_waitcnt lgkmcnt(3)
	v_mbcnt_hi_u32_b32 v18, -1, v93
	v_and_b32_e32 v19, 0x3c0, v38
	v_cndmask_b32_e64 v20, v48, 0, vcc
	v_cmp_gt_i32_e32 vcc, 0, v47
	v_add_u32_e32 v0, v18, v19
	v_cndmask_b32_e64 v21, v48, 0, vcc
	v_lshlrev_b32_e32 v1, 5, v0
	v_xor_b32_e32 v21, v21, v47
	v_xor_b32_e32 v20, v20, v46
	v_cmp_gt_i32_e32 vcc, 0, v44
	ds_write2_b32 v1, v20, v21 offset1:1
	v_cndmask_b32_e64 v20, v48, 0, vcc
	v_cmp_gt_i32_e32 vcc, 0, v45
	v_cndmask_b32_e64 v21, v48, 0, vcc
	v_xor_b32_e32 v21, v21, v45
	v_xor_b32_e32 v20, v20, v44
	v_cmp_gt_i32_e32 vcc, 0, v42
	ds_write2_b32 v1, v20, v21 offset0:2 offset1:3
	v_cndmask_b32_e64 v20, v48, 0, vcc
	v_cmp_gt_i32_e32 vcc, 0, v43
	v_cndmask_b32_e64 v21, v48, 0, vcc
	v_xor_b32_e32 v21, v21, v43
	v_xor_b32_e32 v20, v20, v42
	v_cmp_gt_i32_e32 vcc, 0, v40
	ds_write2_b32 v1, v20, v21 offset0:4 offset1:5
	v_cndmask_b32_e64 v20, v48, 0, vcc
	v_cmp_gt_i32_e32 vcc, 0, v41
	v_cndmask_b32_e64 v21, v48, 0, vcc
	v_xor_b32_e32 v21, v21, v41
	v_xor_b32_e32 v20, v20, v40
	ds_write2_b32 v1, v20, v21 offset0:6 offset1:7
	v_and_b32_e32 v20, 0x1e00, v87
	v_or_b32_e32 v1, v18, v20
	v_lshlrev_b32_e32 v21, 2, v1
	v_lshlrev_b32_e32 v0, 6, v0
	; wave barrier
	ds_read2st64_b32 v[40:41], v21 offset1:1
	ds_read2st64_b32 v[42:43], v21 offset0:2 offset1:3
	ds_read2st64_b32 v[44:45], v21 offset0:4 offset1:5
	;; [unrolled: 1-line block ×3, first 2 shown]
	s_waitcnt lgkmcnt(0)
	s_barrier
	ds_write2_b64 v0, v[14:15], v[16:17] offset1:1
	ds_write2_b64 v0, v[10:11], v[12:13] offset0:2 offset1:3
	ds_write2_b64 v0, v[6:7], v[8:9] offset0:4 offset1:5
	;; [unrolled: 1-line block ×3, first 2 shown]
	v_lshlrev_b32_e32 v12, 3, v1
	; wave barrier
	ds_read2st64_b64 v[0:3], v12 offset1:1
	ds_read2st64_b64 v[4:7], v12 offset0:2 offset1:3
	ds_read2st64_b64 v[8:11], v12 offset0:4 offset1:5
	;; [unrolled: 1-line block ×3, first 2 shown]
	s_waitcnt lgkmcnt(0)
	s_barrier
	s_load_dword s18, s[54:55], 0xc
	s_getpc_b64 s[16:17]
	s_add_u32 s16, s16, _ZN7rocprim17ROCPRIM_400000_NS16block_radix_sortIfLj512ELj8ElLj1ELj1ELj0ELNS0_26block_radix_rank_algorithmE1ELNS0_18block_padding_hintE2ELNS0_4arch9wavefront6targetE1EE19radix_bits_per_passE@rel32@lo+4
	s_addc_u32 s17, s17, _ZN7rocprim17ROCPRIM_400000_NS16block_radix_sortIfLj512ELj8ElLj1ELj1ELj0ELNS0_26block_radix_rank_algorithmE1ELNS0_18block_padding_hintE2ELNS0_4arch9wavefront6targetE1EE19radix_bits_per_passE@rel32@hi+12
	s_load_dword s53, s[16:17], 0x0
	v_cmp_gt_u32_e64 s[30:31], 8, v38
	v_cmp_lt_u32_e64 s[34:35], 63, v38
	s_waitcnt lgkmcnt(0)
	s_lshr_b32 s16, s18, 16
	s_and_b32 s17, s18, 0xffff
	v_mad_u32_u24 v16, v92, s16, v91
	v_mad_u64_u32 v[16:17], s[16:17], v16, s17, v[38:39]
	v_lshrrev_b32_e32 v50, 6, v16
	v_and_b32_e32 v16, 15, v18
	v_cmp_eq_u32_e64 s[16:17], 0, v16
	v_cmp_lt_u32_e64 s[18:19], 1, v16
	v_cmp_lt_u32_e64 s[20:21], 3, v16
	v_cmp_lt_u32_e64 s[22:23], 7, v16
	v_and_b32_e32 v16, 16, v18
	v_cmp_eq_u32_e64 s[24:25], 0, v16
	v_min_u32_e32 v16, 0x1c0, v19
	v_or_b32_e32 v16, 63, v16
	v_cmp_eq_u32_e64 s[28:29], v16, v38
	v_add_u32_e32 v16, -1, v18
	v_and_b32_e32 v17, 64, v18
	v_cmp_lt_i32_e32 vcc, v16, v17
	v_cndmask_b32_e32 v16, v16, v18, vcc
	v_lshlrev_b32_e32 v51, 2, v16
	v_and_b32_e32 v16, 7, v18
	v_cmp_eq_u32_e64 s[38:39], 0, v38
	v_and_b32_e32 v38, 60, v90
	v_cmp_eq_u32_e64 s[40:41], 0, v16
	v_cmp_lt_u32_e64 s[42:43], 1, v16
	v_cmp_lt_u32_e64 s[44:45], 3, v16
	v_and_or_b32 v16, v18, 63, v20
	s_mov_b32 s54, 0
	s_mov_b32 s55, 32
	v_add_u32_e32 v49, 32, v89
	v_cmp_lt_u32_e64 s[26:27], 31, v18
	v_cmp_eq_u32_e64 s[36:37], 0, v18
	v_add_u32_e32 v52, -4, v38
	v_lshlrev_b32_e32 v53, 2, v16
	v_lshlrev_b32_e32 v54, 3, v16
	v_mov_b32_e32 v32, 0
	s_brev_b32 s56, 1
	s_branch .LBB200_67
.LBB200_66:                             ;   in Loop: Header=BB200_67 Depth=1
	v_lshlrev_b32_e32 v0, 2, v33
	s_barrier
	ds_write_b32 v0, v62
	v_lshlrev_b32_e32 v0, 2, v64
	ds_write_b32 v0, v61
	v_lshlrev_b32_e32 v0, 2, v65
	;; [unrolled: 2-line block ×8, first 2 shown]
	s_waitcnt lgkmcnt(0)
	s_barrier
	ds_read2st64_b32 v[40:41], v53 offset1:1
	ds_read2st64_b32 v[42:43], v53 offset0:2 offset1:3
	ds_read2st64_b32 v[44:45], v53 offset0:4 offset1:5
	ds_read2st64_b32 v[46:47], v53 offset0:6 offset1:7
	s_waitcnt lgkmcnt(0)
	s_barrier
	ds_write_b64 v0, v[30:31]
	v_lshlrev_b32_e32 v0, 3, v64
	ds_write_b64 v0, v[28:29]
	v_lshlrev_b32_e32 v0, 3, v65
	;; [unrolled: 2-line block ×7, first 2 shown]
	ds_write_b64 v0, v[16:17]
	s_waitcnt lgkmcnt(0)
	s_barrier
	ds_read2st64_b64 v[0:3], v54 offset1:1
	ds_read2st64_b64 v[4:7], v54 offset0:2 offset1:3
	ds_read2st64_b64 v[8:11], v54 offset0:4 offset1:5
	;; [unrolled: 1-line block ×3, first 2 shown]
	s_add_i32 s54, s54, 8
	s_add_i32 s55, s55, -8
	s_waitcnt lgkmcnt(0)
	s_barrier
	s_cbranch_execz .LBB200_91
.LBB200_67:                             ; =>This Inner Loop Header: Depth=1
	v_mov_b32_e32 v62, v40
	s_min_u32 s46, s53, s55
	v_cmp_ne_u32_e32 vcc, s56, v62
	v_pk_mov_b32 v[30:31], v[0:1], v[0:1] op_sel:[0,1]
	s_lshl_b32 s46, -1, s46
	v_cndmask_b32_e32 v0, v48, v62, vcc
	s_not_b32 s57, s46
	v_lshrrev_b32_e32 v0, s54, v0
	v_and_b32_e32 v0, s57, v0
	v_lshl_add_u32 v1, v0, 3, v50
	v_pk_mov_b32 v[26:27], v[4:5], v[4:5] op_sel:[0,1]
	v_lshl_add_u32 v4, v1, 2, 32
	v_and_b32_e32 v1, 1, v0
	v_pk_mov_b32 v[28:29], v[2:3], v[2:3] op_sel:[0,1]
	v_add_co_u32_e32 v2, vcc, -1, v1
	v_addc_co_u32_e64 v3, s[46:47], 0, -1, vcc
	v_cmp_ne_u32_e32 vcc, 0, v1
	v_lshlrev_b32_e32 v33, 30, v0
	v_xor_b32_e32 v1, vcc_hi, v3
	v_not_b32_e32 v3, v33
	v_xor_b32_e32 v2, vcc_lo, v2
	v_cmp_gt_i64_e32 vcc, 0, v[32:33]
	v_ashrrev_i32_e32 v3, 31, v3
	v_and_b32_e32 v2, exec_lo, v2
	v_xor_b32_e32 v5, vcc_hi, v3
	v_xor_b32_e32 v3, vcc_lo, v3
	v_lshlrev_b32_e32 v33, 29, v0
	v_and_b32_e32 v2, v2, v3
	v_not_b32_e32 v3, v33
	v_and_b32_e32 v1, exec_hi, v1
	v_cmp_gt_i64_e32 vcc, 0, v[32:33]
	v_ashrrev_i32_e32 v3, 31, v3
	v_and_b32_e32 v1, v1, v5
	v_xor_b32_e32 v5, vcc_hi, v3
	v_xor_b32_e32 v3, vcc_lo, v3
	v_lshlrev_b32_e32 v33, 28, v0
	v_and_b32_e32 v2, v2, v3
	v_not_b32_e32 v3, v33
	v_cmp_gt_i64_e32 vcc, 0, v[32:33]
	v_ashrrev_i32_e32 v3, 31, v3
	v_and_b32_e32 v1, v1, v5
	v_xor_b32_e32 v5, vcc_hi, v3
	v_xor_b32_e32 v3, vcc_lo, v3
	v_lshlrev_b32_e32 v33, 27, v0
	v_and_b32_e32 v2, v2, v3
	v_not_b32_e32 v3, v33
	;; [unrolled: 8-line block ×3, first 2 shown]
	v_cmp_gt_i64_e32 vcc, 0, v[32:33]
	v_ashrrev_i32_e32 v3, 31, v3
	v_and_b32_e32 v1, v1, v5
	v_xor_b32_e32 v5, vcc_hi, v3
	v_xor_b32_e32 v3, vcc_lo, v3
	v_lshlrev_b32_e32 v33, 25, v0
	v_and_b32_e32 v2, v2, v3
	v_cmp_gt_i64_e32 vcc, 0, v[32:33]
	v_not_b32_e32 v3, v33
	v_lshlrev_b32_e32 v33, 24, v0
	v_ashrrev_i32_e32 v3, 31, v3
	v_not_b32_e32 v0, v33
	v_and_b32_e32 v1, v1, v5
	v_xor_b32_e32 v5, vcc_hi, v3
	v_xor_b32_e32 v3, vcc_lo, v3
	v_cmp_gt_i64_e32 vcc, 0, v[32:33]
	v_ashrrev_i32_e32 v0, 31, v0
	v_and_b32_e32 v2, v2, v3
	v_xor_b32_e32 v3, vcc_hi, v0
	v_xor_b32_e32 v0, vcc_lo, v0
	v_and_b32_e32 v1, v1, v5
	v_and_b32_e32 v0, v2, v0
	;; [unrolled: 1-line block ×3, first 2 shown]
	v_mbcnt_lo_u32_b32 v2, v0, 0
	v_mbcnt_hi_u32_b32 v5, v1, v2
	v_cmp_eq_u32_e32 vcc, 0, v5
	v_cmp_ne_u64_e64 s[46:47], 0, v[0:1]
	v_mov_b32_e32 v55, v47
	v_mov_b32_e32 v56, v46
	;; [unrolled: 1-line block ×7, first 2 shown]
	v_pk_mov_b32 v[16:17], v[14:15], v[14:15] op_sel:[0,1]
	v_pk_mov_b32 v[18:19], v[12:13], v[12:13] op_sel:[0,1]
	;; [unrolled: 1-line block ×5, first 2 shown]
	s_and_b64 s[58:59], s[46:47], vcc
	ds_write2_b32 v89, v32, v32 offset0:8 offset1:9
	ds_write2_b32 v49, v32, v32 offset0:2 offset1:3
	s_waitcnt lgkmcnt(0)
	s_barrier
	s_waitcnt lgkmcnt(0)
	; wave barrier
	s_and_saveexec_b64 s[46:47], s[58:59]
	s_cbranch_execz .LBB200_69
; %bb.68:                               ;   in Loop: Header=BB200_67 Depth=1
	v_bcnt_u32_b32 v0, v0, 0
	v_bcnt_u32_b32 v0, v1, v0
	ds_write_b32 v4, v0
.LBB200_69:                             ;   in Loop: Header=BB200_67 Depth=1
	s_or_b64 exec, exec, s[46:47]
	v_cmp_ne_u32_e32 vcc, s56, v61
	v_cndmask_b32_e32 v0, v48, v61, vcc
	v_lshrrev_b32_e32 v0, s54, v0
	v_and_b32_e32 v0, s57, v0
	v_lshlrev_b32_e32 v1, 3, v0
	v_add_lshl_u32 v1, v1, v50, 2
	; wave barrier
	v_add_u32_e32 v7, 32, v1
	ds_read_b32 v6, v1 offset:32
	v_and_b32_e32 v1, 1, v0
	v_add_co_u32_e32 v2, vcc, -1, v1
	v_addc_co_u32_e64 v3, s[46:47], 0, -1, vcc
	v_cmp_ne_u32_e32 vcc, 0, v1
	v_lshlrev_b32_e32 v33, 30, v0
	v_xor_b32_e32 v1, vcc_hi, v3
	v_not_b32_e32 v3, v33
	v_xor_b32_e32 v2, vcc_lo, v2
	v_cmp_gt_i64_e32 vcc, 0, v[32:33]
	v_ashrrev_i32_e32 v3, 31, v3
	v_and_b32_e32 v2, exec_lo, v2
	v_xor_b32_e32 v8, vcc_hi, v3
	v_xor_b32_e32 v3, vcc_lo, v3
	v_lshlrev_b32_e32 v33, 29, v0
	v_and_b32_e32 v2, v2, v3
	v_not_b32_e32 v3, v33
	v_and_b32_e32 v1, exec_hi, v1
	v_cmp_gt_i64_e32 vcc, 0, v[32:33]
	v_ashrrev_i32_e32 v3, 31, v3
	v_and_b32_e32 v1, v1, v8
	v_xor_b32_e32 v8, vcc_hi, v3
	v_xor_b32_e32 v3, vcc_lo, v3
	v_lshlrev_b32_e32 v33, 28, v0
	v_and_b32_e32 v2, v2, v3
	v_not_b32_e32 v3, v33
	v_cmp_gt_i64_e32 vcc, 0, v[32:33]
	v_ashrrev_i32_e32 v3, 31, v3
	v_and_b32_e32 v1, v1, v8
	v_xor_b32_e32 v8, vcc_hi, v3
	v_xor_b32_e32 v3, vcc_lo, v3
	v_lshlrev_b32_e32 v33, 27, v0
	v_and_b32_e32 v2, v2, v3
	v_not_b32_e32 v3, v33
	;; [unrolled: 8-line block ×3, first 2 shown]
	v_cmp_gt_i64_e32 vcc, 0, v[32:33]
	v_ashrrev_i32_e32 v3, 31, v3
	v_and_b32_e32 v1, v1, v8
	v_xor_b32_e32 v8, vcc_hi, v3
	v_xor_b32_e32 v3, vcc_lo, v3
	v_lshlrev_b32_e32 v33, 25, v0
	v_and_b32_e32 v2, v2, v3
	v_cmp_gt_i64_e32 vcc, 0, v[32:33]
	v_not_b32_e32 v3, v33
	v_lshlrev_b32_e32 v33, 24, v0
	v_ashrrev_i32_e32 v3, 31, v3
	v_not_b32_e32 v0, v33
	v_and_b32_e32 v1, v1, v8
	v_xor_b32_e32 v8, vcc_hi, v3
	v_xor_b32_e32 v3, vcc_lo, v3
	v_cmp_gt_i64_e32 vcc, 0, v[32:33]
	v_ashrrev_i32_e32 v0, 31, v0
	v_and_b32_e32 v2, v2, v3
	v_xor_b32_e32 v3, vcc_hi, v0
	v_xor_b32_e32 v0, vcc_lo, v0
	v_and_b32_e32 v1, v1, v8
	v_and_b32_e32 v0, v2, v0
	;; [unrolled: 1-line block ×3, first 2 shown]
	v_mbcnt_lo_u32_b32 v2, v0, 0
	v_mbcnt_hi_u32_b32 v8, v1, v2
	v_cmp_eq_u32_e32 vcc, 0, v8
	v_cmp_ne_u64_e64 s[46:47], 0, v[0:1]
	s_and_b64 s[58:59], s[46:47], vcc
	; wave barrier
	s_and_saveexec_b64 s[46:47], s[58:59]
	s_cbranch_execz .LBB200_71
; %bb.70:                               ;   in Loop: Header=BB200_67 Depth=1
	v_bcnt_u32_b32 v0, v0, 0
	v_bcnt_u32_b32 v0, v1, v0
	s_waitcnt lgkmcnt(0)
	v_add_u32_e32 v0, v6, v0
	ds_write_b32 v7, v0
.LBB200_71:                             ;   in Loop: Header=BB200_67 Depth=1
	s_or_b64 exec, exec, s[46:47]
	v_cmp_ne_u32_e32 vcc, s56, v60
	v_cndmask_b32_e32 v0, v48, v60, vcc
	v_lshrrev_b32_e32 v0, s54, v0
	v_and_b32_e32 v0, s57, v0
	v_lshlrev_b32_e32 v1, 3, v0
	v_add_lshl_u32 v1, v1, v50, 2
	; wave barrier
	v_add_u32_e32 v10, 32, v1
	ds_read_b32 v9, v1 offset:32
	v_and_b32_e32 v1, 1, v0
	v_add_co_u32_e32 v2, vcc, -1, v1
	v_addc_co_u32_e64 v3, s[46:47], 0, -1, vcc
	v_cmp_ne_u32_e32 vcc, 0, v1
	v_lshlrev_b32_e32 v33, 30, v0
	v_xor_b32_e32 v1, vcc_hi, v3
	v_not_b32_e32 v3, v33
	v_xor_b32_e32 v2, vcc_lo, v2
	v_cmp_gt_i64_e32 vcc, 0, v[32:33]
	v_ashrrev_i32_e32 v3, 31, v3
	v_and_b32_e32 v2, exec_lo, v2
	v_xor_b32_e32 v11, vcc_hi, v3
	v_xor_b32_e32 v3, vcc_lo, v3
	v_lshlrev_b32_e32 v33, 29, v0
	v_and_b32_e32 v2, v2, v3
	v_not_b32_e32 v3, v33
	v_and_b32_e32 v1, exec_hi, v1
	v_cmp_gt_i64_e32 vcc, 0, v[32:33]
	v_ashrrev_i32_e32 v3, 31, v3
	v_and_b32_e32 v1, v1, v11
	v_xor_b32_e32 v11, vcc_hi, v3
	v_xor_b32_e32 v3, vcc_lo, v3
	v_lshlrev_b32_e32 v33, 28, v0
	v_and_b32_e32 v2, v2, v3
	v_not_b32_e32 v3, v33
	v_cmp_gt_i64_e32 vcc, 0, v[32:33]
	v_ashrrev_i32_e32 v3, 31, v3
	v_and_b32_e32 v1, v1, v11
	v_xor_b32_e32 v11, vcc_hi, v3
	v_xor_b32_e32 v3, vcc_lo, v3
	v_lshlrev_b32_e32 v33, 27, v0
	v_and_b32_e32 v2, v2, v3
	v_not_b32_e32 v3, v33
	;; [unrolled: 8-line block ×3, first 2 shown]
	v_cmp_gt_i64_e32 vcc, 0, v[32:33]
	v_ashrrev_i32_e32 v3, 31, v3
	v_and_b32_e32 v1, v1, v11
	v_xor_b32_e32 v11, vcc_hi, v3
	v_xor_b32_e32 v3, vcc_lo, v3
	v_lshlrev_b32_e32 v33, 25, v0
	v_and_b32_e32 v2, v2, v3
	v_cmp_gt_i64_e32 vcc, 0, v[32:33]
	v_not_b32_e32 v3, v33
	v_lshlrev_b32_e32 v33, 24, v0
	v_ashrrev_i32_e32 v3, 31, v3
	v_not_b32_e32 v0, v33
	v_and_b32_e32 v1, v1, v11
	v_xor_b32_e32 v11, vcc_hi, v3
	v_xor_b32_e32 v3, vcc_lo, v3
	v_cmp_gt_i64_e32 vcc, 0, v[32:33]
	v_ashrrev_i32_e32 v0, 31, v0
	v_and_b32_e32 v2, v2, v3
	v_xor_b32_e32 v3, vcc_hi, v0
	v_xor_b32_e32 v0, vcc_lo, v0
	v_and_b32_e32 v1, v1, v11
	v_and_b32_e32 v0, v2, v0
	;; [unrolled: 1-line block ×3, first 2 shown]
	v_mbcnt_lo_u32_b32 v2, v0, 0
	v_mbcnt_hi_u32_b32 v11, v1, v2
	v_cmp_eq_u32_e32 vcc, 0, v11
	v_cmp_ne_u64_e64 s[46:47], 0, v[0:1]
	s_and_b64 s[58:59], s[46:47], vcc
	; wave barrier
	s_and_saveexec_b64 s[46:47], s[58:59]
	s_cbranch_execz .LBB200_73
; %bb.72:                               ;   in Loop: Header=BB200_67 Depth=1
	v_bcnt_u32_b32 v0, v0, 0
	v_bcnt_u32_b32 v0, v1, v0
	s_waitcnt lgkmcnt(0)
	v_add_u32_e32 v0, v9, v0
	ds_write_b32 v10, v0
.LBB200_73:                             ;   in Loop: Header=BB200_67 Depth=1
	s_or_b64 exec, exec, s[46:47]
	v_cmp_ne_u32_e32 vcc, s56, v59
	v_cndmask_b32_e32 v0, v48, v59, vcc
	v_lshrrev_b32_e32 v0, s54, v0
	v_and_b32_e32 v0, s57, v0
	v_lshlrev_b32_e32 v1, 3, v0
	v_add_lshl_u32 v1, v1, v50, 2
	; wave barrier
	v_add_u32_e32 v13, 32, v1
	ds_read_b32 v12, v1 offset:32
	v_and_b32_e32 v1, 1, v0
	v_add_co_u32_e32 v2, vcc, -1, v1
	v_addc_co_u32_e64 v3, s[46:47], 0, -1, vcc
	v_cmp_ne_u32_e32 vcc, 0, v1
	v_lshlrev_b32_e32 v33, 30, v0
	v_xor_b32_e32 v1, vcc_hi, v3
	v_not_b32_e32 v3, v33
	v_xor_b32_e32 v2, vcc_lo, v2
	v_cmp_gt_i64_e32 vcc, 0, v[32:33]
	v_ashrrev_i32_e32 v3, 31, v3
	v_and_b32_e32 v2, exec_lo, v2
	v_xor_b32_e32 v14, vcc_hi, v3
	v_xor_b32_e32 v3, vcc_lo, v3
	v_lshlrev_b32_e32 v33, 29, v0
	v_and_b32_e32 v2, v2, v3
	v_not_b32_e32 v3, v33
	v_and_b32_e32 v1, exec_hi, v1
	v_cmp_gt_i64_e32 vcc, 0, v[32:33]
	v_ashrrev_i32_e32 v3, 31, v3
	v_and_b32_e32 v1, v1, v14
	v_xor_b32_e32 v14, vcc_hi, v3
	v_xor_b32_e32 v3, vcc_lo, v3
	v_lshlrev_b32_e32 v33, 28, v0
	v_and_b32_e32 v2, v2, v3
	v_not_b32_e32 v3, v33
	v_cmp_gt_i64_e32 vcc, 0, v[32:33]
	v_ashrrev_i32_e32 v3, 31, v3
	v_and_b32_e32 v1, v1, v14
	v_xor_b32_e32 v14, vcc_hi, v3
	v_xor_b32_e32 v3, vcc_lo, v3
	v_lshlrev_b32_e32 v33, 27, v0
	v_and_b32_e32 v2, v2, v3
	v_not_b32_e32 v3, v33
	v_cmp_gt_i64_e32 vcc, 0, v[32:33]
	v_ashrrev_i32_e32 v3, 31, v3
	v_and_b32_e32 v1, v1, v14
	v_xor_b32_e32 v14, vcc_hi, v3
	v_xor_b32_e32 v3, vcc_lo, v3
	v_lshlrev_b32_e32 v33, 26, v0
	v_and_b32_e32 v2, v2, v3
	v_not_b32_e32 v3, v33
	v_cmp_gt_i64_e32 vcc, 0, v[32:33]
	v_ashrrev_i32_e32 v3, 31, v3
	v_and_b32_e32 v1, v1, v14
	v_xor_b32_e32 v14, vcc_hi, v3
	v_xor_b32_e32 v3, vcc_lo, v3
	v_lshlrev_b32_e32 v33, 25, v0
	v_and_b32_e32 v2, v2, v3
	v_cmp_gt_i64_e32 vcc, 0, v[32:33]
	v_not_b32_e32 v3, v33
	v_lshlrev_b32_e32 v33, 24, v0
	v_ashrrev_i32_e32 v3, 31, v3
	v_not_b32_e32 v0, v33
	v_and_b32_e32 v1, v1, v14
	v_xor_b32_e32 v14, vcc_hi, v3
	v_xor_b32_e32 v3, vcc_lo, v3
	v_cmp_gt_i64_e32 vcc, 0, v[32:33]
	v_ashrrev_i32_e32 v0, 31, v0
	v_and_b32_e32 v2, v2, v3
	v_xor_b32_e32 v3, vcc_hi, v0
	v_xor_b32_e32 v0, vcc_lo, v0
	v_and_b32_e32 v1, v1, v14
	v_and_b32_e32 v0, v2, v0
	;; [unrolled: 1-line block ×3, first 2 shown]
	v_mbcnt_lo_u32_b32 v2, v0, 0
	v_mbcnt_hi_u32_b32 v14, v1, v2
	v_cmp_eq_u32_e32 vcc, 0, v14
	v_cmp_ne_u64_e64 s[46:47], 0, v[0:1]
	s_and_b64 s[58:59], s[46:47], vcc
	; wave barrier
	s_and_saveexec_b64 s[46:47], s[58:59]
	s_cbranch_execz .LBB200_75
; %bb.74:                               ;   in Loop: Header=BB200_67 Depth=1
	v_bcnt_u32_b32 v0, v0, 0
	v_bcnt_u32_b32 v0, v1, v0
	s_waitcnt lgkmcnt(0)
	v_add_u32_e32 v0, v12, v0
	ds_write_b32 v13, v0
.LBB200_75:                             ;   in Loop: Header=BB200_67 Depth=1
	s_or_b64 exec, exec, s[46:47]
	v_cmp_ne_u32_e32 vcc, s56, v58
	v_cndmask_b32_e32 v0, v48, v58, vcc
	v_lshrrev_b32_e32 v0, s54, v0
	v_and_b32_e32 v0, s57, v0
	v_lshlrev_b32_e32 v1, 3, v0
	v_add_lshl_u32 v1, v1, v50, 2
	; wave barrier
	v_add_u32_e32 v40, 32, v1
	ds_read_b32 v15, v1 offset:32
	v_and_b32_e32 v1, 1, v0
	v_add_co_u32_e32 v2, vcc, -1, v1
	v_addc_co_u32_e64 v3, s[46:47], 0, -1, vcc
	v_cmp_ne_u32_e32 vcc, 0, v1
	v_lshlrev_b32_e32 v33, 30, v0
	v_xor_b32_e32 v1, vcc_hi, v3
	v_not_b32_e32 v3, v33
	v_xor_b32_e32 v2, vcc_lo, v2
	v_cmp_gt_i64_e32 vcc, 0, v[32:33]
	v_ashrrev_i32_e32 v3, 31, v3
	v_and_b32_e32 v1, exec_hi, v1
	v_xor_b32_e32 v33, vcc_hi, v3
	v_and_b32_e32 v2, exec_lo, v2
	v_xor_b32_e32 v3, vcc_lo, v3
	v_and_b32_e32 v1, v1, v33
	v_lshlrev_b32_e32 v33, 29, v0
	v_and_b32_e32 v2, v2, v3
	v_not_b32_e32 v3, v33
	v_cmp_gt_i64_e32 vcc, 0, v[32:33]
	v_ashrrev_i32_e32 v3, 31, v3
	v_xor_b32_e32 v33, vcc_hi, v3
	v_xor_b32_e32 v3, vcc_lo, v3
	v_and_b32_e32 v1, v1, v33
	v_lshlrev_b32_e32 v33, 28, v0
	v_and_b32_e32 v2, v2, v3
	v_not_b32_e32 v3, v33
	v_cmp_gt_i64_e32 vcc, 0, v[32:33]
	v_ashrrev_i32_e32 v3, 31, v3
	v_xor_b32_e32 v33, vcc_hi, v3
	;; [unrolled: 8-line block ×5, first 2 shown]
	v_and_b32_e32 v1, v1, v33
	v_lshlrev_b32_e32 v33, 24, v0
	v_not_b32_e32 v0, v33
	v_xor_b32_e32 v3, vcc_lo, v3
	v_cmp_gt_i64_e32 vcc, 0, v[32:33]
	v_ashrrev_i32_e32 v0, 31, v0
	v_and_b32_e32 v2, v2, v3
	v_xor_b32_e32 v3, vcc_hi, v0
	v_xor_b32_e32 v0, vcc_lo, v0
	v_and_b32_e32 v0, v2, v0
	v_and_b32_e32 v1, v1, v3
	v_mbcnt_lo_u32_b32 v2, v0, 0
	v_mbcnt_hi_u32_b32 v41, v1, v2
	v_cmp_eq_u32_e32 vcc, 0, v41
	v_cmp_ne_u64_e64 s[46:47], 0, v[0:1]
	s_and_b64 s[58:59], s[46:47], vcc
	; wave barrier
	s_and_saveexec_b64 s[46:47], s[58:59]
	s_cbranch_execz .LBB200_77
; %bb.76:                               ;   in Loop: Header=BB200_67 Depth=1
	v_bcnt_u32_b32 v0, v0, 0
	v_bcnt_u32_b32 v0, v1, v0
	s_waitcnt lgkmcnt(0)
	v_add_u32_e32 v0, v15, v0
	ds_write_b32 v40, v0
.LBB200_77:                             ;   in Loop: Header=BB200_67 Depth=1
	s_or_b64 exec, exec, s[46:47]
	v_cmp_ne_u32_e32 vcc, s56, v57
	v_cndmask_b32_e32 v0, v48, v57, vcc
	v_lshrrev_b32_e32 v0, s54, v0
	v_and_b32_e32 v0, s57, v0
	v_lshlrev_b32_e32 v1, 3, v0
	v_add_lshl_u32 v1, v1, v50, 2
	; wave barrier
	v_add_u32_e32 v43, 32, v1
	ds_read_b32 v42, v1 offset:32
	v_and_b32_e32 v1, 1, v0
	v_add_co_u32_e32 v2, vcc, -1, v1
	v_addc_co_u32_e64 v3, s[46:47], 0, -1, vcc
	v_cmp_ne_u32_e32 vcc, 0, v1
	v_lshlrev_b32_e32 v33, 30, v0
	v_xor_b32_e32 v1, vcc_hi, v3
	v_not_b32_e32 v3, v33
	v_xor_b32_e32 v2, vcc_lo, v2
	v_cmp_gt_i64_e32 vcc, 0, v[32:33]
	v_ashrrev_i32_e32 v3, 31, v3
	v_and_b32_e32 v1, exec_hi, v1
	v_xor_b32_e32 v33, vcc_hi, v3
	v_and_b32_e32 v2, exec_lo, v2
	v_xor_b32_e32 v3, vcc_lo, v3
	v_and_b32_e32 v1, v1, v33
	v_lshlrev_b32_e32 v33, 29, v0
	v_and_b32_e32 v2, v2, v3
	v_not_b32_e32 v3, v33
	v_cmp_gt_i64_e32 vcc, 0, v[32:33]
	v_ashrrev_i32_e32 v3, 31, v3
	v_xor_b32_e32 v33, vcc_hi, v3
	v_xor_b32_e32 v3, vcc_lo, v3
	v_and_b32_e32 v1, v1, v33
	v_lshlrev_b32_e32 v33, 28, v0
	v_and_b32_e32 v2, v2, v3
	v_not_b32_e32 v3, v33
	v_cmp_gt_i64_e32 vcc, 0, v[32:33]
	v_ashrrev_i32_e32 v3, 31, v3
	v_xor_b32_e32 v33, vcc_hi, v3
	;; [unrolled: 8-line block ×5, first 2 shown]
	v_and_b32_e32 v1, v1, v33
	v_lshlrev_b32_e32 v33, 24, v0
	v_not_b32_e32 v0, v33
	v_xor_b32_e32 v3, vcc_lo, v3
	v_cmp_gt_i64_e32 vcc, 0, v[32:33]
	v_ashrrev_i32_e32 v0, 31, v0
	v_and_b32_e32 v2, v2, v3
	v_xor_b32_e32 v3, vcc_hi, v0
	v_xor_b32_e32 v0, vcc_lo, v0
	v_and_b32_e32 v0, v2, v0
	v_and_b32_e32 v1, v1, v3
	v_mbcnt_lo_u32_b32 v2, v0, 0
	v_mbcnt_hi_u32_b32 v44, v1, v2
	v_cmp_eq_u32_e32 vcc, 0, v44
	v_cmp_ne_u64_e64 s[46:47], 0, v[0:1]
	s_and_b64 s[58:59], s[46:47], vcc
	; wave barrier
	s_and_saveexec_b64 s[46:47], s[58:59]
	s_cbranch_execz .LBB200_79
; %bb.78:                               ;   in Loop: Header=BB200_67 Depth=1
	v_bcnt_u32_b32 v0, v0, 0
	v_bcnt_u32_b32 v0, v1, v0
	s_waitcnt lgkmcnt(0)
	v_add_u32_e32 v0, v42, v0
	ds_write_b32 v43, v0
.LBB200_79:                             ;   in Loop: Header=BB200_67 Depth=1
	s_or_b64 exec, exec, s[46:47]
	v_cmp_ne_u32_e32 vcc, s56, v56
	v_cndmask_b32_e32 v0, v48, v56, vcc
	v_lshrrev_b32_e32 v0, s54, v0
	v_and_b32_e32 v0, s57, v0
	v_lshlrev_b32_e32 v1, 3, v0
	v_add_lshl_u32 v1, v1, v50, 2
	; wave barrier
	v_add_u32_e32 v46, 32, v1
	ds_read_b32 v45, v1 offset:32
	v_and_b32_e32 v1, 1, v0
	v_add_co_u32_e32 v2, vcc, -1, v1
	v_addc_co_u32_e64 v3, s[46:47], 0, -1, vcc
	v_cmp_ne_u32_e32 vcc, 0, v1
	v_lshlrev_b32_e32 v33, 30, v0
	v_xor_b32_e32 v1, vcc_hi, v3
	v_not_b32_e32 v3, v33
	v_xor_b32_e32 v2, vcc_lo, v2
	v_cmp_gt_i64_e32 vcc, 0, v[32:33]
	v_ashrrev_i32_e32 v3, 31, v3
	v_and_b32_e32 v1, exec_hi, v1
	v_xor_b32_e32 v33, vcc_hi, v3
	v_and_b32_e32 v2, exec_lo, v2
	v_xor_b32_e32 v3, vcc_lo, v3
	v_and_b32_e32 v1, v1, v33
	v_lshlrev_b32_e32 v33, 29, v0
	v_and_b32_e32 v2, v2, v3
	v_not_b32_e32 v3, v33
	v_cmp_gt_i64_e32 vcc, 0, v[32:33]
	v_ashrrev_i32_e32 v3, 31, v3
	v_xor_b32_e32 v33, vcc_hi, v3
	v_xor_b32_e32 v3, vcc_lo, v3
	v_and_b32_e32 v1, v1, v33
	v_lshlrev_b32_e32 v33, 28, v0
	v_and_b32_e32 v2, v2, v3
	v_not_b32_e32 v3, v33
	v_cmp_gt_i64_e32 vcc, 0, v[32:33]
	v_ashrrev_i32_e32 v3, 31, v3
	v_xor_b32_e32 v33, vcc_hi, v3
	;; [unrolled: 8-line block ×5, first 2 shown]
	v_and_b32_e32 v1, v1, v33
	v_lshlrev_b32_e32 v33, 24, v0
	v_not_b32_e32 v0, v33
	v_xor_b32_e32 v3, vcc_lo, v3
	v_cmp_gt_i64_e32 vcc, 0, v[32:33]
	v_ashrrev_i32_e32 v0, 31, v0
	v_and_b32_e32 v2, v2, v3
	v_xor_b32_e32 v3, vcc_hi, v0
	v_xor_b32_e32 v0, vcc_lo, v0
	v_and_b32_e32 v0, v2, v0
	v_and_b32_e32 v1, v1, v3
	v_mbcnt_lo_u32_b32 v2, v0, 0
	v_mbcnt_hi_u32_b32 v47, v1, v2
	v_cmp_eq_u32_e32 vcc, 0, v47
	v_cmp_ne_u64_e64 s[46:47], 0, v[0:1]
	s_and_b64 s[58:59], s[46:47], vcc
	; wave barrier
	s_and_saveexec_b64 s[46:47], s[58:59]
	s_cbranch_execz .LBB200_81
; %bb.80:                               ;   in Loop: Header=BB200_67 Depth=1
	v_bcnt_u32_b32 v0, v0, 0
	v_bcnt_u32_b32 v0, v1, v0
	s_waitcnt lgkmcnt(0)
	v_add_u32_e32 v0, v45, v0
	ds_write_b32 v46, v0
.LBB200_81:                             ;   in Loop: Header=BB200_67 Depth=1
	s_or_b64 exec, exec, s[46:47]
	v_cmp_ne_u32_e32 vcc, s56, v55
	v_cndmask_b32_e32 v0, v48, v55, vcc
	v_lshrrev_b32_e32 v0, s54, v0
	v_and_b32_e32 v0, s57, v0
	v_lshlrev_b32_e32 v1, 3, v0
	v_add_lshl_u32 v1, v1, v50, 2
	; wave barrier
	v_add_u32_e32 v64, 32, v1
	ds_read_b32 v63, v1 offset:32
	v_and_b32_e32 v1, 1, v0
	v_add_co_u32_e32 v2, vcc, -1, v1
	v_addc_co_u32_e64 v3, s[46:47], 0, -1, vcc
	v_cmp_ne_u32_e32 vcc, 0, v1
	v_lshlrev_b32_e32 v33, 30, v0
	v_xor_b32_e32 v1, vcc_hi, v3
	v_not_b32_e32 v3, v33
	v_xor_b32_e32 v2, vcc_lo, v2
	v_cmp_gt_i64_e32 vcc, 0, v[32:33]
	v_ashrrev_i32_e32 v3, 31, v3
	v_and_b32_e32 v1, exec_hi, v1
	v_xor_b32_e32 v33, vcc_hi, v3
	v_and_b32_e32 v2, exec_lo, v2
	v_xor_b32_e32 v3, vcc_lo, v3
	v_and_b32_e32 v1, v1, v33
	v_lshlrev_b32_e32 v33, 29, v0
	v_and_b32_e32 v2, v2, v3
	v_not_b32_e32 v3, v33
	v_cmp_gt_i64_e32 vcc, 0, v[32:33]
	v_ashrrev_i32_e32 v3, 31, v3
	v_xor_b32_e32 v33, vcc_hi, v3
	v_xor_b32_e32 v3, vcc_lo, v3
	v_and_b32_e32 v1, v1, v33
	v_lshlrev_b32_e32 v33, 28, v0
	v_and_b32_e32 v2, v2, v3
	v_not_b32_e32 v3, v33
	v_cmp_gt_i64_e32 vcc, 0, v[32:33]
	v_ashrrev_i32_e32 v3, 31, v3
	v_xor_b32_e32 v33, vcc_hi, v3
	;; [unrolled: 8-line block ×5, first 2 shown]
	v_and_b32_e32 v1, v1, v33
	v_lshlrev_b32_e32 v33, 24, v0
	v_not_b32_e32 v0, v33
	v_xor_b32_e32 v3, vcc_lo, v3
	v_cmp_gt_i64_e32 vcc, 0, v[32:33]
	v_ashrrev_i32_e32 v0, 31, v0
	v_and_b32_e32 v2, v2, v3
	v_xor_b32_e32 v3, vcc_hi, v0
	v_xor_b32_e32 v0, vcc_lo, v0
	v_and_b32_e32 v0, v2, v0
	v_and_b32_e32 v1, v1, v3
	v_mbcnt_lo_u32_b32 v2, v0, 0
	v_mbcnt_hi_u32_b32 v70, v1, v2
	v_cmp_eq_u32_e32 vcc, 0, v70
	v_cmp_ne_u64_e64 s[46:47], 0, v[0:1]
	s_and_b64 s[58:59], s[46:47], vcc
	; wave barrier
	s_and_saveexec_b64 s[46:47], s[58:59]
	s_cbranch_execz .LBB200_83
; %bb.82:                               ;   in Loop: Header=BB200_67 Depth=1
	v_bcnt_u32_b32 v0, v0, 0
	v_bcnt_u32_b32 v0, v1, v0
	s_waitcnt lgkmcnt(0)
	v_add_u32_e32 v0, v63, v0
	ds_write_b32 v64, v0
.LBB200_83:                             ;   in Loop: Header=BB200_67 Depth=1
	s_or_b64 exec, exec, s[46:47]
	; wave barrier
	s_waitcnt lgkmcnt(0)
	s_barrier
	ds_read2_b32 v[2:3], v89 offset0:8 offset1:9
	ds_read2_b32 v[0:1], v49 offset0:2 offset1:3
	s_waitcnt lgkmcnt(1)
	v_add_u32_e32 v33, v3, v2
	s_waitcnt lgkmcnt(0)
	v_add3_u32 v1, v33, v0, v1
	s_nop 1
	v_mov_b32_dpp v33, v1 row_shr:1 row_mask:0xf bank_mask:0xf
	v_cndmask_b32_e64 v33, v33, 0, s[16:17]
	v_add_u32_e32 v1, v33, v1
	s_nop 1
	v_mov_b32_dpp v33, v1 row_shr:2 row_mask:0xf bank_mask:0xf
	v_cndmask_b32_e64 v33, 0, v33, s[18:19]
	v_add_u32_e32 v1, v1, v33
	;; [unrolled: 4-line block ×4, first 2 shown]
	s_nop 1
	v_mov_b32_dpp v33, v1 row_bcast:15 row_mask:0xf bank_mask:0xf
	v_cndmask_b32_e64 v33, v33, 0, s[24:25]
	v_add_u32_e32 v1, v1, v33
	s_nop 1
	v_mov_b32_dpp v33, v1 row_bcast:31 row_mask:0xf bank_mask:0xf
	v_cndmask_b32_e64 v33, 0, v33, s[26:27]
	v_add_u32_e32 v1, v1, v33
	s_and_saveexec_b64 s[46:47], s[28:29]
	s_cbranch_execz .LBB200_85
; %bb.84:                               ;   in Loop: Header=BB200_67 Depth=1
	ds_write_b32 v38, v1
.LBB200_85:                             ;   in Loop: Header=BB200_67 Depth=1
	s_or_b64 exec, exec, s[46:47]
	s_waitcnt lgkmcnt(0)
	s_barrier
	s_and_saveexec_b64 s[46:47], s[30:31]
	s_cbranch_execz .LBB200_87
; %bb.86:                               ;   in Loop: Header=BB200_67 Depth=1
	ds_read_b32 v33, v88
	s_waitcnt lgkmcnt(0)
	s_nop 0
	v_mov_b32_dpp v65, v33 row_shr:1 row_mask:0xf bank_mask:0xf
	v_cndmask_b32_e64 v65, v65, 0, s[40:41]
	v_add_u32_e32 v33, v65, v33
	s_nop 1
	v_mov_b32_dpp v65, v33 row_shr:2 row_mask:0xf bank_mask:0xf
	v_cndmask_b32_e64 v65, 0, v65, s[42:43]
	v_add_u32_e32 v33, v33, v65
	;; [unrolled: 4-line block ×3, first 2 shown]
	ds_write_b32 v88, v33
.LBB200_87:                             ;   in Loop: Header=BB200_67 Depth=1
	s_or_b64 exec, exec, s[46:47]
	v_mov_b32_e32 v33, 0
	s_waitcnt lgkmcnt(0)
	s_barrier
	s_and_saveexec_b64 s[46:47], s[34:35]
	s_cbranch_execz .LBB200_89
; %bb.88:                               ;   in Loop: Header=BB200_67 Depth=1
	ds_read_b32 v33, v52
.LBB200_89:                             ;   in Loop: Header=BB200_67 Depth=1
	s_or_b64 exec, exec, s[46:47]
	s_waitcnt lgkmcnt(0)
	v_add_u32_e32 v1, v33, v1
	ds_bpermute_b32 v1, v51, v1
	s_cmp_gt_u32 s54, 23
	s_waitcnt lgkmcnt(0)
	v_cndmask_b32_e64 v1, v1, v33, s[36:37]
	v_cndmask_b32_e64 v1, v1, 0, s[38:39]
	v_add_u32_e32 v2, v1, v2
	v_add_u32_e32 v3, v2, v3
	;; [unrolled: 1-line block ×3, first 2 shown]
	ds_write2_b32 v89, v1, v2 offset0:8 offset1:9
	ds_write2_b32 v49, v3, v0 offset0:2 offset1:3
	s_waitcnt lgkmcnt(0)
	s_barrier
	ds_read_b32 v0, v4
	ds_read_b32 v1, v7
	;; [unrolled: 1-line block ×8, first 2 shown]
	s_waitcnt lgkmcnt(7)
	v_add_u32_e32 v33, v0, v5
	s_waitcnt lgkmcnt(6)
	v_add3_u32 v64, v8, v6, v1
	s_waitcnt lgkmcnt(5)
	v_add3_u32 v65, v11, v9, v2
	;; [unrolled: 2-line block ×7, first 2 shown]
	s_cbranch_scc0 .LBB200_66
; %bb.90:
                                        ; implicit-def: $vgpr47
                                        ; implicit-def: $vgpr45
                                        ; implicit-def: $vgpr43
                                        ; implicit-def: $vgpr41
                                        ; implicit-def: $vgpr14_vgpr15
                                        ; implicit-def: $vgpr10_vgpr11
                                        ; implicit-def: $vgpr6_vgpr7
                                        ; implicit-def: $vgpr2_vgpr3
                                        ; implicit-def: $sgpr54
                                        ; implicit-def: $sgpr55
.LBB200_91:
	v_lshlrev_b32_e32 v0, 2, v33
	s_barrier
	ds_write_b32 v0, v62
	v_lshlrev_b32_e32 v0, 2, v64
	ds_write_b32 v0, v61
	v_lshlrev_b32_e32 v0, 2, v65
	;; [unrolled: 2-line block ×7, first 2 shown]
	v_lshlrev_b32_e32 v6, 2, v87
	ds_write_b32 v0, v55
	s_waitcnt lgkmcnt(0)
	s_barrier
	ds_read2_b32 v[0:1], v6 offset1:1
	ds_read2_b32 v[2:3], v6 offset0:2 offset1:3
	ds_read2_b32 v[4:5], v6 offset0:4 offset1:5
	;; [unrolled: 1-line block ×3, first 2 shown]
	v_bfrev_b32_e32 v38, -2
	v_lshlrev_b32_e32 v8, 3, v33
	v_lshlrev_b32_e32 v32, 3, v87
	s_waitcnt lgkmcnt(3)
	v_cmp_gt_i32_e32 vcc, 0, v1
	v_cndmask_b32_e64 v33, v38, 0, vcc
	v_cmp_gt_i32_e32 vcc, 0, v0
	v_lshlrev_b32_e32 v9, 3, v64
	v_lshlrev_b32_e32 v10, 3, v65
	;; [unrolled: 1-line block ×7, first 2 shown]
	v_cndmask_b32_e64 v40, v38, 0, vcc
	v_xor_b32_e32 v63, v33, v1
	s_waitcnt lgkmcnt(2)
	v_cmp_gt_i32_e32 vcc, 0, v3
	s_waitcnt lgkmcnt(0)
	s_barrier
	ds_write_b64 v8, v[30:31]
	ds_write_b64 v9, v[28:29]
	;; [unrolled: 1-line block ×8, first 2 shown]
	s_waitcnt lgkmcnt(0)
	s_barrier
	ds_read2_b64 v[18:21], v32 offset1:1
	ds_read2_b64 v[22:25], v32 offset0:2 offset1:3
	ds_read2_b64 v[26:29], v32 offset0:4 offset1:5
	;; [unrolled: 1-line block ×3, first 2 shown]
	v_xor_b32_e32 v62, v40, v0
	v_cndmask_b32_e64 v0, v38, 0, vcc
	v_cmp_gt_i32_e32 vcc, 0, v2
	v_cndmask_b32_e64 v1, v38, 0, vcc
	v_cmp_gt_i32_e32 vcc, 0, v5
	v_xor_b32_e32 v65, v0, v3
	v_cndmask_b32_e64 v0, v38, 0, vcc
	v_cmp_gt_i32_e32 vcc, 0, v4
	v_xor_b32_e32 v64, v1, v2
	;; [unrolled: 3-line block ×4, first 2 shown]
	v_cndmask_b32_e64 v0, v38, 0, vcc
	v_xor_b32_e32 v0, v0, v6
	v_xor_b32_e32 v1, v1, v7
.LBB200_92:
	s_waitcnt lgkmcnt(0)
	s_barrier
	ds_write2_b32 v78, v62, v63 offset1:1
	ds_write2_b32 v78, v64, v65 offset0:2 offset1:3
	ds_write2_b32 v78, v66, v67 offset0:4 offset1:5
	;; [unrolled: 1-line block ×3, first 2 shown]
	s_waitcnt lgkmcnt(0)
	s_barrier
	ds_read_b32 v8, v35 offset:2048
	ds_read_b32 v7, v72 offset:4096
	ds_read_b32 v6, v73 offset:6144
	ds_read_b32 v5, v74 offset:8192
	ds_read_b32 v4, v75 offset:10240
	ds_read_b32 v3, v76 offset:12288
	ds_read_b32 v2, v77 offset:14336
	v_mov_b32_e32 v35, 0
	v_lshlrev_b64 v[0:1], 2, v[34:35]
	v_mov_b32_e32 v9, s48
	v_add_co_u32_e32 v0, vcc, s33, v0
	v_addc_co_u32_e32 v1, vcc, v9, v1, vcc
	s_and_saveexec_b64 s[16:17], s[0:1]
	s_cbranch_execnz .LBB200_111
; %bb.93:
	s_or_b64 exec, exec, s[16:17]
	s_and_saveexec_b64 s[16:17], s[2:3]
	s_cbranch_execnz .LBB200_112
.LBB200_94:
	s_or_b64 exec, exec, s[16:17]
	s_and_saveexec_b64 s[16:17], s[4:5]
	s_cbranch_execnz .LBB200_113
.LBB200_95:
	s_or_b64 exec, exec, s[16:17]
	s_and_saveexec_b64 s[16:17], s[6:7]
	s_cbranch_execnz .LBB200_114
.LBB200_96:
	s_or_b64 exec, exec, s[16:17]
	s_and_saveexec_b64 s[16:17], s[8:9]
	s_cbranch_execnz .LBB200_115
.LBB200_97:
	s_or_b64 exec, exec, s[16:17]
	s_and_saveexec_b64 s[16:17], s[10:11]
	s_cbranch_execnz .LBB200_116
.LBB200_98:
	s_or_b64 exec, exec, s[16:17]
	s_and_saveexec_b64 s[16:17], s[12:13]
	s_cbranch_execnz .LBB200_117
.LBB200_99:
	s_or_b64 exec, exec, s[16:17]
	s_and_saveexec_b64 s[16:17], s[14:15]
	s_cbranch_execz .LBB200_101
.LBB200_100:
	s_mul_i32 s18, s50, 0xe00
	s_mov_b32 s19, 0
	s_lshl_b64 s[18:19], s[18:19], 2
	s_waitcnt lgkmcnt(1)
	v_mov_b32_e32 v3, s19
	v_add_co_u32_e32 v0, vcc, s18, v0
	v_addc_co_u32_e32 v1, vcc, v1, v3, vcc
	s_waitcnt lgkmcnt(0)
	global_store_dword v[0:1], v2, off
.LBB200_101:
	s_or_b64 exec, exec, s[16:17]
	s_waitcnt lgkmcnt(0)
	s_barrier
	ds_write2_b64 v86, v[18:19], v[20:21] offset1:1
	ds_write2_b64 v86, v[22:23], v[24:25] offset0:2 offset1:3
	ds_write2_b64 v86, v[26:27], v[28:29] offset0:4 offset1:5
	;; [unrolled: 1-line block ×3, first 2 shown]
	s_waitcnt lgkmcnt(0)
	s_barrier
	ds_read_b64 v[14:15], v37 offset:4096
	ds_read_b64 v[12:13], v80 offset:8192
	;; [unrolled: 1-line block ×7, first 2 shown]
	v_mov_b32_e32 v37, 0
	v_lshlrev_b64 v[2:3], 3, v[36:37]
	v_mov_b32_e32 v16, s51
	v_add_co_u32_e32 v2, vcc, s49, v2
	v_addc_co_u32_e32 v3, vcc, v16, v3, vcc
	s_and_saveexec_b64 s[16:17], s[0:1]
	s_cbranch_execnz .LBB200_118
; %bb.102:
	s_or_b64 exec, exec, s[16:17]
	s_and_saveexec_b64 s[0:1], s[2:3]
	s_cbranch_execnz .LBB200_119
.LBB200_103:
	s_or_b64 exec, exec, s[0:1]
	s_and_saveexec_b64 s[0:1], s[4:5]
	s_cbranch_execnz .LBB200_120
.LBB200_104:
	s_or_b64 exec, exec, s[0:1]
	s_and_saveexec_b64 s[0:1], s[6:7]
	s_cbranch_execnz .LBB200_121
.LBB200_105:
	s_or_b64 exec, exec, s[0:1]
	s_and_saveexec_b64 s[0:1], s[8:9]
	s_cbranch_execnz .LBB200_122
.LBB200_106:
	s_or_b64 exec, exec, s[0:1]
	s_and_saveexec_b64 s[0:1], s[10:11]
	s_cbranch_execnz .LBB200_123
.LBB200_107:
	s_or_b64 exec, exec, s[0:1]
	s_and_saveexec_b64 s[0:1], s[12:13]
	s_cbranch_execnz .LBB200_124
.LBB200_108:
	s_or_b64 exec, exec, s[0:1]
	s_and_saveexec_b64 s[0:1], s[14:15]
	s_cbranch_execz .LBB200_110
.LBB200_109:
	s_mul_i32 s0, s52, 0xe00
	s_mov_b32 s1, 0
	s_lshl_b64 s[0:1], s[0:1], 3
	s_waitcnt lgkmcnt(1)
	v_mov_b32_e32 v4, s1
	v_add_co_u32_e32 v2, vcc, s0, v2
	v_addc_co_u32_e32 v3, vcc, v3, v4, vcc
	s_waitcnt lgkmcnt(0)
	global_store_dwordx2 v[2:3], v[0:1], off
.LBB200_110:
	s_endpgm
.LBB200_111:
	ds_read_b32 v9, v39
	s_waitcnt lgkmcnt(0)
	global_store_dword v[0:1], v9, off
	s_or_b64 exec, exec, s[16:17]
	s_and_saveexec_b64 s[16:17], s[2:3]
	s_cbranch_execz .LBB200_94
.LBB200_112:
	s_lshl_b32 s18, s50, 9
	s_mov_b32 s19, 0
	s_lshl_b64 s[18:19], s[18:19], 2
	v_mov_b32_e32 v9, s19
	v_add_co_u32_e32 v10, vcc, s18, v0
	v_addc_co_u32_e32 v11, vcc, v1, v9, vcc
	s_waitcnt lgkmcnt(6)
	global_store_dword v[10:11], v8, off
	s_or_b64 exec, exec, s[16:17]
	s_and_saveexec_b64 s[16:17], s[4:5]
	s_cbranch_execz .LBB200_95
.LBB200_113:
	s_lshl_b32 s18, s50, 10
	s_mov_b32 s19, 0
	s_lshl_b64 s[18:19], s[18:19], 2
	v_mov_b32_e32 v9, s19
	s_waitcnt lgkmcnt(6)
	v_add_co_u32_e32 v8, vcc, s18, v0
	v_addc_co_u32_e32 v9, vcc, v1, v9, vcc
	s_waitcnt lgkmcnt(5)
	global_store_dword v[8:9], v7, off
	s_or_b64 exec, exec, s[16:17]
	s_and_saveexec_b64 s[16:17], s[6:7]
	s_cbranch_execz .LBB200_96
.LBB200_114:
	s_mul_i32 s18, s50, 0x600
	s_mov_b32 s19, 0
	s_lshl_b64 s[18:19], s[18:19], 2
	s_waitcnt lgkmcnt(5)
	v_mov_b32_e32 v7, s19
	v_add_co_u32_e32 v8, vcc, s18, v0
	v_addc_co_u32_e32 v9, vcc, v1, v7, vcc
	s_waitcnt lgkmcnt(4)
	global_store_dword v[8:9], v6, off
	s_or_b64 exec, exec, s[16:17]
	s_and_saveexec_b64 s[16:17], s[8:9]
	s_cbranch_execz .LBB200_97
.LBB200_115:
	s_lshl_b32 s18, s50, 11
	s_mov_b32 s19, 0
	s_lshl_b64 s[18:19], s[18:19], 2
	s_waitcnt lgkmcnt(5)
	v_mov_b32_e32 v7, s19
	s_waitcnt lgkmcnt(4)
	v_add_co_u32_e32 v6, vcc, s18, v0
	v_addc_co_u32_e32 v7, vcc, v1, v7, vcc
	s_waitcnt lgkmcnt(3)
	global_store_dword v[6:7], v5, off
	s_or_b64 exec, exec, s[16:17]
	s_and_saveexec_b64 s[16:17], s[10:11]
	s_cbranch_execz .LBB200_98
.LBB200_116:
	s_mul_i32 s18, s50, 0xa00
	s_mov_b32 s19, 0
	s_lshl_b64 s[18:19], s[18:19], 2
	s_waitcnt lgkmcnt(3)
	v_mov_b32_e32 v5, s19
	v_add_co_u32_e32 v6, vcc, s18, v0
	v_addc_co_u32_e32 v7, vcc, v1, v5, vcc
	s_waitcnt lgkmcnt(2)
	global_store_dword v[6:7], v4, off
	s_or_b64 exec, exec, s[16:17]
	s_and_saveexec_b64 s[16:17], s[12:13]
	s_cbranch_execz .LBB200_99
.LBB200_117:
	s_mul_i32 s18, s50, 0xc00
	s_mov_b32 s19, 0
	s_lshl_b64 s[18:19], s[18:19], 2
	s_waitcnt lgkmcnt(3)
	v_mov_b32_e32 v5, s19
	s_waitcnt lgkmcnt(2)
	v_add_co_u32_e32 v4, vcc, s18, v0
	v_addc_co_u32_e32 v5, vcc, v1, v5, vcc
	s_waitcnt lgkmcnt(1)
	global_store_dword v[4:5], v3, off
	s_or_b64 exec, exec, s[16:17]
	s_and_saveexec_b64 s[16:17], s[14:15]
	s_cbranch_execnz .LBB200_100
	s_branch .LBB200_101
.LBB200_118:
	ds_read_b64 v[16:17], v79
	s_waitcnt lgkmcnt(0)
	global_store_dwordx2 v[2:3], v[16:17], off
	s_or_b64 exec, exec, s[16:17]
	s_and_saveexec_b64 s[0:1], s[2:3]
	s_cbranch_execz .LBB200_103
.LBB200_119:
	s_lshl_b32 s2, s52, 9
	s_mov_b32 s3, 0
	s_lshl_b64 s[2:3], s[2:3], 3
	v_mov_b32_e32 v17, s3
	v_add_co_u32_e32 v16, vcc, s2, v2
	v_addc_co_u32_e32 v17, vcc, v3, v17, vcc
	s_waitcnt lgkmcnt(6)
	global_store_dwordx2 v[16:17], v[14:15], off
	s_or_b64 exec, exec, s[0:1]
	s_and_saveexec_b64 s[0:1], s[4:5]
	s_cbranch_execz .LBB200_104
.LBB200_120:
	s_lshl_b32 s2, s52, 10
	s_mov_b32 s3, 0
	s_lshl_b64 s[2:3], s[2:3], 3
	s_waitcnt lgkmcnt(6)
	v_mov_b32_e32 v15, s3
	v_add_co_u32_e32 v14, vcc, s2, v2
	v_addc_co_u32_e32 v15, vcc, v3, v15, vcc
	s_waitcnt lgkmcnt(5)
	global_store_dwordx2 v[14:15], v[12:13], off
	s_or_b64 exec, exec, s[0:1]
	s_and_saveexec_b64 s[0:1], s[6:7]
	s_cbranch_execz .LBB200_105
.LBB200_121:
	s_mul_i32 s2, s52, 0x600
	s_mov_b32 s3, 0
	s_lshl_b64 s[2:3], s[2:3], 3
	s_waitcnt lgkmcnt(5)
	v_mov_b32_e32 v13, s3
	v_add_co_u32_e32 v12, vcc, s2, v2
	v_addc_co_u32_e32 v13, vcc, v3, v13, vcc
	s_waitcnt lgkmcnt(4)
	global_store_dwordx2 v[12:13], v[10:11], off
	s_or_b64 exec, exec, s[0:1]
	s_and_saveexec_b64 s[0:1], s[8:9]
	s_cbranch_execz .LBB200_106
.LBB200_122:
	s_lshl_b32 s2, s52, 11
	s_mov_b32 s3, 0
	s_lshl_b64 s[2:3], s[2:3], 3
	s_waitcnt lgkmcnt(4)
	v_mov_b32_e32 v11, s3
	v_add_co_u32_e32 v10, vcc, s2, v2
	v_addc_co_u32_e32 v11, vcc, v3, v11, vcc
	s_waitcnt lgkmcnt(3)
	global_store_dwordx2 v[10:11], v[8:9], off
	s_or_b64 exec, exec, s[0:1]
	s_and_saveexec_b64 s[0:1], s[10:11]
	s_cbranch_execz .LBB200_107
.LBB200_123:
	s_mul_i32 s2, s52, 0xa00
	s_mov_b32 s3, 0
	s_lshl_b64 s[2:3], s[2:3], 3
	s_waitcnt lgkmcnt(3)
	v_mov_b32_e32 v9, s3
	v_add_co_u32_e32 v8, vcc, s2, v2
	v_addc_co_u32_e32 v9, vcc, v3, v9, vcc
	s_waitcnt lgkmcnt(2)
	global_store_dwordx2 v[8:9], v[6:7], off
	s_or_b64 exec, exec, s[0:1]
	s_and_saveexec_b64 s[0:1], s[12:13]
	s_cbranch_execz .LBB200_108
.LBB200_124:
	s_mul_i32 s2, s52, 0xc00
	s_mov_b32 s3, 0
	s_lshl_b64 s[2:3], s[2:3], 3
	s_waitcnt lgkmcnt(2)
	v_mov_b32_e32 v7, s3
	v_add_co_u32_e32 v6, vcc, s2, v2
	v_addc_co_u32_e32 v7, vcc, v3, v7, vcc
	s_waitcnt lgkmcnt(1)
	global_store_dwordx2 v[6:7], v[4:5], off
	s_or_b64 exec, exec, s[0:1]
	s_and_saveexec_b64 s[0:1], s[14:15]
	s_cbranch_execnz .LBB200_109
	s_branch .LBB200_110
	.section	.rodata,"a",@progbits
	.p2align	6, 0x0
	.amdhsa_kernel _ZN2at6native18radixSortKVInPlaceILin2ELin1ELi512ELi8EfljEEvNS_4cuda6detail10TensorInfoIT3_T5_EES6_S6_S6_NS4_IT4_S6_EES6_b
		.amdhsa_group_segment_fixed_size 33792
		.amdhsa_private_segment_fixed_size 0
		.amdhsa_kernarg_size 712
		.amdhsa_user_sgpr_count 6
		.amdhsa_user_sgpr_private_segment_buffer 1
		.amdhsa_user_sgpr_dispatch_ptr 0
		.amdhsa_user_sgpr_queue_ptr 0
		.amdhsa_user_sgpr_kernarg_segment_ptr 1
		.amdhsa_user_sgpr_dispatch_id 0
		.amdhsa_user_sgpr_flat_scratch_init 0
		.amdhsa_user_sgpr_kernarg_preload_length 0
		.amdhsa_user_sgpr_kernarg_preload_offset 0
		.amdhsa_user_sgpr_private_segment_size 0
		.amdhsa_uses_dynamic_stack 0
		.amdhsa_system_sgpr_private_segment_wavefront_offset 0
		.amdhsa_system_sgpr_workgroup_id_x 1
		.amdhsa_system_sgpr_workgroup_id_y 1
		.amdhsa_system_sgpr_workgroup_id_z 1
		.amdhsa_system_sgpr_workgroup_info 0
		.amdhsa_system_vgpr_workitem_id 2
		.amdhsa_next_free_vgpr 118
		.amdhsa_next_free_sgpr 62
		.amdhsa_accum_offset 120
		.amdhsa_reserve_vcc 1
		.amdhsa_reserve_flat_scratch 0
		.amdhsa_float_round_mode_32 0
		.amdhsa_float_round_mode_16_64 0
		.amdhsa_float_denorm_mode_32 3
		.amdhsa_float_denorm_mode_16_64 3
		.amdhsa_dx10_clamp 1
		.amdhsa_ieee_mode 1
		.amdhsa_fp16_overflow 0
		.amdhsa_tg_split 0
		.amdhsa_exception_fp_ieee_invalid_op 0
		.amdhsa_exception_fp_denorm_src 0
		.amdhsa_exception_fp_ieee_div_zero 0
		.amdhsa_exception_fp_ieee_overflow 0
		.amdhsa_exception_fp_ieee_underflow 0
		.amdhsa_exception_fp_ieee_inexact 0
		.amdhsa_exception_int_div_zero 0
	.end_amdhsa_kernel
	.section	.text._ZN2at6native18radixSortKVInPlaceILin2ELin1ELi512ELi8EfljEEvNS_4cuda6detail10TensorInfoIT3_T5_EES6_S6_S6_NS4_IT4_S6_EES6_b,"axG",@progbits,_ZN2at6native18radixSortKVInPlaceILin2ELin1ELi512ELi8EfljEEvNS_4cuda6detail10TensorInfoIT3_T5_EES6_S6_S6_NS4_IT4_S6_EES6_b,comdat
.Lfunc_end200:
	.size	_ZN2at6native18radixSortKVInPlaceILin2ELin1ELi512ELi8EfljEEvNS_4cuda6detail10TensorInfoIT3_T5_EES6_S6_S6_NS4_IT4_S6_EES6_b, .Lfunc_end200-_ZN2at6native18radixSortKVInPlaceILin2ELin1ELi512ELi8EfljEEvNS_4cuda6detail10TensorInfoIT3_T5_EES6_S6_S6_NS4_IT4_S6_EES6_b
                                        ; -- End function
	.section	.AMDGPU.csdata,"",@progbits
; Kernel info:
; codeLenInByte = 13420
; NumSgprs: 66
; NumVgprs: 118
; NumAgprs: 0
; TotalNumVgprs: 118
; ScratchSize: 0
; MemoryBound: 0
; FloatMode: 240
; IeeeMode: 1
; LDSByteSize: 33792 bytes/workgroup (compile time only)
; SGPRBlocks: 8
; VGPRBlocks: 14
; NumSGPRsForWavesPerEU: 66
; NumVGPRsForWavesPerEU: 118
; AccumOffset: 120
; Occupancy: 2
; WaveLimiterHint : 1
; COMPUTE_PGM_RSRC2:SCRATCH_EN: 0
; COMPUTE_PGM_RSRC2:USER_SGPR: 6
; COMPUTE_PGM_RSRC2:TRAP_HANDLER: 0
; COMPUTE_PGM_RSRC2:TGID_X_EN: 1
; COMPUTE_PGM_RSRC2:TGID_Y_EN: 1
; COMPUTE_PGM_RSRC2:TGID_Z_EN: 1
; COMPUTE_PGM_RSRC2:TIDIG_COMP_CNT: 2
; COMPUTE_PGM_RSRC3_GFX90A:ACCUM_OFFSET: 29
; COMPUTE_PGM_RSRC3_GFX90A:TG_SPLIT: 0
	.section	.text._ZN2at6native18radixSortKVInPlaceILin2ELin1ELi256ELi8EfljEEvNS_4cuda6detail10TensorInfoIT3_T5_EES6_S6_S6_NS4_IT4_S6_EES6_b,"axG",@progbits,_ZN2at6native18radixSortKVInPlaceILin2ELin1ELi256ELi8EfljEEvNS_4cuda6detail10TensorInfoIT3_T5_EES6_S6_S6_NS4_IT4_S6_EES6_b,comdat
	.protected	_ZN2at6native18radixSortKVInPlaceILin2ELin1ELi256ELi8EfljEEvNS_4cuda6detail10TensorInfoIT3_T5_EES6_S6_S6_NS4_IT4_S6_EES6_b ; -- Begin function _ZN2at6native18radixSortKVInPlaceILin2ELin1ELi256ELi8EfljEEvNS_4cuda6detail10TensorInfoIT3_T5_EES6_S6_S6_NS4_IT4_S6_EES6_b
	.globl	_ZN2at6native18radixSortKVInPlaceILin2ELin1ELi256ELi8EfljEEvNS_4cuda6detail10TensorInfoIT3_T5_EES6_S6_S6_NS4_IT4_S6_EES6_b
	.p2align	8
	.type	_ZN2at6native18radixSortKVInPlaceILin2ELin1ELi256ELi8EfljEEvNS_4cuda6detail10TensorInfoIT3_T5_EES6_S6_S6_NS4_IT4_S6_EES6_b,@function
_ZN2at6native18radixSortKVInPlaceILin2ELin1ELi256ELi8EfljEEvNS_4cuda6detail10TensorInfoIT3_T5_EES6_S6_S6_NS4_IT4_S6_EES6_b: ; @_ZN2at6native18radixSortKVInPlaceILin2ELin1ELi256ELi8EfljEEvNS_4cuda6detail10TensorInfoIT3_T5_EES6_S6_S6_NS4_IT4_S6_EES6_b
; %bb.0:
	s_load_dwordx2 s[0:1], s[4:5], 0x1c8
	s_load_dwordx4 s[44:47], s[4:5], 0xd8
	s_add_u32 s50, s4, 0x1c8
	s_addc_u32 s51, s5, 0
	s_waitcnt lgkmcnt(0)
	s_mul_i32 s1, s1, s8
	s_add_i32 s1, s1, s7
	s_mul_i32 s0, s1, s0
	s_add_i32 s6, s0, s6
	s_cmp_ge_u32 s6, s44
	s_cbranch_scc1 .LBB201_110
; %bb.1:
	s_load_dword s2, s[4:5], 0x1b8
	s_load_dwordx2 s[0:1], s[4:5], 0x0
	s_add_u32 s14, s4, 0xe8
	s_addc_u32 s15, s5, 0
	s_mov_b32 s17, 0
	s_waitcnt lgkmcnt(0)
	s_cmp_lt_i32 s2, 2
	s_mov_b32 s16, s6
	s_cbranch_scc1 .LBB201_4
; %bb.2:
	s_add_i32 s16, s2, -1
	s_add_i32 s7, s2, 1
	s_lshl_b64 s[2:3], s[16:17], 2
	s_add_u32 s2, s2, s14
	s_addc_u32 s3, s3, s15
	s_add_u32 s2, s2, 8
	s_addc_u32 s3, s3, 0
	s_mov_b32 s16, s6
.LBB201_3:                              ; =>This Inner Loop Header: Depth=1
	s_load_dword s8, s[2:3], 0x0
	s_load_dword s10, s[2:3], 0x64
	s_mov_b32 s9, s16
	s_waitcnt lgkmcnt(0)
	v_cvt_f32_u32_e32 v1, s8
	s_sub_i32 s11, 0, s8
	v_rcp_iflag_f32_e32 v1, v1
	v_mul_f32_e32 v1, 0x4f7ffffe, v1
	v_cvt_u32_f32_e32 v1, v1
	v_readfirstlane_b32 s12, v1
	s_mul_i32 s11, s11, s12
	s_mul_hi_u32 s11, s12, s11
	s_add_i32 s12, s12, s11
	s_mul_hi_u32 s11, s16, s12
	s_mul_i32 s12, s11, s8
	s_sub_i32 s12, s16, s12
	s_add_i32 s13, s11, 1
	s_sub_i32 s16, s12, s8
	s_cmp_ge_u32 s12, s8
	s_cselect_b32 s11, s13, s11
	s_cselect_b32 s12, s16, s12
	s_add_i32 s13, s11, 1
	s_cmp_ge_u32 s12, s8
	s_cselect_b32 s16, s13, s11
	s_mul_i32 s8, s16, s8
	s_sub_i32 s8, s9, s8
	s_mul_i32 s8, s10, s8
	s_add_i32 s7, s7, -1
	s_add_i32 s17, s8, s17
	s_add_u32 s2, s2, -4
	s_addc_u32 s3, s3, -1
	s_cmp_gt_u32 s7, 2
	s_cbranch_scc1 .LBB201_3
.LBB201_4:
	s_load_dword s2, s[4:5], 0x6c
	s_load_dwordx2 s[48:49], s[4:5], 0x1c0
	s_mov_b32 s3, 0
	v_bfrev_b32_e32 v1, -2
	v_and_b32_e32 v38, 0x3ff, v0
	s_waitcnt lgkmcnt(0)
	s_mul_i32 s2, s2, s6
	s_bitcmp1_b32 s49, 0
	s_cselect_b64 s[34:35], -1, 0
	s_lshl_b64 s[2:3], s[2:3], 2
	s_add_u32 s33, s0, s2
	v_cndmask_b32_e64 v1, v1, -1, s[34:35]
	s_addc_u32 s47, s1, s3
	v_mov_b32_e32 v2, v1
	v_mov_b32_e32 v3, v1
	;; [unrolled: 1-line block ×6, first 2 shown]
	v_cmp_gt_u32_e64 s[0:1], s45, v38
	v_mul_lo_u32 v34, v38, s46
	v_mov_b32_e32 v8, v1
	s_and_saveexec_b64 s[2:3], s[0:1]
	s_cbranch_execz .LBB201_6
; %bb.5:
	v_mov_b32_e32 v35, 0
	v_lshlrev_b64 v[8:9], 2, v[34:35]
	v_mov_b32_e32 v10, s47
	v_add_co_u32_e32 v8, vcc, s33, v8
	v_addc_co_u32_e32 v9, vcc, v10, v9, vcc
	global_load_dword v8, v[8:9], off
.LBB201_6:
	s_or_b64 exec, exec, s[2:3]
	v_add_u32_e32 v30, 0x100, v38
	v_cmp_gt_u32_e64 s[2:3], s45, v30
	s_and_saveexec_b64 s[4:5], s[2:3]
	s_cbranch_execz .LBB201_8
; %bb.7:
	v_mul_lo_u32 v10, v30, s46
	v_mov_b32_e32 v11, 0
	v_lshlrev_b64 v[10:11], 2, v[10:11]
	v_mov_b32_e32 v1, s47
	v_add_co_u32_e32 v10, vcc, s33, v10
	v_addc_co_u32_e32 v11, vcc, v1, v11, vcc
	global_load_dword v1, v[10:11], off
.LBB201_8:
	s_or_b64 exec, exec, s[4:5]
	v_add_u32_e32 v28, 0x200, v38
	v_cmp_gt_u32_e64 s[4:5], s45, v28
	s_and_saveexec_b64 s[6:7], s[4:5]
	s_cbranch_execz .LBB201_10
; %bb.9:
	v_mul_lo_u32 v10, v28, s46
	v_mov_b32_e32 v11, 0
	v_lshlrev_b64 v[10:11], 2, v[10:11]
	v_mov_b32_e32 v2, s47
	v_add_co_u32_e32 v10, vcc, s33, v10
	v_addc_co_u32_e32 v11, vcc, v2, v11, vcc
	global_load_dword v2, v[10:11], off
.LBB201_10:
	s_or_b64 exec, exec, s[6:7]
	v_add_u32_e32 v26, 0x300, v38
	v_cmp_gt_u32_e64 s[6:7], s45, v26
	s_and_saveexec_b64 s[8:9], s[6:7]
	s_cbranch_execz .LBB201_12
; %bb.11:
	v_mul_lo_u32 v10, v26, s46
	v_mov_b32_e32 v11, 0
	v_lshlrev_b64 v[10:11], 2, v[10:11]
	v_mov_b32_e32 v3, s47
	v_add_co_u32_e32 v10, vcc, s33, v10
	v_addc_co_u32_e32 v11, vcc, v3, v11, vcc
	global_load_dword v3, v[10:11], off
.LBB201_12:
	s_or_b64 exec, exec, s[8:9]
	v_or_b32_e32 v24, 0x400, v38
	v_cmp_gt_u32_e64 s[8:9], s45, v24
	s_and_saveexec_b64 s[10:11], s[8:9]
	s_cbranch_execz .LBB201_14
; %bb.13:
	v_mul_lo_u32 v10, v24, s46
	v_mov_b32_e32 v11, 0
	v_lshlrev_b64 v[10:11], 2, v[10:11]
	v_mov_b32_e32 v4, s47
	v_add_co_u32_e32 v10, vcc, s33, v10
	v_addc_co_u32_e32 v11, vcc, v4, v11, vcc
	global_load_dword v4, v[10:11], off
.LBB201_14:
	s_or_b64 exec, exec, s[10:11]
	v_add_u32_e32 v21, 0x500, v38
	v_cmp_gt_u32_e64 s[10:11], s45, v21
	s_and_saveexec_b64 s[12:13], s[10:11]
	s_cbranch_execz .LBB201_16
; %bb.15:
	v_mul_lo_u32 v10, v21, s46
	v_mov_b32_e32 v11, 0
	v_lshlrev_b64 v[10:11], 2, v[10:11]
	v_mov_b32_e32 v5, s47
	v_add_co_u32_e32 v10, vcc, s33, v10
	v_addc_co_u32_e32 v11, vcc, v5, v11, vcc
	global_load_dword v5, v[10:11], off
.LBB201_16:
	s_or_b64 exec, exec, s[12:13]
	s_load_dwordx2 s[18:19], s[14:15], 0x0
	v_add_u32_e32 v19, 0x600, v38
	v_cmp_gt_u32_e64 s[12:13], s45, v19
	s_and_saveexec_b64 s[20:21], s[12:13]
	s_cbranch_execz .LBB201_18
; %bb.17:
	v_mul_lo_u32 v10, v19, s46
	v_mov_b32_e32 v11, 0
	v_lshlrev_b64 v[10:11], 2, v[10:11]
	v_mov_b32_e32 v6, s47
	v_add_co_u32_e32 v10, vcc, s33, v10
	v_addc_co_u32_e32 v11, vcc, v6, v11, vcc
	global_load_dword v6, v[10:11], off
.LBB201_18:
	s_or_b64 exec, exec, s[20:21]
	s_load_dword s22, s[14:15], 0x6c
	v_add_u32_e32 v18, 0x700, v38
	v_cmp_gt_u32_e64 s[14:15], s45, v18
	s_and_saveexec_b64 s[20:21], s[14:15]
	s_cbranch_execz .LBB201_20
; %bb.19:
	v_mul_lo_u32 v10, v18, s46
	v_mov_b32_e32 v11, 0
	v_lshlrev_b64 v[10:11], 2, v[10:11]
	v_mov_b32_e32 v7, s47
	v_add_co_u32_e32 v10, vcc, s33, v10
	v_addc_co_u32_e32 v11, vcc, v7, v11, vcc
	global_load_dword v7, v[10:11], off
.LBB201_20:
	s_or_b64 exec, exec, s[20:21]
	v_lshrrev_b32_e32 v9, 5, v38
	v_add_u32_e32 v32, v9, v38
	v_lshlrev_b32_e32 v39, 2, v32
	s_waitcnt vmcnt(0)
	ds_write_b32 v39, v8
	v_lshrrev_b32_e32 v8, 5, v30
	v_add_u32_e32 v31, v8, v38
	v_lshlrev_b32_e32 v35, 2, v31
	ds_write_b32 v35, v1 offset:1024
	v_lshrrev_b32_e32 v1, 5, v28
	v_add_u32_e32 v29, v1, v38
	v_lshrrev_b32_e32 v1, 5, v26
	v_add_u32_e32 v27, v1, v38
	;; [unrolled: 2-line block ×3, first 2 shown]
	v_lshrrev_b32_e32 v1, 5, v21
	v_lshlrev_b32_e32 v72, 2, v29
	v_add_u32_e32 v23, v1, v38
	v_lshrrev_b32_e32 v1, 5, v19
	ds_write_b32 v72, v2 offset:2048
	v_add_u32_e32 v20, v1, v38
	v_lshrrev_b32_e32 v1, 5, v18
	v_lshlrev_b32_e32 v87, 3, v38
	v_lshrrev_b32_e32 v2, 2, v38
	v_add_u32_e32 v1, v1, v38
	v_add_u32_e32 v22, v2, v87
	v_lshlrev_b32_e32 v73, 2, v27
	v_lshlrev_b32_e32 v74, 2, v25
	;; [unrolled: 1-line block ×6, first 2 shown]
	ds_write_b32 v73, v3 offset:3072
	ds_write_b32 v74, v4 offset:4096
	;; [unrolled: 1-line block ×5, first 2 shown]
	s_waitcnt lgkmcnt(0)
	s_barrier
	ds_read2_b32 v[46:47], v78 offset1:1
	ds_read2_b32 v[44:45], v78 offset0:2 offset1:3
	ds_read2_b32 v[42:43], v78 offset0:4 offset1:5
	;; [unrolled: 1-line block ×3, first 2 shown]
	s_mul_i32 s16, s22, s16
	s_add_i32 s16, s16, s17
	s_mov_b32 s17, 0
	s_lshl_b64 s[20:21], s[16:17], 3
	s_add_u32 s49, s18, s20
	s_mov_b32 s16, s17
	s_addc_u32 s52, s19, s21
	s_mov_b32 s18, s17
	s_mov_b32 s19, s17
	;; [unrolled: 1-line block ×14, first 2 shown]
	v_pk_mov_b32 v[2:3], s[16:17], s[16:17] op_sel:[0,1]
	v_pk_mov_b32 v[4:5], s[18:19], s[18:19] op_sel:[0,1]
	;; [unrolled: 1-line block ×8, first 2 shown]
	v_pk_mov_b32 v[2:3], 0, 0
	v_mul_lo_u32 v36, v38, s48
	s_waitcnt lgkmcnt(0)
	s_barrier
	s_and_saveexec_b64 s[16:17], s[0:1]
	s_cbranch_execnz .LBB201_57
; %bb.21:
	s_or_b64 exec, exec, s[16:17]
	s_and_saveexec_b64 s[16:17], s[2:3]
	s_cbranch_execnz .LBB201_58
.LBB201_22:
	s_or_b64 exec, exec, s[16:17]
	s_and_saveexec_b64 s[16:17], s[4:5]
	s_cbranch_execnz .LBB201_59
.LBB201_23:
	s_or_b64 exec, exec, s[16:17]
	s_and_saveexec_b64 s[16:17], s[6:7]
	s_cbranch_execnz .LBB201_60
.LBB201_24:
	s_or_b64 exec, exec, s[16:17]
	s_and_saveexec_b64 s[16:17], s[8:9]
	s_cbranch_execnz .LBB201_61
.LBB201_25:
	s_or_b64 exec, exec, s[16:17]
	s_and_saveexec_b64 s[16:17], s[10:11]
	s_cbranch_execnz .LBB201_62
.LBB201_26:
	s_or_b64 exec, exec, s[16:17]
	s_and_saveexec_b64 s[16:17], s[12:13]
	s_cbranch_execnz .LBB201_63
.LBB201_27:
	s_or_b64 exec, exec, s[16:17]
	s_xor_b64 s[16:17], s[34:35], -1
	s_and_saveexec_b64 s[18:19], s[14:15]
	s_cbranch_execz .LBB201_29
.LBB201_28:
	v_mul_lo_u32 v16, v18, s48
	v_mov_b32_e32 v17, 0
	v_lshlrev_b64 v[16:17], 3, v[16:17]
	v_mov_b32_e32 v18, s52
	v_add_co_u32_e32 v16, vcc, s49, v16
	v_addc_co_u32_e32 v17, vcc, v18, v17, vcc
	global_load_dwordx2 v[16:17], v[16:17], off
.LBB201_29:
	s_or_b64 exec, exec, s[18:19]
	v_lshlrev_b32_e32 v79, 3, v32
	v_lshlrev_b32_e32 v37, 3, v31
	v_lshlrev_b32_e32 v80, 3, v29
	v_lshlrev_b32_e32 v81, 3, v27
	v_lshlrev_b32_e32 v82, 3, v25
	v_lshlrev_b32_e32 v83, 3, v23
	v_lshlrev_b32_e32 v84, 3, v20
	v_lshlrev_b32_e32 v85, 3, v1
	v_lshlrev_b32_e32 v86, 3, v22
	s_waitcnt vmcnt(0)
	ds_write_b64 v79, v[2:3]
	ds_write_b64 v37, v[4:5] offset:2048
	ds_write_b64 v80, v[6:7] offset:4096
	;; [unrolled: 1-line block ×7, first 2 shown]
	s_waitcnt lgkmcnt(0)
	s_barrier
	ds_read2_b64 v[14:17], v86 offset1:1
	ds_read2_b64 v[10:13], v86 offset0:2 offset1:3
	ds_read2_b64 v[6:9], v86 offset0:4 offset1:5
	;; [unrolled: 1-line block ×3, first 2 shown]
	s_and_b64 vcc, exec, s[16:17]
	v_bfe_u32 v91, v0, 10, 10
	v_bfe_u32 v92, v0, 20, 10
	v_mbcnt_lo_u32_b32 v93, -1, 0
	v_lshlrev_b32_e32 v88, 2, v38
	v_lshlrev_b32_e32 v89, 4, v38
	v_cmp_gt_u32_e64 s[16:17], 4, v38
	v_cmp_lt_u32_e64 s[18:19], 63, v38
	v_cmp_eq_u32_e64 s[20:21], 0, v38
	v_lshrrev_b32_e32 v90, 4, v38
	s_waitcnt lgkmcnt(0)
	s_barrier
	s_cbranch_vccz .LBB201_64
; %bb.30:
	v_bfrev_b32_e32 v94, 1
	v_cmp_lt_i32_e32 vcc, -1, v46
	v_mbcnt_hi_u32_b32 v48, -1, v93
	v_and_b32_e32 v49, 0x3c0, v38
	v_cndmask_b32_e32 v18, -1, v94, vcc
	v_cmp_lt_i32_e32 vcc, -1, v47
	v_add_u32_e32 v0, v48, v49
	v_cndmask_b32_e32 v19, -1, v94, vcc
	v_lshlrev_b32_e32 v1, 5, v0
	v_xor_b32_e32 v19, v19, v47
	v_xor_b32_e32 v18, v18, v46
	v_cmp_lt_i32_e32 vcc, -1, v44
	ds_write2_b32 v1, v18, v19 offset1:1
	v_cndmask_b32_e32 v18, -1, v94, vcc
	v_cmp_lt_i32_e32 vcc, -1, v45
	v_cndmask_b32_e32 v19, -1, v94, vcc
	v_xor_b32_e32 v19, v19, v45
	v_xor_b32_e32 v18, v18, v44
	v_cmp_lt_i32_e32 vcc, -1, v42
	ds_write2_b32 v1, v18, v19 offset0:2 offset1:3
	v_cndmask_b32_e32 v18, -1, v94, vcc
	v_cmp_lt_i32_e32 vcc, -1, v43
	v_cndmask_b32_e32 v19, -1, v94, vcc
	v_xor_b32_e32 v19, v19, v43
	v_xor_b32_e32 v18, v18, v42
	v_cmp_lt_i32_e32 vcc, -1, v40
	ds_write2_b32 v1, v18, v19 offset0:4 offset1:5
	v_cndmask_b32_e32 v18, -1, v94, vcc
	v_cmp_lt_i32_e32 vcc, -1, v41
	v_cndmask_b32_e32 v19, -1, v94, vcc
	v_xor_b32_e32 v19, v19, v41
	v_xor_b32_e32 v18, v18, v40
	v_and_b32_e32 v50, 0x1e00, v87
	ds_write2_b32 v1, v18, v19 offset0:6 offset1:7
	v_or_b32_e32 v1, v48, v50
	v_lshlrev_b32_e32 v18, 2, v1
	v_lshlrev_b32_e32 v0, 6, v0
	; wave barrier
	ds_read2st64_b32 v[64:65], v18 offset1:1
	ds_read2st64_b32 v[66:67], v18 offset0:2 offset1:3
	ds_read2st64_b32 v[68:69], v18 offset0:4 offset1:5
	;; [unrolled: 1-line block ×3, first 2 shown]
	s_waitcnt lgkmcnt(0)
	s_barrier
	ds_write2_b64 v0, v[14:15], v[16:17] offset1:1
	ds_write2_b64 v0, v[10:11], v[12:13] offset0:2 offset1:3
	ds_write2_b64 v0, v[6:7], v[8:9] offset0:4 offset1:5
	;; [unrolled: 1-line block ×3, first 2 shown]
	v_lshlrev_b32_e32 v0, 3, v1
	; wave barrier
	ds_read2st64_b64 v[18:21], v0 offset1:1
	ds_read2st64_b64 v[22:25], v0 offset0:2 offset1:3
	ds_read2st64_b64 v[26:29], v0 offset0:4 offset1:5
	;; [unrolled: 1-line block ×3, first 2 shown]
	s_waitcnt lgkmcnt(0)
	s_barrier
	s_load_dword s24, s[50:51], 0xc
	s_getpc_b64 s[22:23]
	s_add_u32 s22, s22, _ZN7rocprim17ROCPRIM_400000_NS16block_radix_sortIfLj256ELj8ElLj1ELj1ELj0ELNS0_26block_radix_rank_algorithmE1ELNS0_18block_padding_hintE2ELNS0_4arch9wavefront6targetE1EE19radix_bits_per_passE@rel32@lo+4
	s_addc_u32 s23, s23, _ZN7rocprim17ROCPRIM_400000_NS16block_radix_sortIfLj256ELj8ElLj1ELj1ELj0ELNS0_26block_radix_rank_algorithmE1ELNS0_18block_padding_hintE2ELNS0_4arch9wavefront6targetE1EE19radix_bits_per_passE@rel32@hi+12
	s_load_dword s53, s[22:23], 0x0
	v_and_b32_e32 v98, 60, v90
	s_mov_b32 s54, 0
	s_waitcnt lgkmcnt(0)
	s_lshr_b32 s22, s24, 16
	s_and_b32 s23, s24, 0xffff
	v_mad_u32_u24 v0, v92, s22, v91
	v_mad_u64_u32 v[0:1], s[22:23], v0, s23, v[38:39]
	v_lshrrev_b32_e32 v96, 6, v0
	v_and_b32_e32 v0, 15, v48
	v_cmp_eq_u32_e64 s[22:23], 0, v0
	v_cmp_lt_u32_e64 s[24:25], 1, v0
	v_cmp_lt_u32_e64 s[26:27], 3, v0
	;; [unrolled: 1-line block ×3, first 2 shown]
	v_and_b32_e32 v0, 16, v48
	v_cmp_eq_u32_e64 s[30:31], 0, v0
	v_min_u32_e32 v0, 0xc0, v49
	v_or_b32_e32 v0, 63, v0
	v_cmp_eq_u32_e64 s[36:37], v0, v38
	v_add_u32_e32 v0, -1, v48
	v_and_b32_e32 v1, 64, v48
	v_cmp_lt_i32_e32 vcc, v0, v1
	v_cndmask_b32_e32 v0, v0, v48, vcc
	v_lshlrev_b32_e32 v97, 2, v0
	v_and_b32_e32 v0, 3, v48
	v_cmp_eq_u32_e64 s[40:41], 0, v0
	v_cmp_lt_u32_e64 s[42:43], 1, v0
	v_and_or_b32 v0, v48, 63, v50
	v_add_u32_e32 v95, 16, v89
	v_cmp_lt_u32_e64 s[34:35], 31, v48
	v_cmp_eq_u32_e64 s[38:39], 0, v48
	v_add_u32_e32 v99, -4, v98
	v_lshlrev_b32_e32 v100, 2, v0
	v_lshlrev_b32_e32 v101, 3, v0
	s_mov_b32 s56, 32
	s_brev_b32 s55, -2
	v_mov_b32_e32 v62, 0
	s_branch .LBB201_32
.LBB201_31:                             ;   in Loop: Header=BB201_32 Depth=1
	v_lshlrev_b32_e32 v18, 2, v63
	s_barrier
	ds_write_b32 v18, v109
	v_lshlrev_b32_e32 v18, 2, v111
	ds_write_b32 v18, v108
	v_lshlrev_b32_e32 v18, 2, v112
	;; [unrolled: 2-line block ×8, first 2 shown]
	s_waitcnt lgkmcnt(0)
	s_barrier
	ds_read2st64_b32 v[64:65], v100 offset1:1
	ds_read2st64_b32 v[66:67], v100 offset0:2 offset1:3
	ds_read2st64_b32 v[68:69], v100 offset0:4 offset1:5
	;; [unrolled: 1-line block ×3, first 2 shown]
	s_waitcnt lgkmcnt(0)
	s_barrier
	ds_write_b64 v18, v[60:61]
	v_lshlrev_b32_e32 v18, 3, v111
	ds_write_b64 v18, v[58:59]
	v_lshlrev_b32_e32 v18, 3, v112
	;; [unrolled: 2-line block ×7, first 2 shown]
	ds_write_b64 v18, v[0:1]
	s_waitcnt lgkmcnt(0)
	s_barrier
	ds_read2st64_b64 v[18:21], v101 offset1:1
	ds_read2st64_b64 v[22:25], v101 offset0:2 offset1:3
	ds_read2st64_b64 v[26:29], v101 offset0:4 offset1:5
	;; [unrolled: 1-line block ×3, first 2 shown]
	s_add_i32 s54, s54, 8
	s_add_i32 s56, s56, -8
	s_waitcnt lgkmcnt(0)
	s_barrier
	s_cbranch_execz .LBB201_56
.LBB201_32:                             ; =>This Inner Loop Header: Depth=1
	v_mov_b32_e32 v109, v64
	s_min_u32 s44, s53, s56
	v_cmp_ne_u32_e32 vcc, s55, v109
	v_pk_mov_b32 v[60:61], v[18:19], v[18:19] op_sel:[0,1]
	s_lshl_b32 s44, -1, s44
	v_cndmask_b32_e32 v18, v94, v109, vcc
	s_not_b32 s57, s44
	v_lshrrev_b32_e32 v18, s54, v18
	v_and_b32_e32 v18, s57, v18
	v_lshl_add_u32 v19, v18, 2, v96
	v_pk_mov_b32 v[56:57], v[22:23], v[22:23] op_sel:[0,1]
	v_lshl_add_u32 v22, v19, 2, 16
	v_and_b32_e32 v19, 1, v18
	v_pk_mov_b32 v[58:59], v[20:21], v[20:21] op_sel:[0,1]
	v_add_co_u32_e32 v20, vcc, -1, v19
	v_addc_co_u32_e64 v21, s[44:45], 0, -1, vcc
	v_cmp_ne_u32_e32 vcc, 0, v19
	v_lshlrev_b32_e32 v63, 30, v18
	v_xor_b32_e32 v19, vcc_hi, v21
	v_not_b32_e32 v21, v63
	v_xor_b32_e32 v20, vcc_lo, v20
	v_cmp_gt_i64_e32 vcc, 0, v[62:63]
	v_ashrrev_i32_e32 v21, 31, v21
	v_and_b32_e32 v20, exec_lo, v20
	v_xor_b32_e32 v23, vcc_hi, v21
	v_xor_b32_e32 v21, vcc_lo, v21
	v_lshlrev_b32_e32 v63, 29, v18
	v_and_b32_e32 v20, v20, v21
	v_not_b32_e32 v21, v63
	v_and_b32_e32 v19, exec_hi, v19
	v_cmp_gt_i64_e32 vcc, 0, v[62:63]
	v_ashrrev_i32_e32 v21, 31, v21
	v_and_b32_e32 v19, v19, v23
	v_xor_b32_e32 v23, vcc_hi, v21
	v_xor_b32_e32 v21, vcc_lo, v21
	v_lshlrev_b32_e32 v63, 28, v18
	v_and_b32_e32 v20, v20, v21
	v_not_b32_e32 v21, v63
	v_cmp_gt_i64_e32 vcc, 0, v[62:63]
	v_ashrrev_i32_e32 v21, 31, v21
	v_and_b32_e32 v19, v19, v23
	v_xor_b32_e32 v23, vcc_hi, v21
	v_xor_b32_e32 v21, vcc_lo, v21
	v_lshlrev_b32_e32 v63, 27, v18
	v_and_b32_e32 v20, v20, v21
	v_not_b32_e32 v21, v63
	;; [unrolled: 8-line block ×3, first 2 shown]
	v_cmp_gt_i64_e32 vcc, 0, v[62:63]
	v_ashrrev_i32_e32 v21, 31, v21
	v_and_b32_e32 v19, v19, v23
	v_xor_b32_e32 v23, vcc_hi, v21
	v_xor_b32_e32 v21, vcc_lo, v21
	v_lshlrev_b32_e32 v63, 25, v18
	v_and_b32_e32 v20, v20, v21
	v_cmp_gt_i64_e32 vcc, 0, v[62:63]
	v_not_b32_e32 v21, v63
	v_lshlrev_b32_e32 v63, 24, v18
	v_ashrrev_i32_e32 v21, 31, v21
	v_not_b32_e32 v18, v63
	v_and_b32_e32 v19, v19, v23
	v_xor_b32_e32 v23, vcc_hi, v21
	v_xor_b32_e32 v21, vcc_lo, v21
	v_cmp_gt_i64_e32 vcc, 0, v[62:63]
	v_ashrrev_i32_e32 v18, 31, v18
	v_and_b32_e32 v20, v20, v21
	v_xor_b32_e32 v21, vcc_hi, v18
	v_xor_b32_e32 v18, vcc_lo, v18
	v_and_b32_e32 v19, v19, v23
	v_and_b32_e32 v18, v20, v18
	;; [unrolled: 1-line block ×3, first 2 shown]
	v_mbcnt_lo_u32_b32 v20, v18, 0
	v_mbcnt_hi_u32_b32 v23, v19, v20
	v_cmp_eq_u32_e32 vcc, 0, v23
	v_cmp_ne_u64_e64 s[44:45], 0, v[18:19]
	v_mov_b32_e32 v102, v71
	v_mov_b32_e32 v103, v70
	;; [unrolled: 1-line block ×7, first 2 shown]
	v_pk_mov_b32 v[0:1], v[32:33], v[32:33] op_sel:[0,1]
	v_pk_mov_b32 v[48:49], v[30:31], v[30:31] op_sel:[0,1]
	;; [unrolled: 1-line block ×5, first 2 shown]
	s_and_b64 s[58:59], s[44:45], vcc
	ds_write2_b32 v89, v62, v62 offset0:4 offset1:5
	ds_write2_b32 v95, v62, v62 offset0:2 offset1:3
	s_waitcnt lgkmcnt(0)
	s_barrier
	s_waitcnt lgkmcnt(0)
	; wave barrier
	s_and_saveexec_b64 s[44:45], s[58:59]
	s_cbranch_execz .LBB201_34
; %bb.33:                               ;   in Loop: Header=BB201_32 Depth=1
	v_bcnt_u32_b32 v18, v18, 0
	v_bcnt_u32_b32 v18, v19, v18
	ds_write_b32 v22, v18
.LBB201_34:                             ;   in Loop: Header=BB201_32 Depth=1
	s_or_b64 exec, exec, s[44:45]
	v_cmp_ne_u32_e32 vcc, s55, v108
	v_cndmask_b32_e32 v18, v94, v108, vcc
	v_lshrrev_b32_e32 v18, s54, v18
	v_and_b32_e32 v18, s57, v18
	v_lshlrev_b32_e32 v19, 2, v18
	v_add_lshl_u32 v19, v19, v96, 2
	; wave barrier
	v_add_u32_e32 v25, 16, v19
	ds_read_b32 v24, v19 offset:16
	v_and_b32_e32 v19, 1, v18
	v_add_co_u32_e32 v20, vcc, -1, v19
	v_addc_co_u32_e64 v21, s[44:45], 0, -1, vcc
	v_cmp_ne_u32_e32 vcc, 0, v19
	v_lshlrev_b32_e32 v63, 30, v18
	v_xor_b32_e32 v19, vcc_hi, v21
	v_not_b32_e32 v21, v63
	v_xor_b32_e32 v20, vcc_lo, v20
	v_cmp_gt_i64_e32 vcc, 0, v[62:63]
	v_ashrrev_i32_e32 v21, 31, v21
	v_and_b32_e32 v20, exec_lo, v20
	v_xor_b32_e32 v26, vcc_hi, v21
	v_xor_b32_e32 v21, vcc_lo, v21
	v_lshlrev_b32_e32 v63, 29, v18
	v_and_b32_e32 v20, v20, v21
	v_not_b32_e32 v21, v63
	v_and_b32_e32 v19, exec_hi, v19
	v_cmp_gt_i64_e32 vcc, 0, v[62:63]
	v_ashrrev_i32_e32 v21, 31, v21
	v_and_b32_e32 v19, v19, v26
	v_xor_b32_e32 v26, vcc_hi, v21
	v_xor_b32_e32 v21, vcc_lo, v21
	v_lshlrev_b32_e32 v63, 28, v18
	v_and_b32_e32 v20, v20, v21
	v_not_b32_e32 v21, v63
	v_cmp_gt_i64_e32 vcc, 0, v[62:63]
	v_ashrrev_i32_e32 v21, 31, v21
	v_and_b32_e32 v19, v19, v26
	v_xor_b32_e32 v26, vcc_hi, v21
	v_xor_b32_e32 v21, vcc_lo, v21
	v_lshlrev_b32_e32 v63, 27, v18
	v_and_b32_e32 v20, v20, v21
	v_not_b32_e32 v21, v63
	;; [unrolled: 8-line block ×3, first 2 shown]
	v_cmp_gt_i64_e32 vcc, 0, v[62:63]
	v_ashrrev_i32_e32 v21, 31, v21
	v_and_b32_e32 v19, v19, v26
	v_xor_b32_e32 v26, vcc_hi, v21
	v_xor_b32_e32 v21, vcc_lo, v21
	v_lshlrev_b32_e32 v63, 25, v18
	v_and_b32_e32 v20, v20, v21
	v_cmp_gt_i64_e32 vcc, 0, v[62:63]
	v_not_b32_e32 v21, v63
	v_lshlrev_b32_e32 v63, 24, v18
	v_ashrrev_i32_e32 v21, 31, v21
	v_not_b32_e32 v18, v63
	v_and_b32_e32 v19, v19, v26
	v_xor_b32_e32 v26, vcc_hi, v21
	v_xor_b32_e32 v21, vcc_lo, v21
	v_cmp_gt_i64_e32 vcc, 0, v[62:63]
	v_ashrrev_i32_e32 v18, 31, v18
	v_and_b32_e32 v20, v20, v21
	v_xor_b32_e32 v21, vcc_hi, v18
	v_xor_b32_e32 v18, vcc_lo, v18
	v_and_b32_e32 v19, v19, v26
	v_and_b32_e32 v18, v20, v18
	;; [unrolled: 1-line block ×3, first 2 shown]
	v_mbcnt_lo_u32_b32 v20, v18, 0
	v_mbcnt_hi_u32_b32 v26, v19, v20
	v_cmp_eq_u32_e32 vcc, 0, v26
	v_cmp_ne_u64_e64 s[44:45], 0, v[18:19]
	s_and_b64 s[58:59], s[44:45], vcc
	; wave barrier
	s_and_saveexec_b64 s[44:45], s[58:59]
	s_cbranch_execz .LBB201_36
; %bb.35:                               ;   in Loop: Header=BB201_32 Depth=1
	v_bcnt_u32_b32 v18, v18, 0
	v_bcnt_u32_b32 v18, v19, v18
	s_waitcnt lgkmcnt(0)
	v_add_u32_e32 v18, v24, v18
	ds_write_b32 v25, v18
.LBB201_36:                             ;   in Loop: Header=BB201_32 Depth=1
	s_or_b64 exec, exec, s[44:45]
	v_cmp_ne_u32_e32 vcc, s55, v107
	v_cndmask_b32_e32 v18, v94, v107, vcc
	v_lshrrev_b32_e32 v18, s54, v18
	v_and_b32_e32 v18, s57, v18
	v_lshlrev_b32_e32 v19, 2, v18
	v_add_lshl_u32 v19, v19, v96, 2
	; wave barrier
	v_add_u32_e32 v28, 16, v19
	ds_read_b32 v27, v19 offset:16
	v_and_b32_e32 v19, 1, v18
	v_add_co_u32_e32 v20, vcc, -1, v19
	v_addc_co_u32_e64 v21, s[44:45], 0, -1, vcc
	v_cmp_ne_u32_e32 vcc, 0, v19
	v_lshlrev_b32_e32 v63, 30, v18
	v_xor_b32_e32 v19, vcc_hi, v21
	v_not_b32_e32 v21, v63
	v_xor_b32_e32 v20, vcc_lo, v20
	v_cmp_gt_i64_e32 vcc, 0, v[62:63]
	v_ashrrev_i32_e32 v21, 31, v21
	v_and_b32_e32 v20, exec_lo, v20
	v_xor_b32_e32 v29, vcc_hi, v21
	v_xor_b32_e32 v21, vcc_lo, v21
	v_lshlrev_b32_e32 v63, 29, v18
	v_and_b32_e32 v20, v20, v21
	v_not_b32_e32 v21, v63
	v_and_b32_e32 v19, exec_hi, v19
	v_cmp_gt_i64_e32 vcc, 0, v[62:63]
	v_ashrrev_i32_e32 v21, 31, v21
	v_and_b32_e32 v19, v19, v29
	v_xor_b32_e32 v29, vcc_hi, v21
	v_xor_b32_e32 v21, vcc_lo, v21
	v_lshlrev_b32_e32 v63, 28, v18
	v_and_b32_e32 v20, v20, v21
	v_not_b32_e32 v21, v63
	v_cmp_gt_i64_e32 vcc, 0, v[62:63]
	v_ashrrev_i32_e32 v21, 31, v21
	v_and_b32_e32 v19, v19, v29
	v_xor_b32_e32 v29, vcc_hi, v21
	v_xor_b32_e32 v21, vcc_lo, v21
	v_lshlrev_b32_e32 v63, 27, v18
	v_and_b32_e32 v20, v20, v21
	v_not_b32_e32 v21, v63
	;; [unrolled: 8-line block ×3, first 2 shown]
	v_cmp_gt_i64_e32 vcc, 0, v[62:63]
	v_ashrrev_i32_e32 v21, 31, v21
	v_and_b32_e32 v19, v19, v29
	v_xor_b32_e32 v29, vcc_hi, v21
	v_xor_b32_e32 v21, vcc_lo, v21
	v_lshlrev_b32_e32 v63, 25, v18
	v_and_b32_e32 v20, v20, v21
	v_cmp_gt_i64_e32 vcc, 0, v[62:63]
	v_not_b32_e32 v21, v63
	v_lshlrev_b32_e32 v63, 24, v18
	v_ashrrev_i32_e32 v21, 31, v21
	v_not_b32_e32 v18, v63
	v_and_b32_e32 v19, v19, v29
	v_xor_b32_e32 v29, vcc_hi, v21
	v_xor_b32_e32 v21, vcc_lo, v21
	v_cmp_gt_i64_e32 vcc, 0, v[62:63]
	v_ashrrev_i32_e32 v18, 31, v18
	v_and_b32_e32 v20, v20, v21
	v_xor_b32_e32 v21, vcc_hi, v18
	v_xor_b32_e32 v18, vcc_lo, v18
	v_and_b32_e32 v19, v19, v29
	v_and_b32_e32 v18, v20, v18
	;; [unrolled: 1-line block ×3, first 2 shown]
	v_mbcnt_lo_u32_b32 v20, v18, 0
	v_mbcnt_hi_u32_b32 v29, v19, v20
	v_cmp_eq_u32_e32 vcc, 0, v29
	v_cmp_ne_u64_e64 s[44:45], 0, v[18:19]
	s_and_b64 s[58:59], s[44:45], vcc
	; wave barrier
	s_and_saveexec_b64 s[44:45], s[58:59]
	s_cbranch_execz .LBB201_38
; %bb.37:                               ;   in Loop: Header=BB201_32 Depth=1
	v_bcnt_u32_b32 v18, v18, 0
	v_bcnt_u32_b32 v18, v19, v18
	s_waitcnt lgkmcnt(0)
	v_add_u32_e32 v18, v27, v18
	ds_write_b32 v28, v18
.LBB201_38:                             ;   in Loop: Header=BB201_32 Depth=1
	s_or_b64 exec, exec, s[44:45]
	v_cmp_ne_u32_e32 vcc, s55, v106
	v_cndmask_b32_e32 v18, v94, v106, vcc
	v_lshrrev_b32_e32 v18, s54, v18
	v_and_b32_e32 v18, s57, v18
	v_lshlrev_b32_e32 v19, 2, v18
	v_add_lshl_u32 v19, v19, v96, 2
	; wave barrier
	v_add_u32_e32 v31, 16, v19
	ds_read_b32 v30, v19 offset:16
	v_and_b32_e32 v19, 1, v18
	v_add_co_u32_e32 v20, vcc, -1, v19
	v_addc_co_u32_e64 v21, s[44:45], 0, -1, vcc
	v_cmp_ne_u32_e32 vcc, 0, v19
	v_lshlrev_b32_e32 v63, 30, v18
	v_xor_b32_e32 v19, vcc_hi, v21
	v_not_b32_e32 v21, v63
	v_xor_b32_e32 v20, vcc_lo, v20
	v_cmp_gt_i64_e32 vcc, 0, v[62:63]
	v_ashrrev_i32_e32 v21, 31, v21
	v_and_b32_e32 v20, exec_lo, v20
	v_xor_b32_e32 v32, vcc_hi, v21
	v_xor_b32_e32 v21, vcc_lo, v21
	v_lshlrev_b32_e32 v63, 29, v18
	v_and_b32_e32 v20, v20, v21
	v_not_b32_e32 v21, v63
	v_and_b32_e32 v19, exec_hi, v19
	v_cmp_gt_i64_e32 vcc, 0, v[62:63]
	v_ashrrev_i32_e32 v21, 31, v21
	v_and_b32_e32 v19, v19, v32
	v_xor_b32_e32 v32, vcc_hi, v21
	v_xor_b32_e32 v21, vcc_lo, v21
	v_lshlrev_b32_e32 v63, 28, v18
	v_and_b32_e32 v20, v20, v21
	v_not_b32_e32 v21, v63
	v_cmp_gt_i64_e32 vcc, 0, v[62:63]
	v_ashrrev_i32_e32 v21, 31, v21
	v_and_b32_e32 v19, v19, v32
	v_xor_b32_e32 v32, vcc_hi, v21
	v_xor_b32_e32 v21, vcc_lo, v21
	v_lshlrev_b32_e32 v63, 27, v18
	v_and_b32_e32 v20, v20, v21
	v_not_b32_e32 v21, v63
	v_cmp_gt_i64_e32 vcc, 0, v[62:63]
	v_ashrrev_i32_e32 v21, 31, v21
	v_and_b32_e32 v19, v19, v32
	v_xor_b32_e32 v32, vcc_hi, v21
	v_xor_b32_e32 v21, vcc_lo, v21
	v_lshlrev_b32_e32 v63, 26, v18
	v_and_b32_e32 v20, v20, v21
	v_not_b32_e32 v21, v63
	v_cmp_gt_i64_e32 vcc, 0, v[62:63]
	v_ashrrev_i32_e32 v21, 31, v21
	v_and_b32_e32 v19, v19, v32
	v_xor_b32_e32 v32, vcc_hi, v21
	v_xor_b32_e32 v21, vcc_lo, v21
	v_lshlrev_b32_e32 v63, 25, v18
	v_and_b32_e32 v20, v20, v21
	v_cmp_gt_i64_e32 vcc, 0, v[62:63]
	v_not_b32_e32 v21, v63
	v_lshlrev_b32_e32 v63, 24, v18
	v_ashrrev_i32_e32 v21, 31, v21
	v_not_b32_e32 v18, v63
	v_and_b32_e32 v19, v19, v32
	v_xor_b32_e32 v32, vcc_hi, v21
	v_xor_b32_e32 v21, vcc_lo, v21
	v_cmp_gt_i64_e32 vcc, 0, v[62:63]
	v_ashrrev_i32_e32 v18, 31, v18
	v_and_b32_e32 v20, v20, v21
	v_xor_b32_e32 v21, vcc_hi, v18
	v_xor_b32_e32 v18, vcc_lo, v18
	v_and_b32_e32 v19, v19, v32
	v_and_b32_e32 v18, v20, v18
	;; [unrolled: 1-line block ×3, first 2 shown]
	v_mbcnt_lo_u32_b32 v20, v18, 0
	v_mbcnt_hi_u32_b32 v32, v19, v20
	v_cmp_eq_u32_e32 vcc, 0, v32
	v_cmp_ne_u64_e64 s[44:45], 0, v[18:19]
	s_and_b64 s[58:59], s[44:45], vcc
	; wave barrier
	s_and_saveexec_b64 s[44:45], s[58:59]
	s_cbranch_execz .LBB201_40
; %bb.39:                               ;   in Loop: Header=BB201_32 Depth=1
	v_bcnt_u32_b32 v18, v18, 0
	v_bcnt_u32_b32 v18, v19, v18
	s_waitcnt lgkmcnt(0)
	v_add_u32_e32 v18, v30, v18
	ds_write_b32 v31, v18
.LBB201_40:                             ;   in Loop: Header=BB201_32 Depth=1
	s_or_b64 exec, exec, s[44:45]
	v_cmp_ne_u32_e32 vcc, s55, v105
	v_cndmask_b32_e32 v18, v94, v105, vcc
	v_lshrrev_b32_e32 v18, s54, v18
	v_and_b32_e32 v18, s57, v18
	v_lshlrev_b32_e32 v19, 2, v18
	v_add_lshl_u32 v19, v19, v96, 2
	; wave barrier
	v_add_u32_e32 v64, 16, v19
	ds_read_b32 v33, v19 offset:16
	v_and_b32_e32 v19, 1, v18
	v_add_co_u32_e32 v20, vcc, -1, v19
	v_addc_co_u32_e64 v21, s[44:45], 0, -1, vcc
	v_cmp_ne_u32_e32 vcc, 0, v19
	v_lshlrev_b32_e32 v63, 30, v18
	v_xor_b32_e32 v19, vcc_hi, v21
	v_not_b32_e32 v21, v63
	v_xor_b32_e32 v20, vcc_lo, v20
	v_cmp_gt_i64_e32 vcc, 0, v[62:63]
	v_ashrrev_i32_e32 v21, 31, v21
	v_and_b32_e32 v19, exec_hi, v19
	v_xor_b32_e32 v63, vcc_hi, v21
	v_and_b32_e32 v20, exec_lo, v20
	v_xor_b32_e32 v21, vcc_lo, v21
	v_and_b32_e32 v19, v19, v63
	v_lshlrev_b32_e32 v63, 29, v18
	v_and_b32_e32 v20, v20, v21
	v_not_b32_e32 v21, v63
	v_cmp_gt_i64_e32 vcc, 0, v[62:63]
	v_ashrrev_i32_e32 v21, 31, v21
	v_xor_b32_e32 v63, vcc_hi, v21
	v_xor_b32_e32 v21, vcc_lo, v21
	v_and_b32_e32 v19, v19, v63
	v_lshlrev_b32_e32 v63, 28, v18
	v_and_b32_e32 v20, v20, v21
	v_not_b32_e32 v21, v63
	v_cmp_gt_i64_e32 vcc, 0, v[62:63]
	v_ashrrev_i32_e32 v21, 31, v21
	v_xor_b32_e32 v63, vcc_hi, v21
	;; [unrolled: 8-line block ×5, first 2 shown]
	v_and_b32_e32 v19, v19, v63
	v_lshlrev_b32_e32 v63, 24, v18
	v_not_b32_e32 v18, v63
	v_xor_b32_e32 v21, vcc_lo, v21
	v_cmp_gt_i64_e32 vcc, 0, v[62:63]
	v_ashrrev_i32_e32 v18, 31, v18
	v_and_b32_e32 v20, v20, v21
	v_xor_b32_e32 v21, vcc_hi, v18
	v_xor_b32_e32 v18, vcc_lo, v18
	v_and_b32_e32 v18, v20, v18
	v_and_b32_e32 v19, v19, v21
	v_mbcnt_lo_u32_b32 v20, v18, 0
	v_mbcnt_hi_u32_b32 v65, v19, v20
	v_cmp_eq_u32_e32 vcc, 0, v65
	v_cmp_ne_u64_e64 s[44:45], 0, v[18:19]
	s_and_b64 s[58:59], s[44:45], vcc
	; wave barrier
	s_and_saveexec_b64 s[44:45], s[58:59]
	s_cbranch_execz .LBB201_42
; %bb.41:                               ;   in Loop: Header=BB201_32 Depth=1
	v_bcnt_u32_b32 v18, v18, 0
	v_bcnt_u32_b32 v18, v19, v18
	s_waitcnt lgkmcnt(0)
	v_add_u32_e32 v18, v33, v18
	ds_write_b32 v64, v18
.LBB201_42:                             ;   in Loop: Header=BB201_32 Depth=1
	s_or_b64 exec, exec, s[44:45]
	v_cmp_ne_u32_e32 vcc, s55, v104
	v_cndmask_b32_e32 v18, v94, v104, vcc
	v_lshrrev_b32_e32 v18, s54, v18
	v_and_b32_e32 v18, s57, v18
	v_lshlrev_b32_e32 v19, 2, v18
	v_add_lshl_u32 v19, v19, v96, 2
	; wave barrier
	v_add_u32_e32 v67, 16, v19
	ds_read_b32 v66, v19 offset:16
	v_and_b32_e32 v19, 1, v18
	v_add_co_u32_e32 v20, vcc, -1, v19
	v_addc_co_u32_e64 v21, s[44:45], 0, -1, vcc
	v_cmp_ne_u32_e32 vcc, 0, v19
	v_lshlrev_b32_e32 v63, 30, v18
	v_xor_b32_e32 v19, vcc_hi, v21
	v_not_b32_e32 v21, v63
	v_xor_b32_e32 v20, vcc_lo, v20
	v_cmp_gt_i64_e32 vcc, 0, v[62:63]
	v_ashrrev_i32_e32 v21, 31, v21
	v_and_b32_e32 v19, exec_hi, v19
	v_xor_b32_e32 v63, vcc_hi, v21
	v_and_b32_e32 v20, exec_lo, v20
	v_xor_b32_e32 v21, vcc_lo, v21
	v_and_b32_e32 v19, v19, v63
	v_lshlrev_b32_e32 v63, 29, v18
	v_and_b32_e32 v20, v20, v21
	v_not_b32_e32 v21, v63
	v_cmp_gt_i64_e32 vcc, 0, v[62:63]
	v_ashrrev_i32_e32 v21, 31, v21
	v_xor_b32_e32 v63, vcc_hi, v21
	v_xor_b32_e32 v21, vcc_lo, v21
	v_and_b32_e32 v19, v19, v63
	v_lshlrev_b32_e32 v63, 28, v18
	v_and_b32_e32 v20, v20, v21
	v_not_b32_e32 v21, v63
	v_cmp_gt_i64_e32 vcc, 0, v[62:63]
	v_ashrrev_i32_e32 v21, 31, v21
	v_xor_b32_e32 v63, vcc_hi, v21
	;; [unrolled: 8-line block ×5, first 2 shown]
	v_and_b32_e32 v19, v19, v63
	v_lshlrev_b32_e32 v63, 24, v18
	v_not_b32_e32 v18, v63
	v_xor_b32_e32 v21, vcc_lo, v21
	v_cmp_gt_i64_e32 vcc, 0, v[62:63]
	v_ashrrev_i32_e32 v18, 31, v18
	v_and_b32_e32 v20, v20, v21
	v_xor_b32_e32 v21, vcc_hi, v18
	v_xor_b32_e32 v18, vcc_lo, v18
	v_and_b32_e32 v18, v20, v18
	v_and_b32_e32 v19, v19, v21
	v_mbcnt_lo_u32_b32 v20, v18, 0
	v_mbcnt_hi_u32_b32 v68, v19, v20
	v_cmp_eq_u32_e32 vcc, 0, v68
	v_cmp_ne_u64_e64 s[44:45], 0, v[18:19]
	s_and_b64 s[58:59], s[44:45], vcc
	; wave barrier
	s_and_saveexec_b64 s[44:45], s[58:59]
	s_cbranch_execz .LBB201_44
; %bb.43:                               ;   in Loop: Header=BB201_32 Depth=1
	v_bcnt_u32_b32 v18, v18, 0
	v_bcnt_u32_b32 v18, v19, v18
	s_waitcnt lgkmcnt(0)
	v_add_u32_e32 v18, v66, v18
	ds_write_b32 v67, v18
.LBB201_44:                             ;   in Loop: Header=BB201_32 Depth=1
	s_or_b64 exec, exec, s[44:45]
	v_cmp_ne_u32_e32 vcc, s55, v103
	v_cndmask_b32_e32 v18, v94, v103, vcc
	v_lshrrev_b32_e32 v18, s54, v18
	v_and_b32_e32 v18, s57, v18
	v_lshlrev_b32_e32 v19, 2, v18
	v_add_lshl_u32 v19, v19, v96, 2
	; wave barrier
	v_add_u32_e32 v70, 16, v19
	ds_read_b32 v69, v19 offset:16
	v_and_b32_e32 v19, 1, v18
	v_add_co_u32_e32 v20, vcc, -1, v19
	v_addc_co_u32_e64 v21, s[44:45], 0, -1, vcc
	v_cmp_ne_u32_e32 vcc, 0, v19
	v_lshlrev_b32_e32 v63, 30, v18
	v_xor_b32_e32 v19, vcc_hi, v21
	v_not_b32_e32 v21, v63
	v_xor_b32_e32 v20, vcc_lo, v20
	v_cmp_gt_i64_e32 vcc, 0, v[62:63]
	v_ashrrev_i32_e32 v21, 31, v21
	v_and_b32_e32 v19, exec_hi, v19
	v_xor_b32_e32 v63, vcc_hi, v21
	v_and_b32_e32 v20, exec_lo, v20
	v_xor_b32_e32 v21, vcc_lo, v21
	v_and_b32_e32 v19, v19, v63
	v_lshlrev_b32_e32 v63, 29, v18
	v_and_b32_e32 v20, v20, v21
	v_not_b32_e32 v21, v63
	v_cmp_gt_i64_e32 vcc, 0, v[62:63]
	v_ashrrev_i32_e32 v21, 31, v21
	v_xor_b32_e32 v63, vcc_hi, v21
	v_xor_b32_e32 v21, vcc_lo, v21
	v_and_b32_e32 v19, v19, v63
	v_lshlrev_b32_e32 v63, 28, v18
	v_and_b32_e32 v20, v20, v21
	v_not_b32_e32 v21, v63
	v_cmp_gt_i64_e32 vcc, 0, v[62:63]
	v_ashrrev_i32_e32 v21, 31, v21
	v_xor_b32_e32 v63, vcc_hi, v21
	;; [unrolled: 8-line block ×5, first 2 shown]
	v_and_b32_e32 v19, v19, v63
	v_lshlrev_b32_e32 v63, 24, v18
	v_not_b32_e32 v18, v63
	v_xor_b32_e32 v21, vcc_lo, v21
	v_cmp_gt_i64_e32 vcc, 0, v[62:63]
	v_ashrrev_i32_e32 v18, 31, v18
	v_and_b32_e32 v20, v20, v21
	v_xor_b32_e32 v21, vcc_hi, v18
	v_xor_b32_e32 v18, vcc_lo, v18
	v_and_b32_e32 v18, v20, v18
	v_and_b32_e32 v19, v19, v21
	v_mbcnt_lo_u32_b32 v20, v18, 0
	v_mbcnt_hi_u32_b32 v71, v19, v20
	v_cmp_eq_u32_e32 vcc, 0, v71
	v_cmp_ne_u64_e64 s[44:45], 0, v[18:19]
	s_and_b64 s[58:59], s[44:45], vcc
	; wave barrier
	s_and_saveexec_b64 s[44:45], s[58:59]
	s_cbranch_execz .LBB201_46
; %bb.45:                               ;   in Loop: Header=BB201_32 Depth=1
	v_bcnt_u32_b32 v18, v18, 0
	v_bcnt_u32_b32 v18, v19, v18
	s_waitcnt lgkmcnt(0)
	v_add_u32_e32 v18, v69, v18
	ds_write_b32 v70, v18
.LBB201_46:                             ;   in Loop: Header=BB201_32 Depth=1
	s_or_b64 exec, exec, s[44:45]
	v_cmp_ne_u32_e32 vcc, s55, v102
	v_cndmask_b32_e32 v18, v94, v102, vcc
	v_lshrrev_b32_e32 v18, s54, v18
	v_and_b32_e32 v18, s57, v18
	v_lshlrev_b32_e32 v19, 2, v18
	v_add_lshl_u32 v19, v19, v96, 2
	; wave barrier
	v_add_u32_e32 v111, 16, v19
	ds_read_b32 v110, v19 offset:16
	v_and_b32_e32 v19, 1, v18
	v_add_co_u32_e32 v20, vcc, -1, v19
	v_addc_co_u32_e64 v21, s[44:45], 0, -1, vcc
	v_cmp_ne_u32_e32 vcc, 0, v19
	v_lshlrev_b32_e32 v63, 30, v18
	v_xor_b32_e32 v19, vcc_hi, v21
	v_not_b32_e32 v21, v63
	v_xor_b32_e32 v20, vcc_lo, v20
	v_cmp_gt_i64_e32 vcc, 0, v[62:63]
	v_ashrrev_i32_e32 v21, 31, v21
	v_and_b32_e32 v19, exec_hi, v19
	v_xor_b32_e32 v63, vcc_hi, v21
	v_and_b32_e32 v20, exec_lo, v20
	v_xor_b32_e32 v21, vcc_lo, v21
	v_and_b32_e32 v19, v19, v63
	v_lshlrev_b32_e32 v63, 29, v18
	v_and_b32_e32 v20, v20, v21
	v_not_b32_e32 v21, v63
	v_cmp_gt_i64_e32 vcc, 0, v[62:63]
	v_ashrrev_i32_e32 v21, 31, v21
	v_xor_b32_e32 v63, vcc_hi, v21
	v_xor_b32_e32 v21, vcc_lo, v21
	v_and_b32_e32 v19, v19, v63
	v_lshlrev_b32_e32 v63, 28, v18
	v_and_b32_e32 v20, v20, v21
	v_not_b32_e32 v21, v63
	v_cmp_gt_i64_e32 vcc, 0, v[62:63]
	v_ashrrev_i32_e32 v21, 31, v21
	v_xor_b32_e32 v63, vcc_hi, v21
	;; [unrolled: 8-line block ×5, first 2 shown]
	v_and_b32_e32 v19, v19, v63
	v_lshlrev_b32_e32 v63, 24, v18
	v_not_b32_e32 v18, v63
	v_xor_b32_e32 v21, vcc_lo, v21
	v_cmp_gt_i64_e32 vcc, 0, v[62:63]
	v_ashrrev_i32_e32 v18, 31, v18
	v_and_b32_e32 v20, v20, v21
	v_xor_b32_e32 v21, vcc_hi, v18
	v_xor_b32_e32 v18, vcc_lo, v18
	v_and_b32_e32 v18, v20, v18
	v_and_b32_e32 v19, v19, v21
	v_mbcnt_lo_u32_b32 v20, v18, 0
	v_mbcnt_hi_u32_b32 v117, v19, v20
	v_cmp_eq_u32_e32 vcc, 0, v117
	v_cmp_ne_u64_e64 s[44:45], 0, v[18:19]
	s_and_b64 s[58:59], s[44:45], vcc
	; wave barrier
	s_and_saveexec_b64 s[44:45], s[58:59]
	s_cbranch_execz .LBB201_48
; %bb.47:                               ;   in Loop: Header=BB201_32 Depth=1
	v_bcnt_u32_b32 v18, v18, 0
	v_bcnt_u32_b32 v18, v19, v18
	s_waitcnt lgkmcnt(0)
	v_add_u32_e32 v18, v110, v18
	ds_write_b32 v111, v18
.LBB201_48:                             ;   in Loop: Header=BB201_32 Depth=1
	s_or_b64 exec, exec, s[44:45]
	; wave barrier
	s_waitcnt lgkmcnt(0)
	s_barrier
	ds_read2_b32 v[20:21], v89 offset0:4 offset1:5
	ds_read2_b32 v[18:19], v95 offset0:2 offset1:3
	s_waitcnt lgkmcnt(1)
	v_add_u32_e32 v63, v21, v20
	s_waitcnt lgkmcnt(0)
	v_add3_u32 v19, v63, v18, v19
	s_nop 1
	v_mov_b32_dpp v63, v19 row_shr:1 row_mask:0xf bank_mask:0xf
	v_cndmask_b32_e64 v63, v63, 0, s[22:23]
	v_add_u32_e32 v19, v63, v19
	s_nop 1
	v_mov_b32_dpp v63, v19 row_shr:2 row_mask:0xf bank_mask:0xf
	v_cndmask_b32_e64 v63, 0, v63, s[24:25]
	v_add_u32_e32 v19, v19, v63
	;; [unrolled: 4-line block ×4, first 2 shown]
	s_nop 1
	v_mov_b32_dpp v63, v19 row_bcast:15 row_mask:0xf bank_mask:0xf
	v_cndmask_b32_e64 v63, v63, 0, s[30:31]
	v_add_u32_e32 v19, v19, v63
	s_nop 1
	v_mov_b32_dpp v63, v19 row_bcast:31 row_mask:0xf bank_mask:0xf
	v_cndmask_b32_e64 v63, 0, v63, s[34:35]
	v_add_u32_e32 v19, v19, v63
	s_and_saveexec_b64 s[44:45], s[36:37]
	s_cbranch_execz .LBB201_50
; %bb.49:                               ;   in Loop: Header=BB201_32 Depth=1
	ds_write_b32 v98, v19
.LBB201_50:                             ;   in Loop: Header=BB201_32 Depth=1
	s_or_b64 exec, exec, s[44:45]
	s_waitcnt lgkmcnt(0)
	s_barrier
	s_and_saveexec_b64 s[44:45], s[16:17]
	s_cbranch_execz .LBB201_52
; %bb.51:                               ;   in Loop: Header=BB201_32 Depth=1
	ds_read_b32 v63, v88
	s_waitcnt lgkmcnt(0)
	s_nop 0
	v_mov_b32_dpp v112, v63 row_shr:1 row_mask:0xf bank_mask:0xf
	v_cndmask_b32_e64 v112, v112, 0, s[40:41]
	v_add_u32_e32 v63, v112, v63
	s_nop 1
	v_mov_b32_dpp v112, v63 row_shr:2 row_mask:0xf bank_mask:0xf
	v_cndmask_b32_e64 v112, 0, v112, s[42:43]
	v_add_u32_e32 v63, v63, v112
	ds_write_b32 v88, v63
.LBB201_52:                             ;   in Loop: Header=BB201_32 Depth=1
	s_or_b64 exec, exec, s[44:45]
	v_mov_b32_e32 v63, 0
	s_waitcnt lgkmcnt(0)
	s_barrier
	s_and_saveexec_b64 s[44:45], s[18:19]
	s_cbranch_execz .LBB201_54
; %bb.53:                               ;   in Loop: Header=BB201_32 Depth=1
	ds_read_b32 v63, v99
.LBB201_54:                             ;   in Loop: Header=BB201_32 Depth=1
	s_or_b64 exec, exec, s[44:45]
	s_waitcnt lgkmcnt(0)
	v_add_u32_e32 v19, v63, v19
	ds_bpermute_b32 v19, v97, v19
	s_cmp_gt_u32 s54, 23
	s_waitcnt lgkmcnt(0)
	v_cndmask_b32_e64 v19, v19, v63, s[38:39]
	v_cndmask_b32_e64 v19, v19, 0, s[20:21]
	v_add_u32_e32 v20, v19, v20
	v_add_u32_e32 v21, v20, v21
	v_add_u32_e32 v18, v21, v18
	ds_write2_b32 v89, v19, v20 offset0:4 offset1:5
	ds_write2_b32 v95, v21, v18 offset0:2 offset1:3
	s_waitcnt lgkmcnt(0)
	s_barrier
	ds_read_b32 v18, v22
	ds_read_b32 v19, v25
	;; [unrolled: 1-line block ×8, first 2 shown]
	s_waitcnt lgkmcnt(7)
	v_add_u32_e32 v63, v18, v23
	s_waitcnt lgkmcnt(6)
	v_add3_u32 v111, v26, v24, v19
	s_waitcnt lgkmcnt(5)
	v_add3_u32 v112, v29, v27, v20
	;; [unrolled: 2-line block ×7, first 2 shown]
	s_cbranch_scc0 .LBB201_31
; %bb.55:
                                        ; implicit-def: $vgpr71
                                        ; implicit-def: $vgpr69
                                        ; implicit-def: $vgpr67
                                        ; implicit-def: $vgpr65
                                        ; implicit-def: $vgpr32_vgpr33
                                        ; implicit-def: $vgpr28_vgpr29
                                        ; implicit-def: $vgpr24_vgpr25
                                        ; implicit-def: $vgpr20_vgpr21
                                        ; implicit-def: $sgpr54
                                        ; implicit-def: $sgpr56
.LBB201_56:
	v_lshlrev_b32_e32 v18, 2, v63
	s_barrier
	ds_write_b32 v18, v109
	v_lshlrev_b32_e32 v18, 2, v111
	ds_write_b32 v18, v108
	v_lshlrev_b32_e32 v18, 2, v112
	ds_write_b32 v18, v107
	v_lshlrev_b32_e32 v18, 2, v113
	ds_write_b32 v18, v106
	v_lshlrev_b32_e32 v18, 2, v114
	ds_write_b32 v18, v105
	v_lshlrev_b32_e32 v18, 2, v115
	ds_write_b32 v18, v104
	v_lshlrev_b32_e32 v18, 2, v116
	ds_write_b32 v18, v103
	v_lshlrev_b32_e32 v18, 2, v110
	v_lshlrev_b32_e32 v24, 2, v87
	ds_write_b32 v18, v102
	s_waitcnt lgkmcnt(0)
	s_barrier
	ds_read2_b32 v[18:19], v24 offset1:1
	ds_read2_b32 v[20:21], v24 offset0:2 offset1:3
	ds_read2_b32 v[22:23], v24 offset0:4 offset1:5
	;; [unrolled: 1-line block ×3, first 2 shown]
	v_bfrev_b32_e32 v70, 1
	v_lshlrev_b32_e32 v25, 3, v63
	v_lshlrev_b32_e32 v26, 3, v111
	s_waitcnt lgkmcnt(3)
	v_cmp_lt_i32_e32 vcc, -1, v19
	v_cndmask_b32_e64 v24, v70, -1, vcc
	v_cmp_lt_i32_e32 vcc, -1, v18
	v_cndmask_b32_e64 v62, v70, -1, vcc
	s_waitcnt lgkmcnt(2)
	v_cmp_lt_i32_e32 vcc, -1, v21
	v_xor_b32_e32 v62, v62, v18
	v_cndmask_b32_e64 v18, v70, -1, vcc
	v_cmp_lt_i32_e32 vcc, -1, v20
	v_xor_b32_e32 v63, v24, v19
	v_cndmask_b32_e64 v19, v70, -1, vcc
	s_waitcnt lgkmcnt(1)
	v_cmp_lt_i32_e32 vcc, -1, v23
	v_xor_b32_e32 v65, v18, v21
	v_cndmask_b32_e64 v18, v70, -1, vcc
	v_cmp_lt_i32_e32 vcc, -1, v22
	v_lshlrev_b32_e32 v27, 3, v112
	v_lshlrev_b32_e32 v28, 3, v113
	;; [unrolled: 1-line block ×7, first 2 shown]
	v_xor_b32_e32 v64, v19, v20
	v_cndmask_b32_e64 v19, v70, -1, vcc
	v_xor_b32_e32 v66, v19, v22
	v_xor_b32_e32 v67, v18, v23
	s_waitcnt lgkmcnt(0)
	s_barrier
	ds_write_b64 v25, v[60:61]
	ds_write_b64 v26, v[58:59]
	;; [unrolled: 1-line block ×8, first 2 shown]
	s_waitcnt lgkmcnt(0)
	s_barrier
	ds_read2_b64 v[18:21], v33 offset1:1
	ds_read2_b64 v[22:25], v33 offset0:2 offset1:3
	ds_read2_b64 v[26:29], v33 offset0:4 offset1:5
	;; [unrolled: 1-line block ×3, first 2 shown]
	v_cmp_lt_i32_e32 vcc, -1, v69
	v_cndmask_b32_e64 v1, v70, -1, vcc
	v_cmp_lt_i32_e32 vcc, -1, v68
	v_cndmask_b32_e64 v0, v70, -1, vcc
	v_xor_b32_e32 v0, v0, v68
	v_xor_b32_e32 v1, v1, v69
	s_branch .LBB201_92
.LBB201_57:
	v_mov_b32_e32 v37, 0
	v_lshlrev_b64 v[2:3], 3, v[36:37]
	v_mov_b32_e32 v4, s52
	v_add_co_u32_e32 v2, vcc, s49, v2
	v_addc_co_u32_e32 v3, vcc, v4, v3, vcc
	global_load_dwordx2 v[2:3], v[2:3], off
	v_mov_b32_e32 v4, v37
	v_mov_b32_e32 v5, v37
	;; [unrolled: 1-line block ×14, first 2 shown]
	s_or_b64 exec, exec, s[16:17]
	s_and_saveexec_b64 s[16:17], s[2:3]
	s_cbranch_execz .LBB201_22
.LBB201_58:
	v_mul_lo_u32 v4, v30, s48
	v_mov_b32_e32 v5, 0
	v_lshlrev_b64 v[4:5], 3, v[4:5]
	v_mov_b32_e32 v30, s52
	v_add_co_u32_e32 v4, vcc, s49, v4
	v_addc_co_u32_e32 v5, vcc, v30, v5, vcc
	global_load_dwordx2 v[4:5], v[4:5], off
	s_or_b64 exec, exec, s[16:17]
	s_and_saveexec_b64 s[16:17], s[4:5]
	s_cbranch_execz .LBB201_23
.LBB201_59:
	v_mul_lo_u32 v6, v28, s48
	v_mov_b32_e32 v7, 0
	v_lshlrev_b64 v[6:7], 3, v[6:7]
	v_mov_b32_e32 v28, s52
	v_add_co_u32_e32 v6, vcc, s49, v6
	v_addc_co_u32_e32 v7, vcc, v28, v7, vcc
	global_load_dwordx2 v[6:7], v[6:7], off
	s_or_b64 exec, exec, s[16:17]
	s_and_saveexec_b64 s[16:17], s[6:7]
	s_cbranch_execz .LBB201_24
.LBB201_60:
	v_mul_lo_u32 v8, v26, s48
	v_mov_b32_e32 v9, 0
	v_lshlrev_b64 v[8:9], 3, v[8:9]
	v_mov_b32_e32 v26, s52
	v_add_co_u32_e32 v8, vcc, s49, v8
	v_addc_co_u32_e32 v9, vcc, v26, v9, vcc
	global_load_dwordx2 v[8:9], v[8:9], off
	s_or_b64 exec, exec, s[16:17]
	s_and_saveexec_b64 s[16:17], s[8:9]
	s_cbranch_execz .LBB201_25
.LBB201_61:
	v_mul_lo_u32 v10, v24, s48
	v_mov_b32_e32 v11, 0
	v_lshlrev_b64 v[10:11], 3, v[10:11]
	v_mov_b32_e32 v24, s52
	v_add_co_u32_e32 v10, vcc, s49, v10
	v_addc_co_u32_e32 v11, vcc, v24, v11, vcc
	global_load_dwordx2 v[10:11], v[10:11], off
	s_or_b64 exec, exec, s[16:17]
	s_and_saveexec_b64 s[16:17], s[10:11]
	s_cbranch_execz .LBB201_26
.LBB201_62:
	v_mul_lo_u32 v12, v21, s48
	v_mov_b32_e32 v13, 0
	v_lshlrev_b64 v[12:13], 3, v[12:13]
	v_mov_b32_e32 v21, s52
	v_add_co_u32_e32 v12, vcc, s49, v12
	v_addc_co_u32_e32 v13, vcc, v21, v13, vcc
	global_load_dwordx2 v[12:13], v[12:13], off
	s_or_b64 exec, exec, s[16:17]
	s_and_saveexec_b64 s[16:17], s[12:13]
	s_cbranch_execz .LBB201_27
.LBB201_63:
	v_mul_lo_u32 v14, v19, s48
	v_mov_b32_e32 v15, 0
	v_lshlrev_b64 v[14:15], 3, v[14:15]
	v_mov_b32_e32 v19, s52
	v_add_co_u32_e32 v14, vcc, s49, v14
	v_addc_co_u32_e32 v15, vcc, v19, v15, vcc
	global_load_dwordx2 v[14:15], v[14:15], off
	s_or_b64 exec, exec, s[16:17]
	s_xor_b64 s[16:17], s[34:35], -1
	s_and_saveexec_b64 s[18:19], s[14:15]
	s_cbranch_execnz .LBB201_28
	s_branch .LBB201_29
.LBB201_64:
                                        ; implicit-def: $vgpr1
                                        ; implicit-def: $vgpr0
                                        ; implicit-def: $vgpr67
                                        ; implicit-def: $vgpr66
                                        ; implicit-def: $vgpr65
                                        ; implicit-def: $vgpr64
                                        ; implicit-def: $vgpr63
                                        ; implicit-def: $vgpr62
                                        ; implicit-def: $vgpr32_vgpr33
                                        ; implicit-def: $vgpr28_vgpr29
                                        ; implicit-def: $vgpr24_vgpr25
                                        ; implicit-def: $vgpr20_vgpr21
	s_cbranch_execz .LBB201_92
; %bb.65:
	v_bfrev_b32_e32 v48, -2
	v_cmp_gt_i32_e32 vcc, 0, v46
	s_waitcnt lgkmcnt(3)
	v_mbcnt_hi_u32_b32 v18, -1, v93
	v_and_b32_e32 v19, 0x3c0, v38
	v_cndmask_b32_e64 v20, v48, 0, vcc
	v_cmp_gt_i32_e32 vcc, 0, v47
	v_add_u32_e32 v0, v18, v19
	v_cndmask_b32_e64 v21, v48, 0, vcc
	v_lshlrev_b32_e32 v1, 5, v0
	v_xor_b32_e32 v21, v21, v47
	v_xor_b32_e32 v20, v20, v46
	v_cmp_gt_i32_e32 vcc, 0, v44
	ds_write2_b32 v1, v20, v21 offset1:1
	v_cndmask_b32_e64 v20, v48, 0, vcc
	v_cmp_gt_i32_e32 vcc, 0, v45
	v_cndmask_b32_e64 v21, v48, 0, vcc
	v_xor_b32_e32 v21, v21, v45
	v_xor_b32_e32 v20, v20, v44
	v_cmp_gt_i32_e32 vcc, 0, v42
	ds_write2_b32 v1, v20, v21 offset0:2 offset1:3
	v_cndmask_b32_e64 v20, v48, 0, vcc
	v_cmp_gt_i32_e32 vcc, 0, v43
	v_cndmask_b32_e64 v21, v48, 0, vcc
	v_xor_b32_e32 v21, v21, v43
	v_xor_b32_e32 v20, v20, v42
	v_cmp_gt_i32_e32 vcc, 0, v40
	ds_write2_b32 v1, v20, v21 offset0:4 offset1:5
	v_cndmask_b32_e64 v20, v48, 0, vcc
	v_cmp_gt_i32_e32 vcc, 0, v41
	v_cndmask_b32_e64 v21, v48, 0, vcc
	v_xor_b32_e32 v21, v21, v41
	v_xor_b32_e32 v20, v20, v40
	ds_write2_b32 v1, v20, v21 offset0:6 offset1:7
	v_and_b32_e32 v20, 0x1e00, v87
	v_or_b32_e32 v1, v18, v20
	v_lshlrev_b32_e32 v21, 2, v1
	v_lshlrev_b32_e32 v0, 6, v0
	; wave barrier
	ds_read2st64_b32 v[40:41], v21 offset1:1
	ds_read2st64_b32 v[42:43], v21 offset0:2 offset1:3
	ds_read2st64_b32 v[44:45], v21 offset0:4 offset1:5
	;; [unrolled: 1-line block ×3, first 2 shown]
	s_waitcnt lgkmcnt(0)
	s_barrier
	ds_write2_b64 v0, v[14:15], v[16:17] offset1:1
	ds_write2_b64 v0, v[10:11], v[12:13] offset0:2 offset1:3
	ds_write2_b64 v0, v[6:7], v[8:9] offset0:4 offset1:5
	;; [unrolled: 1-line block ×3, first 2 shown]
	v_lshlrev_b32_e32 v12, 3, v1
	; wave barrier
	ds_read2st64_b64 v[0:3], v12 offset1:1
	ds_read2st64_b64 v[4:7], v12 offset0:2 offset1:3
	ds_read2st64_b64 v[8:11], v12 offset0:4 offset1:5
	ds_read2st64_b64 v[12:15], v12 offset0:6 offset1:7
	s_waitcnt lgkmcnt(0)
	s_barrier
	s_load_dword s18, s[50:51], 0xc
	s_getpc_b64 s[16:17]
	s_add_u32 s16, s16, _ZN7rocprim17ROCPRIM_400000_NS16block_radix_sortIfLj256ELj8ElLj1ELj1ELj0ELNS0_26block_radix_rank_algorithmE1ELNS0_18block_padding_hintE2ELNS0_4arch9wavefront6targetE1EE19radix_bits_per_passE@rel32@lo+4
	s_addc_u32 s17, s17, _ZN7rocprim17ROCPRIM_400000_NS16block_radix_sortIfLj256ELj8ElLj1ELj1ELj0ELNS0_26block_radix_rank_algorithmE1ELNS0_18block_padding_hintE2ELNS0_4arch9wavefront6targetE1EE19radix_bits_per_passE@rel32@hi+12
	s_load_dword s50, s[16:17], 0x0
	v_cmp_gt_u32_e64 s[30:31], 4, v38
	v_cmp_lt_u32_e64 s[34:35], 63, v38
	s_waitcnt lgkmcnt(0)
	s_lshr_b32 s16, s18, 16
	s_and_b32 s17, s18, 0xffff
	v_mad_u32_u24 v16, v92, s16, v91
	v_mad_u64_u32 v[16:17], s[16:17], v16, s17, v[38:39]
	v_lshrrev_b32_e32 v50, 6, v16
	v_and_b32_e32 v16, 15, v18
	v_cmp_eq_u32_e64 s[16:17], 0, v16
	v_cmp_lt_u32_e64 s[18:19], 1, v16
	v_cmp_lt_u32_e64 s[20:21], 3, v16
	;; [unrolled: 1-line block ×3, first 2 shown]
	v_and_b32_e32 v16, 16, v18
	v_cmp_eq_u32_e64 s[24:25], 0, v16
	v_min_u32_e32 v16, 0xc0, v19
	v_or_b32_e32 v16, 63, v16
	v_cmp_eq_u32_e64 s[28:29], v16, v38
	v_add_u32_e32 v16, -1, v18
	v_and_b32_e32 v17, 64, v18
	v_cmp_lt_i32_e32 vcc, v16, v17
	v_cndmask_b32_e32 v16, v16, v18, vcc
	v_lshlrev_b32_e32 v51, 2, v16
	v_and_b32_e32 v16, 3, v18
	v_cmp_eq_u32_e64 s[38:39], 0, v38
	v_and_b32_e32 v38, 60, v90
	v_cmp_eq_u32_e64 s[40:41], 0, v16
	v_cmp_lt_u32_e64 s[42:43], 1, v16
	v_and_or_b32 v16, v18, 63, v20
	s_mov_b32 s51, 0
	v_add_u32_e32 v49, 16, v89
	v_cmp_lt_u32_e64 s[26:27], 31, v18
	v_cmp_eq_u32_e64 s[36:37], 0, v18
	v_add_u32_e32 v52, -4, v38
	v_lshlrev_b32_e32 v53, 2, v16
	v_lshlrev_b32_e32 v54, 3, v16
	s_mov_b32 s54, 32
	v_mov_b32_e32 v32, 0
	s_brev_b32 s53, 1
	s_branch .LBB201_67
.LBB201_66:                             ;   in Loop: Header=BB201_67 Depth=1
	v_lshlrev_b32_e32 v0, 2, v33
	s_barrier
	ds_write_b32 v0, v62
	v_lshlrev_b32_e32 v0, 2, v64
	ds_write_b32 v0, v61
	v_lshlrev_b32_e32 v0, 2, v65
	;; [unrolled: 2-line block ×8, first 2 shown]
	s_waitcnt lgkmcnt(0)
	s_barrier
	ds_read2st64_b32 v[40:41], v53 offset1:1
	ds_read2st64_b32 v[42:43], v53 offset0:2 offset1:3
	ds_read2st64_b32 v[44:45], v53 offset0:4 offset1:5
	;; [unrolled: 1-line block ×3, first 2 shown]
	s_waitcnt lgkmcnt(0)
	s_barrier
	ds_write_b64 v0, v[30:31]
	v_lshlrev_b32_e32 v0, 3, v64
	ds_write_b64 v0, v[28:29]
	v_lshlrev_b32_e32 v0, 3, v65
	ds_write_b64 v0, v[26:27]
	v_lshlrev_b32_e32 v0, 3, v66
	ds_write_b64 v0, v[24:25]
	v_lshlrev_b32_e32 v0, 3, v67
	ds_write_b64 v0, v[22:23]
	v_lshlrev_b32_e32 v0, 3, v68
	ds_write_b64 v0, v[20:21]
	v_lshlrev_b32_e32 v0, 3, v69
	ds_write_b64 v0, v[18:19]
	v_lshlrev_b32_e32 v0, 3, v63
	ds_write_b64 v0, v[16:17]
	s_waitcnt lgkmcnt(0)
	s_barrier
	ds_read2st64_b64 v[0:3], v54 offset1:1
	ds_read2st64_b64 v[4:7], v54 offset0:2 offset1:3
	ds_read2st64_b64 v[8:11], v54 offset0:4 offset1:5
	;; [unrolled: 1-line block ×3, first 2 shown]
	s_add_i32 s51, s51, 8
	s_add_i32 s54, s54, -8
	s_waitcnt lgkmcnt(0)
	s_barrier
	s_cbranch_execz .LBB201_91
.LBB201_67:                             ; =>This Inner Loop Header: Depth=1
	v_mov_b32_e32 v62, v40
	s_min_u32 s44, s50, s54
	v_cmp_ne_u32_e32 vcc, s53, v62
	v_pk_mov_b32 v[30:31], v[0:1], v[0:1] op_sel:[0,1]
	s_lshl_b32 s44, -1, s44
	v_cndmask_b32_e32 v0, v48, v62, vcc
	s_not_b32 s55, s44
	v_lshrrev_b32_e32 v0, s51, v0
	v_and_b32_e32 v0, s55, v0
	v_lshl_add_u32 v1, v0, 2, v50
	v_pk_mov_b32 v[26:27], v[4:5], v[4:5] op_sel:[0,1]
	v_lshl_add_u32 v4, v1, 2, 16
	v_and_b32_e32 v1, 1, v0
	v_pk_mov_b32 v[28:29], v[2:3], v[2:3] op_sel:[0,1]
	v_add_co_u32_e32 v2, vcc, -1, v1
	v_addc_co_u32_e64 v3, s[44:45], 0, -1, vcc
	v_cmp_ne_u32_e32 vcc, 0, v1
	v_lshlrev_b32_e32 v33, 30, v0
	v_xor_b32_e32 v1, vcc_hi, v3
	v_not_b32_e32 v3, v33
	v_xor_b32_e32 v2, vcc_lo, v2
	v_cmp_gt_i64_e32 vcc, 0, v[32:33]
	v_ashrrev_i32_e32 v3, 31, v3
	v_and_b32_e32 v2, exec_lo, v2
	v_xor_b32_e32 v5, vcc_hi, v3
	v_xor_b32_e32 v3, vcc_lo, v3
	v_lshlrev_b32_e32 v33, 29, v0
	v_and_b32_e32 v2, v2, v3
	v_not_b32_e32 v3, v33
	v_and_b32_e32 v1, exec_hi, v1
	v_cmp_gt_i64_e32 vcc, 0, v[32:33]
	v_ashrrev_i32_e32 v3, 31, v3
	v_and_b32_e32 v1, v1, v5
	v_xor_b32_e32 v5, vcc_hi, v3
	v_xor_b32_e32 v3, vcc_lo, v3
	v_lshlrev_b32_e32 v33, 28, v0
	v_and_b32_e32 v2, v2, v3
	v_not_b32_e32 v3, v33
	v_cmp_gt_i64_e32 vcc, 0, v[32:33]
	v_ashrrev_i32_e32 v3, 31, v3
	v_and_b32_e32 v1, v1, v5
	v_xor_b32_e32 v5, vcc_hi, v3
	v_xor_b32_e32 v3, vcc_lo, v3
	v_lshlrev_b32_e32 v33, 27, v0
	v_and_b32_e32 v2, v2, v3
	v_not_b32_e32 v3, v33
	;; [unrolled: 8-line block ×3, first 2 shown]
	v_cmp_gt_i64_e32 vcc, 0, v[32:33]
	v_ashrrev_i32_e32 v3, 31, v3
	v_and_b32_e32 v1, v1, v5
	v_xor_b32_e32 v5, vcc_hi, v3
	v_xor_b32_e32 v3, vcc_lo, v3
	v_lshlrev_b32_e32 v33, 25, v0
	v_and_b32_e32 v2, v2, v3
	v_cmp_gt_i64_e32 vcc, 0, v[32:33]
	v_not_b32_e32 v3, v33
	v_lshlrev_b32_e32 v33, 24, v0
	v_ashrrev_i32_e32 v3, 31, v3
	v_not_b32_e32 v0, v33
	v_and_b32_e32 v1, v1, v5
	v_xor_b32_e32 v5, vcc_hi, v3
	v_xor_b32_e32 v3, vcc_lo, v3
	v_cmp_gt_i64_e32 vcc, 0, v[32:33]
	v_ashrrev_i32_e32 v0, 31, v0
	v_and_b32_e32 v2, v2, v3
	v_xor_b32_e32 v3, vcc_hi, v0
	v_xor_b32_e32 v0, vcc_lo, v0
	v_and_b32_e32 v1, v1, v5
	v_and_b32_e32 v0, v2, v0
	;; [unrolled: 1-line block ×3, first 2 shown]
	v_mbcnt_lo_u32_b32 v2, v0, 0
	v_mbcnt_hi_u32_b32 v5, v1, v2
	v_cmp_eq_u32_e32 vcc, 0, v5
	v_cmp_ne_u64_e64 s[44:45], 0, v[0:1]
	v_mov_b32_e32 v55, v47
	v_mov_b32_e32 v56, v46
	;; [unrolled: 1-line block ×7, first 2 shown]
	v_pk_mov_b32 v[16:17], v[14:15], v[14:15] op_sel:[0,1]
	v_pk_mov_b32 v[18:19], v[12:13], v[12:13] op_sel:[0,1]
	;; [unrolled: 1-line block ×5, first 2 shown]
	s_and_b64 s[56:57], s[44:45], vcc
	ds_write2_b32 v89, v32, v32 offset0:4 offset1:5
	ds_write2_b32 v49, v32, v32 offset0:2 offset1:3
	s_waitcnt lgkmcnt(0)
	s_barrier
	s_waitcnt lgkmcnt(0)
	; wave barrier
	s_and_saveexec_b64 s[44:45], s[56:57]
	s_cbranch_execz .LBB201_69
; %bb.68:                               ;   in Loop: Header=BB201_67 Depth=1
	v_bcnt_u32_b32 v0, v0, 0
	v_bcnt_u32_b32 v0, v1, v0
	ds_write_b32 v4, v0
.LBB201_69:                             ;   in Loop: Header=BB201_67 Depth=1
	s_or_b64 exec, exec, s[44:45]
	v_cmp_ne_u32_e32 vcc, s53, v61
	v_cndmask_b32_e32 v0, v48, v61, vcc
	v_lshrrev_b32_e32 v0, s51, v0
	v_and_b32_e32 v0, s55, v0
	v_lshlrev_b32_e32 v1, 2, v0
	v_add_lshl_u32 v1, v1, v50, 2
	; wave barrier
	v_add_u32_e32 v7, 16, v1
	ds_read_b32 v6, v1 offset:16
	v_and_b32_e32 v1, 1, v0
	v_add_co_u32_e32 v2, vcc, -1, v1
	v_addc_co_u32_e64 v3, s[44:45], 0, -1, vcc
	v_cmp_ne_u32_e32 vcc, 0, v1
	v_lshlrev_b32_e32 v33, 30, v0
	v_xor_b32_e32 v1, vcc_hi, v3
	v_not_b32_e32 v3, v33
	v_xor_b32_e32 v2, vcc_lo, v2
	v_cmp_gt_i64_e32 vcc, 0, v[32:33]
	v_ashrrev_i32_e32 v3, 31, v3
	v_and_b32_e32 v2, exec_lo, v2
	v_xor_b32_e32 v8, vcc_hi, v3
	v_xor_b32_e32 v3, vcc_lo, v3
	v_lshlrev_b32_e32 v33, 29, v0
	v_and_b32_e32 v2, v2, v3
	v_not_b32_e32 v3, v33
	v_and_b32_e32 v1, exec_hi, v1
	v_cmp_gt_i64_e32 vcc, 0, v[32:33]
	v_ashrrev_i32_e32 v3, 31, v3
	v_and_b32_e32 v1, v1, v8
	v_xor_b32_e32 v8, vcc_hi, v3
	v_xor_b32_e32 v3, vcc_lo, v3
	v_lshlrev_b32_e32 v33, 28, v0
	v_and_b32_e32 v2, v2, v3
	v_not_b32_e32 v3, v33
	v_cmp_gt_i64_e32 vcc, 0, v[32:33]
	v_ashrrev_i32_e32 v3, 31, v3
	v_and_b32_e32 v1, v1, v8
	v_xor_b32_e32 v8, vcc_hi, v3
	v_xor_b32_e32 v3, vcc_lo, v3
	v_lshlrev_b32_e32 v33, 27, v0
	v_and_b32_e32 v2, v2, v3
	v_not_b32_e32 v3, v33
	;; [unrolled: 8-line block ×3, first 2 shown]
	v_cmp_gt_i64_e32 vcc, 0, v[32:33]
	v_ashrrev_i32_e32 v3, 31, v3
	v_and_b32_e32 v1, v1, v8
	v_xor_b32_e32 v8, vcc_hi, v3
	v_xor_b32_e32 v3, vcc_lo, v3
	v_lshlrev_b32_e32 v33, 25, v0
	v_and_b32_e32 v2, v2, v3
	v_cmp_gt_i64_e32 vcc, 0, v[32:33]
	v_not_b32_e32 v3, v33
	v_lshlrev_b32_e32 v33, 24, v0
	v_ashrrev_i32_e32 v3, 31, v3
	v_not_b32_e32 v0, v33
	v_and_b32_e32 v1, v1, v8
	v_xor_b32_e32 v8, vcc_hi, v3
	v_xor_b32_e32 v3, vcc_lo, v3
	v_cmp_gt_i64_e32 vcc, 0, v[32:33]
	v_ashrrev_i32_e32 v0, 31, v0
	v_and_b32_e32 v2, v2, v3
	v_xor_b32_e32 v3, vcc_hi, v0
	v_xor_b32_e32 v0, vcc_lo, v0
	v_and_b32_e32 v1, v1, v8
	v_and_b32_e32 v0, v2, v0
	;; [unrolled: 1-line block ×3, first 2 shown]
	v_mbcnt_lo_u32_b32 v2, v0, 0
	v_mbcnt_hi_u32_b32 v8, v1, v2
	v_cmp_eq_u32_e32 vcc, 0, v8
	v_cmp_ne_u64_e64 s[44:45], 0, v[0:1]
	s_and_b64 s[56:57], s[44:45], vcc
	; wave barrier
	s_and_saveexec_b64 s[44:45], s[56:57]
	s_cbranch_execz .LBB201_71
; %bb.70:                               ;   in Loop: Header=BB201_67 Depth=1
	v_bcnt_u32_b32 v0, v0, 0
	v_bcnt_u32_b32 v0, v1, v0
	s_waitcnt lgkmcnt(0)
	v_add_u32_e32 v0, v6, v0
	ds_write_b32 v7, v0
.LBB201_71:                             ;   in Loop: Header=BB201_67 Depth=1
	s_or_b64 exec, exec, s[44:45]
	v_cmp_ne_u32_e32 vcc, s53, v60
	v_cndmask_b32_e32 v0, v48, v60, vcc
	v_lshrrev_b32_e32 v0, s51, v0
	v_and_b32_e32 v0, s55, v0
	v_lshlrev_b32_e32 v1, 2, v0
	v_add_lshl_u32 v1, v1, v50, 2
	; wave barrier
	v_add_u32_e32 v10, 16, v1
	ds_read_b32 v9, v1 offset:16
	v_and_b32_e32 v1, 1, v0
	v_add_co_u32_e32 v2, vcc, -1, v1
	v_addc_co_u32_e64 v3, s[44:45], 0, -1, vcc
	v_cmp_ne_u32_e32 vcc, 0, v1
	v_lshlrev_b32_e32 v33, 30, v0
	v_xor_b32_e32 v1, vcc_hi, v3
	v_not_b32_e32 v3, v33
	v_xor_b32_e32 v2, vcc_lo, v2
	v_cmp_gt_i64_e32 vcc, 0, v[32:33]
	v_ashrrev_i32_e32 v3, 31, v3
	v_and_b32_e32 v2, exec_lo, v2
	v_xor_b32_e32 v11, vcc_hi, v3
	v_xor_b32_e32 v3, vcc_lo, v3
	v_lshlrev_b32_e32 v33, 29, v0
	v_and_b32_e32 v2, v2, v3
	v_not_b32_e32 v3, v33
	v_and_b32_e32 v1, exec_hi, v1
	v_cmp_gt_i64_e32 vcc, 0, v[32:33]
	v_ashrrev_i32_e32 v3, 31, v3
	v_and_b32_e32 v1, v1, v11
	v_xor_b32_e32 v11, vcc_hi, v3
	v_xor_b32_e32 v3, vcc_lo, v3
	v_lshlrev_b32_e32 v33, 28, v0
	v_and_b32_e32 v2, v2, v3
	v_not_b32_e32 v3, v33
	v_cmp_gt_i64_e32 vcc, 0, v[32:33]
	v_ashrrev_i32_e32 v3, 31, v3
	v_and_b32_e32 v1, v1, v11
	v_xor_b32_e32 v11, vcc_hi, v3
	v_xor_b32_e32 v3, vcc_lo, v3
	v_lshlrev_b32_e32 v33, 27, v0
	v_and_b32_e32 v2, v2, v3
	v_not_b32_e32 v3, v33
	;; [unrolled: 8-line block ×3, first 2 shown]
	v_cmp_gt_i64_e32 vcc, 0, v[32:33]
	v_ashrrev_i32_e32 v3, 31, v3
	v_and_b32_e32 v1, v1, v11
	v_xor_b32_e32 v11, vcc_hi, v3
	v_xor_b32_e32 v3, vcc_lo, v3
	v_lshlrev_b32_e32 v33, 25, v0
	v_and_b32_e32 v2, v2, v3
	v_cmp_gt_i64_e32 vcc, 0, v[32:33]
	v_not_b32_e32 v3, v33
	v_lshlrev_b32_e32 v33, 24, v0
	v_ashrrev_i32_e32 v3, 31, v3
	v_not_b32_e32 v0, v33
	v_and_b32_e32 v1, v1, v11
	v_xor_b32_e32 v11, vcc_hi, v3
	v_xor_b32_e32 v3, vcc_lo, v3
	v_cmp_gt_i64_e32 vcc, 0, v[32:33]
	v_ashrrev_i32_e32 v0, 31, v0
	v_and_b32_e32 v2, v2, v3
	v_xor_b32_e32 v3, vcc_hi, v0
	v_xor_b32_e32 v0, vcc_lo, v0
	v_and_b32_e32 v1, v1, v11
	v_and_b32_e32 v0, v2, v0
	;; [unrolled: 1-line block ×3, first 2 shown]
	v_mbcnt_lo_u32_b32 v2, v0, 0
	v_mbcnt_hi_u32_b32 v11, v1, v2
	v_cmp_eq_u32_e32 vcc, 0, v11
	v_cmp_ne_u64_e64 s[44:45], 0, v[0:1]
	s_and_b64 s[56:57], s[44:45], vcc
	; wave barrier
	s_and_saveexec_b64 s[44:45], s[56:57]
	s_cbranch_execz .LBB201_73
; %bb.72:                               ;   in Loop: Header=BB201_67 Depth=1
	v_bcnt_u32_b32 v0, v0, 0
	v_bcnt_u32_b32 v0, v1, v0
	s_waitcnt lgkmcnt(0)
	v_add_u32_e32 v0, v9, v0
	ds_write_b32 v10, v0
.LBB201_73:                             ;   in Loop: Header=BB201_67 Depth=1
	s_or_b64 exec, exec, s[44:45]
	v_cmp_ne_u32_e32 vcc, s53, v59
	v_cndmask_b32_e32 v0, v48, v59, vcc
	v_lshrrev_b32_e32 v0, s51, v0
	v_and_b32_e32 v0, s55, v0
	v_lshlrev_b32_e32 v1, 2, v0
	v_add_lshl_u32 v1, v1, v50, 2
	; wave barrier
	v_add_u32_e32 v13, 16, v1
	ds_read_b32 v12, v1 offset:16
	v_and_b32_e32 v1, 1, v0
	v_add_co_u32_e32 v2, vcc, -1, v1
	v_addc_co_u32_e64 v3, s[44:45], 0, -1, vcc
	v_cmp_ne_u32_e32 vcc, 0, v1
	v_lshlrev_b32_e32 v33, 30, v0
	v_xor_b32_e32 v1, vcc_hi, v3
	v_not_b32_e32 v3, v33
	v_xor_b32_e32 v2, vcc_lo, v2
	v_cmp_gt_i64_e32 vcc, 0, v[32:33]
	v_ashrrev_i32_e32 v3, 31, v3
	v_and_b32_e32 v2, exec_lo, v2
	v_xor_b32_e32 v14, vcc_hi, v3
	v_xor_b32_e32 v3, vcc_lo, v3
	v_lshlrev_b32_e32 v33, 29, v0
	v_and_b32_e32 v2, v2, v3
	v_not_b32_e32 v3, v33
	v_and_b32_e32 v1, exec_hi, v1
	v_cmp_gt_i64_e32 vcc, 0, v[32:33]
	v_ashrrev_i32_e32 v3, 31, v3
	v_and_b32_e32 v1, v1, v14
	v_xor_b32_e32 v14, vcc_hi, v3
	v_xor_b32_e32 v3, vcc_lo, v3
	v_lshlrev_b32_e32 v33, 28, v0
	v_and_b32_e32 v2, v2, v3
	v_not_b32_e32 v3, v33
	v_cmp_gt_i64_e32 vcc, 0, v[32:33]
	v_ashrrev_i32_e32 v3, 31, v3
	v_and_b32_e32 v1, v1, v14
	v_xor_b32_e32 v14, vcc_hi, v3
	v_xor_b32_e32 v3, vcc_lo, v3
	v_lshlrev_b32_e32 v33, 27, v0
	v_and_b32_e32 v2, v2, v3
	v_not_b32_e32 v3, v33
	v_cmp_gt_i64_e32 vcc, 0, v[32:33]
	v_ashrrev_i32_e32 v3, 31, v3
	v_and_b32_e32 v1, v1, v14
	v_xor_b32_e32 v14, vcc_hi, v3
	v_xor_b32_e32 v3, vcc_lo, v3
	v_lshlrev_b32_e32 v33, 26, v0
	v_and_b32_e32 v2, v2, v3
	v_not_b32_e32 v3, v33
	v_cmp_gt_i64_e32 vcc, 0, v[32:33]
	v_ashrrev_i32_e32 v3, 31, v3
	v_and_b32_e32 v1, v1, v14
	v_xor_b32_e32 v14, vcc_hi, v3
	v_xor_b32_e32 v3, vcc_lo, v3
	v_lshlrev_b32_e32 v33, 25, v0
	v_and_b32_e32 v2, v2, v3
	v_cmp_gt_i64_e32 vcc, 0, v[32:33]
	v_not_b32_e32 v3, v33
	v_lshlrev_b32_e32 v33, 24, v0
	v_ashrrev_i32_e32 v3, 31, v3
	v_not_b32_e32 v0, v33
	v_and_b32_e32 v1, v1, v14
	v_xor_b32_e32 v14, vcc_hi, v3
	v_xor_b32_e32 v3, vcc_lo, v3
	v_cmp_gt_i64_e32 vcc, 0, v[32:33]
	v_ashrrev_i32_e32 v0, 31, v0
	v_and_b32_e32 v2, v2, v3
	v_xor_b32_e32 v3, vcc_hi, v0
	v_xor_b32_e32 v0, vcc_lo, v0
	v_and_b32_e32 v1, v1, v14
	v_and_b32_e32 v0, v2, v0
	v_and_b32_e32 v1, v1, v3
	v_mbcnt_lo_u32_b32 v2, v0, 0
	v_mbcnt_hi_u32_b32 v14, v1, v2
	v_cmp_eq_u32_e32 vcc, 0, v14
	v_cmp_ne_u64_e64 s[44:45], 0, v[0:1]
	s_and_b64 s[56:57], s[44:45], vcc
	; wave barrier
	s_and_saveexec_b64 s[44:45], s[56:57]
	s_cbranch_execz .LBB201_75
; %bb.74:                               ;   in Loop: Header=BB201_67 Depth=1
	v_bcnt_u32_b32 v0, v0, 0
	v_bcnt_u32_b32 v0, v1, v0
	s_waitcnt lgkmcnt(0)
	v_add_u32_e32 v0, v12, v0
	ds_write_b32 v13, v0
.LBB201_75:                             ;   in Loop: Header=BB201_67 Depth=1
	s_or_b64 exec, exec, s[44:45]
	v_cmp_ne_u32_e32 vcc, s53, v58
	v_cndmask_b32_e32 v0, v48, v58, vcc
	v_lshrrev_b32_e32 v0, s51, v0
	v_and_b32_e32 v0, s55, v0
	v_lshlrev_b32_e32 v1, 2, v0
	v_add_lshl_u32 v1, v1, v50, 2
	; wave barrier
	v_add_u32_e32 v40, 16, v1
	ds_read_b32 v15, v1 offset:16
	v_and_b32_e32 v1, 1, v0
	v_add_co_u32_e32 v2, vcc, -1, v1
	v_addc_co_u32_e64 v3, s[44:45], 0, -1, vcc
	v_cmp_ne_u32_e32 vcc, 0, v1
	v_lshlrev_b32_e32 v33, 30, v0
	v_xor_b32_e32 v1, vcc_hi, v3
	v_not_b32_e32 v3, v33
	v_xor_b32_e32 v2, vcc_lo, v2
	v_cmp_gt_i64_e32 vcc, 0, v[32:33]
	v_ashrrev_i32_e32 v3, 31, v3
	v_and_b32_e32 v1, exec_hi, v1
	v_xor_b32_e32 v33, vcc_hi, v3
	v_and_b32_e32 v2, exec_lo, v2
	v_xor_b32_e32 v3, vcc_lo, v3
	v_and_b32_e32 v1, v1, v33
	v_lshlrev_b32_e32 v33, 29, v0
	v_and_b32_e32 v2, v2, v3
	v_not_b32_e32 v3, v33
	v_cmp_gt_i64_e32 vcc, 0, v[32:33]
	v_ashrrev_i32_e32 v3, 31, v3
	v_xor_b32_e32 v33, vcc_hi, v3
	v_xor_b32_e32 v3, vcc_lo, v3
	v_and_b32_e32 v1, v1, v33
	v_lshlrev_b32_e32 v33, 28, v0
	v_and_b32_e32 v2, v2, v3
	v_not_b32_e32 v3, v33
	v_cmp_gt_i64_e32 vcc, 0, v[32:33]
	v_ashrrev_i32_e32 v3, 31, v3
	v_xor_b32_e32 v33, vcc_hi, v3
	;; [unrolled: 8-line block ×5, first 2 shown]
	v_and_b32_e32 v1, v1, v33
	v_lshlrev_b32_e32 v33, 24, v0
	v_not_b32_e32 v0, v33
	v_xor_b32_e32 v3, vcc_lo, v3
	v_cmp_gt_i64_e32 vcc, 0, v[32:33]
	v_ashrrev_i32_e32 v0, 31, v0
	v_and_b32_e32 v2, v2, v3
	v_xor_b32_e32 v3, vcc_hi, v0
	v_xor_b32_e32 v0, vcc_lo, v0
	v_and_b32_e32 v0, v2, v0
	v_and_b32_e32 v1, v1, v3
	v_mbcnt_lo_u32_b32 v2, v0, 0
	v_mbcnt_hi_u32_b32 v41, v1, v2
	v_cmp_eq_u32_e32 vcc, 0, v41
	v_cmp_ne_u64_e64 s[44:45], 0, v[0:1]
	s_and_b64 s[56:57], s[44:45], vcc
	; wave barrier
	s_and_saveexec_b64 s[44:45], s[56:57]
	s_cbranch_execz .LBB201_77
; %bb.76:                               ;   in Loop: Header=BB201_67 Depth=1
	v_bcnt_u32_b32 v0, v0, 0
	v_bcnt_u32_b32 v0, v1, v0
	s_waitcnt lgkmcnt(0)
	v_add_u32_e32 v0, v15, v0
	ds_write_b32 v40, v0
.LBB201_77:                             ;   in Loop: Header=BB201_67 Depth=1
	s_or_b64 exec, exec, s[44:45]
	v_cmp_ne_u32_e32 vcc, s53, v57
	v_cndmask_b32_e32 v0, v48, v57, vcc
	v_lshrrev_b32_e32 v0, s51, v0
	v_and_b32_e32 v0, s55, v0
	v_lshlrev_b32_e32 v1, 2, v0
	v_add_lshl_u32 v1, v1, v50, 2
	; wave barrier
	v_add_u32_e32 v43, 16, v1
	ds_read_b32 v42, v1 offset:16
	v_and_b32_e32 v1, 1, v0
	v_add_co_u32_e32 v2, vcc, -1, v1
	v_addc_co_u32_e64 v3, s[44:45], 0, -1, vcc
	v_cmp_ne_u32_e32 vcc, 0, v1
	v_lshlrev_b32_e32 v33, 30, v0
	v_xor_b32_e32 v1, vcc_hi, v3
	v_not_b32_e32 v3, v33
	v_xor_b32_e32 v2, vcc_lo, v2
	v_cmp_gt_i64_e32 vcc, 0, v[32:33]
	v_ashrrev_i32_e32 v3, 31, v3
	v_and_b32_e32 v1, exec_hi, v1
	v_xor_b32_e32 v33, vcc_hi, v3
	v_and_b32_e32 v2, exec_lo, v2
	v_xor_b32_e32 v3, vcc_lo, v3
	v_and_b32_e32 v1, v1, v33
	v_lshlrev_b32_e32 v33, 29, v0
	v_and_b32_e32 v2, v2, v3
	v_not_b32_e32 v3, v33
	v_cmp_gt_i64_e32 vcc, 0, v[32:33]
	v_ashrrev_i32_e32 v3, 31, v3
	v_xor_b32_e32 v33, vcc_hi, v3
	v_xor_b32_e32 v3, vcc_lo, v3
	v_and_b32_e32 v1, v1, v33
	v_lshlrev_b32_e32 v33, 28, v0
	v_and_b32_e32 v2, v2, v3
	v_not_b32_e32 v3, v33
	v_cmp_gt_i64_e32 vcc, 0, v[32:33]
	v_ashrrev_i32_e32 v3, 31, v3
	v_xor_b32_e32 v33, vcc_hi, v3
	;; [unrolled: 8-line block ×5, first 2 shown]
	v_and_b32_e32 v1, v1, v33
	v_lshlrev_b32_e32 v33, 24, v0
	v_not_b32_e32 v0, v33
	v_xor_b32_e32 v3, vcc_lo, v3
	v_cmp_gt_i64_e32 vcc, 0, v[32:33]
	v_ashrrev_i32_e32 v0, 31, v0
	v_and_b32_e32 v2, v2, v3
	v_xor_b32_e32 v3, vcc_hi, v0
	v_xor_b32_e32 v0, vcc_lo, v0
	v_and_b32_e32 v0, v2, v0
	v_and_b32_e32 v1, v1, v3
	v_mbcnt_lo_u32_b32 v2, v0, 0
	v_mbcnt_hi_u32_b32 v44, v1, v2
	v_cmp_eq_u32_e32 vcc, 0, v44
	v_cmp_ne_u64_e64 s[44:45], 0, v[0:1]
	s_and_b64 s[56:57], s[44:45], vcc
	; wave barrier
	s_and_saveexec_b64 s[44:45], s[56:57]
	s_cbranch_execz .LBB201_79
; %bb.78:                               ;   in Loop: Header=BB201_67 Depth=1
	v_bcnt_u32_b32 v0, v0, 0
	v_bcnt_u32_b32 v0, v1, v0
	s_waitcnt lgkmcnt(0)
	v_add_u32_e32 v0, v42, v0
	ds_write_b32 v43, v0
.LBB201_79:                             ;   in Loop: Header=BB201_67 Depth=1
	s_or_b64 exec, exec, s[44:45]
	v_cmp_ne_u32_e32 vcc, s53, v56
	v_cndmask_b32_e32 v0, v48, v56, vcc
	v_lshrrev_b32_e32 v0, s51, v0
	v_and_b32_e32 v0, s55, v0
	v_lshlrev_b32_e32 v1, 2, v0
	v_add_lshl_u32 v1, v1, v50, 2
	; wave barrier
	v_add_u32_e32 v46, 16, v1
	ds_read_b32 v45, v1 offset:16
	v_and_b32_e32 v1, 1, v0
	v_add_co_u32_e32 v2, vcc, -1, v1
	v_addc_co_u32_e64 v3, s[44:45], 0, -1, vcc
	v_cmp_ne_u32_e32 vcc, 0, v1
	v_lshlrev_b32_e32 v33, 30, v0
	v_xor_b32_e32 v1, vcc_hi, v3
	v_not_b32_e32 v3, v33
	v_xor_b32_e32 v2, vcc_lo, v2
	v_cmp_gt_i64_e32 vcc, 0, v[32:33]
	v_ashrrev_i32_e32 v3, 31, v3
	v_and_b32_e32 v1, exec_hi, v1
	v_xor_b32_e32 v33, vcc_hi, v3
	v_and_b32_e32 v2, exec_lo, v2
	v_xor_b32_e32 v3, vcc_lo, v3
	v_and_b32_e32 v1, v1, v33
	v_lshlrev_b32_e32 v33, 29, v0
	v_and_b32_e32 v2, v2, v3
	v_not_b32_e32 v3, v33
	v_cmp_gt_i64_e32 vcc, 0, v[32:33]
	v_ashrrev_i32_e32 v3, 31, v3
	v_xor_b32_e32 v33, vcc_hi, v3
	v_xor_b32_e32 v3, vcc_lo, v3
	v_and_b32_e32 v1, v1, v33
	v_lshlrev_b32_e32 v33, 28, v0
	v_and_b32_e32 v2, v2, v3
	v_not_b32_e32 v3, v33
	v_cmp_gt_i64_e32 vcc, 0, v[32:33]
	v_ashrrev_i32_e32 v3, 31, v3
	v_xor_b32_e32 v33, vcc_hi, v3
	;; [unrolled: 8-line block ×5, first 2 shown]
	v_and_b32_e32 v1, v1, v33
	v_lshlrev_b32_e32 v33, 24, v0
	v_not_b32_e32 v0, v33
	v_xor_b32_e32 v3, vcc_lo, v3
	v_cmp_gt_i64_e32 vcc, 0, v[32:33]
	v_ashrrev_i32_e32 v0, 31, v0
	v_and_b32_e32 v2, v2, v3
	v_xor_b32_e32 v3, vcc_hi, v0
	v_xor_b32_e32 v0, vcc_lo, v0
	v_and_b32_e32 v0, v2, v0
	v_and_b32_e32 v1, v1, v3
	v_mbcnt_lo_u32_b32 v2, v0, 0
	v_mbcnt_hi_u32_b32 v47, v1, v2
	v_cmp_eq_u32_e32 vcc, 0, v47
	v_cmp_ne_u64_e64 s[44:45], 0, v[0:1]
	s_and_b64 s[56:57], s[44:45], vcc
	; wave barrier
	s_and_saveexec_b64 s[44:45], s[56:57]
	s_cbranch_execz .LBB201_81
; %bb.80:                               ;   in Loop: Header=BB201_67 Depth=1
	v_bcnt_u32_b32 v0, v0, 0
	v_bcnt_u32_b32 v0, v1, v0
	s_waitcnt lgkmcnt(0)
	v_add_u32_e32 v0, v45, v0
	ds_write_b32 v46, v0
.LBB201_81:                             ;   in Loop: Header=BB201_67 Depth=1
	s_or_b64 exec, exec, s[44:45]
	v_cmp_ne_u32_e32 vcc, s53, v55
	v_cndmask_b32_e32 v0, v48, v55, vcc
	v_lshrrev_b32_e32 v0, s51, v0
	v_and_b32_e32 v0, s55, v0
	v_lshlrev_b32_e32 v1, 2, v0
	v_add_lshl_u32 v1, v1, v50, 2
	; wave barrier
	v_add_u32_e32 v64, 16, v1
	ds_read_b32 v63, v1 offset:16
	v_and_b32_e32 v1, 1, v0
	v_add_co_u32_e32 v2, vcc, -1, v1
	v_addc_co_u32_e64 v3, s[44:45], 0, -1, vcc
	v_cmp_ne_u32_e32 vcc, 0, v1
	v_lshlrev_b32_e32 v33, 30, v0
	v_xor_b32_e32 v1, vcc_hi, v3
	v_not_b32_e32 v3, v33
	v_xor_b32_e32 v2, vcc_lo, v2
	v_cmp_gt_i64_e32 vcc, 0, v[32:33]
	v_ashrrev_i32_e32 v3, 31, v3
	v_and_b32_e32 v1, exec_hi, v1
	v_xor_b32_e32 v33, vcc_hi, v3
	v_and_b32_e32 v2, exec_lo, v2
	v_xor_b32_e32 v3, vcc_lo, v3
	v_and_b32_e32 v1, v1, v33
	v_lshlrev_b32_e32 v33, 29, v0
	v_and_b32_e32 v2, v2, v3
	v_not_b32_e32 v3, v33
	v_cmp_gt_i64_e32 vcc, 0, v[32:33]
	v_ashrrev_i32_e32 v3, 31, v3
	v_xor_b32_e32 v33, vcc_hi, v3
	v_xor_b32_e32 v3, vcc_lo, v3
	v_and_b32_e32 v1, v1, v33
	v_lshlrev_b32_e32 v33, 28, v0
	v_and_b32_e32 v2, v2, v3
	v_not_b32_e32 v3, v33
	v_cmp_gt_i64_e32 vcc, 0, v[32:33]
	v_ashrrev_i32_e32 v3, 31, v3
	v_xor_b32_e32 v33, vcc_hi, v3
	;; [unrolled: 8-line block ×5, first 2 shown]
	v_and_b32_e32 v1, v1, v33
	v_lshlrev_b32_e32 v33, 24, v0
	v_not_b32_e32 v0, v33
	v_xor_b32_e32 v3, vcc_lo, v3
	v_cmp_gt_i64_e32 vcc, 0, v[32:33]
	v_ashrrev_i32_e32 v0, 31, v0
	v_and_b32_e32 v2, v2, v3
	v_xor_b32_e32 v3, vcc_hi, v0
	v_xor_b32_e32 v0, vcc_lo, v0
	v_and_b32_e32 v0, v2, v0
	v_and_b32_e32 v1, v1, v3
	v_mbcnt_lo_u32_b32 v2, v0, 0
	v_mbcnt_hi_u32_b32 v70, v1, v2
	v_cmp_eq_u32_e32 vcc, 0, v70
	v_cmp_ne_u64_e64 s[44:45], 0, v[0:1]
	s_and_b64 s[56:57], s[44:45], vcc
	; wave barrier
	s_and_saveexec_b64 s[44:45], s[56:57]
	s_cbranch_execz .LBB201_83
; %bb.82:                               ;   in Loop: Header=BB201_67 Depth=1
	v_bcnt_u32_b32 v0, v0, 0
	v_bcnt_u32_b32 v0, v1, v0
	s_waitcnt lgkmcnt(0)
	v_add_u32_e32 v0, v63, v0
	ds_write_b32 v64, v0
.LBB201_83:                             ;   in Loop: Header=BB201_67 Depth=1
	s_or_b64 exec, exec, s[44:45]
	; wave barrier
	s_waitcnt lgkmcnt(0)
	s_barrier
	ds_read2_b32 v[2:3], v89 offset0:4 offset1:5
	ds_read2_b32 v[0:1], v49 offset0:2 offset1:3
	s_waitcnt lgkmcnt(1)
	v_add_u32_e32 v33, v3, v2
	s_waitcnt lgkmcnt(0)
	v_add3_u32 v1, v33, v0, v1
	s_nop 1
	v_mov_b32_dpp v33, v1 row_shr:1 row_mask:0xf bank_mask:0xf
	v_cndmask_b32_e64 v33, v33, 0, s[16:17]
	v_add_u32_e32 v1, v33, v1
	s_nop 1
	v_mov_b32_dpp v33, v1 row_shr:2 row_mask:0xf bank_mask:0xf
	v_cndmask_b32_e64 v33, 0, v33, s[18:19]
	v_add_u32_e32 v1, v1, v33
	;; [unrolled: 4-line block ×4, first 2 shown]
	s_nop 1
	v_mov_b32_dpp v33, v1 row_bcast:15 row_mask:0xf bank_mask:0xf
	v_cndmask_b32_e64 v33, v33, 0, s[24:25]
	v_add_u32_e32 v1, v1, v33
	s_nop 1
	v_mov_b32_dpp v33, v1 row_bcast:31 row_mask:0xf bank_mask:0xf
	v_cndmask_b32_e64 v33, 0, v33, s[26:27]
	v_add_u32_e32 v1, v1, v33
	s_and_saveexec_b64 s[44:45], s[28:29]
	s_cbranch_execz .LBB201_85
; %bb.84:                               ;   in Loop: Header=BB201_67 Depth=1
	ds_write_b32 v38, v1
.LBB201_85:                             ;   in Loop: Header=BB201_67 Depth=1
	s_or_b64 exec, exec, s[44:45]
	s_waitcnt lgkmcnt(0)
	s_barrier
	s_and_saveexec_b64 s[44:45], s[30:31]
	s_cbranch_execz .LBB201_87
; %bb.86:                               ;   in Loop: Header=BB201_67 Depth=1
	ds_read_b32 v33, v88
	s_waitcnt lgkmcnt(0)
	s_nop 0
	v_mov_b32_dpp v65, v33 row_shr:1 row_mask:0xf bank_mask:0xf
	v_cndmask_b32_e64 v65, v65, 0, s[40:41]
	v_add_u32_e32 v33, v65, v33
	s_nop 1
	v_mov_b32_dpp v65, v33 row_shr:2 row_mask:0xf bank_mask:0xf
	v_cndmask_b32_e64 v65, 0, v65, s[42:43]
	v_add_u32_e32 v33, v33, v65
	ds_write_b32 v88, v33
.LBB201_87:                             ;   in Loop: Header=BB201_67 Depth=1
	s_or_b64 exec, exec, s[44:45]
	v_mov_b32_e32 v33, 0
	s_waitcnt lgkmcnt(0)
	s_barrier
	s_and_saveexec_b64 s[44:45], s[34:35]
	s_cbranch_execz .LBB201_89
; %bb.88:                               ;   in Loop: Header=BB201_67 Depth=1
	ds_read_b32 v33, v52
.LBB201_89:                             ;   in Loop: Header=BB201_67 Depth=1
	s_or_b64 exec, exec, s[44:45]
	s_waitcnt lgkmcnt(0)
	v_add_u32_e32 v1, v33, v1
	ds_bpermute_b32 v1, v51, v1
	s_cmp_gt_u32 s51, 23
	s_waitcnt lgkmcnt(0)
	v_cndmask_b32_e64 v1, v1, v33, s[36:37]
	v_cndmask_b32_e64 v1, v1, 0, s[38:39]
	v_add_u32_e32 v2, v1, v2
	v_add_u32_e32 v3, v2, v3
	;; [unrolled: 1-line block ×3, first 2 shown]
	ds_write2_b32 v89, v1, v2 offset0:4 offset1:5
	ds_write2_b32 v49, v3, v0 offset0:2 offset1:3
	s_waitcnt lgkmcnt(0)
	s_barrier
	ds_read_b32 v0, v4
	ds_read_b32 v1, v7
	;; [unrolled: 1-line block ×8, first 2 shown]
	s_waitcnt lgkmcnt(7)
	v_add_u32_e32 v33, v0, v5
	s_waitcnt lgkmcnt(6)
	v_add3_u32 v64, v8, v6, v1
	s_waitcnt lgkmcnt(5)
	v_add3_u32 v65, v11, v9, v2
	;; [unrolled: 2-line block ×7, first 2 shown]
	s_cbranch_scc0 .LBB201_66
; %bb.90:
                                        ; implicit-def: $vgpr47
                                        ; implicit-def: $vgpr45
                                        ; implicit-def: $vgpr43
                                        ; implicit-def: $vgpr41
                                        ; implicit-def: $vgpr14_vgpr15
                                        ; implicit-def: $vgpr10_vgpr11
                                        ; implicit-def: $vgpr6_vgpr7
                                        ; implicit-def: $vgpr2_vgpr3
                                        ; implicit-def: $sgpr51
                                        ; implicit-def: $sgpr54
.LBB201_91:
	v_lshlrev_b32_e32 v0, 2, v33
	s_barrier
	ds_write_b32 v0, v62
	v_lshlrev_b32_e32 v0, 2, v64
	ds_write_b32 v0, v61
	v_lshlrev_b32_e32 v0, 2, v65
	;; [unrolled: 2-line block ×7, first 2 shown]
	v_lshlrev_b32_e32 v6, 2, v87
	ds_write_b32 v0, v55
	s_waitcnt lgkmcnt(0)
	s_barrier
	ds_read2_b32 v[0:1], v6 offset1:1
	ds_read2_b32 v[2:3], v6 offset0:2 offset1:3
	ds_read2_b32 v[4:5], v6 offset0:4 offset1:5
	;; [unrolled: 1-line block ×3, first 2 shown]
	v_bfrev_b32_e32 v38, -2
	v_lshlrev_b32_e32 v8, 3, v33
	v_lshlrev_b32_e32 v32, 3, v87
	s_waitcnt lgkmcnt(3)
	v_cmp_gt_i32_e32 vcc, 0, v1
	v_cndmask_b32_e64 v33, v38, 0, vcc
	v_cmp_gt_i32_e32 vcc, 0, v0
	v_lshlrev_b32_e32 v9, 3, v64
	v_lshlrev_b32_e32 v10, 3, v65
	;; [unrolled: 1-line block ×7, first 2 shown]
	v_cndmask_b32_e64 v40, v38, 0, vcc
	v_xor_b32_e32 v63, v33, v1
	s_waitcnt lgkmcnt(2)
	v_cmp_gt_i32_e32 vcc, 0, v3
	s_waitcnt lgkmcnt(0)
	s_barrier
	ds_write_b64 v8, v[30:31]
	ds_write_b64 v9, v[28:29]
	;; [unrolled: 1-line block ×8, first 2 shown]
	s_waitcnt lgkmcnt(0)
	s_barrier
	ds_read2_b64 v[18:21], v32 offset1:1
	ds_read2_b64 v[22:25], v32 offset0:2 offset1:3
	ds_read2_b64 v[26:29], v32 offset0:4 offset1:5
	;; [unrolled: 1-line block ×3, first 2 shown]
	v_xor_b32_e32 v62, v40, v0
	v_cndmask_b32_e64 v0, v38, 0, vcc
	v_cmp_gt_i32_e32 vcc, 0, v2
	v_cndmask_b32_e64 v1, v38, 0, vcc
	v_cmp_gt_i32_e32 vcc, 0, v5
	v_xor_b32_e32 v65, v0, v3
	v_cndmask_b32_e64 v0, v38, 0, vcc
	v_cmp_gt_i32_e32 vcc, 0, v4
	v_xor_b32_e32 v64, v1, v2
	;; [unrolled: 3-line block ×4, first 2 shown]
	v_cndmask_b32_e64 v0, v38, 0, vcc
	v_xor_b32_e32 v0, v0, v6
	v_xor_b32_e32 v1, v1, v7
.LBB201_92:
	s_waitcnt lgkmcnt(0)
	s_barrier
	ds_write2_b32 v78, v62, v63 offset1:1
	ds_write2_b32 v78, v64, v65 offset0:2 offset1:3
	ds_write2_b32 v78, v66, v67 offset0:4 offset1:5
	;; [unrolled: 1-line block ×3, first 2 shown]
	s_waitcnt lgkmcnt(0)
	s_barrier
	ds_read_b32 v8, v35 offset:1024
	ds_read_b32 v7, v72 offset:2048
	;; [unrolled: 1-line block ×7, first 2 shown]
	v_mov_b32_e32 v35, 0
	v_lshlrev_b64 v[0:1], 2, v[34:35]
	v_mov_b32_e32 v9, s47
	v_add_co_u32_e32 v0, vcc, s33, v0
	v_addc_co_u32_e32 v1, vcc, v9, v1, vcc
	s_and_saveexec_b64 s[16:17], s[0:1]
	s_cbranch_execnz .LBB201_111
; %bb.93:
	s_or_b64 exec, exec, s[16:17]
	s_and_saveexec_b64 s[16:17], s[2:3]
	s_cbranch_execnz .LBB201_112
.LBB201_94:
	s_or_b64 exec, exec, s[16:17]
	s_and_saveexec_b64 s[16:17], s[4:5]
	s_cbranch_execnz .LBB201_113
.LBB201_95:
	s_or_b64 exec, exec, s[16:17]
	s_and_saveexec_b64 s[16:17], s[6:7]
	s_cbranch_execnz .LBB201_114
.LBB201_96:
	s_or_b64 exec, exec, s[16:17]
	s_and_saveexec_b64 s[16:17], s[8:9]
	s_cbranch_execnz .LBB201_115
.LBB201_97:
	s_or_b64 exec, exec, s[16:17]
	s_and_saveexec_b64 s[16:17], s[10:11]
	s_cbranch_execnz .LBB201_116
.LBB201_98:
	s_or_b64 exec, exec, s[16:17]
	s_and_saveexec_b64 s[16:17], s[12:13]
	s_cbranch_execnz .LBB201_117
.LBB201_99:
	s_or_b64 exec, exec, s[16:17]
	s_and_saveexec_b64 s[16:17], s[14:15]
	s_cbranch_execz .LBB201_101
.LBB201_100:
	s_mul_i32 s18, s46, 0x700
	s_mov_b32 s19, 0
	s_lshl_b64 s[18:19], s[18:19], 2
	s_waitcnt lgkmcnt(1)
	v_mov_b32_e32 v3, s19
	v_add_co_u32_e32 v0, vcc, s18, v0
	v_addc_co_u32_e32 v1, vcc, v1, v3, vcc
	s_waitcnt lgkmcnt(0)
	global_store_dword v[0:1], v2, off
.LBB201_101:
	s_or_b64 exec, exec, s[16:17]
	s_waitcnt lgkmcnt(0)
	s_barrier
	ds_write2_b64 v86, v[18:19], v[20:21] offset1:1
	ds_write2_b64 v86, v[22:23], v[24:25] offset0:2 offset1:3
	ds_write2_b64 v86, v[26:27], v[28:29] offset0:4 offset1:5
	;; [unrolled: 1-line block ×3, first 2 shown]
	s_waitcnt lgkmcnt(0)
	s_barrier
	ds_read_b64 v[14:15], v37 offset:2048
	ds_read_b64 v[12:13], v80 offset:4096
	;; [unrolled: 1-line block ×7, first 2 shown]
	v_mov_b32_e32 v37, 0
	v_lshlrev_b64 v[2:3], 3, v[36:37]
	v_mov_b32_e32 v16, s52
	v_add_co_u32_e32 v2, vcc, s49, v2
	v_addc_co_u32_e32 v3, vcc, v16, v3, vcc
	s_and_saveexec_b64 s[16:17], s[0:1]
	s_cbranch_execnz .LBB201_118
; %bb.102:
	s_or_b64 exec, exec, s[16:17]
	s_and_saveexec_b64 s[0:1], s[2:3]
	s_cbranch_execnz .LBB201_119
.LBB201_103:
	s_or_b64 exec, exec, s[0:1]
	s_and_saveexec_b64 s[0:1], s[4:5]
	s_cbranch_execnz .LBB201_120
.LBB201_104:
	s_or_b64 exec, exec, s[0:1]
	s_and_saveexec_b64 s[0:1], s[6:7]
	s_cbranch_execnz .LBB201_121
.LBB201_105:
	s_or_b64 exec, exec, s[0:1]
	s_and_saveexec_b64 s[0:1], s[8:9]
	s_cbranch_execnz .LBB201_122
.LBB201_106:
	s_or_b64 exec, exec, s[0:1]
	s_and_saveexec_b64 s[0:1], s[10:11]
	s_cbranch_execnz .LBB201_123
.LBB201_107:
	s_or_b64 exec, exec, s[0:1]
	s_and_saveexec_b64 s[0:1], s[12:13]
	s_cbranch_execnz .LBB201_124
.LBB201_108:
	s_or_b64 exec, exec, s[0:1]
	s_and_saveexec_b64 s[0:1], s[14:15]
	s_cbranch_execz .LBB201_110
.LBB201_109:
	s_mul_i32 s0, s48, 0x700
	s_mov_b32 s1, 0
	s_lshl_b64 s[0:1], s[0:1], 3
	s_waitcnt lgkmcnt(1)
	v_mov_b32_e32 v4, s1
	v_add_co_u32_e32 v2, vcc, s0, v2
	v_addc_co_u32_e32 v3, vcc, v3, v4, vcc
	s_waitcnt lgkmcnt(0)
	global_store_dwordx2 v[2:3], v[0:1], off
.LBB201_110:
	s_endpgm
.LBB201_111:
	ds_read_b32 v9, v39
	s_waitcnt lgkmcnt(0)
	global_store_dword v[0:1], v9, off
	s_or_b64 exec, exec, s[16:17]
	s_and_saveexec_b64 s[16:17], s[2:3]
	s_cbranch_execz .LBB201_94
.LBB201_112:
	s_lshl_b32 s18, s46, 8
	s_mov_b32 s19, 0
	s_lshl_b64 s[18:19], s[18:19], 2
	v_mov_b32_e32 v9, s19
	v_add_co_u32_e32 v10, vcc, s18, v0
	v_addc_co_u32_e32 v11, vcc, v1, v9, vcc
	s_waitcnt lgkmcnt(6)
	global_store_dword v[10:11], v8, off
	s_or_b64 exec, exec, s[16:17]
	s_and_saveexec_b64 s[16:17], s[4:5]
	s_cbranch_execz .LBB201_95
.LBB201_113:
	s_lshl_b32 s18, s46, 9
	s_mov_b32 s19, 0
	s_lshl_b64 s[18:19], s[18:19], 2
	v_mov_b32_e32 v9, s19
	s_waitcnt lgkmcnt(6)
	v_add_co_u32_e32 v8, vcc, s18, v0
	v_addc_co_u32_e32 v9, vcc, v1, v9, vcc
	s_waitcnt lgkmcnt(5)
	global_store_dword v[8:9], v7, off
	s_or_b64 exec, exec, s[16:17]
	s_and_saveexec_b64 s[16:17], s[6:7]
	s_cbranch_execz .LBB201_96
.LBB201_114:
	s_mul_i32 s18, s46, 0x300
	s_mov_b32 s19, 0
	s_lshl_b64 s[18:19], s[18:19], 2
	s_waitcnt lgkmcnt(5)
	v_mov_b32_e32 v7, s19
	v_add_co_u32_e32 v8, vcc, s18, v0
	v_addc_co_u32_e32 v9, vcc, v1, v7, vcc
	s_waitcnt lgkmcnt(4)
	global_store_dword v[8:9], v6, off
	s_or_b64 exec, exec, s[16:17]
	s_and_saveexec_b64 s[16:17], s[8:9]
	s_cbranch_execz .LBB201_97
.LBB201_115:
	s_lshl_b32 s18, s46, 10
	s_mov_b32 s19, 0
	s_lshl_b64 s[18:19], s[18:19], 2
	s_waitcnt lgkmcnt(5)
	v_mov_b32_e32 v7, s19
	s_waitcnt lgkmcnt(4)
	v_add_co_u32_e32 v6, vcc, s18, v0
	v_addc_co_u32_e32 v7, vcc, v1, v7, vcc
	s_waitcnt lgkmcnt(3)
	global_store_dword v[6:7], v5, off
	s_or_b64 exec, exec, s[16:17]
	s_and_saveexec_b64 s[16:17], s[10:11]
	s_cbranch_execz .LBB201_98
.LBB201_116:
	s_mul_i32 s18, s46, 0x500
	s_mov_b32 s19, 0
	s_lshl_b64 s[18:19], s[18:19], 2
	s_waitcnt lgkmcnt(3)
	v_mov_b32_e32 v5, s19
	v_add_co_u32_e32 v6, vcc, s18, v0
	v_addc_co_u32_e32 v7, vcc, v1, v5, vcc
	s_waitcnt lgkmcnt(2)
	global_store_dword v[6:7], v4, off
	s_or_b64 exec, exec, s[16:17]
	s_and_saveexec_b64 s[16:17], s[12:13]
	s_cbranch_execz .LBB201_99
.LBB201_117:
	s_mul_i32 s18, s46, 0x600
	s_mov_b32 s19, 0
	s_lshl_b64 s[18:19], s[18:19], 2
	s_waitcnt lgkmcnt(3)
	v_mov_b32_e32 v5, s19
	s_waitcnt lgkmcnt(2)
	v_add_co_u32_e32 v4, vcc, s18, v0
	v_addc_co_u32_e32 v5, vcc, v1, v5, vcc
	s_waitcnt lgkmcnt(1)
	global_store_dword v[4:5], v3, off
	s_or_b64 exec, exec, s[16:17]
	s_and_saveexec_b64 s[16:17], s[14:15]
	s_cbranch_execnz .LBB201_100
	s_branch .LBB201_101
.LBB201_118:
	ds_read_b64 v[16:17], v79
	s_waitcnt lgkmcnt(0)
	global_store_dwordx2 v[2:3], v[16:17], off
	s_or_b64 exec, exec, s[16:17]
	s_and_saveexec_b64 s[0:1], s[2:3]
	s_cbranch_execz .LBB201_103
.LBB201_119:
	s_lshl_b32 s2, s48, 8
	s_mov_b32 s3, 0
	s_lshl_b64 s[2:3], s[2:3], 3
	v_mov_b32_e32 v17, s3
	v_add_co_u32_e32 v16, vcc, s2, v2
	v_addc_co_u32_e32 v17, vcc, v3, v17, vcc
	s_waitcnt lgkmcnt(6)
	global_store_dwordx2 v[16:17], v[14:15], off
	s_or_b64 exec, exec, s[0:1]
	s_and_saveexec_b64 s[0:1], s[4:5]
	s_cbranch_execz .LBB201_104
.LBB201_120:
	s_lshl_b32 s2, s48, 9
	s_mov_b32 s3, 0
	s_lshl_b64 s[2:3], s[2:3], 3
	s_waitcnt lgkmcnt(6)
	v_mov_b32_e32 v15, s3
	v_add_co_u32_e32 v14, vcc, s2, v2
	v_addc_co_u32_e32 v15, vcc, v3, v15, vcc
	s_waitcnt lgkmcnt(5)
	global_store_dwordx2 v[14:15], v[12:13], off
	s_or_b64 exec, exec, s[0:1]
	s_and_saveexec_b64 s[0:1], s[6:7]
	s_cbranch_execz .LBB201_105
.LBB201_121:
	s_mul_i32 s2, s48, 0x300
	s_mov_b32 s3, 0
	s_lshl_b64 s[2:3], s[2:3], 3
	s_waitcnt lgkmcnt(5)
	v_mov_b32_e32 v13, s3
	v_add_co_u32_e32 v12, vcc, s2, v2
	v_addc_co_u32_e32 v13, vcc, v3, v13, vcc
	s_waitcnt lgkmcnt(4)
	global_store_dwordx2 v[12:13], v[10:11], off
	s_or_b64 exec, exec, s[0:1]
	s_and_saveexec_b64 s[0:1], s[8:9]
	s_cbranch_execz .LBB201_106
.LBB201_122:
	s_lshl_b32 s2, s48, 10
	s_mov_b32 s3, 0
	s_lshl_b64 s[2:3], s[2:3], 3
	s_waitcnt lgkmcnt(4)
	v_mov_b32_e32 v11, s3
	v_add_co_u32_e32 v10, vcc, s2, v2
	v_addc_co_u32_e32 v11, vcc, v3, v11, vcc
	s_waitcnt lgkmcnt(3)
	global_store_dwordx2 v[10:11], v[8:9], off
	s_or_b64 exec, exec, s[0:1]
	s_and_saveexec_b64 s[0:1], s[10:11]
	s_cbranch_execz .LBB201_107
.LBB201_123:
	s_mul_i32 s2, s48, 0x500
	s_mov_b32 s3, 0
	s_lshl_b64 s[2:3], s[2:3], 3
	s_waitcnt lgkmcnt(3)
	v_mov_b32_e32 v9, s3
	v_add_co_u32_e32 v8, vcc, s2, v2
	v_addc_co_u32_e32 v9, vcc, v3, v9, vcc
	s_waitcnt lgkmcnt(2)
	global_store_dwordx2 v[8:9], v[6:7], off
	s_or_b64 exec, exec, s[0:1]
	s_and_saveexec_b64 s[0:1], s[12:13]
	s_cbranch_execz .LBB201_108
.LBB201_124:
	s_mul_i32 s2, s48, 0x600
	s_mov_b32 s3, 0
	s_lshl_b64 s[2:3], s[2:3], 3
	s_waitcnt lgkmcnt(2)
	v_mov_b32_e32 v7, s3
	v_add_co_u32_e32 v6, vcc, s2, v2
	v_addc_co_u32_e32 v7, vcc, v3, v7, vcc
	s_waitcnt lgkmcnt(1)
	global_store_dwordx2 v[6:7], v[4:5], off
	s_or_b64 exec, exec, s[0:1]
	s_and_saveexec_b64 s[0:1], s[14:15]
	s_cbranch_execnz .LBB201_109
	s_branch .LBB201_110
	.section	.rodata,"a",@progbits
	.p2align	6, 0x0
	.amdhsa_kernel _ZN2at6native18radixSortKVInPlaceILin2ELin1ELi256ELi8EfljEEvNS_4cuda6detail10TensorInfoIT3_T5_EES6_S6_S6_NS4_IT4_S6_EES6_b
		.amdhsa_group_segment_fixed_size 16896
		.amdhsa_private_segment_fixed_size 0
		.amdhsa_kernarg_size 712
		.amdhsa_user_sgpr_count 6
		.amdhsa_user_sgpr_private_segment_buffer 1
		.amdhsa_user_sgpr_dispatch_ptr 0
		.amdhsa_user_sgpr_queue_ptr 0
		.amdhsa_user_sgpr_kernarg_segment_ptr 1
		.amdhsa_user_sgpr_dispatch_id 0
		.amdhsa_user_sgpr_flat_scratch_init 0
		.amdhsa_user_sgpr_kernarg_preload_length 0
		.amdhsa_user_sgpr_kernarg_preload_offset 0
		.amdhsa_user_sgpr_private_segment_size 0
		.amdhsa_uses_dynamic_stack 0
		.amdhsa_system_sgpr_private_segment_wavefront_offset 0
		.amdhsa_system_sgpr_workgroup_id_x 1
		.amdhsa_system_sgpr_workgroup_id_y 1
		.amdhsa_system_sgpr_workgroup_id_z 1
		.amdhsa_system_sgpr_workgroup_info 0
		.amdhsa_system_vgpr_workitem_id 2
		.amdhsa_next_free_vgpr 118
		.amdhsa_next_free_sgpr 60
		.amdhsa_accum_offset 120
		.amdhsa_reserve_vcc 1
		.amdhsa_reserve_flat_scratch 0
		.amdhsa_float_round_mode_32 0
		.amdhsa_float_round_mode_16_64 0
		.amdhsa_float_denorm_mode_32 3
		.amdhsa_float_denorm_mode_16_64 3
		.amdhsa_dx10_clamp 1
		.amdhsa_ieee_mode 1
		.amdhsa_fp16_overflow 0
		.amdhsa_tg_split 0
		.amdhsa_exception_fp_ieee_invalid_op 0
		.amdhsa_exception_fp_denorm_src 0
		.amdhsa_exception_fp_ieee_div_zero 0
		.amdhsa_exception_fp_ieee_overflow 0
		.amdhsa_exception_fp_ieee_underflow 0
		.amdhsa_exception_fp_ieee_inexact 0
		.amdhsa_exception_int_div_zero 0
	.end_amdhsa_kernel
	.section	.text._ZN2at6native18radixSortKVInPlaceILin2ELin1ELi256ELi8EfljEEvNS_4cuda6detail10TensorInfoIT3_T5_EES6_S6_S6_NS4_IT4_S6_EES6_b,"axG",@progbits,_ZN2at6native18radixSortKVInPlaceILin2ELin1ELi256ELi8EfljEEvNS_4cuda6detail10TensorInfoIT3_T5_EES6_S6_S6_NS4_IT4_S6_EES6_b,comdat
.Lfunc_end201:
	.size	_ZN2at6native18radixSortKVInPlaceILin2ELin1ELi256ELi8EfljEEvNS_4cuda6detail10TensorInfoIT3_T5_EES6_S6_S6_NS4_IT4_S6_EES6_b, .Lfunc_end201-_ZN2at6native18radixSortKVInPlaceILin2ELin1ELi256ELi8EfljEEvNS_4cuda6detail10TensorInfoIT3_T5_EES6_S6_S6_NS4_IT4_S6_EES6_b
                                        ; -- End function
	.section	.AMDGPU.csdata,"",@progbits
; Kernel info:
; codeLenInByte = 13356
; NumSgprs: 64
; NumVgprs: 118
; NumAgprs: 0
; TotalNumVgprs: 118
; ScratchSize: 0
; MemoryBound: 0
; FloatMode: 240
; IeeeMode: 1
; LDSByteSize: 16896 bytes/workgroup (compile time only)
; SGPRBlocks: 7
; VGPRBlocks: 14
; NumSGPRsForWavesPerEU: 64
; NumVGPRsForWavesPerEU: 118
; AccumOffset: 120
; Occupancy: 3
; WaveLimiterHint : 1
; COMPUTE_PGM_RSRC2:SCRATCH_EN: 0
; COMPUTE_PGM_RSRC2:USER_SGPR: 6
; COMPUTE_PGM_RSRC2:TRAP_HANDLER: 0
; COMPUTE_PGM_RSRC2:TGID_X_EN: 1
; COMPUTE_PGM_RSRC2:TGID_Y_EN: 1
; COMPUTE_PGM_RSRC2:TGID_Z_EN: 1
; COMPUTE_PGM_RSRC2:TIDIG_COMP_CNT: 2
; COMPUTE_PGM_RSRC3_GFX90A:ACCUM_OFFSET: 29
; COMPUTE_PGM_RSRC3_GFX90A:TG_SPLIT: 0
	.section	.text._ZN2at6native18radixSortKVInPlaceILin2ELin1ELi128ELi8EfljEEvNS_4cuda6detail10TensorInfoIT3_T5_EES6_S6_S6_NS4_IT4_S6_EES6_b,"axG",@progbits,_ZN2at6native18radixSortKVInPlaceILin2ELin1ELi128ELi8EfljEEvNS_4cuda6detail10TensorInfoIT3_T5_EES6_S6_S6_NS4_IT4_S6_EES6_b,comdat
	.protected	_ZN2at6native18radixSortKVInPlaceILin2ELin1ELi128ELi8EfljEEvNS_4cuda6detail10TensorInfoIT3_T5_EES6_S6_S6_NS4_IT4_S6_EES6_b ; -- Begin function _ZN2at6native18radixSortKVInPlaceILin2ELin1ELi128ELi8EfljEEvNS_4cuda6detail10TensorInfoIT3_T5_EES6_S6_S6_NS4_IT4_S6_EES6_b
	.globl	_ZN2at6native18radixSortKVInPlaceILin2ELin1ELi128ELi8EfljEEvNS_4cuda6detail10TensorInfoIT3_T5_EES6_S6_S6_NS4_IT4_S6_EES6_b
	.p2align	8
	.type	_ZN2at6native18radixSortKVInPlaceILin2ELin1ELi128ELi8EfljEEvNS_4cuda6detail10TensorInfoIT3_T5_EES6_S6_S6_NS4_IT4_S6_EES6_b,@function
_ZN2at6native18radixSortKVInPlaceILin2ELin1ELi128ELi8EfljEEvNS_4cuda6detail10TensorInfoIT3_T5_EES6_S6_S6_NS4_IT4_S6_EES6_b: ; @_ZN2at6native18radixSortKVInPlaceILin2ELin1ELi128ELi8EfljEEvNS_4cuda6detail10TensorInfoIT3_T5_EES6_S6_S6_NS4_IT4_S6_EES6_b
; %bb.0:
	s_load_dwordx2 s[0:1], s[4:5], 0x1c8
	s_load_dwordx4 s[44:47], s[4:5], 0xd8
	s_add_u32 s50, s4, 0x1c8
	s_addc_u32 s51, s5, 0
	s_waitcnt lgkmcnt(0)
	s_mul_i32 s1, s1, s8
	s_add_i32 s1, s1, s7
	s_mul_i32 s0, s1, s0
	s_add_i32 s6, s0, s6
	s_cmp_ge_u32 s6, s44
	s_cbranch_scc1 .LBB202_110
; %bb.1:
	s_load_dword s2, s[4:5], 0x1b8
	s_load_dwordx2 s[0:1], s[4:5], 0x0
	s_add_u32 s14, s4, 0xe8
	s_addc_u32 s15, s5, 0
	s_mov_b32 s17, 0
	s_waitcnt lgkmcnt(0)
	s_cmp_lt_i32 s2, 2
	s_mov_b32 s16, s6
	s_cbranch_scc1 .LBB202_4
; %bb.2:
	s_add_i32 s16, s2, -1
	s_add_i32 s7, s2, 1
	s_lshl_b64 s[2:3], s[16:17], 2
	s_add_u32 s2, s2, s14
	s_addc_u32 s3, s3, s15
	s_add_u32 s2, s2, 8
	s_addc_u32 s3, s3, 0
	s_mov_b32 s16, s6
.LBB202_3:                              ; =>This Inner Loop Header: Depth=1
	s_load_dword s8, s[2:3], 0x0
	s_load_dword s10, s[2:3], 0x64
	s_mov_b32 s9, s16
	s_waitcnt lgkmcnt(0)
	v_cvt_f32_u32_e32 v1, s8
	s_sub_i32 s11, 0, s8
	v_rcp_iflag_f32_e32 v1, v1
	v_mul_f32_e32 v1, 0x4f7ffffe, v1
	v_cvt_u32_f32_e32 v1, v1
	v_readfirstlane_b32 s12, v1
	s_mul_i32 s11, s11, s12
	s_mul_hi_u32 s11, s12, s11
	s_add_i32 s12, s12, s11
	s_mul_hi_u32 s11, s16, s12
	s_mul_i32 s12, s11, s8
	s_sub_i32 s12, s16, s12
	s_add_i32 s13, s11, 1
	s_sub_i32 s16, s12, s8
	s_cmp_ge_u32 s12, s8
	s_cselect_b32 s11, s13, s11
	s_cselect_b32 s12, s16, s12
	s_add_i32 s13, s11, 1
	s_cmp_ge_u32 s12, s8
	s_cselect_b32 s16, s13, s11
	s_mul_i32 s8, s16, s8
	s_sub_i32 s8, s9, s8
	s_mul_i32 s8, s10, s8
	s_add_i32 s7, s7, -1
	s_add_i32 s17, s8, s17
	s_add_u32 s2, s2, -4
	s_addc_u32 s3, s3, -1
	s_cmp_gt_u32 s7, 2
	s_cbranch_scc1 .LBB202_3
.LBB202_4:
	s_load_dword s2, s[4:5], 0x6c
	s_load_dwordx2 s[48:49], s[4:5], 0x1c0
	s_mov_b32 s3, 0
	v_bfrev_b32_e32 v1, -2
	v_and_b32_e32 v38, 0x3ff, v0
	s_waitcnt lgkmcnt(0)
	s_mul_i32 s2, s2, s6
	s_bitcmp1_b32 s49, 0
	s_cselect_b64 s[34:35], -1, 0
	s_lshl_b64 s[2:3], s[2:3], 2
	s_add_u32 s33, s0, s2
	v_cndmask_b32_e64 v1, v1, -1, s[34:35]
	s_addc_u32 s44, s1, s3
	v_mov_b32_e32 v2, v1
	v_mov_b32_e32 v3, v1
	;; [unrolled: 1-line block ×6, first 2 shown]
	v_cmp_gt_u32_e64 s[0:1], s45, v38
	v_mul_lo_u32 v34, v38, s46
	v_mov_b32_e32 v8, v1
	s_and_saveexec_b64 s[2:3], s[0:1]
	s_cbranch_execz .LBB202_6
; %bb.5:
	v_mov_b32_e32 v35, 0
	v_lshlrev_b64 v[8:9], 2, v[34:35]
	v_mov_b32_e32 v10, s44
	v_add_co_u32_e32 v8, vcc, s33, v8
	v_addc_co_u32_e32 v9, vcc, v10, v9, vcc
	global_load_dword v8, v[8:9], off
.LBB202_6:
	s_or_b64 exec, exec, s[2:3]
	v_add_u32_e32 v30, 0x80, v38
	v_cmp_gt_u32_e64 s[2:3], s45, v30
	s_and_saveexec_b64 s[4:5], s[2:3]
	s_cbranch_execz .LBB202_8
; %bb.7:
	v_mul_lo_u32 v10, v30, s46
	v_mov_b32_e32 v11, 0
	v_lshlrev_b64 v[10:11], 2, v[10:11]
	v_mov_b32_e32 v1, s44
	v_add_co_u32_e32 v10, vcc, s33, v10
	v_addc_co_u32_e32 v11, vcc, v1, v11, vcc
	global_load_dword v1, v[10:11], off
.LBB202_8:
	s_or_b64 exec, exec, s[4:5]
	v_add_u32_e32 v28, 0x100, v38
	v_cmp_gt_u32_e64 s[4:5], s45, v28
	s_and_saveexec_b64 s[6:7], s[4:5]
	s_cbranch_execz .LBB202_10
; %bb.9:
	v_mul_lo_u32 v10, v28, s46
	v_mov_b32_e32 v11, 0
	v_lshlrev_b64 v[10:11], 2, v[10:11]
	v_mov_b32_e32 v2, s44
	v_add_co_u32_e32 v10, vcc, s33, v10
	v_addc_co_u32_e32 v11, vcc, v2, v11, vcc
	global_load_dword v2, v[10:11], off
.LBB202_10:
	s_or_b64 exec, exec, s[6:7]
	v_add_u32_e32 v26, 0x180, v38
	v_cmp_gt_u32_e64 s[6:7], s45, v26
	s_and_saveexec_b64 s[8:9], s[6:7]
	s_cbranch_execz .LBB202_12
; %bb.11:
	v_mul_lo_u32 v10, v26, s46
	v_mov_b32_e32 v11, 0
	v_lshlrev_b64 v[10:11], 2, v[10:11]
	v_mov_b32_e32 v3, s44
	v_add_co_u32_e32 v10, vcc, s33, v10
	v_addc_co_u32_e32 v11, vcc, v3, v11, vcc
	global_load_dword v3, v[10:11], off
.LBB202_12:
	s_or_b64 exec, exec, s[8:9]
	v_add_u32_e32 v24, 0x200, v38
	v_cmp_gt_u32_e64 s[8:9], s45, v24
	s_and_saveexec_b64 s[10:11], s[8:9]
	s_cbranch_execz .LBB202_14
; %bb.13:
	v_mul_lo_u32 v10, v24, s46
	v_mov_b32_e32 v11, 0
	v_lshlrev_b64 v[10:11], 2, v[10:11]
	v_mov_b32_e32 v4, s44
	v_add_co_u32_e32 v10, vcc, s33, v10
	v_addc_co_u32_e32 v11, vcc, v4, v11, vcc
	global_load_dword v4, v[10:11], off
.LBB202_14:
	s_or_b64 exec, exec, s[10:11]
	v_add_u32_e32 v21, 0x280, v38
	v_cmp_gt_u32_e64 s[10:11], s45, v21
	s_and_saveexec_b64 s[12:13], s[10:11]
	s_cbranch_execz .LBB202_16
; %bb.15:
	v_mul_lo_u32 v10, v21, s46
	v_mov_b32_e32 v11, 0
	v_lshlrev_b64 v[10:11], 2, v[10:11]
	v_mov_b32_e32 v5, s44
	v_add_co_u32_e32 v10, vcc, s33, v10
	v_addc_co_u32_e32 v11, vcc, v5, v11, vcc
	global_load_dword v5, v[10:11], off
.LBB202_16:
	s_or_b64 exec, exec, s[12:13]
	s_load_dwordx2 s[18:19], s[14:15], 0x0
	v_add_u32_e32 v19, 0x300, v38
	v_cmp_gt_u32_e64 s[12:13], s45, v19
	s_and_saveexec_b64 s[20:21], s[12:13]
	s_cbranch_execz .LBB202_18
; %bb.17:
	v_mul_lo_u32 v10, v19, s46
	v_mov_b32_e32 v11, 0
	v_lshlrev_b64 v[10:11], 2, v[10:11]
	v_mov_b32_e32 v6, s44
	v_add_co_u32_e32 v10, vcc, s33, v10
	v_addc_co_u32_e32 v11, vcc, v6, v11, vcc
	global_load_dword v6, v[10:11], off
.LBB202_18:
	s_or_b64 exec, exec, s[20:21]
	s_load_dword s22, s[14:15], 0x6c
	v_add_u32_e32 v18, 0x380, v38
	v_cmp_gt_u32_e64 s[14:15], s45, v18
	s_and_saveexec_b64 s[20:21], s[14:15]
	s_cbranch_execz .LBB202_20
; %bb.19:
	v_mul_lo_u32 v10, v18, s46
	v_mov_b32_e32 v11, 0
	v_lshlrev_b64 v[10:11], 2, v[10:11]
	v_mov_b32_e32 v7, s44
	v_add_co_u32_e32 v10, vcc, s33, v10
	v_addc_co_u32_e32 v11, vcc, v7, v11, vcc
	global_load_dword v7, v[10:11], off
.LBB202_20:
	s_or_b64 exec, exec, s[20:21]
	v_lshrrev_b32_e32 v9, 5, v38
	v_add_u32_e32 v32, v9, v38
	v_lshlrev_b32_e32 v39, 2, v32
	s_waitcnt vmcnt(0)
	ds_write_b32 v39, v8
	v_lshrrev_b32_e32 v8, 5, v30
	v_add_u32_e32 v31, v8, v38
	v_lshlrev_b32_e32 v35, 2, v31
	ds_write_b32 v35, v1 offset:512
	v_lshrrev_b32_e32 v1, 5, v28
	v_add_u32_e32 v29, v1, v38
	v_lshrrev_b32_e32 v1, 5, v26
	v_add_u32_e32 v27, v1, v38
	;; [unrolled: 2-line block ×3, first 2 shown]
	v_lshrrev_b32_e32 v1, 5, v21
	v_lshlrev_b32_e32 v72, 2, v29
	v_add_u32_e32 v23, v1, v38
	v_lshrrev_b32_e32 v1, 5, v19
	ds_write_b32 v72, v2 offset:1024
	v_add_u32_e32 v20, v1, v38
	v_lshrrev_b32_e32 v1, 5, v18
	v_lshlrev_b32_e32 v87, 3, v38
	v_lshrrev_b32_e32 v2, 2, v38
	v_add_u32_e32 v1, v1, v38
	v_add_u32_e32 v22, v2, v87
	v_lshlrev_b32_e32 v73, 2, v27
	v_lshlrev_b32_e32 v74, 2, v25
	;; [unrolled: 1-line block ×6, first 2 shown]
	ds_write_b32 v73, v3 offset:1536
	ds_write_b32 v74, v4 offset:2048
	;; [unrolled: 1-line block ×5, first 2 shown]
	s_waitcnt lgkmcnt(0)
	s_barrier
	ds_read2_b32 v[46:47], v78 offset1:1
	ds_read2_b32 v[44:45], v78 offset0:2 offset1:3
	ds_read2_b32 v[42:43], v78 offset0:4 offset1:5
	;; [unrolled: 1-line block ×3, first 2 shown]
	s_mul_i32 s16, s22, s16
	s_add_i32 s16, s16, s17
	s_mov_b32 s17, 0
	s_lshl_b64 s[20:21], s[16:17], 3
	s_add_u32 s45, s18, s20
	s_mov_b32 s16, s17
	s_addc_u32 s47, s19, s21
	s_mov_b32 s18, s17
	s_mov_b32 s19, s17
	;; [unrolled: 1-line block ×14, first 2 shown]
	v_pk_mov_b32 v[2:3], s[16:17], s[16:17] op_sel:[0,1]
	v_pk_mov_b32 v[4:5], s[18:19], s[18:19] op_sel:[0,1]
	;; [unrolled: 1-line block ×8, first 2 shown]
	v_pk_mov_b32 v[2:3], 0, 0
	v_mul_lo_u32 v36, v38, s48
	s_waitcnt lgkmcnt(0)
	s_barrier
	s_and_saveexec_b64 s[16:17], s[0:1]
	s_cbranch_execnz .LBB202_57
; %bb.21:
	s_or_b64 exec, exec, s[16:17]
	s_and_saveexec_b64 s[16:17], s[2:3]
	s_cbranch_execnz .LBB202_58
.LBB202_22:
	s_or_b64 exec, exec, s[16:17]
	s_and_saveexec_b64 s[16:17], s[4:5]
	s_cbranch_execnz .LBB202_59
.LBB202_23:
	s_or_b64 exec, exec, s[16:17]
	s_and_saveexec_b64 s[16:17], s[6:7]
	s_cbranch_execnz .LBB202_60
.LBB202_24:
	s_or_b64 exec, exec, s[16:17]
	s_and_saveexec_b64 s[16:17], s[8:9]
	s_cbranch_execnz .LBB202_61
.LBB202_25:
	s_or_b64 exec, exec, s[16:17]
	s_and_saveexec_b64 s[16:17], s[10:11]
	s_cbranch_execnz .LBB202_62
.LBB202_26:
	s_or_b64 exec, exec, s[16:17]
	s_and_saveexec_b64 s[16:17], s[12:13]
	s_cbranch_execnz .LBB202_63
.LBB202_27:
	s_or_b64 exec, exec, s[16:17]
	s_xor_b64 s[16:17], s[34:35], -1
	s_and_saveexec_b64 s[18:19], s[14:15]
	s_cbranch_execz .LBB202_29
.LBB202_28:
	v_mul_lo_u32 v16, v18, s48
	v_mov_b32_e32 v17, 0
	v_lshlrev_b64 v[16:17], 3, v[16:17]
	v_mov_b32_e32 v18, s47
	v_add_co_u32_e32 v16, vcc, s45, v16
	v_addc_co_u32_e32 v17, vcc, v18, v17, vcc
	global_load_dwordx2 v[16:17], v[16:17], off
.LBB202_29:
	s_or_b64 exec, exec, s[18:19]
	v_lshlrev_b32_e32 v79, 3, v32
	v_lshlrev_b32_e32 v37, 3, v31
	;; [unrolled: 1-line block ×9, first 2 shown]
	s_waitcnt vmcnt(0)
	ds_write_b64 v79, v[2:3]
	ds_write_b64 v37, v[4:5] offset:1024
	ds_write_b64 v80, v[6:7] offset:2048
	;; [unrolled: 1-line block ×7, first 2 shown]
	s_waitcnt lgkmcnt(0)
	s_barrier
	ds_read2_b64 v[14:17], v86 offset1:1
	ds_read2_b64 v[10:13], v86 offset0:2 offset1:3
	ds_read2_b64 v[6:9], v86 offset0:4 offset1:5
	;; [unrolled: 1-line block ×3, first 2 shown]
	s_and_b64 vcc, exec, s[16:17]
	v_bfe_u32 v91, v0, 10, 10
	v_bfe_u32 v92, v0, 20, 10
	v_mbcnt_lo_u32_b32 v93, -1, 0
	v_lshlrev_b32_e32 v88, 2, v38
	v_lshlrev_b32_e32 v89, 4, v38
	v_cmp_gt_u32_e64 s[16:17], 2, v38
	v_cmp_lt_u32_e64 s[18:19], 63, v38
	v_cmp_eq_u32_e64 s[20:21], 0, v38
	v_lshrrev_b32_e32 v90, 4, v38
	s_waitcnt lgkmcnt(0)
	s_barrier
	s_cbranch_vccz .LBB202_64
; %bb.30:
	v_bfrev_b32_e32 v94, 1
	v_cmp_lt_i32_e32 vcc, -1, v46
	v_mbcnt_hi_u32_b32 v48, -1, v93
	v_and_b32_e32 v49, 0x3c0, v38
	v_cndmask_b32_e32 v18, -1, v94, vcc
	v_cmp_lt_i32_e32 vcc, -1, v47
	v_add_u32_e32 v0, v48, v49
	v_cndmask_b32_e32 v19, -1, v94, vcc
	v_lshlrev_b32_e32 v1, 5, v0
	v_xor_b32_e32 v19, v19, v47
	v_xor_b32_e32 v18, v18, v46
	v_cmp_lt_i32_e32 vcc, -1, v44
	ds_write2_b32 v1, v18, v19 offset1:1
	v_cndmask_b32_e32 v18, -1, v94, vcc
	v_cmp_lt_i32_e32 vcc, -1, v45
	v_cndmask_b32_e32 v19, -1, v94, vcc
	v_xor_b32_e32 v19, v19, v45
	v_xor_b32_e32 v18, v18, v44
	v_cmp_lt_i32_e32 vcc, -1, v42
	ds_write2_b32 v1, v18, v19 offset0:2 offset1:3
	v_cndmask_b32_e32 v18, -1, v94, vcc
	v_cmp_lt_i32_e32 vcc, -1, v43
	v_cndmask_b32_e32 v19, -1, v94, vcc
	v_xor_b32_e32 v19, v19, v43
	v_xor_b32_e32 v18, v18, v42
	v_cmp_lt_i32_e32 vcc, -1, v40
	ds_write2_b32 v1, v18, v19 offset0:4 offset1:5
	v_cndmask_b32_e32 v18, -1, v94, vcc
	v_cmp_lt_i32_e32 vcc, -1, v41
	v_cndmask_b32_e32 v19, -1, v94, vcc
	v_xor_b32_e32 v19, v19, v41
	v_xor_b32_e32 v18, v18, v40
	v_and_b32_e32 v50, 0x1e00, v87
	ds_write2_b32 v1, v18, v19 offset0:6 offset1:7
	v_or_b32_e32 v1, v48, v50
	v_lshlrev_b32_e32 v18, 2, v1
	v_lshlrev_b32_e32 v0, 6, v0
	; wave barrier
	ds_read2st64_b32 v[64:65], v18 offset1:1
	ds_read2st64_b32 v[66:67], v18 offset0:2 offset1:3
	ds_read2st64_b32 v[68:69], v18 offset0:4 offset1:5
	;; [unrolled: 1-line block ×3, first 2 shown]
	s_waitcnt lgkmcnt(0)
	s_barrier
	ds_write2_b64 v0, v[14:15], v[16:17] offset1:1
	ds_write2_b64 v0, v[10:11], v[12:13] offset0:2 offset1:3
	ds_write2_b64 v0, v[6:7], v[8:9] offset0:4 offset1:5
	;; [unrolled: 1-line block ×3, first 2 shown]
	v_lshlrev_b32_e32 v0, 3, v1
	; wave barrier
	ds_read2st64_b64 v[18:21], v0 offset1:1
	ds_read2st64_b64 v[22:25], v0 offset0:2 offset1:3
	ds_read2st64_b64 v[26:29], v0 offset0:4 offset1:5
	ds_read2st64_b64 v[30:33], v0 offset0:6 offset1:7
	s_waitcnt lgkmcnt(0)
	s_barrier
	s_load_dword s24, s[50:51], 0xc
	s_getpc_b64 s[22:23]
	s_add_u32 s22, s22, _ZN7rocprim17ROCPRIM_400000_NS16block_radix_sortIfLj128ELj8ElLj1ELj1ELj0ELNS0_26block_radix_rank_algorithmE1ELNS0_18block_padding_hintE2ELNS0_4arch9wavefront6targetE1EE19radix_bits_per_passE@rel32@lo+4
	s_addc_u32 s23, s23, _ZN7rocprim17ROCPRIM_400000_NS16block_radix_sortIfLj128ELj8ElLj1ELj1ELj0ELNS0_26block_radix_rank_algorithmE1ELNS0_18block_padding_hintE2ELNS0_4arch9wavefront6targetE1EE19radix_bits_per_passE@rel32@hi+12
	s_load_dword s49, s[22:23], 0x0
	v_and_b32_e32 v98, 60, v90
	s_mov_b32 s52, 0
	s_waitcnt lgkmcnt(0)
	s_lshr_b32 s22, s24, 16
	s_and_b32 s23, s24, 0xffff
	v_mad_u32_u24 v0, v92, s22, v91
	v_mad_u64_u32 v[0:1], s[22:23], v0, s23, v[38:39]
	v_lshrrev_b32_e32 v96, 6, v0
	v_and_b32_e32 v0, 15, v48
	v_cmp_eq_u32_e64 s[22:23], 0, v0
	v_cmp_lt_u32_e64 s[24:25], 1, v0
	v_cmp_lt_u32_e64 s[26:27], 3, v0
	;; [unrolled: 1-line block ×3, first 2 shown]
	v_and_b32_e32 v0, 16, v48
	v_cmp_eq_u32_e64 s[30:31], 0, v0
	v_min_u32_e32 v0, 64, v49
	v_or_b32_e32 v0, 63, v0
	v_cmp_eq_u32_e64 s[36:37], v0, v38
	v_add_u32_e32 v0, -1, v48
	v_and_b32_e32 v1, 64, v48
	v_cmp_lt_i32_e32 vcc, v0, v1
	v_cndmask_b32_e32 v0, v0, v48, vcc
	v_lshlrev_b32_e32 v97, 2, v0
	v_and_b32_e32 v0, 1, v48
	v_cmp_eq_u32_e64 s[40:41], 0, v0
	v_and_or_b32 v0, v48, 63, v50
	v_or_b32_e32 v95, 8, v89
	v_cmp_lt_u32_e64 s[34:35], 31, v48
	v_cmp_eq_u32_e64 s[38:39], 0, v48
	v_add_u32_e32 v99, -4, v98
	v_lshlrev_b32_e32 v100, 2, v0
	v_lshlrev_b32_e32 v101, 3, v0
	s_mov_b32 s54, 32
	s_brev_b32 s53, -2
	v_mov_b32_e32 v62, 0
	s_branch .LBB202_32
.LBB202_31:                             ;   in Loop: Header=BB202_32 Depth=1
	v_lshlrev_b32_e32 v18, 2, v63
	s_barrier
	ds_write_b32 v18, v109
	v_lshlrev_b32_e32 v18, 2, v111
	ds_write_b32 v18, v108
	v_lshlrev_b32_e32 v18, 2, v112
	;; [unrolled: 2-line block ×8, first 2 shown]
	s_waitcnt lgkmcnt(0)
	s_barrier
	ds_read2st64_b32 v[64:65], v100 offset1:1
	ds_read2st64_b32 v[66:67], v100 offset0:2 offset1:3
	ds_read2st64_b32 v[68:69], v100 offset0:4 offset1:5
	;; [unrolled: 1-line block ×3, first 2 shown]
	s_waitcnt lgkmcnt(0)
	s_barrier
	ds_write_b64 v18, v[60:61]
	v_lshlrev_b32_e32 v18, 3, v111
	ds_write_b64 v18, v[58:59]
	v_lshlrev_b32_e32 v18, 3, v112
	;; [unrolled: 2-line block ×7, first 2 shown]
	ds_write_b64 v18, v[0:1]
	s_waitcnt lgkmcnt(0)
	s_barrier
	ds_read2st64_b64 v[18:21], v101 offset1:1
	ds_read2st64_b64 v[22:25], v101 offset0:2 offset1:3
	ds_read2st64_b64 v[26:29], v101 offset0:4 offset1:5
	;; [unrolled: 1-line block ×3, first 2 shown]
	s_add_i32 s52, s52, 8
	s_add_i32 s54, s54, -8
	s_waitcnt lgkmcnt(0)
	s_barrier
	s_cbranch_execz .LBB202_56
.LBB202_32:                             ; =>This Inner Loop Header: Depth=1
	v_mov_b32_e32 v109, v64
	s_min_u32 s42, s49, s54
	v_cmp_ne_u32_e32 vcc, s53, v109
	v_pk_mov_b32 v[60:61], v[18:19], v[18:19] op_sel:[0,1]
	s_lshl_b32 s42, -1, s42
	v_cndmask_b32_e32 v18, v94, v109, vcc
	s_not_b32 s55, s42
	v_lshrrev_b32_e32 v18, s52, v18
	v_and_b32_e32 v18, s55, v18
	v_lshl_add_u32 v19, v18, 1, v96
	v_pk_mov_b32 v[56:57], v[22:23], v[22:23] op_sel:[0,1]
	v_lshl_add_u32 v22, v19, 2, 8
	v_and_b32_e32 v19, 1, v18
	v_pk_mov_b32 v[58:59], v[20:21], v[20:21] op_sel:[0,1]
	v_add_co_u32_e32 v20, vcc, -1, v19
	v_addc_co_u32_e64 v21, s[42:43], 0, -1, vcc
	v_cmp_ne_u32_e32 vcc, 0, v19
	v_lshlrev_b32_e32 v63, 30, v18
	v_xor_b32_e32 v19, vcc_hi, v21
	v_not_b32_e32 v21, v63
	v_xor_b32_e32 v20, vcc_lo, v20
	v_cmp_gt_i64_e32 vcc, 0, v[62:63]
	v_ashrrev_i32_e32 v21, 31, v21
	v_and_b32_e32 v20, exec_lo, v20
	v_xor_b32_e32 v23, vcc_hi, v21
	v_xor_b32_e32 v21, vcc_lo, v21
	v_lshlrev_b32_e32 v63, 29, v18
	v_and_b32_e32 v20, v20, v21
	v_not_b32_e32 v21, v63
	v_and_b32_e32 v19, exec_hi, v19
	v_cmp_gt_i64_e32 vcc, 0, v[62:63]
	v_ashrrev_i32_e32 v21, 31, v21
	v_and_b32_e32 v19, v19, v23
	v_xor_b32_e32 v23, vcc_hi, v21
	v_xor_b32_e32 v21, vcc_lo, v21
	v_lshlrev_b32_e32 v63, 28, v18
	v_and_b32_e32 v20, v20, v21
	v_not_b32_e32 v21, v63
	v_cmp_gt_i64_e32 vcc, 0, v[62:63]
	v_ashrrev_i32_e32 v21, 31, v21
	v_and_b32_e32 v19, v19, v23
	v_xor_b32_e32 v23, vcc_hi, v21
	v_xor_b32_e32 v21, vcc_lo, v21
	v_lshlrev_b32_e32 v63, 27, v18
	v_and_b32_e32 v20, v20, v21
	v_not_b32_e32 v21, v63
	;; [unrolled: 8-line block ×3, first 2 shown]
	v_cmp_gt_i64_e32 vcc, 0, v[62:63]
	v_ashrrev_i32_e32 v21, 31, v21
	v_and_b32_e32 v19, v19, v23
	v_xor_b32_e32 v23, vcc_hi, v21
	v_xor_b32_e32 v21, vcc_lo, v21
	v_lshlrev_b32_e32 v63, 25, v18
	v_and_b32_e32 v20, v20, v21
	v_cmp_gt_i64_e32 vcc, 0, v[62:63]
	v_not_b32_e32 v21, v63
	v_lshlrev_b32_e32 v63, 24, v18
	v_ashrrev_i32_e32 v21, 31, v21
	v_not_b32_e32 v18, v63
	v_and_b32_e32 v19, v19, v23
	v_xor_b32_e32 v23, vcc_hi, v21
	v_xor_b32_e32 v21, vcc_lo, v21
	v_cmp_gt_i64_e32 vcc, 0, v[62:63]
	v_ashrrev_i32_e32 v18, 31, v18
	v_and_b32_e32 v20, v20, v21
	v_xor_b32_e32 v21, vcc_hi, v18
	v_xor_b32_e32 v18, vcc_lo, v18
	v_and_b32_e32 v19, v19, v23
	v_and_b32_e32 v18, v20, v18
	;; [unrolled: 1-line block ×3, first 2 shown]
	v_mbcnt_lo_u32_b32 v20, v18, 0
	v_mbcnt_hi_u32_b32 v23, v19, v20
	v_cmp_eq_u32_e32 vcc, 0, v23
	v_cmp_ne_u64_e64 s[42:43], 0, v[18:19]
	v_mov_b32_e32 v102, v71
	v_mov_b32_e32 v103, v70
	;; [unrolled: 1-line block ×7, first 2 shown]
	v_pk_mov_b32 v[0:1], v[32:33], v[32:33] op_sel:[0,1]
	v_pk_mov_b32 v[48:49], v[30:31], v[30:31] op_sel:[0,1]
	;; [unrolled: 1-line block ×5, first 2 shown]
	s_and_b64 s[56:57], s[42:43], vcc
	ds_write2_b32 v89, v62, v62 offset0:2 offset1:3
	ds_write2_b32 v95, v62, v62 offset0:2 offset1:3
	s_waitcnt lgkmcnt(0)
	s_barrier
	s_waitcnt lgkmcnt(0)
	; wave barrier
	s_and_saveexec_b64 s[42:43], s[56:57]
	s_cbranch_execz .LBB202_34
; %bb.33:                               ;   in Loop: Header=BB202_32 Depth=1
	v_bcnt_u32_b32 v18, v18, 0
	v_bcnt_u32_b32 v18, v19, v18
	ds_write_b32 v22, v18
.LBB202_34:                             ;   in Loop: Header=BB202_32 Depth=1
	s_or_b64 exec, exec, s[42:43]
	v_cmp_ne_u32_e32 vcc, s53, v108
	v_cndmask_b32_e32 v18, v94, v108, vcc
	v_lshrrev_b32_e32 v18, s52, v18
	v_and_b32_e32 v18, s55, v18
	v_lshlrev_b32_e32 v19, 1, v18
	v_add_lshl_u32 v19, v19, v96, 2
	; wave barrier
	v_add_u32_e32 v25, 8, v19
	ds_read_b32 v24, v19 offset:8
	v_and_b32_e32 v19, 1, v18
	v_add_co_u32_e32 v20, vcc, -1, v19
	v_addc_co_u32_e64 v21, s[42:43], 0, -1, vcc
	v_cmp_ne_u32_e32 vcc, 0, v19
	v_lshlrev_b32_e32 v63, 30, v18
	v_xor_b32_e32 v19, vcc_hi, v21
	v_not_b32_e32 v21, v63
	v_xor_b32_e32 v20, vcc_lo, v20
	v_cmp_gt_i64_e32 vcc, 0, v[62:63]
	v_ashrrev_i32_e32 v21, 31, v21
	v_and_b32_e32 v20, exec_lo, v20
	v_xor_b32_e32 v26, vcc_hi, v21
	v_xor_b32_e32 v21, vcc_lo, v21
	v_lshlrev_b32_e32 v63, 29, v18
	v_and_b32_e32 v20, v20, v21
	v_not_b32_e32 v21, v63
	v_and_b32_e32 v19, exec_hi, v19
	v_cmp_gt_i64_e32 vcc, 0, v[62:63]
	v_ashrrev_i32_e32 v21, 31, v21
	v_and_b32_e32 v19, v19, v26
	v_xor_b32_e32 v26, vcc_hi, v21
	v_xor_b32_e32 v21, vcc_lo, v21
	v_lshlrev_b32_e32 v63, 28, v18
	v_and_b32_e32 v20, v20, v21
	v_not_b32_e32 v21, v63
	v_cmp_gt_i64_e32 vcc, 0, v[62:63]
	v_ashrrev_i32_e32 v21, 31, v21
	v_and_b32_e32 v19, v19, v26
	v_xor_b32_e32 v26, vcc_hi, v21
	v_xor_b32_e32 v21, vcc_lo, v21
	v_lshlrev_b32_e32 v63, 27, v18
	v_and_b32_e32 v20, v20, v21
	v_not_b32_e32 v21, v63
	;; [unrolled: 8-line block ×3, first 2 shown]
	v_cmp_gt_i64_e32 vcc, 0, v[62:63]
	v_ashrrev_i32_e32 v21, 31, v21
	v_and_b32_e32 v19, v19, v26
	v_xor_b32_e32 v26, vcc_hi, v21
	v_xor_b32_e32 v21, vcc_lo, v21
	v_lshlrev_b32_e32 v63, 25, v18
	v_and_b32_e32 v20, v20, v21
	v_cmp_gt_i64_e32 vcc, 0, v[62:63]
	v_not_b32_e32 v21, v63
	v_lshlrev_b32_e32 v63, 24, v18
	v_ashrrev_i32_e32 v21, 31, v21
	v_not_b32_e32 v18, v63
	v_and_b32_e32 v19, v19, v26
	v_xor_b32_e32 v26, vcc_hi, v21
	v_xor_b32_e32 v21, vcc_lo, v21
	v_cmp_gt_i64_e32 vcc, 0, v[62:63]
	v_ashrrev_i32_e32 v18, 31, v18
	v_and_b32_e32 v20, v20, v21
	v_xor_b32_e32 v21, vcc_hi, v18
	v_xor_b32_e32 v18, vcc_lo, v18
	v_and_b32_e32 v19, v19, v26
	v_and_b32_e32 v18, v20, v18
	v_and_b32_e32 v19, v19, v21
	v_mbcnt_lo_u32_b32 v20, v18, 0
	v_mbcnt_hi_u32_b32 v26, v19, v20
	v_cmp_eq_u32_e32 vcc, 0, v26
	v_cmp_ne_u64_e64 s[42:43], 0, v[18:19]
	s_and_b64 s[56:57], s[42:43], vcc
	; wave barrier
	s_and_saveexec_b64 s[42:43], s[56:57]
	s_cbranch_execz .LBB202_36
; %bb.35:                               ;   in Loop: Header=BB202_32 Depth=1
	v_bcnt_u32_b32 v18, v18, 0
	v_bcnt_u32_b32 v18, v19, v18
	s_waitcnt lgkmcnt(0)
	v_add_u32_e32 v18, v24, v18
	ds_write_b32 v25, v18
.LBB202_36:                             ;   in Loop: Header=BB202_32 Depth=1
	s_or_b64 exec, exec, s[42:43]
	v_cmp_ne_u32_e32 vcc, s53, v107
	v_cndmask_b32_e32 v18, v94, v107, vcc
	v_lshrrev_b32_e32 v18, s52, v18
	v_and_b32_e32 v18, s55, v18
	v_lshlrev_b32_e32 v19, 1, v18
	v_add_lshl_u32 v19, v19, v96, 2
	; wave barrier
	v_add_u32_e32 v28, 8, v19
	ds_read_b32 v27, v19 offset:8
	v_and_b32_e32 v19, 1, v18
	v_add_co_u32_e32 v20, vcc, -1, v19
	v_addc_co_u32_e64 v21, s[42:43], 0, -1, vcc
	v_cmp_ne_u32_e32 vcc, 0, v19
	v_lshlrev_b32_e32 v63, 30, v18
	v_xor_b32_e32 v19, vcc_hi, v21
	v_not_b32_e32 v21, v63
	v_xor_b32_e32 v20, vcc_lo, v20
	v_cmp_gt_i64_e32 vcc, 0, v[62:63]
	v_ashrrev_i32_e32 v21, 31, v21
	v_and_b32_e32 v20, exec_lo, v20
	v_xor_b32_e32 v29, vcc_hi, v21
	v_xor_b32_e32 v21, vcc_lo, v21
	v_lshlrev_b32_e32 v63, 29, v18
	v_and_b32_e32 v20, v20, v21
	v_not_b32_e32 v21, v63
	v_and_b32_e32 v19, exec_hi, v19
	v_cmp_gt_i64_e32 vcc, 0, v[62:63]
	v_ashrrev_i32_e32 v21, 31, v21
	v_and_b32_e32 v19, v19, v29
	v_xor_b32_e32 v29, vcc_hi, v21
	v_xor_b32_e32 v21, vcc_lo, v21
	v_lshlrev_b32_e32 v63, 28, v18
	v_and_b32_e32 v20, v20, v21
	v_not_b32_e32 v21, v63
	v_cmp_gt_i64_e32 vcc, 0, v[62:63]
	v_ashrrev_i32_e32 v21, 31, v21
	v_and_b32_e32 v19, v19, v29
	v_xor_b32_e32 v29, vcc_hi, v21
	v_xor_b32_e32 v21, vcc_lo, v21
	v_lshlrev_b32_e32 v63, 27, v18
	v_and_b32_e32 v20, v20, v21
	v_not_b32_e32 v21, v63
	v_cmp_gt_i64_e32 vcc, 0, v[62:63]
	v_ashrrev_i32_e32 v21, 31, v21
	v_and_b32_e32 v19, v19, v29
	v_xor_b32_e32 v29, vcc_hi, v21
	v_xor_b32_e32 v21, vcc_lo, v21
	v_lshlrev_b32_e32 v63, 26, v18
	v_and_b32_e32 v20, v20, v21
	v_not_b32_e32 v21, v63
	v_cmp_gt_i64_e32 vcc, 0, v[62:63]
	v_ashrrev_i32_e32 v21, 31, v21
	v_and_b32_e32 v19, v19, v29
	v_xor_b32_e32 v29, vcc_hi, v21
	v_xor_b32_e32 v21, vcc_lo, v21
	v_lshlrev_b32_e32 v63, 25, v18
	v_and_b32_e32 v20, v20, v21
	v_cmp_gt_i64_e32 vcc, 0, v[62:63]
	v_not_b32_e32 v21, v63
	v_lshlrev_b32_e32 v63, 24, v18
	v_ashrrev_i32_e32 v21, 31, v21
	v_not_b32_e32 v18, v63
	v_and_b32_e32 v19, v19, v29
	v_xor_b32_e32 v29, vcc_hi, v21
	v_xor_b32_e32 v21, vcc_lo, v21
	v_cmp_gt_i64_e32 vcc, 0, v[62:63]
	v_ashrrev_i32_e32 v18, 31, v18
	v_and_b32_e32 v20, v20, v21
	v_xor_b32_e32 v21, vcc_hi, v18
	v_xor_b32_e32 v18, vcc_lo, v18
	v_and_b32_e32 v19, v19, v29
	v_and_b32_e32 v18, v20, v18
	;; [unrolled: 1-line block ×3, first 2 shown]
	v_mbcnt_lo_u32_b32 v20, v18, 0
	v_mbcnt_hi_u32_b32 v29, v19, v20
	v_cmp_eq_u32_e32 vcc, 0, v29
	v_cmp_ne_u64_e64 s[42:43], 0, v[18:19]
	s_and_b64 s[56:57], s[42:43], vcc
	; wave barrier
	s_and_saveexec_b64 s[42:43], s[56:57]
	s_cbranch_execz .LBB202_38
; %bb.37:                               ;   in Loop: Header=BB202_32 Depth=1
	v_bcnt_u32_b32 v18, v18, 0
	v_bcnt_u32_b32 v18, v19, v18
	s_waitcnt lgkmcnt(0)
	v_add_u32_e32 v18, v27, v18
	ds_write_b32 v28, v18
.LBB202_38:                             ;   in Loop: Header=BB202_32 Depth=1
	s_or_b64 exec, exec, s[42:43]
	v_cmp_ne_u32_e32 vcc, s53, v106
	v_cndmask_b32_e32 v18, v94, v106, vcc
	v_lshrrev_b32_e32 v18, s52, v18
	v_and_b32_e32 v18, s55, v18
	v_lshlrev_b32_e32 v19, 1, v18
	v_add_lshl_u32 v19, v19, v96, 2
	; wave barrier
	v_add_u32_e32 v31, 8, v19
	ds_read_b32 v30, v19 offset:8
	v_and_b32_e32 v19, 1, v18
	v_add_co_u32_e32 v20, vcc, -1, v19
	v_addc_co_u32_e64 v21, s[42:43], 0, -1, vcc
	v_cmp_ne_u32_e32 vcc, 0, v19
	v_lshlrev_b32_e32 v63, 30, v18
	v_xor_b32_e32 v19, vcc_hi, v21
	v_not_b32_e32 v21, v63
	v_xor_b32_e32 v20, vcc_lo, v20
	v_cmp_gt_i64_e32 vcc, 0, v[62:63]
	v_ashrrev_i32_e32 v21, 31, v21
	v_and_b32_e32 v20, exec_lo, v20
	v_xor_b32_e32 v32, vcc_hi, v21
	v_xor_b32_e32 v21, vcc_lo, v21
	v_lshlrev_b32_e32 v63, 29, v18
	v_and_b32_e32 v20, v20, v21
	v_not_b32_e32 v21, v63
	v_and_b32_e32 v19, exec_hi, v19
	v_cmp_gt_i64_e32 vcc, 0, v[62:63]
	v_ashrrev_i32_e32 v21, 31, v21
	v_and_b32_e32 v19, v19, v32
	v_xor_b32_e32 v32, vcc_hi, v21
	v_xor_b32_e32 v21, vcc_lo, v21
	v_lshlrev_b32_e32 v63, 28, v18
	v_and_b32_e32 v20, v20, v21
	v_not_b32_e32 v21, v63
	v_cmp_gt_i64_e32 vcc, 0, v[62:63]
	v_ashrrev_i32_e32 v21, 31, v21
	v_and_b32_e32 v19, v19, v32
	v_xor_b32_e32 v32, vcc_hi, v21
	v_xor_b32_e32 v21, vcc_lo, v21
	v_lshlrev_b32_e32 v63, 27, v18
	v_and_b32_e32 v20, v20, v21
	v_not_b32_e32 v21, v63
	;; [unrolled: 8-line block ×3, first 2 shown]
	v_cmp_gt_i64_e32 vcc, 0, v[62:63]
	v_ashrrev_i32_e32 v21, 31, v21
	v_and_b32_e32 v19, v19, v32
	v_xor_b32_e32 v32, vcc_hi, v21
	v_xor_b32_e32 v21, vcc_lo, v21
	v_lshlrev_b32_e32 v63, 25, v18
	v_and_b32_e32 v20, v20, v21
	v_cmp_gt_i64_e32 vcc, 0, v[62:63]
	v_not_b32_e32 v21, v63
	v_lshlrev_b32_e32 v63, 24, v18
	v_ashrrev_i32_e32 v21, 31, v21
	v_not_b32_e32 v18, v63
	v_and_b32_e32 v19, v19, v32
	v_xor_b32_e32 v32, vcc_hi, v21
	v_xor_b32_e32 v21, vcc_lo, v21
	v_cmp_gt_i64_e32 vcc, 0, v[62:63]
	v_ashrrev_i32_e32 v18, 31, v18
	v_and_b32_e32 v20, v20, v21
	v_xor_b32_e32 v21, vcc_hi, v18
	v_xor_b32_e32 v18, vcc_lo, v18
	v_and_b32_e32 v19, v19, v32
	v_and_b32_e32 v18, v20, v18
	;; [unrolled: 1-line block ×3, first 2 shown]
	v_mbcnt_lo_u32_b32 v20, v18, 0
	v_mbcnt_hi_u32_b32 v32, v19, v20
	v_cmp_eq_u32_e32 vcc, 0, v32
	v_cmp_ne_u64_e64 s[42:43], 0, v[18:19]
	s_and_b64 s[56:57], s[42:43], vcc
	; wave barrier
	s_and_saveexec_b64 s[42:43], s[56:57]
	s_cbranch_execz .LBB202_40
; %bb.39:                               ;   in Loop: Header=BB202_32 Depth=1
	v_bcnt_u32_b32 v18, v18, 0
	v_bcnt_u32_b32 v18, v19, v18
	s_waitcnt lgkmcnt(0)
	v_add_u32_e32 v18, v30, v18
	ds_write_b32 v31, v18
.LBB202_40:                             ;   in Loop: Header=BB202_32 Depth=1
	s_or_b64 exec, exec, s[42:43]
	v_cmp_ne_u32_e32 vcc, s53, v105
	v_cndmask_b32_e32 v18, v94, v105, vcc
	v_lshrrev_b32_e32 v18, s52, v18
	v_and_b32_e32 v18, s55, v18
	v_lshlrev_b32_e32 v19, 1, v18
	v_add_lshl_u32 v19, v19, v96, 2
	; wave barrier
	v_add_u32_e32 v64, 8, v19
	ds_read_b32 v33, v19 offset:8
	v_and_b32_e32 v19, 1, v18
	v_add_co_u32_e32 v20, vcc, -1, v19
	v_addc_co_u32_e64 v21, s[42:43], 0, -1, vcc
	v_cmp_ne_u32_e32 vcc, 0, v19
	v_lshlrev_b32_e32 v63, 30, v18
	v_xor_b32_e32 v19, vcc_hi, v21
	v_not_b32_e32 v21, v63
	v_xor_b32_e32 v20, vcc_lo, v20
	v_cmp_gt_i64_e32 vcc, 0, v[62:63]
	v_ashrrev_i32_e32 v21, 31, v21
	v_and_b32_e32 v19, exec_hi, v19
	v_xor_b32_e32 v63, vcc_hi, v21
	v_and_b32_e32 v20, exec_lo, v20
	v_xor_b32_e32 v21, vcc_lo, v21
	v_and_b32_e32 v19, v19, v63
	v_lshlrev_b32_e32 v63, 29, v18
	v_and_b32_e32 v20, v20, v21
	v_not_b32_e32 v21, v63
	v_cmp_gt_i64_e32 vcc, 0, v[62:63]
	v_ashrrev_i32_e32 v21, 31, v21
	v_xor_b32_e32 v63, vcc_hi, v21
	v_xor_b32_e32 v21, vcc_lo, v21
	v_and_b32_e32 v19, v19, v63
	v_lshlrev_b32_e32 v63, 28, v18
	v_and_b32_e32 v20, v20, v21
	v_not_b32_e32 v21, v63
	v_cmp_gt_i64_e32 vcc, 0, v[62:63]
	v_ashrrev_i32_e32 v21, 31, v21
	v_xor_b32_e32 v63, vcc_hi, v21
	;; [unrolled: 8-line block ×5, first 2 shown]
	v_and_b32_e32 v19, v19, v63
	v_lshlrev_b32_e32 v63, 24, v18
	v_not_b32_e32 v18, v63
	v_xor_b32_e32 v21, vcc_lo, v21
	v_cmp_gt_i64_e32 vcc, 0, v[62:63]
	v_ashrrev_i32_e32 v18, 31, v18
	v_and_b32_e32 v20, v20, v21
	v_xor_b32_e32 v21, vcc_hi, v18
	v_xor_b32_e32 v18, vcc_lo, v18
	v_and_b32_e32 v18, v20, v18
	v_and_b32_e32 v19, v19, v21
	v_mbcnt_lo_u32_b32 v20, v18, 0
	v_mbcnt_hi_u32_b32 v65, v19, v20
	v_cmp_eq_u32_e32 vcc, 0, v65
	v_cmp_ne_u64_e64 s[42:43], 0, v[18:19]
	s_and_b64 s[56:57], s[42:43], vcc
	; wave barrier
	s_and_saveexec_b64 s[42:43], s[56:57]
	s_cbranch_execz .LBB202_42
; %bb.41:                               ;   in Loop: Header=BB202_32 Depth=1
	v_bcnt_u32_b32 v18, v18, 0
	v_bcnt_u32_b32 v18, v19, v18
	s_waitcnt lgkmcnt(0)
	v_add_u32_e32 v18, v33, v18
	ds_write_b32 v64, v18
.LBB202_42:                             ;   in Loop: Header=BB202_32 Depth=1
	s_or_b64 exec, exec, s[42:43]
	v_cmp_ne_u32_e32 vcc, s53, v104
	v_cndmask_b32_e32 v18, v94, v104, vcc
	v_lshrrev_b32_e32 v18, s52, v18
	v_and_b32_e32 v18, s55, v18
	v_lshlrev_b32_e32 v19, 1, v18
	v_add_lshl_u32 v19, v19, v96, 2
	; wave barrier
	v_add_u32_e32 v67, 8, v19
	ds_read_b32 v66, v19 offset:8
	v_and_b32_e32 v19, 1, v18
	v_add_co_u32_e32 v20, vcc, -1, v19
	v_addc_co_u32_e64 v21, s[42:43], 0, -1, vcc
	v_cmp_ne_u32_e32 vcc, 0, v19
	v_lshlrev_b32_e32 v63, 30, v18
	v_xor_b32_e32 v19, vcc_hi, v21
	v_not_b32_e32 v21, v63
	v_xor_b32_e32 v20, vcc_lo, v20
	v_cmp_gt_i64_e32 vcc, 0, v[62:63]
	v_ashrrev_i32_e32 v21, 31, v21
	v_and_b32_e32 v19, exec_hi, v19
	v_xor_b32_e32 v63, vcc_hi, v21
	v_and_b32_e32 v20, exec_lo, v20
	v_xor_b32_e32 v21, vcc_lo, v21
	v_and_b32_e32 v19, v19, v63
	v_lshlrev_b32_e32 v63, 29, v18
	v_and_b32_e32 v20, v20, v21
	v_not_b32_e32 v21, v63
	v_cmp_gt_i64_e32 vcc, 0, v[62:63]
	v_ashrrev_i32_e32 v21, 31, v21
	v_xor_b32_e32 v63, vcc_hi, v21
	v_xor_b32_e32 v21, vcc_lo, v21
	v_and_b32_e32 v19, v19, v63
	v_lshlrev_b32_e32 v63, 28, v18
	v_and_b32_e32 v20, v20, v21
	v_not_b32_e32 v21, v63
	v_cmp_gt_i64_e32 vcc, 0, v[62:63]
	v_ashrrev_i32_e32 v21, 31, v21
	v_xor_b32_e32 v63, vcc_hi, v21
	v_xor_b32_e32 v21, vcc_lo, v21
	v_and_b32_e32 v19, v19, v63
	v_lshlrev_b32_e32 v63, 27, v18
	v_and_b32_e32 v20, v20, v21
	v_not_b32_e32 v21, v63
	v_cmp_gt_i64_e32 vcc, 0, v[62:63]
	v_ashrrev_i32_e32 v21, 31, v21
	v_xor_b32_e32 v63, vcc_hi, v21
	v_xor_b32_e32 v21, vcc_lo, v21
	v_and_b32_e32 v19, v19, v63
	v_lshlrev_b32_e32 v63, 26, v18
	v_and_b32_e32 v20, v20, v21
	v_not_b32_e32 v21, v63
	v_cmp_gt_i64_e32 vcc, 0, v[62:63]
	v_ashrrev_i32_e32 v21, 31, v21
	v_xor_b32_e32 v63, vcc_hi, v21
	v_xor_b32_e32 v21, vcc_lo, v21
	v_and_b32_e32 v19, v19, v63
	v_lshlrev_b32_e32 v63, 25, v18
	v_and_b32_e32 v20, v20, v21
	v_not_b32_e32 v21, v63
	v_cmp_gt_i64_e32 vcc, 0, v[62:63]
	v_ashrrev_i32_e32 v21, 31, v21
	v_xor_b32_e32 v63, vcc_hi, v21
	v_and_b32_e32 v19, v19, v63
	v_lshlrev_b32_e32 v63, 24, v18
	v_not_b32_e32 v18, v63
	v_xor_b32_e32 v21, vcc_lo, v21
	v_cmp_gt_i64_e32 vcc, 0, v[62:63]
	v_ashrrev_i32_e32 v18, 31, v18
	v_and_b32_e32 v20, v20, v21
	v_xor_b32_e32 v21, vcc_hi, v18
	v_xor_b32_e32 v18, vcc_lo, v18
	v_and_b32_e32 v18, v20, v18
	v_and_b32_e32 v19, v19, v21
	v_mbcnt_lo_u32_b32 v20, v18, 0
	v_mbcnt_hi_u32_b32 v68, v19, v20
	v_cmp_eq_u32_e32 vcc, 0, v68
	v_cmp_ne_u64_e64 s[42:43], 0, v[18:19]
	s_and_b64 s[56:57], s[42:43], vcc
	; wave barrier
	s_and_saveexec_b64 s[42:43], s[56:57]
	s_cbranch_execz .LBB202_44
; %bb.43:                               ;   in Loop: Header=BB202_32 Depth=1
	v_bcnt_u32_b32 v18, v18, 0
	v_bcnt_u32_b32 v18, v19, v18
	s_waitcnt lgkmcnt(0)
	v_add_u32_e32 v18, v66, v18
	ds_write_b32 v67, v18
.LBB202_44:                             ;   in Loop: Header=BB202_32 Depth=1
	s_or_b64 exec, exec, s[42:43]
	v_cmp_ne_u32_e32 vcc, s53, v103
	v_cndmask_b32_e32 v18, v94, v103, vcc
	v_lshrrev_b32_e32 v18, s52, v18
	v_and_b32_e32 v18, s55, v18
	v_lshlrev_b32_e32 v19, 1, v18
	v_add_lshl_u32 v19, v19, v96, 2
	; wave barrier
	v_add_u32_e32 v70, 8, v19
	ds_read_b32 v69, v19 offset:8
	v_and_b32_e32 v19, 1, v18
	v_add_co_u32_e32 v20, vcc, -1, v19
	v_addc_co_u32_e64 v21, s[42:43], 0, -1, vcc
	v_cmp_ne_u32_e32 vcc, 0, v19
	v_lshlrev_b32_e32 v63, 30, v18
	v_xor_b32_e32 v19, vcc_hi, v21
	v_not_b32_e32 v21, v63
	v_xor_b32_e32 v20, vcc_lo, v20
	v_cmp_gt_i64_e32 vcc, 0, v[62:63]
	v_ashrrev_i32_e32 v21, 31, v21
	v_and_b32_e32 v19, exec_hi, v19
	v_xor_b32_e32 v63, vcc_hi, v21
	v_and_b32_e32 v20, exec_lo, v20
	v_xor_b32_e32 v21, vcc_lo, v21
	v_and_b32_e32 v19, v19, v63
	v_lshlrev_b32_e32 v63, 29, v18
	v_and_b32_e32 v20, v20, v21
	v_not_b32_e32 v21, v63
	v_cmp_gt_i64_e32 vcc, 0, v[62:63]
	v_ashrrev_i32_e32 v21, 31, v21
	v_xor_b32_e32 v63, vcc_hi, v21
	v_xor_b32_e32 v21, vcc_lo, v21
	v_and_b32_e32 v19, v19, v63
	v_lshlrev_b32_e32 v63, 28, v18
	v_and_b32_e32 v20, v20, v21
	v_not_b32_e32 v21, v63
	v_cmp_gt_i64_e32 vcc, 0, v[62:63]
	v_ashrrev_i32_e32 v21, 31, v21
	v_xor_b32_e32 v63, vcc_hi, v21
	;; [unrolled: 8-line block ×5, first 2 shown]
	v_and_b32_e32 v19, v19, v63
	v_lshlrev_b32_e32 v63, 24, v18
	v_not_b32_e32 v18, v63
	v_xor_b32_e32 v21, vcc_lo, v21
	v_cmp_gt_i64_e32 vcc, 0, v[62:63]
	v_ashrrev_i32_e32 v18, 31, v18
	v_and_b32_e32 v20, v20, v21
	v_xor_b32_e32 v21, vcc_hi, v18
	v_xor_b32_e32 v18, vcc_lo, v18
	v_and_b32_e32 v18, v20, v18
	v_and_b32_e32 v19, v19, v21
	v_mbcnt_lo_u32_b32 v20, v18, 0
	v_mbcnt_hi_u32_b32 v71, v19, v20
	v_cmp_eq_u32_e32 vcc, 0, v71
	v_cmp_ne_u64_e64 s[42:43], 0, v[18:19]
	s_and_b64 s[56:57], s[42:43], vcc
	; wave barrier
	s_and_saveexec_b64 s[42:43], s[56:57]
	s_cbranch_execz .LBB202_46
; %bb.45:                               ;   in Loop: Header=BB202_32 Depth=1
	v_bcnt_u32_b32 v18, v18, 0
	v_bcnt_u32_b32 v18, v19, v18
	s_waitcnt lgkmcnt(0)
	v_add_u32_e32 v18, v69, v18
	ds_write_b32 v70, v18
.LBB202_46:                             ;   in Loop: Header=BB202_32 Depth=1
	s_or_b64 exec, exec, s[42:43]
	v_cmp_ne_u32_e32 vcc, s53, v102
	v_cndmask_b32_e32 v18, v94, v102, vcc
	v_lshrrev_b32_e32 v18, s52, v18
	v_and_b32_e32 v18, s55, v18
	v_lshlrev_b32_e32 v19, 1, v18
	v_add_lshl_u32 v19, v19, v96, 2
	; wave barrier
	v_add_u32_e32 v111, 8, v19
	ds_read_b32 v110, v19 offset:8
	v_and_b32_e32 v19, 1, v18
	v_add_co_u32_e32 v20, vcc, -1, v19
	v_addc_co_u32_e64 v21, s[42:43], 0, -1, vcc
	v_cmp_ne_u32_e32 vcc, 0, v19
	v_lshlrev_b32_e32 v63, 30, v18
	v_xor_b32_e32 v19, vcc_hi, v21
	v_not_b32_e32 v21, v63
	v_xor_b32_e32 v20, vcc_lo, v20
	v_cmp_gt_i64_e32 vcc, 0, v[62:63]
	v_ashrrev_i32_e32 v21, 31, v21
	v_and_b32_e32 v19, exec_hi, v19
	v_xor_b32_e32 v63, vcc_hi, v21
	v_and_b32_e32 v20, exec_lo, v20
	v_xor_b32_e32 v21, vcc_lo, v21
	v_and_b32_e32 v19, v19, v63
	v_lshlrev_b32_e32 v63, 29, v18
	v_and_b32_e32 v20, v20, v21
	v_not_b32_e32 v21, v63
	v_cmp_gt_i64_e32 vcc, 0, v[62:63]
	v_ashrrev_i32_e32 v21, 31, v21
	v_xor_b32_e32 v63, vcc_hi, v21
	v_xor_b32_e32 v21, vcc_lo, v21
	v_and_b32_e32 v19, v19, v63
	v_lshlrev_b32_e32 v63, 28, v18
	v_and_b32_e32 v20, v20, v21
	v_not_b32_e32 v21, v63
	v_cmp_gt_i64_e32 vcc, 0, v[62:63]
	v_ashrrev_i32_e32 v21, 31, v21
	v_xor_b32_e32 v63, vcc_hi, v21
	;; [unrolled: 8-line block ×5, first 2 shown]
	v_and_b32_e32 v19, v19, v63
	v_lshlrev_b32_e32 v63, 24, v18
	v_not_b32_e32 v18, v63
	v_xor_b32_e32 v21, vcc_lo, v21
	v_cmp_gt_i64_e32 vcc, 0, v[62:63]
	v_ashrrev_i32_e32 v18, 31, v18
	v_and_b32_e32 v20, v20, v21
	v_xor_b32_e32 v21, vcc_hi, v18
	v_xor_b32_e32 v18, vcc_lo, v18
	v_and_b32_e32 v18, v20, v18
	v_and_b32_e32 v19, v19, v21
	v_mbcnt_lo_u32_b32 v20, v18, 0
	v_mbcnt_hi_u32_b32 v117, v19, v20
	v_cmp_eq_u32_e32 vcc, 0, v117
	v_cmp_ne_u64_e64 s[42:43], 0, v[18:19]
	s_and_b64 s[56:57], s[42:43], vcc
	; wave barrier
	s_and_saveexec_b64 s[42:43], s[56:57]
	s_cbranch_execz .LBB202_48
; %bb.47:                               ;   in Loop: Header=BB202_32 Depth=1
	v_bcnt_u32_b32 v18, v18, 0
	v_bcnt_u32_b32 v18, v19, v18
	s_waitcnt lgkmcnt(0)
	v_add_u32_e32 v18, v110, v18
	ds_write_b32 v111, v18
.LBB202_48:                             ;   in Loop: Header=BB202_32 Depth=1
	s_or_b64 exec, exec, s[42:43]
	; wave barrier
	s_waitcnt lgkmcnt(0)
	s_barrier
	ds_read2_b32 v[20:21], v89 offset0:2 offset1:3
	ds_read2_b32 v[18:19], v95 offset0:2 offset1:3
	s_waitcnt lgkmcnt(1)
	v_add_u32_e32 v63, v21, v20
	s_waitcnt lgkmcnt(0)
	v_add3_u32 v19, v63, v18, v19
	s_nop 1
	v_mov_b32_dpp v63, v19 row_shr:1 row_mask:0xf bank_mask:0xf
	v_cndmask_b32_e64 v63, v63, 0, s[22:23]
	v_add_u32_e32 v19, v63, v19
	s_nop 1
	v_mov_b32_dpp v63, v19 row_shr:2 row_mask:0xf bank_mask:0xf
	v_cndmask_b32_e64 v63, 0, v63, s[24:25]
	v_add_u32_e32 v19, v19, v63
	;; [unrolled: 4-line block ×4, first 2 shown]
	s_nop 1
	v_mov_b32_dpp v63, v19 row_bcast:15 row_mask:0xf bank_mask:0xf
	v_cndmask_b32_e64 v63, v63, 0, s[30:31]
	v_add_u32_e32 v19, v19, v63
	s_nop 1
	v_mov_b32_dpp v63, v19 row_bcast:31 row_mask:0xf bank_mask:0xf
	v_cndmask_b32_e64 v63, 0, v63, s[34:35]
	v_add_u32_e32 v19, v19, v63
	s_and_saveexec_b64 s[42:43], s[36:37]
	s_cbranch_execz .LBB202_50
; %bb.49:                               ;   in Loop: Header=BB202_32 Depth=1
	ds_write_b32 v98, v19
.LBB202_50:                             ;   in Loop: Header=BB202_32 Depth=1
	s_or_b64 exec, exec, s[42:43]
	s_waitcnt lgkmcnt(0)
	s_barrier
	s_and_saveexec_b64 s[42:43], s[16:17]
	s_cbranch_execz .LBB202_52
; %bb.51:                               ;   in Loop: Header=BB202_32 Depth=1
	ds_read_b32 v63, v88
	s_waitcnt lgkmcnt(0)
	s_nop 0
	v_mov_b32_dpp v112, v63 row_shr:1 row_mask:0xf bank_mask:0xf
	v_cndmask_b32_e64 v112, v112, 0, s[40:41]
	v_add_u32_e32 v63, v112, v63
	ds_write_b32 v88, v63
.LBB202_52:                             ;   in Loop: Header=BB202_32 Depth=1
	s_or_b64 exec, exec, s[42:43]
	v_mov_b32_e32 v63, 0
	s_waitcnt lgkmcnt(0)
	s_barrier
	s_and_saveexec_b64 s[42:43], s[18:19]
	s_cbranch_execz .LBB202_54
; %bb.53:                               ;   in Loop: Header=BB202_32 Depth=1
	ds_read_b32 v63, v99
.LBB202_54:                             ;   in Loop: Header=BB202_32 Depth=1
	s_or_b64 exec, exec, s[42:43]
	s_waitcnt lgkmcnt(0)
	v_add_u32_e32 v19, v63, v19
	ds_bpermute_b32 v19, v97, v19
	s_cmp_gt_u32 s52, 23
	s_waitcnt lgkmcnt(0)
	v_cndmask_b32_e64 v19, v19, v63, s[38:39]
	v_cndmask_b32_e64 v19, v19, 0, s[20:21]
	v_add_u32_e32 v20, v19, v20
	v_add_u32_e32 v21, v20, v21
	;; [unrolled: 1-line block ×3, first 2 shown]
	ds_write2_b32 v89, v19, v20 offset0:2 offset1:3
	ds_write2_b32 v95, v21, v18 offset0:2 offset1:3
	s_waitcnt lgkmcnt(0)
	s_barrier
	ds_read_b32 v18, v22
	ds_read_b32 v19, v25
	;; [unrolled: 1-line block ×8, first 2 shown]
	s_waitcnt lgkmcnt(7)
	v_add_u32_e32 v63, v18, v23
	s_waitcnt lgkmcnt(6)
	v_add3_u32 v111, v26, v24, v19
	s_waitcnt lgkmcnt(5)
	v_add3_u32 v112, v29, v27, v20
	;; [unrolled: 2-line block ×7, first 2 shown]
	s_cbranch_scc0 .LBB202_31
; %bb.55:
                                        ; implicit-def: $vgpr71
                                        ; implicit-def: $vgpr69
                                        ; implicit-def: $vgpr67
                                        ; implicit-def: $vgpr65
                                        ; implicit-def: $vgpr32_vgpr33
                                        ; implicit-def: $vgpr28_vgpr29
                                        ; implicit-def: $vgpr24_vgpr25
                                        ; implicit-def: $vgpr20_vgpr21
                                        ; implicit-def: $sgpr52
                                        ; implicit-def: $sgpr54
.LBB202_56:
	v_lshlrev_b32_e32 v18, 2, v63
	s_barrier
	ds_write_b32 v18, v109
	v_lshlrev_b32_e32 v18, 2, v111
	ds_write_b32 v18, v108
	v_lshlrev_b32_e32 v18, 2, v112
	;; [unrolled: 2-line block ×7, first 2 shown]
	v_lshlrev_b32_e32 v24, 2, v87
	ds_write_b32 v18, v102
	s_waitcnt lgkmcnt(0)
	s_barrier
	ds_read2_b32 v[18:19], v24 offset1:1
	ds_read2_b32 v[20:21], v24 offset0:2 offset1:3
	ds_read2_b32 v[22:23], v24 offset0:4 offset1:5
	;; [unrolled: 1-line block ×3, first 2 shown]
	v_bfrev_b32_e32 v70, 1
	v_lshlrev_b32_e32 v25, 3, v63
	v_lshlrev_b32_e32 v26, 3, v111
	s_waitcnt lgkmcnt(3)
	v_cmp_lt_i32_e32 vcc, -1, v19
	v_cndmask_b32_e64 v24, v70, -1, vcc
	v_cmp_lt_i32_e32 vcc, -1, v18
	v_cndmask_b32_e64 v62, v70, -1, vcc
	s_waitcnt lgkmcnt(2)
	v_cmp_lt_i32_e32 vcc, -1, v21
	v_xor_b32_e32 v62, v62, v18
	v_cndmask_b32_e64 v18, v70, -1, vcc
	v_cmp_lt_i32_e32 vcc, -1, v20
	v_xor_b32_e32 v63, v24, v19
	v_cndmask_b32_e64 v19, v70, -1, vcc
	s_waitcnt lgkmcnt(1)
	v_cmp_lt_i32_e32 vcc, -1, v23
	v_xor_b32_e32 v65, v18, v21
	v_cndmask_b32_e64 v18, v70, -1, vcc
	v_cmp_lt_i32_e32 vcc, -1, v22
	v_lshlrev_b32_e32 v27, 3, v112
	v_lshlrev_b32_e32 v28, 3, v113
	;; [unrolled: 1-line block ×7, first 2 shown]
	v_xor_b32_e32 v64, v19, v20
	v_cndmask_b32_e64 v19, v70, -1, vcc
	v_xor_b32_e32 v66, v19, v22
	v_xor_b32_e32 v67, v18, v23
	s_waitcnt lgkmcnt(0)
	s_barrier
	ds_write_b64 v25, v[60:61]
	ds_write_b64 v26, v[58:59]
	;; [unrolled: 1-line block ×8, first 2 shown]
	s_waitcnt lgkmcnt(0)
	s_barrier
	ds_read2_b64 v[18:21], v33 offset1:1
	ds_read2_b64 v[22:25], v33 offset0:2 offset1:3
	ds_read2_b64 v[26:29], v33 offset0:4 offset1:5
	;; [unrolled: 1-line block ×3, first 2 shown]
	v_cmp_lt_i32_e32 vcc, -1, v69
	v_cndmask_b32_e64 v1, v70, -1, vcc
	v_cmp_lt_i32_e32 vcc, -1, v68
	v_cndmask_b32_e64 v0, v70, -1, vcc
	v_xor_b32_e32 v0, v0, v68
	v_xor_b32_e32 v1, v1, v69
	s_branch .LBB202_92
.LBB202_57:
	v_mov_b32_e32 v37, 0
	v_lshlrev_b64 v[2:3], 3, v[36:37]
	v_mov_b32_e32 v4, s47
	v_add_co_u32_e32 v2, vcc, s45, v2
	v_addc_co_u32_e32 v3, vcc, v4, v3, vcc
	global_load_dwordx2 v[2:3], v[2:3], off
	v_mov_b32_e32 v4, v37
	v_mov_b32_e32 v5, v37
	;; [unrolled: 1-line block ×14, first 2 shown]
	s_or_b64 exec, exec, s[16:17]
	s_and_saveexec_b64 s[16:17], s[2:3]
	s_cbranch_execz .LBB202_22
.LBB202_58:
	v_mul_lo_u32 v4, v30, s48
	v_mov_b32_e32 v5, 0
	v_lshlrev_b64 v[4:5], 3, v[4:5]
	v_mov_b32_e32 v30, s47
	v_add_co_u32_e32 v4, vcc, s45, v4
	v_addc_co_u32_e32 v5, vcc, v30, v5, vcc
	global_load_dwordx2 v[4:5], v[4:5], off
	s_or_b64 exec, exec, s[16:17]
	s_and_saveexec_b64 s[16:17], s[4:5]
	s_cbranch_execz .LBB202_23
.LBB202_59:
	v_mul_lo_u32 v6, v28, s48
	v_mov_b32_e32 v7, 0
	v_lshlrev_b64 v[6:7], 3, v[6:7]
	v_mov_b32_e32 v28, s47
	v_add_co_u32_e32 v6, vcc, s45, v6
	v_addc_co_u32_e32 v7, vcc, v28, v7, vcc
	global_load_dwordx2 v[6:7], v[6:7], off
	s_or_b64 exec, exec, s[16:17]
	s_and_saveexec_b64 s[16:17], s[6:7]
	s_cbranch_execz .LBB202_24
.LBB202_60:
	v_mul_lo_u32 v8, v26, s48
	v_mov_b32_e32 v9, 0
	v_lshlrev_b64 v[8:9], 3, v[8:9]
	v_mov_b32_e32 v26, s47
	v_add_co_u32_e32 v8, vcc, s45, v8
	v_addc_co_u32_e32 v9, vcc, v26, v9, vcc
	global_load_dwordx2 v[8:9], v[8:9], off
	s_or_b64 exec, exec, s[16:17]
	s_and_saveexec_b64 s[16:17], s[8:9]
	s_cbranch_execz .LBB202_25
.LBB202_61:
	v_mul_lo_u32 v10, v24, s48
	v_mov_b32_e32 v11, 0
	v_lshlrev_b64 v[10:11], 3, v[10:11]
	v_mov_b32_e32 v24, s47
	v_add_co_u32_e32 v10, vcc, s45, v10
	v_addc_co_u32_e32 v11, vcc, v24, v11, vcc
	global_load_dwordx2 v[10:11], v[10:11], off
	s_or_b64 exec, exec, s[16:17]
	s_and_saveexec_b64 s[16:17], s[10:11]
	s_cbranch_execz .LBB202_26
.LBB202_62:
	v_mul_lo_u32 v12, v21, s48
	v_mov_b32_e32 v13, 0
	v_lshlrev_b64 v[12:13], 3, v[12:13]
	v_mov_b32_e32 v21, s47
	v_add_co_u32_e32 v12, vcc, s45, v12
	v_addc_co_u32_e32 v13, vcc, v21, v13, vcc
	global_load_dwordx2 v[12:13], v[12:13], off
	s_or_b64 exec, exec, s[16:17]
	s_and_saveexec_b64 s[16:17], s[12:13]
	s_cbranch_execz .LBB202_27
.LBB202_63:
	v_mul_lo_u32 v14, v19, s48
	v_mov_b32_e32 v15, 0
	v_lshlrev_b64 v[14:15], 3, v[14:15]
	v_mov_b32_e32 v19, s47
	v_add_co_u32_e32 v14, vcc, s45, v14
	v_addc_co_u32_e32 v15, vcc, v19, v15, vcc
	global_load_dwordx2 v[14:15], v[14:15], off
	s_or_b64 exec, exec, s[16:17]
	s_xor_b64 s[16:17], s[34:35], -1
	s_and_saveexec_b64 s[18:19], s[14:15]
	s_cbranch_execnz .LBB202_28
	s_branch .LBB202_29
.LBB202_64:
                                        ; implicit-def: $vgpr1
                                        ; implicit-def: $vgpr0
                                        ; implicit-def: $vgpr67
                                        ; implicit-def: $vgpr66
                                        ; implicit-def: $vgpr65
                                        ; implicit-def: $vgpr64
                                        ; implicit-def: $vgpr63
                                        ; implicit-def: $vgpr62
                                        ; implicit-def: $vgpr32_vgpr33
                                        ; implicit-def: $vgpr28_vgpr29
                                        ; implicit-def: $vgpr24_vgpr25
                                        ; implicit-def: $vgpr20_vgpr21
	s_cbranch_execz .LBB202_92
; %bb.65:
	v_bfrev_b32_e32 v48, -2
	v_cmp_gt_i32_e32 vcc, 0, v46
	s_waitcnt lgkmcnt(3)
	v_mbcnt_hi_u32_b32 v18, -1, v93
	v_and_b32_e32 v19, 0x3c0, v38
	v_cndmask_b32_e64 v20, v48, 0, vcc
	v_cmp_gt_i32_e32 vcc, 0, v47
	v_add_u32_e32 v0, v18, v19
	v_cndmask_b32_e64 v21, v48, 0, vcc
	v_lshlrev_b32_e32 v1, 5, v0
	v_xor_b32_e32 v21, v21, v47
	v_xor_b32_e32 v20, v20, v46
	v_cmp_gt_i32_e32 vcc, 0, v44
	ds_write2_b32 v1, v20, v21 offset1:1
	v_cndmask_b32_e64 v20, v48, 0, vcc
	v_cmp_gt_i32_e32 vcc, 0, v45
	v_cndmask_b32_e64 v21, v48, 0, vcc
	v_xor_b32_e32 v21, v21, v45
	v_xor_b32_e32 v20, v20, v44
	v_cmp_gt_i32_e32 vcc, 0, v42
	ds_write2_b32 v1, v20, v21 offset0:2 offset1:3
	v_cndmask_b32_e64 v20, v48, 0, vcc
	v_cmp_gt_i32_e32 vcc, 0, v43
	v_cndmask_b32_e64 v21, v48, 0, vcc
	v_xor_b32_e32 v21, v21, v43
	v_xor_b32_e32 v20, v20, v42
	v_cmp_gt_i32_e32 vcc, 0, v40
	ds_write2_b32 v1, v20, v21 offset0:4 offset1:5
	v_cndmask_b32_e64 v20, v48, 0, vcc
	v_cmp_gt_i32_e32 vcc, 0, v41
	v_cndmask_b32_e64 v21, v48, 0, vcc
	v_xor_b32_e32 v21, v21, v41
	v_xor_b32_e32 v20, v20, v40
	ds_write2_b32 v1, v20, v21 offset0:6 offset1:7
	v_and_b32_e32 v20, 0x1e00, v87
	v_or_b32_e32 v1, v18, v20
	v_lshlrev_b32_e32 v21, 2, v1
	v_lshlrev_b32_e32 v0, 6, v0
	; wave barrier
	ds_read2st64_b32 v[40:41], v21 offset1:1
	ds_read2st64_b32 v[42:43], v21 offset0:2 offset1:3
	ds_read2st64_b32 v[44:45], v21 offset0:4 offset1:5
	;; [unrolled: 1-line block ×3, first 2 shown]
	s_waitcnt lgkmcnt(0)
	s_barrier
	ds_write2_b64 v0, v[14:15], v[16:17] offset1:1
	ds_write2_b64 v0, v[10:11], v[12:13] offset0:2 offset1:3
	ds_write2_b64 v0, v[6:7], v[8:9] offset0:4 offset1:5
	;; [unrolled: 1-line block ×3, first 2 shown]
	v_lshlrev_b32_e32 v12, 3, v1
	; wave barrier
	ds_read2st64_b64 v[0:3], v12 offset1:1
	ds_read2st64_b64 v[4:7], v12 offset0:2 offset1:3
	ds_read2st64_b64 v[8:11], v12 offset0:4 offset1:5
	;; [unrolled: 1-line block ×3, first 2 shown]
	s_waitcnt lgkmcnt(0)
	s_barrier
	s_load_dword s18, s[50:51], 0xc
	s_getpc_b64 s[16:17]
	s_add_u32 s16, s16, _ZN7rocprim17ROCPRIM_400000_NS16block_radix_sortIfLj128ELj8ElLj1ELj1ELj0ELNS0_26block_radix_rank_algorithmE1ELNS0_18block_padding_hintE2ELNS0_4arch9wavefront6targetE1EE19radix_bits_per_passE@rel32@lo+4
	s_addc_u32 s17, s17, _ZN7rocprim17ROCPRIM_400000_NS16block_radix_sortIfLj128ELj8ElLj1ELj1ELj0ELNS0_26block_radix_rank_algorithmE1ELNS0_18block_padding_hintE2ELNS0_4arch9wavefront6targetE1EE19radix_bits_per_passE@rel32@hi+12
	s_load_dword s49, s[16:17], 0x0
	v_cmp_gt_u32_e64 s[30:31], 2, v38
	v_cmp_lt_u32_e64 s[34:35], 63, v38
	s_waitcnt lgkmcnt(0)
	s_lshr_b32 s16, s18, 16
	s_and_b32 s17, s18, 0xffff
	v_mad_u32_u24 v16, v92, s16, v91
	v_mad_u64_u32 v[16:17], s[16:17], v16, s17, v[38:39]
	v_lshrrev_b32_e32 v50, 6, v16
	v_and_b32_e32 v16, 15, v18
	v_cmp_eq_u32_e64 s[16:17], 0, v16
	v_cmp_lt_u32_e64 s[18:19], 1, v16
	v_cmp_lt_u32_e64 s[20:21], 3, v16
	;; [unrolled: 1-line block ×3, first 2 shown]
	v_and_b32_e32 v16, 16, v18
	v_cmp_eq_u32_e64 s[24:25], 0, v16
	v_min_u32_e32 v16, 64, v19
	v_or_b32_e32 v16, 63, v16
	v_cmp_eq_u32_e64 s[28:29], v16, v38
	v_add_u32_e32 v16, -1, v18
	v_and_b32_e32 v17, 64, v18
	v_cmp_lt_i32_e32 vcc, v16, v17
	v_cndmask_b32_e32 v16, v16, v18, vcc
	v_lshlrev_b32_e32 v51, 2, v16
	v_and_b32_e32 v16, 1, v18
	v_cmp_eq_u32_e64 s[38:39], 0, v38
	v_and_b32_e32 v38, 60, v90
	v_cmp_eq_u32_e64 s[40:41], 0, v16
	v_and_or_b32 v16, v18, 63, v20
	s_mov_b32 s50, 0
	v_or_b32_e32 v49, 8, v89
	v_cmp_lt_u32_e64 s[26:27], 31, v18
	v_cmp_eq_u32_e64 s[36:37], 0, v18
	v_add_u32_e32 v52, -4, v38
	v_lshlrev_b32_e32 v53, 2, v16
	v_lshlrev_b32_e32 v54, 3, v16
	s_mov_b32 s52, 32
	s_brev_b32 s51, 1
	v_mov_b32_e32 v32, 0
	s_branch .LBB202_67
.LBB202_66:                             ;   in Loop: Header=BB202_67 Depth=1
	v_lshlrev_b32_e32 v0, 2, v33
	s_barrier
	ds_write_b32 v0, v62
	v_lshlrev_b32_e32 v0, 2, v64
	ds_write_b32 v0, v61
	v_lshlrev_b32_e32 v0, 2, v65
	;; [unrolled: 2-line block ×8, first 2 shown]
	s_waitcnt lgkmcnt(0)
	s_barrier
	ds_read2st64_b32 v[40:41], v53 offset1:1
	ds_read2st64_b32 v[42:43], v53 offset0:2 offset1:3
	ds_read2st64_b32 v[44:45], v53 offset0:4 offset1:5
	;; [unrolled: 1-line block ×3, first 2 shown]
	s_waitcnt lgkmcnt(0)
	s_barrier
	ds_write_b64 v0, v[30:31]
	v_lshlrev_b32_e32 v0, 3, v64
	ds_write_b64 v0, v[28:29]
	v_lshlrev_b32_e32 v0, 3, v65
	;; [unrolled: 2-line block ×7, first 2 shown]
	ds_write_b64 v0, v[16:17]
	s_waitcnt lgkmcnt(0)
	s_barrier
	ds_read2st64_b64 v[0:3], v54 offset1:1
	ds_read2st64_b64 v[4:7], v54 offset0:2 offset1:3
	ds_read2st64_b64 v[8:11], v54 offset0:4 offset1:5
	;; [unrolled: 1-line block ×3, first 2 shown]
	s_add_i32 s50, s50, 8
	s_add_i32 s52, s52, -8
	s_waitcnt lgkmcnt(0)
	s_barrier
	s_cbranch_execz .LBB202_91
.LBB202_67:                             ; =>This Inner Loop Header: Depth=1
	v_mov_b32_e32 v62, v40
	s_min_u32 s42, s49, s52
	v_cmp_ne_u32_e32 vcc, s51, v62
	v_pk_mov_b32 v[30:31], v[0:1], v[0:1] op_sel:[0,1]
	s_lshl_b32 s42, -1, s42
	v_cndmask_b32_e32 v0, v48, v62, vcc
	s_not_b32 s53, s42
	v_lshrrev_b32_e32 v0, s50, v0
	v_and_b32_e32 v0, s53, v0
	v_lshl_add_u32 v1, v0, 1, v50
	v_pk_mov_b32 v[26:27], v[4:5], v[4:5] op_sel:[0,1]
	v_lshl_add_u32 v4, v1, 2, 8
	v_and_b32_e32 v1, 1, v0
	v_pk_mov_b32 v[28:29], v[2:3], v[2:3] op_sel:[0,1]
	v_add_co_u32_e32 v2, vcc, -1, v1
	v_addc_co_u32_e64 v3, s[42:43], 0, -1, vcc
	v_cmp_ne_u32_e32 vcc, 0, v1
	v_lshlrev_b32_e32 v33, 30, v0
	v_xor_b32_e32 v1, vcc_hi, v3
	v_not_b32_e32 v3, v33
	v_xor_b32_e32 v2, vcc_lo, v2
	v_cmp_gt_i64_e32 vcc, 0, v[32:33]
	v_ashrrev_i32_e32 v3, 31, v3
	v_and_b32_e32 v2, exec_lo, v2
	v_xor_b32_e32 v5, vcc_hi, v3
	v_xor_b32_e32 v3, vcc_lo, v3
	v_lshlrev_b32_e32 v33, 29, v0
	v_and_b32_e32 v2, v2, v3
	v_not_b32_e32 v3, v33
	v_and_b32_e32 v1, exec_hi, v1
	v_cmp_gt_i64_e32 vcc, 0, v[32:33]
	v_ashrrev_i32_e32 v3, 31, v3
	v_and_b32_e32 v1, v1, v5
	v_xor_b32_e32 v5, vcc_hi, v3
	v_xor_b32_e32 v3, vcc_lo, v3
	v_lshlrev_b32_e32 v33, 28, v0
	v_and_b32_e32 v2, v2, v3
	v_not_b32_e32 v3, v33
	v_cmp_gt_i64_e32 vcc, 0, v[32:33]
	v_ashrrev_i32_e32 v3, 31, v3
	v_and_b32_e32 v1, v1, v5
	v_xor_b32_e32 v5, vcc_hi, v3
	v_xor_b32_e32 v3, vcc_lo, v3
	v_lshlrev_b32_e32 v33, 27, v0
	v_and_b32_e32 v2, v2, v3
	v_not_b32_e32 v3, v33
	v_cmp_gt_i64_e32 vcc, 0, v[32:33]
	v_ashrrev_i32_e32 v3, 31, v3
	v_and_b32_e32 v1, v1, v5
	v_xor_b32_e32 v5, vcc_hi, v3
	v_xor_b32_e32 v3, vcc_lo, v3
	v_lshlrev_b32_e32 v33, 26, v0
	v_and_b32_e32 v2, v2, v3
	v_not_b32_e32 v3, v33
	v_cmp_gt_i64_e32 vcc, 0, v[32:33]
	v_ashrrev_i32_e32 v3, 31, v3
	v_and_b32_e32 v1, v1, v5
	v_xor_b32_e32 v5, vcc_hi, v3
	v_xor_b32_e32 v3, vcc_lo, v3
	v_lshlrev_b32_e32 v33, 25, v0
	v_and_b32_e32 v2, v2, v3
	v_cmp_gt_i64_e32 vcc, 0, v[32:33]
	v_not_b32_e32 v3, v33
	v_lshlrev_b32_e32 v33, 24, v0
	v_ashrrev_i32_e32 v3, 31, v3
	v_not_b32_e32 v0, v33
	v_and_b32_e32 v1, v1, v5
	v_xor_b32_e32 v5, vcc_hi, v3
	v_xor_b32_e32 v3, vcc_lo, v3
	v_cmp_gt_i64_e32 vcc, 0, v[32:33]
	v_ashrrev_i32_e32 v0, 31, v0
	v_and_b32_e32 v2, v2, v3
	v_xor_b32_e32 v3, vcc_hi, v0
	v_xor_b32_e32 v0, vcc_lo, v0
	v_and_b32_e32 v1, v1, v5
	v_and_b32_e32 v0, v2, v0
	;; [unrolled: 1-line block ×3, first 2 shown]
	v_mbcnt_lo_u32_b32 v2, v0, 0
	v_mbcnt_hi_u32_b32 v5, v1, v2
	v_cmp_eq_u32_e32 vcc, 0, v5
	v_cmp_ne_u64_e64 s[42:43], 0, v[0:1]
	v_mov_b32_e32 v55, v47
	v_mov_b32_e32 v56, v46
	;; [unrolled: 1-line block ×7, first 2 shown]
	v_pk_mov_b32 v[16:17], v[14:15], v[14:15] op_sel:[0,1]
	v_pk_mov_b32 v[18:19], v[12:13], v[12:13] op_sel:[0,1]
	;; [unrolled: 1-line block ×5, first 2 shown]
	s_and_b64 s[54:55], s[42:43], vcc
	ds_write2_b32 v89, v32, v32 offset0:2 offset1:3
	ds_write2_b32 v49, v32, v32 offset0:2 offset1:3
	s_waitcnt lgkmcnt(0)
	s_barrier
	s_waitcnt lgkmcnt(0)
	; wave barrier
	s_and_saveexec_b64 s[42:43], s[54:55]
	s_cbranch_execz .LBB202_69
; %bb.68:                               ;   in Loop: Header=BB202_67 Depth=1
	v_bcnt_u32_b32 v0, v0, 0
	v_bcnt_u32_b32 v0, v1, v0
	ds_write_b32 v4, v0
.LBB202_69:                             ;   in Loop: Header=BB202_67 Depth=1
	s_or_b64 exec, exec, s[42:43]
	v_cmp_ne_u32_e32 vcc, s51, v61
	v_cndmask_b32_e32 v0, v48, v61, vcc
	v_lshrrev_b32_e32 v0, s50, v0
	v_and_b32_e32 v0, s53, v0
	v_lshlrev_b32_e32 v1, 1, v0
	v_add_lshl_u32 v1, v1, v50, 2
	; wave barrier
	v_add_u32_e32 v7, 8, v1
	ds_read_b32 v6, v1 offset:8
	v_and_b32_e32 v1, 1, v0
	v_add_co_u32_e32 v2, vcc, -1, v1
	v_addc_co_u32_e64 v3, s[42:43], 0, -1, vcc
	v_cmp_ne_u32_e32 vcc, 0, v1
	v_lshlrev_b32_e32 v33, 30, v0
	v_xor_b32_e32 v1, vcc_hi, v3
	v_not_b32_e32 v3, v33
	v_xor_b32_e32 v2, vcc_lo, v2
	v_cmp_gt_i64_e32 vcc, 0, v[32:33]
	v_ashrrev_i32_e32 v3, 31, v3
	v_and_b32_e32 v2, exec_lo, v2
	v_xor_b32_e32 v8, vcc_hi, v3
	v_xor_b32_e32 v3, vcc_lo, v3
	v_lshlrev_b32_e32 v33, 29, v0
	v_and_b32_e32 v2, v2, v3
	v_not_b32_e32 v3, v33
	v_and_b32_e32 v1, exec_hi, v1
	v_cmp_gt_i64_e32 vcc, 0, v[32:33]
	v_ashrrev_i32_e32 v3, 31, v3
	v_and_b32_e32 v1, v1, v8
	v_xor_b32_e32 v8, vcc_hi, v3
	v_xor_b32_e32 v3, vcc_lo, v3
	v_lshlrev_b32_e32 v33, 28, v0
	v_and_b32_e32 v2, v2, v3
	v_not_b32_e32 v3, v33
	v_cmp_gt_i64_e32 vcc, 0, v[32:33]
	v_ashrrev_i32_e32 v3, 31, v3
	v_and_b32_e32 v1, v1, v8
	v_xor_b32_e32 v8, vcc_hi, v3
	v_xor_b32_e32 v3, vcc_lo, v3
	v_lshlrev_b32_e32 v33, 27, v0
	v_and_b32_e32 v2, v2, v3
	v_not_b32_e32 v3, v33
	;; [unrolled: 8-line block ×3, first 2 shown]
	v_cmp_gt_i64_e32 vcc, 0, v[32:33]
	v_ashrrev_i32_e32 v3, 31, v3
	v_and_b32_e32 v1, v1, v8
	v_xor_b32_e32 v8, vcc_hi, v3
	v_xor_b32_e32 v3, vcc_lo, v3
	v_lshlrev_b32_e32 v33, 25, v0
	v_and_b32_e32 v2, v2, v3
	v_cmp_gt_i64_e32 vcc, 0, v[32:33]
	v_not_b32_e32 v3, v33
	v_lshlrev_b32_e32 v33, 24, v0
	v_ashrrev_i32_e32 v3, 31, v3
	v_not_b32_e32 v0, v33
	v_and_b32_e32 v1, v1, v8
	v_xor_b32_e32 v8, vcc_hi, v3
	v_xor_b32_e32 v3, vcc_lo, v3
	v_cmp_gt_i64_e32 vcc, 0, v[32:33]
	v_ashrrev_i32_e32 v0, 31, v0
	v_and_b32_e32 v2, v2, v3
	v_xor_b32_e32 v3, vcc_hi, v0
	v_xor_b32_e32 v0, vcc_lo, v0
	v_and_b32_e32 v1, v1, v8
	v_and_b32_e32 v0, v2, v0
	;; [unrolled: 1-line block ×3, first 2 shown]
	v_mbcnt_lo_u32_b32 v2, v0, 0
	v_mbcnt_hi_u32_b32 v8, v1, v2
	v_cmp_eq_u32_e32 vcc, 0, v8
	v_cmp_ne_u64_e64 s[42:43], 0, v[0:1]
	s_and_b64 s[54:55], s[42:43], vcc
	; wave barrier
	s_and_saveexec_b64 s[42:43], s[54:55]
	s_cbranch_execz .LBB202_71
; %bb.70:                               ;   in Loop: Header=BB202_67 Depth=1
	v_bcnt_u32_b32 v0, v0, 0
	v_bcnt_u32_b32 v0, v1, v0
	s_waitcnt lgkmcnt(0)
	v_add_u32_e32 v0, v6, v0
	ds_write_b32 v7, v0
.LBB202_71:                             ;   in Loop: Header=BB202_67 Depth=1
	s_or_b64 exec, exec, s[42:43]
	v_cmp_ne_u32_e32 vcc, s51, v60
	v_cndmask_b32_e32 v0, v48, v60, vcc
	v_lshrrev_b32_e32 v0, s50, v0
	v_and_b32_e32 v0, s53, v0
	v_lshlrev_b32_e32 v1, 1, v0
	v_add_lshl_u32 v1, v1, v50, 2
	; wave barrier
	v_add_u32_e32 v10, 8, v1
	ds_read_b32 v9, v1 offset:8
	v_and_b32_e32 v1, 1, v0
	v_add_co_u32_e32 v2, vcc, -1, v1
	v_addc_co_u32_e64 v3, s[42:43], 0, -1, vcc
	v_cmp_ne_u32_e32 vcc, 0, v1
	v_lshlrev_b32_e32 v33, 30, v0
	v_xor_b32_e32 v1, vcc_hi, v3
	v_not_b32_e32 v3, v33
	v_xor_b32_e32 v2, vcc_lo, v2
	v_cmp_gt_i64_e32 vcc, 0, v[32:33]
	v_ashrrev_i32_e32 v3, 31, v3
	v_and_b32_e32 v2, exec_lo, v2
	v_xor_b32_e32 v11, vcc_hi, v3
	v_xor_b32_e32 v3, vcc_lo, v3
	v_lshlrev_b32_e32 v33, 29, v0
	v_and_b32_e32 v2, v2, v3
	v_not_b32_e32 v3, v33
	v_and_b32_e32 v1, exec_hi, v1
	v_cmp_gt_i64_e32 vcc, 0, v[32:33]
	v_ashrrev_i32_e32 v3, 31, v3
	v_and_b32_e32 v1, v1, v11
	v_xor_b32_e32 v11, vcc_hi, v3
	v_xor_b32_e32 v3, vcc_lo, v3
	v_lshlrev_b32_e32 v33, 28, v0
	v_and_b32_e32 v2, v2, v3
	v_not_b32_e32 v3, v33
	v_cmp_gt_i64_e32 vcc, 0, v[32:33]
	v_ashrrev_i32_e32 v3, 31, v3
	v_and_b32_e32 v1, v1, v11
	v_xor_b32_e32 v11, vcc_hi, v3
	v_xor_b32_e32 v3, vcc_lo, v3
	v_lshlrev_b32_e32 v33, 27, v0
	v_and_b32_e32 v2, v2, v3
	v_not_b32_e32 v3, v33
	;; [unrolled: 8-line block ×3, first 2 shown]
	v_cmp_gt_i64_e32 vcc, 0, v[32:33]
	v_ashrrev_i32_e32 v3, 31, v3
	v_and_b32_e32 v1, v1, v11
	v_xor_b32_e32 v11, vcc_hi, v3
	v_xor_b32_e32 v3, vcc_lo, v3
	v_lshlrev_b32_e32 v33, 25, v0
	v_and_b32_e32 v2, v2, v3
	v_cmp_gt_i64_e32 vcc, 0, v[32:33]
	v_not_b32_e32 v3, v33
	v_lshlrev_b32_e32 v33, 24, v0
	v_ashrrev_i32_e32 v3, 31, v3
	v_not_b32_e32 v0, v33
	v_and_b32_e32 v1, v1, v11
	v_xor_b32_e32 v11, vcc_hi, v3
	v_xor_b32_e32 v3, vcc_lo, v3
	v_cmp_gt_i64_e32 vcc, 0, v[32:33]
	v_ashrrev_i32_e32 v0, 31, v0
	v_and_b32_e32 v2, v2, v3
	v_xor_b32_e32 v3, vcc_hi, v0
	v_xor_b32_e32 v0, vcc_lo, v0
	v_and_b32_e32 v1, v1, v11
	v_and_b32_e32 v0, v2, v0
	;; [unrolled: 1-line block ×3, first 2 shown]
	v_mbcnt_lo_u32_b32 v2, v0, 0
	v_mbcnt_hi_u32_b32 v11, v1, v2
	v_cmp_eq_u32_e32 vcc, 0, v11
	v_cmp_ne_u64_e64 s[42:43], 0, v[0:1]
	s_and_b64 s[54:55], s[42:43], vcc
	; wave barrier
	s_and_saveexec_b64 s[42:43], s[54:55]
	s_cbranch_execz .LBB202_73
; %bb.72:                               ;   in Loop: Header=BB202_67 Depth=1
	v_bcnt_u32_b32 v0, v0, 0
	v_bcnt_u32_b32 v0, v1, v0
	s_waitcnt lgkmcnt(0)
	v_add_u32_e32 v0, v9, v0
	ds_write_b32 v10, v0
.LBB202_73:                             ;   in Loop: Header=BB202_67 Depth=1
	s_or_b64 exec, exec, s[42:43]
	v_cmp_ne_u32_e32 vcc, s51, v59
	v_cndmask_b32_e32 v0, v48, v59, vcc
	v_lshrrev_b32_e32 v0, s50, v0
	v_and_b32_e32 v0, s53, v0
	v_lshlrev_b32_e32 v1, 1, v0
	v_add_lshl_u32 v1, v1, v50, 2
	; wave barrier
	v_add_u32_e32 v13, 8, v1
	ds_read_b32 v12, v1 offset:8
	v_and_b32_e32 v1, 1, v0
	v_add_co_u32_e32 v2, vcc, -1, v1
	v_addc_co_u32_e64 v3, s[42:43], 0, -1, vcc
	v_cmp_ne_u32_e32 vcc, 0, v1
	v_lshlrev_b32_e32 v33, 30, v0
	v_xor_b32_e32 v1, vcc_hi, v3
	v_not_b32_e32 v3, v33
	v_xor_b32_e32 v2, vcc_lo, v2
	v_cmp_gt_i64_e32 vcc, 0, v[32:33]
	v_ashrrev_i32_e32 v3, 31, v3
	v_and_b32_e32 v2, exec_lo, v2
	v_xor_b32_e32 v14, vcc_hi, v3
	v_xor_b32_e32 v3, vcc_lo, v3
	v_lshlrev_b32_e32 v33, 29, v0
	v_and_b32_e32 v2, v2, v3
	v_not_b32_e32 v3, v33
	v_and_b32_e32 v1, exec_hi, v1
	v_cmp_gt_i64_e32 vcc, 0, v[32:33]
	v_ashrrev_i32_e32 v3, 31, v3
	v_and_b32_e32 v1, v1, v14
	v_xor_b32_e32 v14, vcc_hi, v3
	v_xor_b32_e32 v3, vcc_lo, v3
	v_lshlrev_b32_e32 v33, 28, v0
	v_and_b32_e32 v2, v2, v3
	v_not_b32_e32 v3, v33
	v_cmp_gt_i64_e32 vcc, 0, v[32:33]
	v_ashrrev_i32_e32 v3, 31, v3
	v_and_b32_e32 v1, v1, v14
	v_xor_b32_e32 v14, vcc_hi, v3
	v_xor_b32_e32 v3, vcc_lo, v3
	v_lshlrev_b32_e32 v33, 27, v0
	v_and_b32_e32 v2, v2, v3
	v_not_b32_e32 v3, v33
	;; [unrolled: 8-line block ×3, first 2 shown]
	v_cmp_gt_i64_e32 vcc, 0, v[32:33]
	v_ashrrev_i32_e32 v3, 31, v3
	v_and_b32_e32 v1, v1, v14
	v_xor_b32_e32 v14, vcc_hi, v3
	v_xor_b32_e32 v3, vcc_lo, v3
	v_lshlrev_b32_e32 v33, 25, v0
	v_and_b32_e32 v2, v2, v3
	v_cmp_gt_i64_e32 vcc, 0, v[32:33]
	v_not_b32_e32 v3, v33
	v_lshlrev_b32_e32 v33, 24, v0
	v_ashrrev_i32_e32 v3, 31, v3
	v_not_b32_e32 v0, v33
	v_and_b32_e32 v1, v1, v14
	v_xor_b32_e32 v14, vcc_hi, v3
	v_xor_b32_e32 v3, vcc_lo, v3
	v_cmp_gt_i64_e32 vcc, 0, v[32:33]
	v_ashrrev_i32_e32 v0, 31, v0
	v_and_b32_e32 v2, v2, v3
	v_xor_b32_e32 v3, vcc_hi, v0
	v_xor_b32_e32 v0, vcc_lo, v0
	v_and_b32_e32 v1, v1, v14
	v_and_b32_e32 v0, v2, v0
	;; [unrolled: 1-line block ×3, first 2 shown]
	v_mbcnt_lo_u32_b32 v2, v0, 0
	v_mbcnt_hi_u32_b32 v14, v1, v2
	v_cmp_eq_u32_e32 vcc, 0, v14
	v_cmp_ne_u64_e64 s[42:43], 0, v[0:1]
	s_and_b64 s[54:55], s[42:43], vcc
	; wave barrier
	s_and_saveexec_b64 s[42:43], s[54:55]
	s_cbranch_execz .LBB202_75
; %bb.74:                               ;   in Loop: Header=BB202_67 Depth=1
	v_bcnt_u32_b32 v0, v0, 0
	v_bcnt_u32_b32 v0, v1, v0
	s_waitcnt lgkmcnt(0)
	v_add_u32_e32 v0, v12, v0
	ds_write_b32 v13, v0
.LBB202_75:                             ;   in Loop: Header=BB202_67 Depth=1
	s_or_b64 exec, exec, s[42:43]
	v_cmp_ne_u32_e32 vcc, s51, v58
	v_cndmask_b32_e32 v0, v48, v58, vcc
	v_lshrrev_b32_e32 v0, s50, v0
	v_and_b32_e32 v0, s53, v0
	v_lshlrev_b32_e32 v1, 1, v0
	v_add_lshl_u32 v1, v1, v50, 2
	; wave barrier
	v_add_u32_e32 v40, 8, v1
	ds_read_b32 v15, v1 offset:8
	v_and_b32_e32 v1, 1, v0
	v_add_co_u32_e32 v2, vcc, -1, v1
	v_addc_co_u32_e64 v3, s[42:43], 0, -1, vcc
	v_cmp_ne_u32_e32 vcc, 0, v1
	v_lshlrev_b32_e32 v33, 30, v0
	v_xor_b32_e32 v1, vcc_hi, v3
	v_not_b32_e32 v3, v33
	v_xor_b32_e32 v2, vcc_lo, v2
	v_cmp_gt_i64_e32 vcc, 0, v[32:33]
	v_ashrrev_i32_e32 v3, 31, v3
	v_and_b32_e32 v1, exec_hi, v1
	v_xor_b32_e32 v33, vcc_hi, v3
	v_and_b32_e32 v2, exec_lo, v2
	v_xor_b32_e32 v3, vcc_lo, v3
	v_and_b32_e32 v1, v1, v33
	v_lshlrev_b32_e32 v33, 29, v0
	v_and_b32_e32 v2, v2, v3
	v_not_b32_e32 v3, v33
	v_cmp_gt_i64_e32 vcc, 0, v[32:33]
	v_ashrrev_i32_e32 v3, 31, v3
	v_xor_b32_e32 v33, vcc_hi, v3
	v_xor_b32_e32 v3, vcc_lo, v3
	v_and_b32_e32 v1, v1, v33
	v_lshlrev_b32_e32 v33, 28, v0
	v_and_b32_e32 v2, v2, v3
	v_not_b32_e32 v3, v33
	v_cmp_gt_i64_e32 vcc, 0, v[32:33]
	v_ashrrev_i32_e32 v3, 31, v3
	v_xor_b32_e32 v33, vcc_hi, v3
	;; [unrolled: 8-line block ×5, first 2 shown]
	v_and_b32_e32 v1, v1, v33
	v_lshlrev_b32_e32 v33, 24, v0
	v_not_b32_e32 v0, v33
	v_xor_b32_e32 v3, vcc_lo, v3
	v_cmp_gt_i64_e32 vcc, 0, v[32:33]
	v_ashrrev_i32_e32 v0, 31, v0
	v_and_b32_e32 v2, v2, v3
	v_xor_b32_e32 v3, vcc_hi, v0
	v_xor_b32_e32 v0, vcc_lo, v0
	v_and_b32_e32 v0, v2, v0
	v_and_b32_e32 v1, v1, v3
	v_mbcnt_lo_u32_b32 v2, v0, 0
	v_mbcnt_hi_u32_b32 v41, v1, v2
	v_cmp_eq_u32_e32 vcc, 0, v41
	v_cmp_ne_u64_e64 s[42:43], 0, v[0:1]
	s_and_b64 s[54:55], s[42:43], vcc
	; wave barrier
	s_and_saveexec_b64 s[42:43], s[54:55]
	s_cbranch_execz .LBB202_77
; %bb.76:                               ;   in Loop: Header=BB202_67 Depth=1
	v_bcnt_u32_b32 v0, v0, 0
	v_bcnt_u32_b32 v0, v1, v0
	s_waitcnt lgkmcnt(0)
	v_add_u32_e32 v0, v15, v0
	ds_write_b32 v40, v0
.LBB202_77:                             ;   in Loop: Header=BB202_67 Depth=1
	s_or_b64 exec, exec, s[42:43]
	v_cmp_ne_u32_e32 vcc, s51, v57
	v_cndmask_b32_e32 v0, v48, v57, vcc
	v_lshrrev_b32_e32 v0, s50, v0
	v_and_b32_e32 v0, s53, v0
	v_lshlrev_b32_e32 v1, 1, v0
	v_add_lshl_u32 v1, v1, v50, 2
	; wave barrier
	v_add_u32_e32 v43, 8, v1
	ds_read_b32 v42, v1 offset:8
	v_and_b32_e32 v1, 1, v0
	v_add_co_u32_e32 v2, vcc, -1, v1
	v_addc_co_u32_e64 v3, s[42:43], 0, -1, vcc
	v_cmp_ne_u32_e32 vcc, 0, v1
	v_lshlrev_b32_e32 v33, 30, v0
	v_xor_b32_e32 v1, vcc_hi, v3
	v_not_b32_e32 v3, v33
	v_xor_b32_e32 v2, vcc_lo, v2
	v_cmp_gt_i64_e32 vcc, 0, v[32:33]
	v_ashrrev_i32_e32 v3, 31, v3
	v_and_b32_e32 v1, exec_hi, v1
	v_xor_b32_e32 v33, vcc_hi, v3
	v_and_b32_e32 v2, exec_lo, v2
	v_xor_b32_e32 v3, vcc_lo, v3
	v_and_b32_e32 v1, v1, v33
	v_lshlrev_b32_e32 v33, 29, v0
	v_and_b32_e32 v2, v2, v3
	v_not_b32_e32 v3, v33
	v_cmp_gt_i64_e32 vcc, 0, v[32:33]
	v_ashrrev_i32_e32 v3, 31, v3
	v_xor_b32_e32 v33, vcc_hi, v3
	v_xor_b32_e32 v3, vcc_lo, v3
	v_and_b32_e32 v1, v1, v33
	v_lshlrev_b32_e32 v33, 28, v0
	v_and_b32_e32 v2, v2, v3
	v_not_b32_e32 v3, v33
	v_cmp_gt_i64_e32 vcc, 0, v[32:33]
	v_ashrrev_i32_e32 v3, 31, v3
	v_xor_b32_e32 v33, vcc_hi, v3
	;; [unrolled: 8-line block ×5, first 2 shown]
	v_and_b32_e32 v1, v1, v33
	v_lshlrev_b32_e32 v33, 24, v0
	v_not_b32_e32 v0, v33
	v_xor_b32_e32 v3, vcc_lo, v3
	v_cmp_gt_i64_e32 vcc, 0, v[32:33]
	v_ashrrev_i32_e32 v0, 31, v0
	v_and_b32_e32 v2, v2, v3
	v_xor_b32_e32 v3, vcc_hi, v0
	v_xor_b32_e32 v0, vcc_lo, v0
	v_and_b32_e32 v0, v2, v0
	v_and_b32_e32 v1, v1, v3
	v_mbcnt_lo_u32_b32 v2, v0, 0
	v_mbcnt_hi_u32_b32 v44, v1, v2
	v_cmp_eq_u32_e32 vcc, 0, v44
	v_cmp_ne_u64_e64 s[42:43], 0, v[0:1]
	s_and_b64 s[54:55], s[42:43], vcc
	; wave barrier
	s_and_saveexec_b64 s[42:43], s[54:55]
	s_cbranch_execz .LBB202_79
; %bb.78:                               ;   in Loop: Header=BB202_67 Depth=1
	v_bcnt_u32_b32 v0, v0, 0
	v_bcnt_u32_b32 v0, v1, v0
	s_waitcnt lgkmcnt(0)
	v_add_u32_e32 v0, v42, v0
	ds_write_b32 v43, v0
.LBB202_79:                             ;   in Loop: Header=BB202_67 Depth=1
	s_or_b64 exec, exec, s[42:43]
	v_cmp_ne_u32_e32 vcc, s51, v56
	v_cndmask_b32_e32 v0, v48, v56, vcc
	v_lshrrev_b32_e32 v0, s50, v0
	v_and_b32_e32 v0, s53, v0
	v_lshlrev_b32_e32 v1, 1, v0
	v_add_lshl_u32 v1, v1, v50, 2
	; wave barrier
	v_add_u32_e32 v46, 8, v1
	ds_read_b32 v45, v1 offset:8
	v_and_b32_e32 v1, 1, v0
	v_add_co_u32_e32 v2, vcc, -1, v1
	v_addc_co_u32_e64 v3, s[42:43], 0, -1, vcc
	v_cmp_ne_u32_e32 vcc, 0, v1
	v_lshlrev_b32_e32 v33, 30, v0
	v_xor_b32_e32 v1, vcc_hi, v3
	v_not_b32_e32 v3, v33
	v_xor_b32_e32 v2, vcc_lo, v2
	v_cmp_gt_i64_e32 vcc, 0, v[32:33]
	v_ashrrev_i32_e32 v3, 31, v3
	v_and_b32_e32 v1, exec_hi, v1
	v_xor_b32_e32 v33, vcc_hi, v3
	v_and_b32_e32 v2, exec_lo, v2
	v_xor_b32_e32 v3, vcc_lo, v3
	v_and_b32_e32 v1, v1, v33
	v_lshlrev_b32_e32 v33, 29, v0
	v_and_b32_e32 v2, v2, v3
	v_not_b32_e32 v3, v33
	v_cmp_gt_i64_e32 vcc, 0, v[32:33]
	v_ashrrev_i32_e32 v3, 31, v3
	v_xor_b32_e32 v33, vcc_hi, v3
	v_xor_b32_e32 v3, vcc_lo, v3
	v_and_b32_e32 v1, v1, v33
	v_lshlrev_b32_e32 v33, 28, v0
	v_and_b32_e32 v2, v2, v3
	v_not_b32_e32 v3, v33
	v_cmp_gt_i64_e32 vcc, 0, v[32:33]
	v_ashrrev_i32_e32 v3, 31, v3
	v_xor_b32_e32 v33, vcc_hi, v3
	;; [unrolled: 8-line block ×5, first 2 shown]
	v_and_b32_e32 v1, v1, v33
	v_lshlrev_b32_e32 v33, 24, v0
	v_not_b32_e32 v0, v33
	v_xor_b32_e32 v3, vcc_lo, v3
	v_cmp_gt_i64_e32 vcc, 0, v[32:33]
	v_ashrrev_i32_e32 v0, 31, v0
	v_and_b32_e32 v2, v2, v3
	v_xor_b32_e32 v3, vcc_hi, v0
	v_xor_b32_e32 v0, vcc_lo, v0
	v_and_b32_e32 v0, v2, v0
	v_and_b32_e32 v1, v1, v3
	v_mbcnt_lo_u32_b32 v2, v0, 0
	v_mbcnt_hi_u32_b32 v47, v1, v2
	v_cmp_eq_u32_e32 vcc, 0, v47
	v_cmp_ne_u64_e64 s[42:43], 0, v[0:1]
	s_and_b64 s[54:55], s[42:43], vcc
	; wave barrier
	s_and_saveexec_b64 s[42:43], s[54:55]
	s_cbranch_execz .LBB202_81
; %bb.80:                               ;   in Loop: Header=BB202_67 Depth=1
	v_bcnt_u32_b32 v0, v0, 0
	v_bcnt_u32_b32 v0, v1, v0
	s_waitcnt lgkmcnt(0)
	v_add_u32_e32 v0, v45, v0
	ds_write_b32 v46, v0
.LBB202_81:                             ;   in Loop: Header=BB202_67 Depth=1
	s_or_b64 exec, exec, s[42:43]
	v_cmp_ne_u32_e32 vcc, s51, v55
	v_cndmask_b32_e32 v0, v48, v55, vcc
	v_lshrrev_b32_e32 v0, s50, v0
	v_and_b32_e32 v0, s53, v0
	v_lshlrev_b32_e32 v1, 1, v0
	v_add_lshl_u32 v1, v1, v50, 2
	; wave barrier
	v_add_u32_e32 v64, 8, v1
	ds_read_b32 v63, v1 offset:8
	v_and_b32_e32 v1, 1, v0
	v_add_co_u32_e32 v2, vcc, -1, v1
	v_addc_co_u32_e64 v3, s[42:43], 0, -1, vcc
	v_cmp_ne_u32_e32 vcc, 0, v1
	v_lshlrev_b32_e32 v33, 30, v0
	v_xor_b32_e32 v1, vcc_hi, v3
	v_not_b32_e32 v3, v33
	v_xor_b32_e32 v2, vcc_lo, v2
	v_cmp_gt_i64_e32 vcc, 0, v[32:33]
	v_ashrrev_i32_e32 v3, 31, v3
	v_and_b32_e32 v1, exec_hi, v1
	v_xor_b32_e32 v33, vcc_hi, v3
	v_and_b32_e32 v2, exec_lo, v2
	v_xor_b32_e32 v3, vcc_lo, v3
	v_and_b32_e32 v1, v1, v33
	v_lshlrev_b32_e32 v33, 29, v0
	v_and_b32_e32 v2, v2, v3
	v_not_b32_e32 v3, v33
	v_cmp_gt_i64_e32 vcc, 0, v[32:33]
	v_ashrrev_i32_e32 v3, 31, v3
	v_xor_b32_e32 v33, vcc_hi, v3
	v_xor_b32_e32 v3, vcc_lo, v3
	v_and_b32_e32 v1, v1, v33
	v_lshlrev_b32_e32 v33, 28, v0
	v_and_b32_e32 v2, v2, v3
	v_not_b32_e32 v3, v33
	v_cmp_gt_i64_e32 vcc, 0, v[32:33]
	v_ashrrev_i32_e32 v3, 31, v3
	v_xor_b32_e32 v33, vcc_hi, v3
	;; [unrolled: 8-line block ×5, first 2 shown]
	v_and_b32_e32 v1, v1, v33
	v_lshlrev_b32_e32 v33, 24, v0
	v_not_b32_e32 v0, v33
	v_xor_b32_e32 v3, vcc_lo, v3
	v_cmp_gt_i64_e32 vcc, 0, v[32:33]
	v_ashrrev_i32_e32 v0, 31, v0
	v_and_b32_e32 v2, v2, v3
	v_xor_b32_e32 v3, vcc_hi, v0
	v_xor_b32_e32 v0, vcc_lo, v0
	v_and_b32_e32 v0, v2, v0
	v_and_b32_e32 v1, v1, v3
	v_mbcnt_lo_u32_b32 v2, v0, 0
	v_mbcnt_hi_u32_b32 v70, v1, v2
	v_cmp_eq_u32_e32 vcc, 0, v70
	v_cmp_ne_u64_e64 s[42:43], 0, v[0:1]
	s_and_b64 s[54:55], s[42:43], vcc
	; wave barrier
	s_and_saveexec_b64 s[42:43], s[54:55]
	s_cbranch_execz .LBB202_83
; %bb.82:                               ;   in Loop: Header=BB202_67 Depth=1
	v_bcnt_u32_b32 v0, v0, 0
	v_bcnt_u32_b32 v0, v1, v0
	s_waitcnt lgkmcnt(0)
	v_add_u32_e32 v0, v63, v0
	ds_write_b32 v64, v0
.LBB202_83:                             ;   in Loop: Header=BB202_67 Depth=1
	s_or_b64 exec, exec, s[42:43]
	; wave barrier
	s_waitcnt lgkmcnt(0)
	s_barrier
	ds_read2_b32 v[2:3], v89 offset0:2 offset1:3
	ds_read2_b32 v[0:1], v49 offset0:2 offset1:3
	s_waitcnt lgkmcnt(1)
	v_add_u32_e32 v33, v3, v2
	s_waitcnt lgkmcnt(0)
	v_add3_u32 v1, v33, v0, v1
	s_nop 1
	v_mov_b32_dpp v33, v1 row_shr:1 row_mask:0xf bank_mask:0xf
	v_cndmask_b32_e64 v33, v33, 0, s[16:17]
	v_add_u32_e32 v1, v33, v1
	s_nop 1
	v_mov_b32_dpp v33, v1 row_shr:2 row_mask:0xf bank_mask:0xf
	v_cndmask_b32_e64 v33, 0, v33, s[18:19]
	v_add_u32_e32 v1, v1, v33
	;; [unrolled: 4-line block ×4, first 2 shown]
	s_nop 1
	v_mov_b32_dpp v33, v1 row_bcast:15 row_mask:0xf bank_mask:0xf
	v_cndmask_b32_e64 v33, v33, 0, s[24:25]
	v_add_u32_e32 v1, v1, v33
	s_nop 1
	v_mov_b32_dpp v33, v1 row_bcast:31 row_mask:0xf bank_mask:0xf
	v_cndmask_b32_e64 v33, 0, v33, s[26:27]
	v_add_u32_e32 v1, v1, v33
	s_and_saveexec_b64 s[42:43], s[28:29]
	s_cbranch_execz .LBB202_85
; %bb.84:                               ;   in Loop: Header=BB202_67 Depth=1
	ds_write_b32 v38, v1
.LBB202_85:                             ;   in Loop: Header=BB202_67 Depth=1
	s_or_b64 exec, exec, s[42:43]
	s_waitcnt lgkmcnt(0)
	s_barrier
	s_and_saveexec_b64 s[42:43], s[30:31]
	s_cbranch_execz .LBB202_87
; %bb.86:                               ;   in Loop: Header=BB202_67 Depth=1
	ds_read_b32 v33, v88
	s_waitcnt lgkmcnt(0)
	s_nop 0
	v_mov_b32_dpp v65, v33 row_shr:1 row_mask:0xf bank_mask:0xf
	v_cndmask_b32_e64 v65, v65, 0, s[40:41]
	v_add_u32_e32 v33, v65, v33
	ds_write_b32 v88, v33
.LBB202_87:                             ;   in Loop: Header=BB202_67 Depth=1
	s_or_b64 exec, exec, s[42:43]
	v_mov_b32_e32 v33, 0
	s_waitcnt lgkmcnt(0)
	s_barrier
	s_and_saveexec_b64 s[42:43], s[34:35]
	s_cbranch_execz .LBB202_89
; %bb.88:                               ;   in Loop: Header=BB202_67 Depth=1
	ds_read_b32 v33, v52
.LBB202_89:                             ;   in Loop: Header=BB202_67 Depth=1
	s_or_b64 exec, exec, s[42:43]
	s_waitcnt lgkmcnt(0)
	v_add_u32_e32 v1, v33, v1
	ds_bpermute_b32 v1, v51, v1
	s_cmp_gt_u32 s50, 23
	s_waitcnt lgkmcnt(0)
	v_cndmask_b32_e64 v1, v1, v33, s[36:37]
	v_cndmask_b32_e64 v1, v1, 0, s[38:39]
	v_add_u32_e32 v2, v1, v2
	v_add_u32_e32 v3, v2, v3
	;; [unrolled: 1-line block ×3, first 2 shown]
	ds_write2_b32 v89, v1, v2 offset0:2 offset1:3
	ds_write2_b32 v49, v3, v0 offset0:2 offset1:3
	s_waitcnt lgkmcnt(0)
	s_barrier
	ds_read_b32 v0, v4
	ds_read_b32 v1, v7
	;; [unrolled: 1-line block ×8, first 2 shown]
	s_waitcnt lgkmcnt(7)
	v_add_u32_e32 v33, v0, v5
	s_waitcnt lgkmcnt(6)
	v_add3_u32 v64, v8, v6, v1
	s_waitcnt lgkmcnt(5)
	v_add3_u32 v65, v11, v9, v2
	;; [unrolled: 2-line block ×7, first 2 shown]
	s_cbranch_scc0 .LBB202_66
; %bb.90:
                                        ; implicit-def: $vgpr47
                                        ; implicit-def: $vgpr45
                                        ; implicit-def: $vgpr43
                                        ; implicit-def: $vgpr41
                                        ; implicit-def: $vgpr14_vgpr15
                                        ; implicit-def: $vgpr10_vgpr11
                                        ; implicit-def: $vgpr6_vgpr7
                                        ; implicit-def: $vgpr2_vgpr3
                                        ; implicit-def: $sgpr50
                                        ; implicit-def: $sgpr52
.LBB202_91:
	v_lshlrev_b32_e32 v0, 2, v33
	s_barrier
	ds_write_b32 v0, v62
	v_lshlrev_b32_e32 v0, 2, v64
	ds_write_b32 v0, v61
	v_lshlrev_b32_e32 v0, 2, v65
	;; [unrolled: 2-line block ×7, first 2 shown]
	v_lshlrev_b32_e32 v6, 2, v87
	ds_write_b32 v0, v55
	s_waitcnt lgkmcnt(0)
	s_barrier
	ds_read2_b32 v[0:1], v6 offset1:1
	ds_read2_b32 v[2:3], v6 offset0:2 offset1:3
	ds_read2_b32 v[4:5], v6 offset0:4 offset1:5
	;; [unrolled: 1-line block ×3, first 2 shown]
	v_bfrev_b32_e32 v38, -2
	v_lshlrev_b32_e32 v8, 3, v33
	v_lshlrev_b32_e32 v32, 3, v87
	s_waitcnt lgkmcnt(3)
	v_cmp_gt_i32_e32 vcc, 0, v1
	v_cndmask_b32_e64 v33, v38, 0, vcc
	v_cmp_gt_i32_e32 vcc, 0, v0
	v_lshlrev_b32_e32 v9, 3, v64
	v_lshlrev_b32_e32 v10, 3, v65
	;; [unrolled: 1-line block ×7, first 2 shown]
	v_cndmask_b32_e64 v40, v38, 0, vcc
	v_xor_b32_e32 v63, v33, v1
	s_waitcnt lgkmcnt(2)
	v_cmp_gt_i32_e32 vcc, 0, v3
	s_waitcnt lgkmcnt(0)
	s_barrier
	ds_write_b64 v8, v[30:31]
	ds_write_b64 v9, v[28:29]
	;; [unrolled: 1-line block ×8, first 2 shown]
	s_waitcnt lgkmcnt(0)
	s_barrier
	ds_read2_b64 v[18:21], v32 offset1:1
	ds_read2_b64 v[22:25], v32 offset0:2 offset1:3
	ds_read2_b64 v[26:29], v32 offset0:4 offset1:5
	;; [unrolled: 1-line block ×3, first 2 shown]
	v_xor_b32_e32 v62, v40, v0
	v_cndmask_b32_e64 v0, v38, 0, vcc
	v_cmp_gt_i32_e32 vcc, 0, v2
	v_cndmask_b32_e64 v1, v38, 0, vcc
	v_cmp_gt_i32_e32 vcc, 0, v5
	v_xor_b32_e32 v65, v0, v3
	v_cndmask_b32_e64 v0, v38, 0, vcc
	v_cmp_gt_i32_e32 vcc, 0, v4
	v_xor_b32_e32 v64, v1, v2
	;; [unrolled: 3-line block ×4, first 2 shown]
	v_cndmask_b32_e64 v0, v38, 0, vcc
	v_xor_b32_e32 v0, v0, v6
	v_xor_b32_e32 v1, v1, v7
.LBB202_92:
	s_waitcnt lgkmcnt(0)
	s_barrier
	ds_write2_b32 v78, v62, v63 offset1:1
	ds_write2_b32 v78, v64, v65 offset0:2 offset1:3
	ds_write2_b32 v78, v66, v67 offset0:4 offset1:5
	ds_write2_b32 v78, v0, v1 offset0:6 offset1:7
	s_waitcnt lgkmcnt(0)
	s_barrier
	ds_read_b32 v8, v35 offset:512
	ds_read_b32 v7, v72 offset:1024
	;; [unrolled: 1-line block ×7, first 2 shown]
	v_mov_b32_e32 v35, 0
	v_lshlrev_b64 v[0:1], 2, v[34:35]
	v_mov_b32_e32 v9, s44
	v_add_co_u32_e32 v0, vcc, s33, v0
	v_addc_co_u32_e32 v1, vcc, v9, v1, vcc
	s_and_saveexec_b64 s[16:17], s[0:1]
	s_cbranch_execnz .LBB202_111
; %bb.93:
	s_or_b64 exec, exec, s[16:17]
	s_and_saveexec_b64 s[16:17], s[2:3]
	s_cbranch_execnz .LBB202_112
.LBB202_94:
	s_or_b64 exec, exec, s[16:17]
	s_and_saveexec_b64 s[16:17], s[4:5]
	s_cbranch_execnz .LBB202_113
.LBB202_95:
	s_or_b64 exec, exec, s[16:17]
	s_and_saveexec_b64 s[16:17], s[6:7]
	s_cbranch_execnz .LBB202_114
.LBB202_96:
	s_or_b64 exec, exec, s[16:17]
	s_and_saveexec_b64 s[16:17], s[8:9]
	s_cbranch_execnz .LBB202_115
.LBB202_97:
	s_or_b64 exec, exec, s[16:17]
	s_and_saveexec_b64 s[16:17], s[10:11]
	s_cbranch_execnz .LBB202_116
.LBB202_98:
	s_or_b64 exec, exec, s[16:17]
	s_and_saveexec_b64 s[16:17], s[12:13]
	s_cbranch_execnz .LBB202_117
.LBB202_99:
	s_or_b64 exec, exec, s[16:17]
	s_and_saveexec_b64 s[16:17], s[14:15]
	s_cbranch_execz .LBB202_101
.LBB202_100:
	s_mul_i32 s18, s46, 0x380
	s_mov_b32 s19, 0
	s_lshl_b64 s[18:19], s[18:19], 2
	s_waitcnt lgkmcnt(1)
	v_mov_b32_e32 v3, s19
	v_add_co_u32_e32 v0, vcc, s18, v0
	v_addc_co_u32_e32 v1, vcc, v1, v3, vcc
	s_waitcnt lgkmcnt(0)
	global_store_dword v[0:1], v2, off
.LBB202_101:
	s_or_b64 exec, exec, s[16:17]
	s_waitcnt lgkmcnt(0)
	s_barrier
	ds_write2_b64 v86, v[18:19], v[20:21] offset1:1
	ds_write2_b64 v86, v[22:23], v[24:25] offset0:2 offset1:3
	ds_write2_b64 v86, v[26:27], v[28:29] offset0:4 offset1:5
	;; [unrolled: 1-line block ×3, first 2 shown]
	s_waitcnt lgkmcnt(0)
	s_barrier
	ds_read_b64 v[14:15], v37 offset:1024
	ds_read_b64 v[12:13], v80 offset:2048
	;; [unrolled: 1-line block ×7, first 2 shown]
	v_mov_b32_e32 v37, 0
	v_lshlrev_b64 v[2:3], 3, v[36:37]
	v_mov_b32_e32 v16, s47
	v_add_co_u32_e32 v2, vcc, s45, v2
	v_addc_co_u32_e32 v3, vcc, v16, v3, vcc
	s_and_saveexec_b64 s[16:17], s[0:1]
	s_cbranch_execnz .LBB202_118
; %bb.102:
	s_or_b64 exec, exec, s[16:17]
	s_and_saveexec_b64 s[0:1], s[2:3]
	s_cbranch_execnz .LBB202_119
.LBB202_103:
	s_or_b64 exec, exec, s[0:1]
	s_and_saveexec_b64 s[0:1], s[4:5]
	s_cbranch_execnz .LBB202_120
.LBB202_104:
	s_or_b64 exec, exec, s[0:1]
	s_and_saveexec_b64 s[0:1], s[6:7]
	s_cbranch_execnz .LBB202_121
.LBB202_105:
	s_or_b64 exec, exec, s[0:1]
	s_and_saveexec_b64 s[0:1], s[8:9]
	s_cbranch_execnz .LBB202_122
.LBB202_106:
	s_or_b64 exec, exec, s[0:1]
	s_and_saveexec_b64 s[0:1], s[10:11]
	s_cbranch_execnz .LBB202_123
.LBB202_107:
	s_or_b64 exec, exec, s[0:1]
	s_and_saveexec_b64 s[0:1], s[12:13]
	s_cbranch_execnz .LBB202_124
.LBB202_108:
	s_or_b64 exec, exec, s[0:1]
	s_and_saveexec_b64 s[0:1], s[14:15]
	s_cbranch_execz .LBB202_110
.LBB202_109:
	s_mul_i32 s0, s48, 0x380
	s_mov_b32 s1, 0
	s_lshl_b64 s[0:1], s[0:1], 3
	s_waitcnt lgkmcnt(1)
	v_mov_b32_e32 v4, s1
	v_add_co_u32_e32 v2, vcc, s0, v2
	v_addc_co_u32_e32 v3, vcc, v3, v4, vcc
	s_waitcnt lgkmcnt(0)
	global_store_dwordx2 v[2:3], v[0:1], off
.LBB202_110:
	s_endpgm
.LBB202_111:
	ds_read_b32 v9, v39
	s_waitcnt lgkmcnt(0)
	global_store_dword v[0:1], v9, off
	s_or_b64 exec, exec, s[16:17]
	s_and_saveexec_b64 s[16:17], s[2:3]
	s_cbranch_execz .LBB202_94
.LBB202_112:
	s_lshl_b32 s18, s46, 7
	s_mov_b32 s19, 0
	s_lshl_b64 s[18:19], s[18:19], 2
	v_mov_b32_e32 v9, s19
	v_add_co_u32_e32 v10, vcc, s18, v0
	v_addc_co_u32_e32 v11, vcc, v1, v9, vcc
	s_waitcnt lgkmcnt(6)
	global_store_dword v[10:11], v8, off
	s_or_b64 exec, exec, s[16:17]
	s_and_saveexec_b64 s[16:17], s[4:5]
	s_cbranch_execz .LBB202_95
.LBB202_113:
	s_lshl_b32 s18, s46, 8
	s_mov_b32 s19, 0
	s_lshl_b64 s[18:19], s[18:19], 2
	v_mov_b32_e32 v9, s19
	s_waitcnt lgkmcnt(6)
	v_add_co_u32_e32 v8, vcc, s18, v0
	v_addc_co_u32_e32 v9, vcc, v1, v9, vcc
	s_waitcnt lgkmcnt(5)
	global_store_dword v[8:9], v7, off
	s_or_b64 exec, exec, s[16:17]
	s_and_saveexec_b64 s[16:17], s[6:7]
	s_cbranch_execz .LBB202_96
.LBB202_114:
	s_mul_i32 s18, s46, 0x180
	s_mov_b32 s19, 0
	s_lshl_b64 s[18:19], s[18:19], 2
	s_waitcnt lgkmcnt(5)
	v_mov_b32_e32 v7, s19
	v_add_co_u32_e32 v8, vcc, s18, v0
	v_addc_co_u32_e32 v9, vcc, v1, v7, vcc
	s_waitcnt lgkmcnt(4)
	global_store_dword v[8:9], v6, off
	s_or_b64 exec, exec, s[16:17]
	s_and_saveexec_b64 s[16:17], s[8:9]
	s_cbranch_execz .LBB202_97
.LBB202_115:
	s_lshl_b32 s18, s46, 9
	s_mov_b32 s19, 0
	s_lshl_b64 s[18:19], s[18:19], 2
	s_waitcnt lgkmcnt(5)
	v_mov_b32_e32 v7, s19
	s_waitcnt lgkmcnt(4)
	v_add_co_u32_e32 v6, vcc, s18, v0
	v_addc_co_u32_e32 v7, vcc, v1, v7, vcc
	s_waitcnt lgkmcnt(3)
	global_store_dword v[6:7], v5, off
	s_or_b64 exec, exec, s[16:17]
	s_and_saveexec_b64 s[16:17], s[10:11]
	s_cbranch_execz .LBB202_98
.LBB202_116:
	s_mul_i32 s18, s46, 0x280
	s_mov_b32 s19, 0
	s_lshl_b64 s[18:19], s[18:19], 2
	s_waitcnt lgkmcnt(3)
	v_mov_b32_e32 v5, s19
	v_add_co_u32_e32 v6, vcc, s18, v0
	v_addc_co_u32_e32 v7, vcc, v1, v5, vcc
	s_waitcnt lgkmcnt(2)
	global_store_dword v[6:7], v4, off
	s_or_b64 exec, exec, s[16:17]
	s_and_saveexec_b64 s[16:17], s[12:13]
	s_cbranch_execz .LBB202_99
.LBB202_117:
	s_mul_i32 s18, s46, 0x300
	s_mov_b32 s19, 0
	s_lshl_b64 s[18:19], s[18:19], 2
	s_waitcnt lgkmcnt(3)
	v_mov_b32_e32 v5, s19
	s_waitcnt lgkmcnt(2)
	v_add_co_u32_e32 v4, vcc, s18, v0
	v_addc_co_u32_e32 v5, vcc, v1, v5, vcc
	s_waitcnt lgkmcnt(1)
	global_store_dword v[4:5], v3, off
	s_or_b64 exec, exec, s[16:17]
	s_and_saveexec_b64 s[16:17], s[14:15]
	s_cbranch_execnz .LBB202_100
	s_branch .LBB202_101
.LBB202_118:
	ds_read_b64 v[16:17], v79
	s_waitcnt lgkmcnt(0)
	global_store_dwordx2 v[2:3], v[16:17], off
	s_or_b64 exec, exec, s[16:17]
	s_and_saveexec_b64 s[0:1], s[2:3]
	s_cbranch_execz .LBB202_103
.LBB202_119:
	s_lshl_b32 s2, s48, 7
	s_mov_b32 s3, 0
	s_lshl_b64 s[2:3], s[2:3], 3
	v_mov_b32_e32 v17, s3
	v_add_co_u32_e32 v16, vcc, s2, v2
	v_addc_co_u32_e32 v17, vcc, v3, v17, vcc
	s_waitcnt lgkmcnt(6)
	global_store_dwordx2 v[16:17], v[14:15], off
	s_or_b64 exec, exec, s[0:1]
	s_and_saveexec_b64 s[0:1], s[4:5]
	s_cbranch_execz .LBB202_104
.LBB202_120:
	s_lshl_b32 s2, s48, 8
	s_mov_b32 s3, 0
	s_lshl_b64 s[2:3], s[2:3], 3
	s_waitcnt lgkmcnt(6)
	v_mov_b32_e32 v15, s3
	v_add_co_u32_e32 v14, vcc, s2, v2
	v_addc_co_u32_e32 v15, vcc, v3, v15, vcc
	s_waitcnt lgkmcnt(5)
	global_store_dwordx2 v[14:15], v[12:13], off
	s_or_b64 exec, exec, s[0:1]
	s_and_saveexec_b64 s[0:1], s[6:7]
	s_cbranch_execz .LBB202_105
.LBB202_121:
	s_mul_i32 s2, s48, 0x180
	s_mov_b32 s3, 0
	s_lshl_b64 s[2:3], s[2:3], 3
	s_waitcnt lgkmcnt(5)
	v_mov_b32_e32 v13, s3
	v_add_co_u32_e32 v12, vcc, s2, v2
	v_addc_co_u32_e32 v13, vcc, v3, v13, vcc
	s_waitcnt lgkmcnt(4)
	global_store_dwordx2 v[12:13], v[10:11], off
	s_or_b64 exec, exec, s[0:1]
	s_and_saveexec_b64 s[0:1], s[8:9]
	s_cbranch_execz .LBB202_106
.LBB202_122:
	s_lshl_b32 s2, s48, 9
	s_mov_b32 s3, 0
	s_lshl_b64 s[2:3], s[2:3], 3
	s_waitcnt lgkmcnt(4)
	v_mov_b32_e32 v11, s3
	v_add_co_u32_e32 v10, vcc, s2, v2
	v_addc_co_u32_e32 v11, vcc, v3, v11, vcc
	s_waitcnt lgkmcnt(3)
	global_store_dwordx2 v[10:11], v[8:9], off
	s_or_b64 exec, exec, s[0:1]
	s_and_saveexec_b64 s[0:1], s[10:11]
	s_cbranch_execz .LBB202_107
.LBB202_123:
	s_mul_i32 s2, s48, 0x280
	s_mov_b32 s3, 0
	s_lshl_b64 s[2:3], s[2:3], 3
	s_waitcnt lgkmcnt(3)
	v_mov_b32_e32 v9, s3
	v_add_co_u32_e32 v8, vcc, s2, v2
	v_addc_co_u32_e32 v9, vcc, v3, v9, vcc
	s_waitcnt lgkmcnt(2)
	global_store_dwordx2 v[8:9], v[6:7], off
	s_or_b64 exec, exec, s[0:1]
	s_and_saveexec_b64 s[0:1], s[12:13]
	s_cbranch_execz .LBB202_108
.LBB202_124:
	s_mul_i32 s2, s48, 0x300
	s_mov_b32 s3, 0
	s_lshl_b64 s[2:3], s[2:3], 3
	s_waitcnt lgkmcnt(2)
	v_mov_b32_e32 v7, s3
	v_add_co_u32_e32 v6, vcc, s2, v2
	v_addc_co_u32_e32 v7, vcc, v3, v7, vcc
	s_waitcnt lgkmcnt(1)
	global_store_dwordx2 v[6:7], v[4:5], off
	s_or_b64 exec, exec, s[0:1]
	s_and_saveexec_b64 s[0:1], s[14:15]
	s_cbranch_execnz .LBB202_109
	s_branch .LBB202_110
	.section	.rodata,"a",@progbits
	.p2align	6, 0x0
	.amdhsa_kernel _ZN2at6native18radixSortKVInPlaceILin2ELin1ELi128ELi8EfljEEvNS_4cuda6detail10TensorInfoIT3_T5_EES6_S6_S6_NS4_IT4_S6_EES6_b
		.amdhsa_group_segment_fixed_size 8448
		.amdhsa_private_segment_fixed_size 0
		.amdhsa_kernarg_size 712
		.amdhsa_user_sgpr_count 6
		.amdhsa_user_sgpr_private_segment_buffer 1
		.amdhsa_user_sgpr_dispatch_ptr 0
		.amdhsa_user_sgpr_queue_ptr 0
		.amdhsa_user_sgpr_kernarg_segment_ptr 1
		.amdhsa_user_sgpr_dispatch_id 0
		.amdhsa_user_sgpr_flat_scratch_init 0
		.amdhsa_user_sgpr_kernarg_preload_length 0
		.amdhsa_user_sgpr_kernarg_preload_offset 0
		.amdhsa_user_sgpr_private_segment_size 0
		.amdhsa_uses_dynamic_stack 0
		.amdhsa_system_sgpr_private_segment_wavefront_offset 0
		.amdhsa_system_sgpr_workgroup_id_x 1
		.amdhsa_system_sgpr_workgroup_id_y 1
		.amdhsa_system_sgpr_workgroup_id_z 1
		.amdhsa_system_sgpr_workgroup_info 0
		.amdhsa_system_vgpr_workitem_id 2
		.amdhsa_next_free_vgpr 118
		.amdhsa_next_free_sgpr 58
		.amdhsa_accum_offset 120
		.amdhsa_reserve_vcc 1
		.amdhsa_reserve_flat_scratch 0
		.amdhsa_float_round_mode_32 0
		.amdhsa_float_round_mode_16_64 0
		.amdhsa_float_denorm_mode_32 3
		.amdhsa_float_denorm_mode_16_64 3
		.amdhsa_dx10_clamp 1
		.amdhsa_ieee_mode 1
		.amdhsa_fp16_overflow 0
		.amdhsa_tg_split 0
		.amdhsa_exception_fp_ieee_invalid_op 0
		.amdhsa_exception_fp_denorm_src 0
		.amdhsa_exception_fp_ieee_div_zero 0
		.amdhsa_exception_fp_ieee_overflow 0
		.amdhsa_exception_fp_ieee_underflow 0
		.amdhsa_exception_fp_ieee_inexact 0
		.amdhsa_exception_int_div_zero 0
	.end_amdhsa_kernel
	.section	.text._ZN2at6native18radixSortKVInPlaceILin2ELin1ELi128ELi8EfljEEvNS_4cuda6detail10TensorInfoIT3_T5_EES6_S6_S6_NS4_IT4_S6_EES6_b,"axG",@progbits,_ZN2at6native18radixSortKVInPlaceILin2ELin1ELi128ELi8EfljEEvNS_4cuda6detail10TensorInfoIT3_T5_EES6_S6_S6_NS4_IT4_S6_EES6_b,comdat
.Lfunc_end202:
	.size	_ZN2at6native18radixSortKVInPlaceILin2ELin1ELi128ELi8EfljEEvNS_4cuda6detail10TensorInfoIT3_T5_EES6_S6_S6_NS4_IT4_S6_EES6_b, .Lfunc_end202-_ZN2at6native18radixSortKVInPlaceILin2ELin1ELi128ELi8EfljEEvNS_4cuda6detail10TensorInfoIT3_T5_EES6_S6_S6_NS4_IT4_S6_EES6_b
                                        ; -- End function
	.section	.AMDGPU.csdata,"",@progbits
; Kernel info:
; codeLenInByte = 13284
; NumSgprs: 62
; NumVgprs: 118
; NumAgprs: 0
; TotalNumVgprs: 118
; ScratchSize: 0
; MemoryBound: 0
; FloatMode: 240
; IeeeMode: 1
; LDSByteSize: 8448 bytes/workgroup (compile time only)
; SGPRBlocks: 7
; VGPRBlocks: 14
; NumSGPRsForWavesPerEU: 62
; NumVGPRsForWavesPerEU: 118
; AccumOffset: 120
; Occupancy: 4
; WaveLimiterHint : 1
; COMPUTE_PGM_RSRC2:SCRATCH_EN: 0
; COMPUTE_PGM_RSRC2:USER_SGPR: 6
; COMPUTE_PGM_RSRC2:TRAP_HANDLER: 0
; COMPUTE_PGM_RSRC2:TGID_X_EN: 1
; COMPUTE_PGM_RSRC2:TGID_Y_EN: 1
; COMPUTE_PGM_RSRC2:TGID_Z_EN: 1
; COMPUTE_PGM_RSRC2:TIDIG_COMP_CNT: 2
; COMPUTE_PGM_RSRC3_GFX90A:ACCUM_OFFSET: 29
; COMPUTE_PGM_RSRC3_GFX90A:TG_SPLIT: 0
	.section	.text._ZN2at6native18radixSortKVInPlaceILin2ELin1ELi32ELi4EfljEEvNS_4cuda6detail10TensorInfoIT3_T5_EES6_S6_S6_NS4_IT4_S6_EES6_b,"axG",@progbits,_ZN2at6native18radixSortKVInPlaceILin2ELin1ELi32ELi4EfljEEvNS_4cuda6detail10TensorInfoIT3_T5_EES6_S6_S6_NS4_IT4_S6_EES6_b,comdat
	.protected	_ZN2at6native18radixSortKVInPlaceILin2ELin1ELi32ELi4EfljEEvNS_4cuda6detail10TensorInfoIT3_T5_EES6_S6_S6_NS4_IT4_S6_EES6_b ; -- Begin function _ZN2at6native18radixSortKVInPlaceILin2ELin1ELi32ELi4EfljEEvNS_4cuda6detail10TensorInfoIT3_T5_EES6_S6_S6_NS4_IT4_S6_EES6_b
	.globl	_ZN2at6native18radixSortKVInPlaceILin2ELin1ELi32ELi4EfljEEvNS_4cuda6detail10TensorInfoIT3_T5_EES6_S6_S6_NS4_IT4_S6_EES6_b
	.p2align	8
	.type	_ZN2at6native18radixSortKVInPlaceILin2ELin1ELi32ELi4EfljEEvNS_4cuda6detail10TensorInfoIT3_T5_EES6_S6_S6_NS4_IT4_S6_EES6_b,@function
_ZN2at6native18radixSortKVInPlaceILin2ELin1ELi32ELi4EfljEEvNS_4cuda6detail10TensorInfoIT3_T5_EES6_S6_S6_NS4_IT4_S6_EES6_b: ; @_ZN2at6native18radixSortKVInPlaceILin2ELin1ELi32ELi4EfljEEvNS_4cuda6detail10TensorInfoIT3_T5_EES6_S6_S6_NS4_IT4_S6_EES6_b
; %bb.0:
	s_load_dwordx2 s[0:1], s[4:5], 0x1c8
	s_load_dwordx4 s[24:27], s[4:5], 0xd8
	s_waitcnt lgkmcnt(0)
	s_mul_i32 s1, s1, s8
	s_add_i32 s1, s1, s7
	s_mul_i32 s8, s1, s0
	s_add_i32 s8, s8, s6
	s_cmp_ge_u32 s8, s24
	s_cbranch_scc1 .LBB203_60
; %bb.1:
	s_load_dword s2, s[4:5], 0x1b8
	s_load_dwordx2 s[0:1], s[4:5], 0x0
	s_add_u32 s6, s4, 0xe8
	s_addc_u32 s7, s5, 0
	s_mov_b32 s11, 0
	s_waitcnt lgkmcnt(0)
	s_cmp_lt_i32 s2, 2
	s_mov_b32 s10, s8
	s_cbranch_scc1 .LBB203_4
; %bb.2:
	s_add_i32 s10, s2, -1
	s_add_i32 s9, s2, 1
	s_lshl_b64 s[2:3], s[10:11], 2
	s_add_u32 s2, s2, s6
	s_addc_u32 s3, s3, s7
	s_add_u32 s2, s2, 8
	s_addc_u32 s3, s3, 0
	s_mov_b32 s10, s8
.LBB203_3:                              ; =>This Inner Loop Header: Depth=1
	s_load_dword s12, s[2:3], 0x0
	s_load_dword s14, s[2:3], 0x64
	s_mov_b32 s13, s10
	s_waitcnt lgkmcnt(0)
	v_cvt_f32_u32_e32 v1, s12
	s_sub_i32 s10, 0, s12
	v_rcp_iflag_f32_e32 v1, v1
	v_mul_f32_e32 v1, 0x4f7ffffe, v1
	v_cvt_u32_f32_e32 v1, v1
	v_readfirstlane_b32 s15, v1
	s_mul_i32 s10, s10, s15
	s_mul_hi_u32 s10, s15, s10
	s_add_i32 s15, s15, s10
	s_mul_hi_u32 s10, s13, s15
	s_mul_i32 s15, s10, s12
	s_sub_i32 s15, s13, s15
	s_add_i32 s16, s10, 1
	s_sub_i32 s17, s15, s12
	s_cmp_ge_u32 s15, s12
	s_cselect_b32 s10, s16, s10
	s_cselect_b32 s15, s17, s15
	s_add_i32 s16, s10, 1
	s_cmp_ge_u32 s15, s12
	s_cselect_b32 s10, s16, s10
	s_mul_i32 s12, s10, s12
	s_sub_i32 s12, s13, s12
	s_mul_i32 s12, s14, s12
	s_add_i32 s9, s9, -1
	s_add_i32 s11, s12, s11
	s_add_u32 s2, s2, -4
	s_addc_u32 s3, s3, -1
	s_cmp_gt_u32 s9, 2
	s_cbranch_scc1 .LBB203_3
.LBB203_4:
	s_load_dword s2, s[4:5], 0x6c
	s_load_dwordx2 s[28:29], s[4:5], 0x1c0
	s_mov_b32 s3, 0
	v_bfrev_b32_e32 v1, -2
	v_mul_lo_u32 v22, v0, s26
	s_waitcnt lgkmcnt(0)
	s_mul_i32 s2, s2, s8
	s_bitcmp1_b32 s29, 0
	s_cselect_b64 s[8:9], -1, 0
	s_lshl_b64 s[2:3], s[2:3], 2
	s_add_u32 s27, s0, s2
	v_cndmask_b32_e64 v5, v1, -1, s[8:9]
	s_addc_u32 s29, s1, s3
	v_mov_b32_e32 v2, v5
	v_mov_b32_e32 v3, v5
	v_cmp_gt_u32_e64 s[0:1], s25, v0
	v_mov_b32_e32 v4, v5
	s_and_saveexec_b64 s[2:3], s[0:1]
	s_cbranch_execz .LBB203_6
; %bb.5:
	v_mov_b32_e32 v23, 0
	v_lshlrev_b64 v[6:7], 2, v[22:23]
	v_mov_b32_e32 v1, s29
	v_add_co_u32_e32 v6, vcc, s27, v6
	v_addc_co_u32_e32 v7, vcc, v1, v7, vcc
	global_load_dword v4, v[6:7], off
.LBB203_6:
	s_or_b64 exec, exec, s[2:3]
	v_or_b32_e32 v1, 32, v0
	v_cmp_gt_u32_e64 s[2:3], s25, v1
	s_and_saveexec_b64 s[4:5], s[2:3]
	s_cbranch_execz .LBB203_8
; %bb.7:
	v_mul_lo_u32 v6, v1, s26
	v_mov_b32_e32 v7, 0
	v_lshlrev_b64 v[6:7], 2, v[6:7]
	v_mov_b32_e32 v5, s29
	v_add_co_u32_e32 v6, vcc, s27, v6
	v_addc_co_u32_e32 v7, vcc, v5, v7, vcc
	global_load_dword v5, v[6:7], off
.LBB203_8:
	s_or_b64 exec, exec, s[4:5]
	s_load_dwordx2 s[12:13], s[6:7], 0x0
	v_or_b32_e32 v11, 64, v0
	v_cmp_gt_u32_e64 s[4:5], s25, v11
	s_and_saveexec_b64 s[14:15], s[4:5]
	s_cbranch_execz .LBB203_10
; %bb.9:
	v_mul_lo_u32 v6, v11, s26
	v_mov_b32_e32 v7, 0
	v_lshlrev_b64 v[6:7], 2, v[6:7]
	v_mov_b32_e32 v2, s29
	v_add_co_u32_e32 v6, vcc, s27, v6
	v_addc_co_u32_e32 v7, vcc, v2, v7, vcc
	global_load_dword v2, v[6:7], off
.LBB203_10:
	s_or_b64 exec, exec, s[14:15]
	s_load_dword s16, s[6:7], 0x6c
	v_or_b32_e32 v10, 0x60, v0
	v_cmp_gt_u32_e64 s[6:7], s25, v10
	s_and_saveexec_b64 s[14:15], s[6:7]
	s_cbranch_execz .LBB203_12
; %bb.11:
	v_mul_lo_u32 v6, v10, s26
	v_mov_b32_e32 v7, 0
	v_lshlrev_b64 v[6:7], 2, v[6:7]
	v_mov_b32_e32 v3, s29
	v_add_co_u32_e32 v6, vcc, s27, v6
	v_addc_co_u32_e32 v7, vcc, v3, v7, vcc
	global_load_dword v3, v[6:7], off
.LBB203_12:
	s_or_b64 exec, exec, s[14:15]
	v_lshlrev_b32_e32 v38, 2, v0
	s_waitcnt vmcnt(0)
	ds_write_b32 v38, v4
	v_lshrrev_b32_e32 v4, 5, v1
	v_add_u32_e32 v15, v4, v0
	v_lshrrev_b32_e32 v4, 5, v11
	v_add_u32_e32 v13, v4, v0
	v_lshlrev_b32_e32 v23, 2, v15
	v_lshlrev_b32_e32 v39, 2, v13
	ds_write_b32 v23, v5 offset:128
	ds_write_b32 v39, v2 offset:256
	v_lshrrev_b32_e32 v2, 5, v10
	v_add_u32_e32 v12, v2, v0
	v_lshrrev_b32_e32 v2, 3, v0
	v_or_b32_e32 v14, v2, v38
	v_lshlrev_b32_e32 v40, 2, v12
	v_lshlrev_b32_e32 v41, 2, v14
	s_waitcnt lgkmcnt(0)
	s_mul_i32 s10, s16, s10
	ds_write_b32 v40, v3 offset:384
	s_waitcnt lgkmcnt(0)
	; wave barrier
	s_waitcnt lgkmcnt(0)
	ds_read2_b32 v[28:29], v41 offset1:1
	ds_read2_b32 v[26:27], v41 offset0:2 offset1:3
	s_add_i32 s16, s10, s11
	s_mov_b32 s17, 0
	s_lshl_b64 s[10:11], s[16:17], 3
	s_mov_b32 s16, s17
	s_add_u32 s33, s12, s10
	s_mov_b32 s18, s17
	s_mov_b32 s19, s17
	;; [unrolled: 1-line block ×6, first 2 shown]
	v_pk_mov_b32 v[2:3], s[16:17], s[16:17] op_sel:[0,1]
	s_addc_u32 s38, s13, s11
	v_pk_mov_b32 v[4:5], s[18:19], s[18:19] op_sel:[0,1]
	v_pk_mov_b32 v[6:7], s[20:21], s[20:21] op_sel:[0,1]
	;; [unrolled: 1-line block ×3, first 2 shown]
	v_pk_mov_b32 v[2:3], 0, 0
	v_mul_lo_u32 v24, v0, s28
	s_waitcnt lgkmcnt(0)
	; wave barrier
	s_waitcnt lgkmcnt(0)
	s_and_saveexec_b64 s[10:11], s[0:1]
	s_cbranch_execnz .LBB203_32
; %bb.13:
	s_or_b64 exec, exec, s[10:11]
	s_and_saveexec_b64 s[10:11], s[2:3]
	s_cbranch_execnz .LBB203_33
.LBB203_14:
	s_or_b64 exec, exec, s[10:11]
	s_and_saveexec_b64 s[10:11], s[4:5]
	s_cbranch_execnz .LBB203_34
.LBB203_15:
	s_or_b64 exec, exec, s[10:11]
	s_xor_b64 s[24:25], s[8:9], -1
	s_and_saveexec_b64 s[8:9], s[6:7]
	s_cbranch_execz .LBB203_17
.LBB203_16:
	v_mul_lo_u32 v8, v10, s28
	v_mov_b32_e32 v9, 0
	v_lshlrev_b64 v[8:9], 3, v[8:9]
	v_mov_b32_e32 v10, s38
	v_add_co_u32_e32 v8, vcc, s33, v8
	v_addc_co_u32_e32 v9, vcc, v10, v9, vcc
	global_load_dwordx2 v[8:9], v[8:9], off
.LBB203_17:
	s_or_b64 exec, exec, s[8:9]
	v_mbcnt_lo_u32_b32 v10, -1, 0
	v_mbcnt_hi_u32_b32 v10, -1, v10
	v_lshlrev_b32_e32 v42, 3, v0
	v_lshlrev_b32_e32 v25, 3, v15
	;; [unrolled: 1-line block ×5, first 2 shown]
	s_getpc_b64 s[8:9]
	s_add_u32 s8, s8, _ZN7rocprim17ROCPRIM_400000_NS16block_radix_sortIfLj32ELj4ElLj1ELj1ELj0ELNS0_26block_radix_rank_algorithmE1ELNS0_18block_padding_hintE2ELNS0_4arch9wavefront6targetE1EE19radix_bits_per_passE@rel32@lo+4
	s_addc_u32 s9, s9, _ZN7rocprim17ROCPRIM_400000_NS16block_radix_sortIfLj32ELj4ElLj1ELj1ELj0ELNS0_26block_radix_rank_algorithmE1ELNS0_18block_padding_hintE2ELNS0_4arch9wavefront6targetE1EE19radix_bits_per_passE@rel32@hi+12
	v_and_b32_e32 v11, 15, v10
	s_waitcnt vmcnt(0)
	ds_write_b64 v42, v[2:3]
	ds_write_b64 v25, v[4:5] offset:256
	ds_write_b64 v43, v[6:7] offset:512
	;; [unrolled: 1-line block ×3, first 2 shown]
	s_waitcnt lgkmcnt(0)
	; wave barrier
	s_waitcnt lgkmcnt(0)
	ds_read2_b64 v[2:5], v45 offset1:1
	ds_read2_b64 v[6:9], v45 offset0:2 offset1:3
	s_load_dword s39, s[8:9], 0x0
	v_cmp_eq_u32_e64 s[10:11], 0, v11
	v_cmp_lt_u32_e64 s[12:13], 1, v11
	v_cmp_lt_u32_e64 s[14:15], 3, v11
	;; [unrolled: 1-line block ×3, first 2 shown]
	v_and_b32_e32 v11, 16, v10
	v_cmp_eq_u32_e64 s[18:19], 0, v11
	v_add_u32_e32 v11, -1, v10
	v_and_b32_e32 v12, 0x60, v10
	v_cmp_lt_i32_e32 vcc, v11, v12
	s_movk_i32 s8, 0x100
	v_cndmask_b32_e32 v11, v11, v10, vcc
	v_cmp_gt_u32_e64 s[8:9], s8, v0
	v_lshlrev_b32_e32 v48, 5, v0
	s_mov_b32 s40, 0
	v_cmp_eq_u32_e64 s[20:21], 31, v0
	v_lshlrev_b32_e32 v49, 2, v11
	v_cmp_eq_u32_e64 s[22:23], 0, v10
	v_lshlrev_b32_e32 v47, 2, v38
	v_lshlrev_b32_e32 v46, 3, v38
	s_and_b64 vcc, exec, s[24:25]
	v_add_u32_e64 v50, 7, 2
	s_waitcnt lgkmcnt(0)
	; wave barrier
	s_waitcnt lgkmcnt(0)
	s_cbranch_vccz .LBB203_35
; %bb.18:
	v_bfrev_b32_e32 v51, 1
	v_cmp_lt_i32_e32 vcc, -1, v28
	v_cndmask_b32_e32 v10, -1, v51, vcc
	v_cmp_lt_i32_e32 vcc, -1, v29
	v_xor_b32_e32 v34, v10, v28
	v_cndmask_b32_e32 v10, -1, v51, vcc
	v_cmp_lt_i32_e32 vcc, -1, v26
	v_xor_b32_e32 v35, v10, v29
	;; [unrolled: 3-line block ×3, first 2 shown]
	v_cndmask_b32_e32 v10, -1, v51, vcc
	v_xor_b32_e32 v37, v10, v27
	v_and_b32_e32 v52, 14, v50
	v_mov_b32_e32 v53, 0
	s_brev_b32 s41, -2
	s_movk_i32 s42, 0xe0
	v_pk_mov_b32 v[10:11], v[2:3], v[2:3] op_sel:[0,1]
	v_pk_mov_b32 v[12:13], v[4:5], v[4:5] op_sel:[0,1]
	v_pk_mov_b32 v[14:15], v[6:7], v[6:7] op_sel:[0,1]
	v_pk_mov_b32 v[16:17], v[8:9], v[8:9] op_sel:[0,1]
	s_branch .LBB203_20
.LBB203_19:                             ;   in Loop: Header=BB203_20 Depth=1
	v_lshlrev_b32_e32 v10, 2, v58
	s_waitcnt lgkmcnt(0)
	; wave barrier
	ds_write_b32 v10, v57
	v_lshlrev_b32_e32 v10, 2, v59
	ds_write_b32 v10, v56
	v_lshlrev_b32_e32 v10, 2, v60
	;; [unrolled: 2-line block ×4, first 2 shown]
	s_waitcnt lgkmcnt(0)
	; wave barrier
	s_waitcnt lgkmcnt(0)
	ds_read2_b32 v[34:35], v47 offset1:1
	ds_read2_b32 v[36:37], v47 offset0:2 offset1:3
	s_waitcnt lgkmcnt(0)
	; wave barrier
	s_waitcnt lgkmcnt(0)
	ds_write_b64 v10, v[32:33]
	v_lshlrev_b32_e32 v10, 3, v59
	ds_write_b64 v10, v[30:31]
	v_lshlrev_b32_e32 v10, 3, v60
	;; [unrolled: 2-line block ×3, first 2 shown]
	ds_write_b64 v10, v[18:19]
	s_waitcnt lgkmcnt(0)
	; wave barrier
	s_waitcnt lgkmcnt(0)
	ds_read2_b64 v[10:13], v46 offset1:1
	ds_read2_b64 v[14:17], v46 offset0:2 offset1:3
	s_add_i32 s40, s40, 4
	s_waitcnt lgkmcnt(0)
	; wave barrier
	s_waitcnt lgkmcnt(0)
	s_cbranch_execz .LBB203_31
.LBB203_20:                             ; =>This Loop Header: Depth=1
                                        ;     Child Loop BB203_23 Depth 2
	v_mov_b32_e32 v54, v37
	v_mov_b32_e32 v55, v36
	;; [unrolled: 1-line block ×4, first 2 shown]
	v_pk_mov_b32 v[18:19], v[16:17], v[16:17] op_sel:[0,1]
	v_pk_mov_b32 v[20:21], v[14:15], v[14:15] op_sel:[0,1]
	;; [unrolled: 1-line block ×4, first 2 shown]
	s_and_saveexec_b64 s[24:25], s[8:9]
	s_cbranch_execz .LBB203_27
; %bb.21:                               ;   in Loop: Header=BB203_20 Depth=1
	s_mov_b32 s43, 0
	s_mov_b64 s[30:31], 0
	v_pk_mov_b32 v[10:11], v[0:1], v[0:1] op_sel:[0,1]
	s_branch .LBB203_23
.LBB203_22:                             ;   in Loop: Header=BB203_23 Depth=2
	s_or_b64 exec, exec, s[36:37]
	s_add_i32 s43, s43, 2
	v_cmp_eq_u32_e32 vcc, s43, v52
	v_add_u32_e32 v11, 64, v11
	s_or_b64 s[30:31], vcc, s[30:31]
	v_add_u32_e32 v10, 64, v10
	s_andn2_b64 exec, exec, s[30:31]
	s_cbranch_execz .LBB203_27
.LBB203_23:                             ;   Parent Loop BB203_20 Depth=1
                                        ; =>  This Inner Loop Header: Depth=2
	s_or_b32 s34, s43, 1
	v_cmp_le_u32_e64 s[34:35], s34, 7
	v_cmp_le_u32_e64 s[44:45], s43, 7
	s_and_saveexec_b64 s[36:37], s[44:45]
	s_cbranch_execz .LBB203_25
; %bb.24:                               ;   in Loop: Header=BB203_23 Depth=2
	v_lshlrev_b32_e32 v12, 2, v10
	ds_write_b32 v12, v53
.LBB203_25:                             ;   in Loop: Header=BB203_23 Depth=2
	s_or_b64 exec, exec, s[36:37]
	s_and_saveexec_b64 s[36:37], s[34:35]
	s_cbranch_execz .LBB203_22
; %bb.26:                               ;   in Loop: Header=BB203_23 Depth=2
	v_lshlrev_b32_e32 v12, 2, v11
	ds_write_b32 v12, v53
	s_branch .LBB203_22
.LBB203_27:                             ;   in Loop: Header=BB203_20 Depth=1
	s_or_b64 exec, exec, s[24:25]
	s_sub_i32 s24, 32, s40
	s_min_u32 s24, s39, s24
	v_cmp_ne_u32_e32 vcc, s41, v57
	s_lshl_b32 s24, -1, s24
	v_cndmask_b32_e32 v10, v51, v57, vcc
	s_not_b32 s24, s24
	v_lshrrev_b32_e32 v10, s40, v10
	v_and_b32_e32 v10, s24, v10
	v_lshrrev_b32_e32 v11, 3, v10
	v_lshlrev_b32_e32 v10, 5, v10
	v_and_or_b32 v10, v10, s42, v0
	v_lshlrev_b32_e32 v10, 1, v10
	v_add_lshl_u32 v35, v10, v11, 1
	ds_read_u16 v34, v35
	v_cmp_ne_u32_e32 vcc, s41, v56
	s_waitcnt lgkmcnt(0)
	v_add_u16_e32 v10, 1, v34
	ds_write_b16 v35, v10
	v_cndmask_b32_e32 v10, v51, v56, vcc
	v_lshrrev_b32_e32 v10, s40, v10
	v_and_b32_e32 v10, s24, v10
	v_lshrrev_b32_e32 v11, 3, v10
	v_lshlrev_b32_e32 v10, 5, v10
	v_and_or_b32 v10, v10, s42, v0
	v_lshlrev_b32_e32 v10, 1, v10
	v_add_lshl_u32 v37, v10, v11, 1
	ds_read_u16 v36, v37
	v_cmp_ne_u32_e32 vcc, s41, v55
	s_waitcnt lgkmcnt(0)
	v_add_u16_e32 v10, 1, v36
	ds_write_b16 v37, v10
	v_cndmask_b32_e32 v10, v51, v55, vcc
	;; [unrolled: 13-line block ×3, first 2 shown]
	v_lshrrev_b32_e32 v10, s40, v10
	v_and_b32_e32 v10, s24, v10
	v_lshrrev_b32_e32 v11, 3, v10
	v_lshlrev_b32_e32 v10, 5, v10
	v_and_or_b32 v10, v10, s42, v0
	v_lshlrev_b32_e32 v10, 1, v10
	v_add_lshl_u32 v59, v10, v11, 1
	ds_read_u16 v61, v59
	s_waitcnt lgkmcnt(0)
	v_add_u16_e32 v10, 1, v61
	ds_write_b16 v59, v10
	s_waitcnt lgkmcnt(0)
	; wave barrier
	s_waitcnt lgkmcnt(0)
	ds_read2_b32 v[16:17], v48 offset1:1
	ds_read2_b32 v[14:15], v48 offset0:2 offset1:3
	ds_read2_b32 v[10:11], v48 offset0:4 offset1:5
	;; [unrolled: 1-line block ×3, first 2 shown]
	s_waitcnt lgkmcnt(3)
	v_add_u32_e32 v62, v17, v16
	s_waitcnt lgkmcnt(2)
	v_add3_u32 v62, v62, v14, v15
	s_waitcnt lgkmcnt(1)
	v_add3_u32 v62, v62, v10, v11
	s_waitcnt lgkmcnt(0)
	v_add3_u32 v13, v62, v12, v13
	s_nop 1
	v_mov_b32_dpp v62, v13 row_shr:1 row_mask:0xf bank_mask:0xf
	v_cndmask_b32_e64 v62, v62, 0, s[10:11]
	v_add_u32_e32 v13, v62, v13
	s_nop 1
	v_mov_b32_dpp v62, v13 row_shr:2 row_mask:0xf bank_mask:0xf
	v_cndmask_b32_e64 v62, 0, v62, s[12:13]
	v_add_u32_e32 v13, v13, v62
	;; [unrolled: 4-line block ×4, first 2 shown]
	s_nop 1
	v_mov_b32_dpp v62, v13 row_bcast:15 row_mask:0xf bank_mask:0xf
	v_cndmask_b32_e64 v62, v62, 0, s[18:19]
	v_add_u32_e32 v13, v13, v62
	s_and_saveexec_b64 s[24:25], s[20:21]
	s_cbranch_execz .LBB203_29
; %bb.28:                               ;   in Loop: Header=BB203_20 Depth=1
	ds_write_b32 v53, v13 offset:1024
.LBB203_29:                             ;   in Loop: Header=BB203_20 Depth=1
	s_or_b64 exec, exec, s[24:25]
	ds_bpermute_b32 v13, v49, v13
	s_waitcnt lgkmcnt(0)
	; wave barrier
	s_waitcnt lgkmcnt(0)
	ds_read_b32 v62, v53 offset:1024
	s_cmp_gt_u32 s40, 27
	v_cndmask_b32_e64 v13, v13, 0, s[22:23]
	s_waitcnt lgkmcnt(0)
	v_lshl_add_u32 v13, v62, 16, v13
	v_add_u32_e32 v16, v13, v16
	v_add_u32_e32 v17, v16, v17
	ds_write2_b32 v48, v13, v16 offset1:1
	v_add_u32_e32 v13, v17, v14
	v_add_u32_e32 v14, v13, v15
	;; [unrolled: 1-line block ×5, first 2 shown]
	ds_write2_b32 v48, v17, v13 offset0:2 offset1:3
	ds_write2_b32 v48, v14, v10 offset0:4 offset1:5
	ds_write2_b32 v48, v11, v12 offset0:6 offset1:7
	s_waitcnt lgkmcnt(0)
	; wave barrier
	s_waitcnt lgkmcnt(0)
	ds_read_u16 v10, v35
	ds_read_u16 v11, v37
	;; [unrolled: 1-line block ×4, first 2 shown]
	s_waitcnt lgkmcnt(3)
	v_add_u32_sdwa v58, v10, v34 dst_sel:DWORD dst_unused:UNUSED_PAD src0_sel:DWORD src1_sel:WORD_0
	s_waitcnt lgkmcnt(2)
	v_add_u32_sdwa v59, v11, v36 dst_sel:DWORD dst_unused:UNUSED_PAD src0_sel:DWORD src1_sel:WORD_0
	;; [unrolled: 2-line block ×4, first 2 shown]
	s_cbranch_scc0 .LBB203_19
; %bb.30:
                                        ; implicit-def: $vgpr37
                                        ; implicit-def: $vgpr35
                                        ; implicit-def: $vgpr16_vgpr17
                                        ; implicit-def: $vgpr12_vgpr13
                                        ; implicit-def: $sgpr40
.LBB203_31:
	v_lshlrev_b32_e32 v10, 2, v58
	s_waitcnt lgkmcnt(0)
	; wave barrier
	ds_write_b32 v10, v57
	v_lshlrev_b32_e32 v10, 2, v59
	ds_write_b32 v10, v56
	v_lshlrev_b32_e32 v10, 2, v60
	;; [unrolled: 2-line block ×3, first 2 shown]
	ds_write_b32 v10, v54
	s_waitcnt lgkmcnt(0)
	; wave barrier
	s_waitcnt lgkmcnt(0)
	ds_read2_b32 v[34:35], v47 offset1:1
	ds_read2_b32 v[36:37], v47 offset0:2 offset1:3
	v_lshlrev_b32_e32 v10, 3, v58
	v_lshlrev_b32_e32 v11, 3, v59
	;; [unrolled: 1-line block ×4, first 2 shown]
	s_waitcnt lgkmcnt(0)
	; wave barrier
	s_waitcnt lgkmcnt(0)
	ds_write_b64 v10, v[32:33]
	ds_write_b64 v11, v[30:31]
	;; [unrolled: 1-line block ×4, first 2 shown]
	s_waitcnt lgkmcnt(0)
	; wave barrier
	s_waitcnt lgkmcnt(0)
	ds_read2_b64 v[10:13], v46 offset1:1
	ds_read2_b64 v[14:17], v46 offset0:2 offset1:3
	v_bfrev_b32_e32 v18, 1
	v_cmp_lt_i32_e32 vcc, -1, v34
	v_cndmask_b32_e64 v30, v18, -1, vcc
	v_cmp_lt_i32_e32 vcc, -1, v35
	v_cndmask_b32_e64 v19, v18, -1, vcc
	v_cmp_lt_i32_e32 vcc, -1, v36
	v_cndmask_b32_e64 v20, v18, -1, vcc
	v_cmp_lt_i32_e32 vcc, -1, v37
	v_cndmask_b32_e64 v18, v18, -1, vcc
	v_xor_b32_e32 v21, v18, v37
	v_xor_b32_e32 v20, v20, v36
	v_xor_b32_e32 v19, v19, v35
	v_xor_b32_e32 v18, v30, v34
	s_branch .LBB203_50
.LBB203_32:
	v_mov_b32_e32 v25, 0
	v_lshlrev_b64 v[2:3], 3, v[24:25]
	v_mov_b32_e32 v4, s38
	v_add_co_u32_e32 v2, vcc, s33, v2
	v_addc_co_u32_e32 v3, vcc, v4, v3, vcc
	global_load_dwordx2 v[2:3], v[2:3], off
	v_mov_b32_e32 v4, v25
	v_mov_b32_e32 v5, v25
	;; [unrolled: 1-line block ×6, first 2 shown]
	s_or_b64 exec, exec, s[10:11]
	s_and_saveexec_b64 s[10:11], s[2:3]
	s_cbranch_execz .LBB203_14
.LBB203_33:
	v_mul_lo_u32 v4, v1, s28
	v_mov_b32_e32 v5, 0
	v_lshlrev_b64 v[4:5], 3, v[4:5]
	v_mov_b32_e32 v16, s38
	v_add_co_u32_e32 v4, vcc, s33, v4
	v_addc_co_u32_e32 v5, vcc, v16, v5, vcc
	global_load_dwordx2 v[4:5], v[4:5], off
	s_or_b64 exec, exec, s[10:11]
	s_and_saveexec_b64 s[10:11], s[4:5]
	s_cbranch_execz .LBB203_15
.LBB203_34:
	v_mul_lo_u32 v6, v11, s28
	v_mov_b32_e32 v7, 0
	v_lshlrev_b64 v[6:7], 3, v[6:7]
	v_mov_b32_e32 v11, s38
	v_add_co_u32_e32 v6, vcc, s33, v6
	v_addc_co_u32_e32 v7, vcc, v11, v7, vcc
	global_load_dwordx2 v[6:7], v[6:7], off
	s_or_b64 exec, exec, s[10:11]
	s_xor_b64 s[24:25], s[8:9], -1
	s_and_saveexec_b64 s[8:9], s[6:7]
	s_cbranch_execnz .LBB203_16
	s_branch .LBB203_17
.LBB203_35:
                                        ; implicit-def: $vgpr16_vgpr17
                                        ; implicit-def: $vgpr12_vgpr13
                                        ; implicit-def: $vgpr18_vgpr19_vgpr20_vgpr21
	s_cbranch_execz .LBB203_50
; %bb.36:
	v_bfrev_b32_e32 v30, -2
	v_cmp_gt_i32_e32 vcc, 0, v28
	s_waitcnt lgkmcnt(1)
	v_cndmask_b32_e64 v10, v30, 0, vcc
	v_cmp_gt_i32_e32 vcc, 0, v29
	v_xor_b32_e32 v18, v10, v28
	v_cndmask_b32_e64 v10, v30, 0, vcc
	v_cmp_gt_i32_e32 vcc, 0, v26
	v_xor_b32_e32 v19, v10, v29
	;; [unrolled: 3-line block ×3, first 2 shown]
	v_cndmask_b32_e64 v10, v30, 0, vcc
	s_mov_b32 s40, 0
	v_xor_b32_e32 v21, v10, v27
	v_and_b32_e32 v26, 14, v50
	v_mov_b32_e32 v27, 0
	s_brev_b32 s41, 1
	s_movk_i32 s42, 0xe0
	s_branch .LBB203_38
.LBB203_37:                             ;   in Loop: Header=BB203_38 Depth=1
	v_lshlrev_b32_e32 v2, 2, v33
	s_waitcnt lgkmcnt(0)
	; wave barrier
	ds_write_b32 v2, v32
	v_lshlrev_b32_e32 v2, 2, v34
	ds_write_b32 v2, v31
	v_lshlrev_b32_e32 v2, 2, v35
	;; [unrolled: 2-line block ×4, first 2 shown]
	s_waitcnt lgkmcnt(0)
	; wave barrier
	s_waitcnt lgkmcnt(0)
	ds_read2_b32 v[18:19], v47 offset1:1
	ds_read2_b32 v[20:21], v47 offset0:2 offset1:3
	s_waitcnt lgkmcnt(0)
	; wave barrier
	s_waitcnt lgkmcnt(0)
	ds_write_b64 v2, v[16:17]
	v_lshlrev_b32_e32 v2, 3, v34
	ds_write_b64 v2, v[14:15]
	v_lshlrev_b32_e32 v2, 3, v35
	;; [unrolled: 2-line block ×3, first 2 shown]
	ds_write_b64 v2, v[10:11]
	s_waitcnt lgkmcnt(0)
	; wave barrier
	s_waitcnt lgkmcnt(0)
	ds_read2_b64 v[2:5], v46 offset1:1
	ds_read2_b64 v[6:9], v46 offset0:2 offset1:3
	s_add_i32 s40, s40, 4
	s_waitcnt lgkmcnt(0)
	; wave barrier
	s_waitcnt lgkmcnt(0)
	s_cbranch_execz .LBB203_49
.LBB203_38:                             ; =>This Loop Header: Depth=1
                                        ;     Child Loop BB203_41 Depth 2
	v_mov_b32_e32 v28, v21
	v_mov_b32_e32 v29, v20
	;; [unrolled: 1-line block ×4, first 2 shown]
	v_pk_mov_b32 v[10:11], v[8:9], v[8:9] op_sel:[0,1]
	v_pk_mov_b32 v[12:13], v[6:7], v[6:7] op_sel:[0,1]
	s_waitcnt lgkmcnt(0)
	v_pk_mov_b32 v[14:15], v[4:5], v[4:5] op_sel:[0,1]
	v_pk_mov_b32 v[16:17], v[2:3], v[2:3] op_sel:[0,1]
	s_and_saveexec_b64 s[24:25], s[8:9]
	s_cbranch_execz .LBB203_45
; %bb.39:                               ;   in Loop: Header=BB203_38 Depth=1
	s_mov_b32 s43, 0
	s_mov_b64 s[30:31], 0
	v_pk_mov_b32 v[2:3], v[0:1], v[0:1] op_sel:[0,1]
	s_branch .LBB203_41
.LBB203_40:                             ;   in Loop: Header=BB203_41 Depth=2
	s_or_b64 exec, exec, s[36:37]
	s_add_i32 s43, s43, 2
	v_cmp_eq_u32_e32 vcc, s43, v26
	v_add_u32_e32 v3, 64, v3
	s_or_b64 s[30:31], vcc, s[30:31]
	v_add_u32_e32 v2, 64, v2
	s_andn2_b64 exec, exec, s[30:31]
	s_cbranch_execz .LBB203_45
.LBB203_41:                             ;   Parent Loop BB203_38 Depth=1
                                        ; =>  This Inner Loop Header: Depth=2
	s_or_b32 s34, s43, 1
	v_cmp_le_u32_e64 s[34:35], s34, 7
	v_cmp_le_u32_e64 s[44:45], s43, 7
	s_and_saveexec_b64 s[36:37], s[44:45]
	s_cbranch_execz .LBB203_43
; %bb.42:                               ;   in Loop: Header=BB203_41 Depth=2
	v_lshlrev_b32_e32 v4, 2, v2
	ds_write_b32 v4, v27
.LBB203_43:                             ;   in Loop: Header=BB203_41 Depth=2
	s_or_b64 exec, exec, s[36:37]
	s_and_saveexec_b64 s[36:37], s[34:35]
	s_cbranch_execz .LBB203_40
; %bb.44:                               ;   in Loop: Header=BB203_41 Depth=2
	v_lshlrev_b32_e32 v4, 2, v3
	ds_write_b32 v4, v27
	s_branch .LBB203_40
.LBB203_45:                             ;   in Loop: Header=BB203_38 Depth=1
	s_or_b64 exec, exec, s[24:25]
	s_sub_i32 s24, 32, s40
	s_min_u32 s24, s39, s24
	v_cmp_ne_u32_e32 vcc, s41, v32
	s_lshl_b32 s24, -1, s24
	v_cndmask_b32_e32 v2, v30, v32, vcc
	s_not_b32 s24, s24
	v_lshrrev_b32_e32 v2, s40, v2
	v_and_b32_e32 v2, s24, v2
	v_lshrrev_b32_e32 v3, 3, v2
	v_lshlrev_b32_e32 v2, 5, v2
	v_and_or_b32 v2, v2, s42, v0
	v_lshlrev_b32_e32 v2, 1, v2
	v_add_lshl_u32 v19, v2, v3, 1
	ds_read_u16 v18, v19
	v_cmp_ne_u32_e32 vcc, s41, v31
	s_waitcnt lgkmcnt(0)
	v_add_u16_e32 v2, 1, v18
	ds_write_b16 v19, v2
	v_cndmask_b32_e32 v2, v30, v31, vcc
	v_lshrrev_b32_e32 v2, s40, v2
	v_and_b32_e32 v2, s24, v2
	v_lshrrev_b32_e32 v3, 3, v2
	v_lshlrev_b32_e32 v2, 5, v2
	v_and_or_b32 v2, v2, s42, v0
	v_lshlrev_b32_e32 v2, 1, v2
	v_add_lshl_u32 v21, v2, v3, 1
	ds_read_u16 v20, v21
	v_cmp_ne_u32_e32 vcc, s41, v29
	s_waitcnt lgkmcnt(0)
	v_add_u16_e32 v2, 1, v20
	ds_write_b16 v21, v2
	v_cndmask_b32_e32 v2, v30, v29, vcc
	;; [unrolled: 13-line block ×3, first 2 shown]
	v_lshrrev_b32_e32 v2, s40, v2
	v_and_b32_e32 v2, s24, v2
	v_lshrrev_b32_e32 v3, 3, v2
	v_lshlrev_b32_e32 v2, 5, v2
	v_and_or_b32 v2, v2, s42, v0
	v_lshlrev_b32_e32 v2, 1, v2
	v_add_lshl_u32 v34, v2, v3, 1
	ds_read_u16 v36, v34
	s_waitcnt lgkmcnt(0)
	v_add_u16_e32 v2, 1, v36
	ds_write_b16 v34, v2
	s_waitcnt lgkmcnt(0)
	; wave barrier
	s_waitcnt lgkmcnt(0)
	ds_read2_b32 v[8:9], v48 offset1:1
	ds_read2_b32 v[6:7], v48 offset0:2 offset1:3
	ds_read2_b32 v[2:3], v48 offset0:4 offset1:5
	;; [unrolled: 1-line block ×3, first 2 shown]
	s_waitcnt lgkmcnt(3)
	v_add_u32_e32 v37, v9, v8
	s_waitcnt lgkmcnt(2)
	v_add3_u32 v37, v37, v6, v7
	s_waitcnt lgkmcnt(1)
	v_add3_u32 v37, v37, v2, v3
	;; [unrolled: 2-line block ×3, first 2 shown]
	s_nop 1
	v_mov_b32_dpp v37, v5 row_shr:1 row_mask:0xf bank_mask:0xf
	v_cndmask_b32_e64 v37, v37, 0, s[10:11]
	v_add_u32_e32 v5, v37, v5
	s_nop 1
	v_mov_b32_dpp v37, v5 row_shr:2 row_mask:0xf bank_mask:0xf
	v_cndmask_b32_e64 v37, 0, v37, s[12:13]
	v_add_u32_e32 v5, v5, v37
	;; [unrolled: 4-line block ×4, first 2 shown]
	s_nop 1
	v_mov_b32_dpp v37, v5 row_bcast:15 row_mask:0xf bank_mask:0xf
	v_cndmask_b32_e64 v37, v37, 0, s[18:19]
	v_add_u32_e32 v5, v5, v37
	s_and_saveexec_b64 s[24:25], s[20:21]
	s_cbranch_execz .LBB203_47
; %bb.46:                               ;   in Loop: Header=BB203_38 Depth=1
	ds_write_b32 v27, v5 offset:1024
.LBB203_47:                             ;   in Loop: Header=BB203_38 Depth=1
	s_or_b64 exec, exec, s[24:25]
	ds_bpermute_b32 v5, v49, v5
	s_waitcnt lgkmcnt(0)
	; wave barrier
	s_waitcnt lgkmcnt(0)
	ds_read_b32 v37, v27 offset:1024
	s_cmp_gt_u32 s40, 27
	v_cndmask_b32_e64 v5, v5, 0, s[22:23]
	s_waitcnt lgkmcnt(0)
	v_lshl_add_u32 v5, v37, 16, v5
	v_add_u32_e32 v8, v5, v8
	v_add_u32_e32 v9, v8, v9
	ds_write2_b32 v48, v5, v8 offset1:1
	v_add_u32_e32 v5, v9, v6
	v_add_u32_e32 v6, v5, v7
	;; [unrolled: 1-line block ×5, first 2 shown]
	ds_write2_b32 v48, v9, v5 offset0:2 offset1:3
	ds_write2_b32 v48, v6, v2 offset0:4 offset1:5
	;; [unrolled: 1-line block ×3, first 2 shown]
	s_waitcnt lgkmcnt(0)
	; wave barrier
	s_waitcnt lgkmcnt(0)
	ds_read_u16 v2, v19
	ds_read_u16 v3, v21
	ds_read_u16 v4, v33
	ds_read_u16 v5, v34
	s_waitcnt lgkmcnt(3)
	v_add_u32_sdwa v33, v2, v18 dst_sel:DWORD dst_unused:UNUSED_PAD src0_sel:DWORD src1_sel:WORD_0
	s_waitcnt lgkmcnt(2)
	v_add_u32_sdwa v34, v3, v20 dst_sel:DWORD dst_unused:UNUSED_PAD src0_sel:DWORD src1_sel:WORD_0
	;; [unrolled: 2-line block ×4, first 2 shown]
	s_cbranch_scc0 .LBB203_37
; %bb.48:
                                        ; implicit-def: $vgpr21
                                        ; implicit-def: $vgpr19
                                        ; implicit-def: $vgpr8_vgpr9
                                        ; implicit-def: $vgpr4_vgpr5
                                        ; implicit-def: $sgpr40
.LBB203_49:
	v_lshlrev_b32_e32 v0, 2, v33
	s_waitcnt lgkmcnt(0)
	; wave barrier
	ds_write_b32 v0, v32
	v_lshlrev_b32_e32 v0, 2, v34
	ds_write_b32 v0, v31
	v_lshlrev_b32_e32 v0, 2, v35
	;; [unrolled: 2-line block ×3, first 2 shown]
	ds_write_b32 v0, v28
	s_waitcnt lgkmcnt(0)
	; wave barrier
	s_waitcnt lgkmcnt(0)
	ds_read2_b32 v[0:1], v47 offset1:1
	ds_read2_b32 v[2:3], v47 offset0:2 offset1:3
	v_lshlrev_b32_e32 v4, 3, v33
	v_lshlrev_b32_e32 v5, 3, v34
	;; [unrolled: 1-line block ×4, first 2 shown]
	s_waitcnt lgkmcnt(0)
	; wave barrier
	s_waitcnt lgkmcnt(0)
	ds_write_b64 v4, v[16:17]
	ds_write_b64 v5, v[14:15]
	;; [unrolled: 1-line block ×4, first 2 shown]
	s_waitcnt lgkmcnt(0)
	; wave barrier
	s_waitcnt lgkmcnt(0)
	ds_read2_b64 v[10:13], v46 offset1:1
	ds_read2_b64 v[14:17], v46 offset0:2 offset1:3
	v_bfrev_b32_e32 v4, -2
	v_cmp_gt_i32_e32 vcc, 0, v0
	v_cndmask_b32_e64 v5, v4, 0, vcc
	v_cmp_gt_i32_e32 vcc, 0, v1
	v_cndmask_b32_e64 v6, v4, 0, vcc
	;; [unrolled: 2-line block ×4, first 2 shown]
	v_xor_b32_e32 v21, v4, v3
	v_xor_b32_e32 v20, v7, v2
	;; [unrolled: 1-line block ×4, first 2 shown]
.LBB203_50:
	s_waitcnt lgkmcnt(0)
	; wave barrier
	s_waitcnt lgkmcnt(0)
	ds_write2_b32 v41, v18, v19 offset1:1
	ds_write2_b32 v41, v20, v21 offset0:2 offset1:3
	s_waitcnt lgkmcnt(0)
	; wave barrier
	s_waitcnt lgkmcnt(0)
	ds_read_b32 v4, v23 offset:128
	ds_read_b32 v3, v39 offset:256
	;; [unrolled: 1-line block ×3, first 2 shown]
	v_mov_b32_e32 v23, 0
	v_lshlrev_b64 v[0:1], 2, v[22:23]
	v_mov_b32_e32 v5, s29
	v_add_co_u32_e32 v0, vcc, s27, v0
	v_addc_co_u32_e32 v1, vcc, v5, v1, vcc
	s_and_saveexec_b64 s[8:9], s[0:1]
	s_cbranch_execnz .LBB203_61
; %bb.51:
	s_or_b64 exec, exec, s[8:9]
	s_and_saveexec_b64 s[8:9], s[2:3]
	s_cbranch_execnz .LBB203_62
.LBB203_52:
	s_or_b64 exec, exec, s[8:9]
	s_and_saveexec_b64 s[8:9], s[4:5]
	s_cbranch_execnz .LBB203_63
.LBB203_53:
	s_or_b64 exec, exec, s[8:9]
	s_and_saveexec_b64 s[8:9], s[6:7]
	s_cbranch_execz .LBB203_55
.LBB203_54:
	s_mul_i32 s10, s26, 0x60
	s_mov_b32 s11, 0
	s_lshl_b64 s[10:11], s[10:11], 2
	s_waitcnt lgkmcnt(1)
	v_mov_b32_e32 v3, s11
	v_add_co_u32_e32 v0, vcc, s10, v0
	v_addc_co_u32_e32 v1, vcc, v1, v3, vcc
	s_waitcnt lgkmcnt(0)
	global_store_dword v[0:1], v2, off
.LBB203_55:
	s_or_b64 exec, exec, s[8:9]
	s_waitcnt lgkmcnt(0)
	; wave barrier
	s_waitcnt lgkmcnt(0)
	ds_write2_b64 v45, v[10:11], v[12:13] offset1:1
	ds_write2_b64 v45, v[14:15], v[16:17] offset0:2 offset1:3
	s_waitcnt lgkmcnt(0)
	; wave barrier
	s_waitcnt lgkmcnt(0)
	ds_read_b64 v[6:7], v25 offset:256
	ds_read_b64 v[4:5], v43 offset:512
	;; [unrolled: 1-line block ×3, first 2 shown]
	v_mov_b32_e32 v25, 0
	v_lshlrev_b64 v[2:3], 3, v[24:25]
	v_mov_b32_e32 v8, s38
	v_add_co_u32_e32 v2, vcc, s33, v2
	v_addc_co_u32_e32 v3, vcc, v8, v3, vcc
	s_and_saveexec_b64 s[8:9], s[0:1]
	s_cbranch_execnz .LBB203_64
; %bb.56:
	s_or_b64 exec, exec, s[8:9]
	s_and_saveexec_b64 s[0:1], s[2:3]
	s_cbranch_execnz .LBB203_65
.LBB203_57:
	s_or_b64 exec, exec, s[0:1]
	s_and_saveexec_b64 s[0:1], s[4:5]
	s_cbranch_execnz .LBB203_66
.LBB203_58:
	s_or_b64 exec, exec, s[0:1]
	s_and_saveexec_b64 s[0:1], s[6:7]
	s_cbranch_execz .LBB203_60
.LBB203_59:
	s_mul_i32 s0, s28, 0x60
	s_mov_b32 s1, 0
	s_lshl_b64 s[0:1], s[0:1], 3
	s_waitcnt lgkmcnt(1)
	v_mov_b32_e32 v4, s1
	v_add_co_u32_e32 v2, vcc, s0, v2
	v_addc_co_u32_e32 v3, vcc, v3, v4, vcc
	s_waitcnt lgkmcnt(0)
	global_store_dwordx2 v[2:3], v[0:1], off
.LBB203_60:
	s_endpgm
.LBB203_61:
	ds_read_b32 v5, v38
	s_waitcnt lgkmcnt(0)
	global_store_dword v[0:1], v5, off
	s_or_b64 exec, exec, s[8:9]
	s_and_saveexec_b64 s[8:9], s[2:3]
	s_cbranch_execz .LBB203_52
.LBB203_62:
	s_lshl_b32 s10, s26, 5
	s_mov_b32 s11, 0
	s_lshl_b64 s[10:11], s[10:11], 2
	v_mov_b32_e32 v5, s11
	v_add_co_u32_e32 v6, vcc, s10, v0
	v_addc_co_u32_e32 v7, vcc, v1, v5, vcc
	s_waitcnt lgkmcnt(2)
	global_store_dword v[6:7], v4, off
	s_or_b64 exec, exec, s[8:9]
	s_and_saveexec_b64 s[8:9], s[4:5]
	s_cbranch_execz .LBB203_53
.LBB203_63:
	s_lshl_b32 s10, s26, 6
	s_mov_b32 s11, 0
	s_lshl_b64 s[10:11], s[10:11], 2
	v_mov_b32_e32 v5, s11
	s_waitcnt lgkmcnt(2)
	v_add_co_u32_e32 v4, vcc, s10, v0
	v_addc_co_u32_e32 v5, vcc, v1, v5, vcc
	s_waitcnt lgkmcnt(1)
	global_store_dword v[4:5], v3, off
	s_or_b64 exec, exec, s[8:9]
	s_and_saveexec_b64 s[8:9], s[6:7]
	s_cbranch_execnz .LBB203_54
	s_branch .LBB203_55
.LBB203_64:
	ds_read_b64 v[8:9], v42
	s_waitcnt lgkmcnt(0)
	global_store_dwordx2 v[2:3], v[8:9], off
	s_or_b64 exec, exec, s[8:9]
	s_and_saveexec_b64 s[0:1], s[2:3]
	s_cbranch_execz .LBB203_57
.LBB203_65:
	s_lshl_b32 s2, s28, 5
	s_mov_b32 s3, 0
	s_lshl_b64 s[2:3], s[2:3], 3
	v_mov_b32_e32 v9, s3
	v_add_co_u32_e32 v8, vcc, s2, v2
	v_addc_co_u32_e32 v9, vcc, v3, v9, vcc
	s_waitcnt lgkmcnt(2)
	global_store_dwordx2 v[8:9], v[6:7], off
	s_or_b64 exec, exec, s[0:1]
	s_and_saveexec_b64 s[0:1], s[4:5]
	s_cbranch_execz .LBB203_58
.LBB203_66:
	s_lshl_b32 s2, s28, 6
	s_mov_b32 s3, 0
	s_lshl_b64 s[2:3], s[2:3], 3
	s_waitcnt lgkmcnt(2)
	v_mov_b32_e32 v7, s3
	v_add_co_u32_e32 v6, vcc, s2, v2
	v_addc_co_u32_e32 v7, vcc, v3, v7, vcc
	s_waitcnt lgkmcnt(1)
	global_store_dwordx2 v[6:7], v[4:5], off
	s_or_b64 exec, exec, s[0:1]
	s_and_saveexec_b64 s[0:1], s[6:7]
	s_cbranch_execnz .LBB203_59
	s_branch .LBB203_60
	.section	.rodata,"a",@progbits
	.p2align	6, 0x0
	.amdhsa_kernel _ZN2at6native18radixSortKVInPlaceILin2ELin1ELi32ELi4EfljEEvNS_4cuda6detail10TensorInfoIT3_T5_EES6_S6_S6_NS4_IT4_S6_EES6_b
		.amdhsa_group_segment_fixed_size 1056
		.amdhsa_private_segment_fixed_size 0
		.amdhsa_kernarg_size 712
		.amdhsa_user_sgpr_count 6
		.amdhsa_user_sgpr_private_segment_buffer 1
		.amdhsa_user_sgpr_dispatch_ptr 0
		.amdhsa_user_sgpr_queue_ptr 0
		.amdhsa_user_sgpr_kernarg_segment_ptr 1
		.amdhsa_user_sgpr_dispatch_id 0
		.amdhsa_user_sgpr_flat_scratch_init 0
		.amdhsa_user_sgpr_kernarg_preload_length 0
		.amdhsa_user_sgpr_kernarg_preload_offset 0
		.amdhsa_user_sgpr_private_segment_size 0
		.amdhsa_uses_dynamic_stack 0
		.amdhsa_system_sgpr_private_segment_wavefront_offset 0
		.amdhsa_system_sgpr_workgroup_id_x 1
		.amdhsa_system_sgpr_workgroup_id_y 1
		.amdhsa_system_sgpr_workgroup_id_z 1
		.amdhsa_system_sgpr_workgroup_info 0
		.amdhsa_system_vgpr_workitem_id 0
		.amdhsa_next_free_vgpr 63
		.amdhsa_next_free_sgpr 46
		.amdhsa_accum_offset 64
		.amdhsa_reserve_vcc 1
		.amdhsa_reserve_flat_scratch 0
		.amdhsa_float_round_mode_32 0
		.amdhsa_float_round_mode_16_64 0
		.amdhsa_float_denorm_mode_32 3
		.amdhsa_float_denorm_mode_16_64 3
		.amdhsa_dx10_clamp 1
		.amdhsa_ieee_mode 1
		.amdhsa_fp16_overflow 0
		.amdhsa_tg_split 0
		.amdhsa_exception_fp_ieee_invalid_op 0
		.amdhsa_exception_fp_denorm_src 0
		.amdhsa_exception_fp_ieee_div_zero 0
		.amdhsa_exception_fp_ieee_overflow 0
		.amdhsa_exception_fp_ieee_underflow 0
		.amdhsa_exception_fp_ieee_inexact 0
		.amdhsa_exception_int_div_zero 0
	.end_amdhsa_kernel
	.section	.text._ZN2at6native18radixSortKVInPlaceILin2ELin1ELi32ELi4EfljEEvNS_4cuda6detail10TensorInfoIT3_T5_EES6_S6_S6_NS4_IT4_S6_EES6_b,"axG",@progbits,_ZN2at6native18radixSortKVInPlaceILin2ELin1ELi32ELi4EfljEEvNS_4cuda6detail10TensorInfoIT3_T5_EES6_S6_S6_NS4_IT4_S6_EES6_b,comdat
.Lfunc_end203:
	.size	_ZN2at6native18radixSortKVInPlaceILin2ELin1ELi32ELi4EfljEEvNS_4cuda6detail10TensorInfoIT3_T5_EES6_S6_S6_NS4_IT4_S6_EES6_b, .Lfunc_end203-_ZN2at6native18radixSortKVInPlaceILin2ELin1ELi32ELi4EfljEEvNS_4cuda6detail10TensorInfoIT3_T5_EES6_S6_S6_NS4_IT4_S6_EES6_b
                                        ; -- End function
	.section	.AMDGPU.csdata,"",@progbits
; Kernel info:
; codeLenInByte = 4776
; NumSgprs: 50
; NumVgprs: 63
; NumAgprs: 0
; TotalNumVgprs: 63
; ScratchSize: 0
; MemoryBound: 0
; FloatMode: 240
; IeeeMode: 1
; LDSByteSize: 1056 bytes/workgroup (compile time only)
; SGPRBlocks: 6
; VGPRBlocks: 7
; NumSGPRsForWavesPerEU: 50
; NumVGPRsForWavesPerEU: 63
; AccumOffset: 64
; Occupancy: 8
; WaveLimiterHint : 1
; COMPUTE_PGM_RSRC2:SCRATCH_EN: 0
; COMPUTE_PGM_RSRC2:USER_SGPR: 6
; COMPUTE_PGM_RSRC2:TRAP_HANDLER: 0
; COMPUTE_PGM_RSRC2:TGID_X_EN: 1
; COMPUTE_PGM_RSRC2:TGID_Y_EN: 1
; COMPUTE_PGM_RSRC2:TGID_Z_EN: 1
; COMPUTE_PGM_RSRC2:TIDIG_COMP_CNT: 0
; COMPUTE_PGM_RSRC3_GFX90A:ACCUM_OFFSET: 15
; COMPUTE_PGM_RSRC3_GFX90A:TG_SPLIT: 0
	.section	.text._ZN2at6native18radixSortKVInPlaceILin2ELin1ELi16ELi2EfljEEvNS_4cuda6detail10TensorInfoIT3_T5_EES6_S6_S6_NS4_IT4_S6_EES6_b,"axG",@progbits,_ZN2at6native18radixSortKVInPlaceILin2ELin1ELi16ELi2EfljEEvNS_4cuda6detail10TensorInfoIT3_T5_EES6_S6_S6_NS4_IT4_S6_EES6_b,comdat
	.protected	_ZN2at6native18radixSortKVInPlaceILin2ELin1ELi16ELi2EfljEEvNS_4cuda6detail10TensorInfoIT3_T5_EES6_S6_S6_NS4_IT4_S6_EES6_b ; -- Begin function _ZN2at6native18radixSortKVInPlaceILin2ELin1ELi16ELi2EfljEEvNS_4cuda6detail10TensorInfoIT3_T5_EES6_S6_S6_NS4_IT4_S6_EES6_b
	.globl	_ZN2at6native18radixSortKVInPlaceILin2ELin1ELi16ELi2EfljEEvNS_4cuda6detail10TensorInfoIT3_T5_EES6_S6_S6_NS4_IT4_S6_EES6_b
	.p2align	8
	.type	_ZN2at6native18radixSortKVInPlaceILin2ELin1ELi16ELi2EfljEEvNS_4cuda6detail10TensorInfoIT3_T5_EES6_S6_S6_NS4_IT4_S6_EES6_b,@function
_ZN2at6native18radixSortKVInPlaceILin2ELin1ELi16ELi2EfljEEvNS_4cuda6detail10TensorInfoIT3_T5_EES6_S6_S6_NS4_IT4_S6_EES6_b: ; @_ZN2at6native18radixSortKVInPlaceILin2ELin1ELi16ELi2EfljEEvNS_4cuda6detail10TensorInfoIT3_T5_EES6_S6_S6_NS4_IT4_S6_EES6_b
; %bb.0:
	s_load_dwordx2 s[0:1], s[4:5], 0x1c8
	s_load_dwordx4 s[16:19], s[4:5], 0xd8
	s_waitcnt lgkmcnt(0)
	s_mul_i32 s1, s1, s8
	s_add_i32 s1, s1, s7
	s_mul_i32 s10, s1, s0
	s_add_i32 s10, s10, s6
	s_cmp_ge_u32 s10, s16
	s_cbranch_scc1 .LBB204_50
; %bb.1:
	s_load_dword s8, s[4:5], 0x1b8
	s_load_dwordx2 s[0:1], s[4:5], 0x0
	s_add_u32 s2, s4, 0xe8
	s_addc_u32 s3, s5, 0
	s_mov_b32 s7, 0
	s_waitcnt lgkmcnt(0)
	s_cmp_lt_i32 s8, 2
	s_mov_b32 s6, s10
	s_cbranch_scc1 .LBB204_4
; %bb.2:
	s_add_i32 s6, s8, -1
	s_add_i32 s11, s8, 1
	s_lshl_b64 s[8:9], s[6:7], 2
	s_add_u32 s6, s8, s2
	s_addc_u32 s9, s9, s3
	s_add_u32 s8, s6, 8
	s_addc_u32 s9, s9, 0
	s_mov_b32 s6, s10
.LBB204_3:                              ; =>This Inner Loop Header: Depth=1
	s_load_dword s12, s[8:9], 0x0
	s_load_dword s14, s[8:9], 0x64
	s_mov_b32 s13, s6
	s_waitcnt lgkmcnt(0)
	v_cvt_f32_u32_e32 v1, s12
	s_sub_i32 s6, 0, s12
	v_rcp_iflag_f32_e32 v1, v1
	v_mul_f32_e32 v1, 0x4f7ffffe, v1
	v_cvt_u32_f32_e32 v1, v1
	v_readfirstlane_b32 s15, v1
	s_mul_i32 s6, s6, s15
	s_mul_hi_u32 s6, s15, s6
	s_add_i32 s15, s15, s6
	s_mul_hi_u32 s6, s13, s15
	s_mul_i32 s15, s6, s12
	s_sub_i32 s15, s13, s15
	s_add_i32 s16, s6, 1
	s_sub_i32 s19, s15, s12
	s_cmp_ge_u32 s15, s12
	s_cselect_b32 s6, s16, s6
	s_cselect_b32 s15, s19, s15
	s_add_i32 s16, s6, 1
	s_cmp_ge_u32 s15, s12
	s_cselect_b32 s6, s16, s6
	s_mul_i32 s12, s6, s12
	s_sub_i32 s12, s13, s12
	s_mul_i32 s12, s14, s12
	s_add_i32 s11, s11, -1
	s_add_i32 s7, s12, s7
	s_add_u32 s8, s8, -4
	s_addc_u32 s9, s9, -1
	s_cmp_gt_u32 s11, 2
	s_cbranch_scc1 .LBB204_3
.LBB204_4:
	s_load_dword s8, s[4:5], 0x6c
	s_load_dwordx2 s[20:21], s[4:5], 0x1c0
	s_mov_b32 s11, 0
	v_bfrev_b32_e32 v1, -2
	v_mul_lo_u32 v10, v0, s18
	s_waitcnt lgkmcnt(0)
	s_mul_i32 s10, s8, s10
	s_load_dwordx2 s[8:9], s[2:3], 0x0
	s_bitcmp1_b32 s21, 0
	s_cselect_b64 s[4:5], -1, 0
	s_lshl_b64 s[10:11], s[10:11], 2
	s_add_u32 s19, s0, s10
	v_cndmask_b32_e64 v3, v1, -1, s[4:5]
	s_addc_u32 s21, s1, s11
	v_cmp_gt_u32_e64 s[0:1], s17, v0
	v_pk_mov_b32 v[4:5], v[2:3], v[2:3] op_sel:[0,1]
	s_and_saveexec_b64 s[10:11], s[0:1]
	s_cbranch_execz .LBB204_6
; %bb.5:
	v_mov_b32_e32 v11, 0
	v_lshlrev_b64 v[4:5], 2, v[10:11]
	v_mov_b32_e32 v1, s21
	v_add_co_u32_e32 v4, vcc, s19, v4
	v_addc_co_u32_e32 v5, vcc, v1, v5, vcc
	global_load_dword v1, v[4:5], off
	v_pk_mov_b32 v[4:5], v[2:3], v[2:3] op_sel:[0,1]
	s_waitcnt vmcnt(0)
	v_mov_b32_e32 v3, v1
.LBB204_6:
	s_or_b64 exec, exec, s[10:11]
	s_load_dword s12, s[2:3], 0x6c
	v_or_b32_e32 v1, 16, v0
	v_cmp_gt_u32_e64 s[2:3], s17, v1
	s_and_saveexec_b64 s[10:11], s[2:3]
	s_cbranch_execz .LBB204_8
; %bb.7:
	v_mul_lo_u32 v4, v1, s18
	v_mov_b32_e32 v5, 0
	v_lshlrev_b64 v[4:5], 2, v[4:5]
	v_mov_b32_e32 v2, s21
	v_add_co_u32_e32 v4, vcc, s19, v4
	v_addc_co_u32_e32 v5, vcc, v2, v5, vcc
	global_load_dword v5, v[4:5], off
.LBB204_8:
	s_or_b64 exec, exec, s[10:11]
	v_lshlrev_b32_e32 v27, 2, v0
	v_lshlrev_b32_e32 v26, 3, v0
	s_waitcnt lgkmcnt(0)
	s_mul_i32 s6, s12, s6
	s_waitcnt vmcnt(0)
	ds_write2_b32 v27, v3, v5 offset1:16
	s_waitcnt lgkmcnt(0)
	; wave barrier
	s_waitcnt lgkmcnt(0)
	ds_read2_b32 v[14:15], v26 offset1:1
	s_add_i32 s12, s6, s7
	s_mov_b32 s13, 0
	s_lshl_b64 s[6:7], s[12:13], 3
	s_mov_b32 s12, s13
	s_add_u32 s30, s8, s6
	s_mov_b32 s14, s13
	s_mov_b32 s15, s13
	v_pk_mov_b32 v[2:3], s[12:13], s[12:13] op_sel:[0,1]
	s_addc_u32 s31, s9, s7
	v_pk_mov_b32 v[4:5], s[14:15], s[14:15] op_sel:[0,1]
	v_pk_mov_b32 v[2:3], 0, 0
	v_mul_lo_u32 v12, v0, s20
	s_waitcnt lgkmcnt(0)
	; wave barrier
	s_waitcnt lgkmcnt(0)
	s_and_saveexec_b64 s[6:7], s[0:1]
	s_cbranch_execz .LBB204_10
; %bb.9:
	v_mov_b32_e32 v13, 0
	v_lshlrev_b64 v[2:3], 3, v[12:13]
	v_mov_b32_e32 v4, s31
	v_add_co_u32_e32 v2, vcc, s30, v2
	v_addc_co_u32_e32 v3, vcc, v4, v3, vcc
	global_load_dwordx2 v[2:3], v[2:3], off
	v_mov_b32_e32 v4, v13
	v_mov_b32_e32 v5, v13
.LBB204_10:
	s_or_b64 exec, exec, s[6:7]
	s_xor_b64 s[22:23], s[4:5], -1
	v_lshlrev_b32_e32 v6, 1, v0
	s_and_saveexec_b64 s[4:5], s[2:3]
	s_cbranch_execz .LBB204_12
; %bb.11:
	v_mul_lo_u32 v4, v1, s20
	v_mov_b32_e32 v5, 0
	v_lshlrev_b64 v[4:5], 3, v[4:5]
	v_mov_b32_e32 v7, s31
	v_add_co_u32_e32 v4, vcc, s30, v4
	v_addc_co_u32_e32 v5, vcc, v7, v5, vcc
	global_load_dwordx2 v[4:5], v[4:5], off
.LBB204_12:
	s_or_b64 exec, exec, s[4:5]
	v_mbcnt_lo_u32_b32 v7, -1, 0
	v_lshlrev_b32_e32 v13, 3, v6
	s_getpc_b64 s[4:5]
	s_add_u32 s4, s4, _ZN7rocprim17ROCPRIM_400000_NS16block_radix_sortIfLj16ELj2ElLj1ELj1ELj0ELNS0_26block_radix_rank_algorithmE1ELNS0_18block_padding_hintE2ELNS0_4arch9wavefront6targetE1EE19radix_bits_per_passE@rel32@lo+4
	s_addc_u32 s5, s5, _ZN7rocprim17ROCPRIM_400000_NS16block_radix_sortIfLj16ELj2ElLj1ELj1ELj0ELNS0_26block_radix_rank_algorithmE1ELNS0_18block_padding_hintE2ELNS0_4arch9wavefront6targetE1EE19radix_bits_per_passE@rel32@hi+12
	v_mbcnt_hi_u32_b32 v7, -1, v7
	s_waitcnt vmcnt(0)
	ds_write2_b64 v26, v[2:3], v[4:5] offset1:16
	s_waitcnt lgkmcnt(0)
	; wave barrier
	s_waitcnt lgkmcnt(0)
	ds_read2_b64 v[2:5], v13 offset1:1
	s_load_dword s33, s[4:5], 0x0
	v_and_b32_e32 v8, 15, v7
	v_cmp_eq_u32_e64 s[6:7], 0, v8
	v_cmp_lt_u32_e64 s[8:9], 1, v8
	v_cmp_lt_u32_e64 s[10:11], 3, v8
	;; [unrolled: 1-line block ×3, first 2 shown]
	v_add_u32_e32 v8, -1, v7
	v_and_b32_e32 v9, 0x70, v7
	v_cmp_lt_i32_e32 vcc, v8, v9
	s_movk_i32 s4, 0x80
	v_cndmask_b32_e32 v8, v8, v7, vcc
	v_cmp_gt_u32_e64 s[4:5], s4, v0
	v_lshlrev_b32_e32 v11, 5, v0
	s_mov_b32 s34, 0
	v_cmp_eq_u32_e64 s[14:15], 15, v0
	s_movk_i32 s35, 0x70
	v_lshlrev_b32_e32 v29, 2, v8
	v_cmp_eq_u32_e64 s[16:17], 0, v7
	v_lshlrev_b32_e32 v28, 2, v6
	s_and_b64 vcc, exec, s[22:23]
	v_add_u32_e64 v30, 7, 2
	s_waitcnt lgkmcnt(0)
	; wave barrier
	s_waitcnt lgkmcnt(0)
	s_cbranch_vccz .LBB204_27
; %bb.13:
	v_bfrev_b32_e32 v31, 1
	v_cmp_lt_i32_e32 vcc, -1, v14
	v_cndmask_b32_e32 v6, -1, v31, vcc
	v_cmp_lt_i32_e32 vcc, -1, v15
	v_xor_b32_e32 v22, v6, v14
	v_cndmask_b32_e32 v6, -1, v31, vcc
	v_xor_b32_e32 v23, v6, v15
	v_and_b32_e32 v32, 14, v30
	v_mov_b32_e32 v33, 0
	s_brev_b32 s36, -2
	v_pk_mov_b32 v[6:7], v[2:3], v[2:3] op_sel:[0,1]
	v_pk_mov_b32 v[8:9], v[4:5], v[4:5] op_sel:[0,1]
	s_branch .LBB204_15
.LBB204_14:                             ;   in Loop: Header=BB204_15 Depth=1
	v_lshlrev_b32_e32 v6, 2, v24
	s_waitcnt lgkmcnt(0)
	; wave barrier
	ds_write_b32 v6, v20
	v_lshlrev_b32_e32 v6, 2, v25
	ds_write_b32 v6, v21
	v_lshlrev_b32_e32 v6, 3, v24
	s_waitcnt lgkmcnt(0)
	; wave barrier
	s_waitcnt lgkmcnt(0)
	ds_read2_b32 v[22:23], v28 offset1:1
	s_waitcnt lgkmcnt(0)
	; wave barrier
	s_waitcnt lgkmcnt(0)
	ds_write_b64 v6, v[18:19]
	v_lshlrev_b32_e32 v6, 3, v25
	ds_write_b64 v6, v[16:17]
	s_waitcnt lgkmcnt(0)
	; wave barrier
	s_waitcnt lgkmcnt(0)
	ds_read2_b64 v[6:9], v13 offset1:1
	s_add_i32 s34, s34, 4
	s_waitcnt lgkmcnt(0)
	; wave barrier
	s_waitcnt lgkmcnt(0)
	s_cbranch_execz .LBB204_26
.LBB204_15:                             ; =>This Loop Header: Depth=1
                                        ;     Child Loop BB204_18 Depth 2
	v_pk_mov_b32 v[16:17], v[8:9], v[8:9] op_sel:[0,1]
	v_pk_mov_b32 v[18:19], v[6:7], v[6:7] op_sel:[0,1]
	;; [unrolled: 1-line block ×3, first 2 shown]
	s_and_saveexec_b64 s[22:23], s[4:5]
	s_cbranch_execz .LBB204_22
; %bb.16:                               ;   in Loop: Header=BB204_15 Depth=1
	s_mov_b32 s37, 0
	s_mov_b64 s[24:25], 0
	v_pk_mov_b32 v[6:7], v[0:1], v[0:1] op_sel:[0,1]
	s_branch .LBB204_18
.LBB204_17:                             ;   in Loop: Header=BB204_18 Depth=2
	s_or_b64 exec, exec, s[28:29]
	s_add_i32 s37, s37, 2
	v_cmp_eq_u32_e32 vcc, s37, v32
	v_add_u32_e32 v7, 32, v7
	s_or_b64 s[24:25], vcc, s[24:25]
	v_add_u32_e32 v6, 32, v6
	s_andn2_b64 exec, exec, s[24:25]
	s_cbranch_execz .LBB204_22
.LBB204_18:                             ;   Parent Loop BB204_15 Depth=1
                                        ; =>  This Inner Loop Header: Depth=2
	s_or_b32 s26, s37, 1
	v_cmp_le_u32_e64 s[26:27], s26, 7
	v_cmp_le_u32_e64 s[38:39], s37, 7
	s_and_saveexec_b64 s[28:29], s[38:39]
	s_cbranch_execz .LBB204_20
; %bb.19:                               ;   in Loop: Header=BB204_18 Depth=2
	v_lshlrev_b32_e32 v8, 2, v6
	ds_write_b32 v8, v33
.LBB204_20:                             ;   in Loop: Header=BB204_18 Depth=2
	s_or_b64 exec, exec, s[28:29]
	s_and_saveexec_b64 s[28:29], s[26:27]
	s_cbranch_execz .LBB204_17
; %bb.21:                               ;   in Loop: Header=BB204_18 Depth=2
	v_lshlrev_b32_e32 v8, 2, v7
	ds_write_b32 v8, v33
	s_branch .LBB204_17
.LBB204_22:                             ;   in Loop: Header=BB204_15 Depth=1
	s_or_b64 exec, exec, s[22:23]
	s_sub_i32 s22, 32, s34
	s_min_u32 s22, s33, s22
	v_cmp_ne_u32_e32 vcc, s36, v20
	s_lshl_b32 s22, -1, s22
	v_cndmask_b32_e32 v6, v31, v20, vcc
	s_not_b32 s22, s22
	v_lshrrev_b32_e32 v6, s34, v6
	v_and_b32_e32 v6, s22, v6
	v_lshrrev_b32_e32 v7, 3, v6
	v_lshlrev_b32_e32 v6, 4, v6
	v_and_or_b32 v6, v6, s35, v0
	v_lshlrev_b32_e32 v6, 1, v6
	v_add_lshl_u32 v35, v6, v7, 1
	ds_read_u16 v34, v35
	v_cmp_ne_u32_e32 vcc, s36, v21
	s_waitcnt lgkmcnt(0)
	v_add_u16_e32 v6, 1, v34
	ds_write_b16 v35, v6
	v_cndmask_b32_e32 v6, v31, v21, vcc
	v_lshrrev_b32_e32 v6, s34, v6
	v_and_b32_e32 v6, s22, v6
	v_lshrrev_b32_e32 v7, 3, v6
	v_lshlrev_b32_e32 v6, 4, v6
	v_and_or_b32 v6, v6, s35, v0
	v_lshlrev_b32_e32 v6, 1, v6
	v_add_lshl_u32 v37, v6, v7, 1
	ds_read_u16 v36, v37
	s_waitcnt lgkmcnt(0)
	v_add_u16_e32 v6, 1, v36
	ds_write_b16 v37, v6
	s_waitcnt lgkmcnt(0)
	; wave barrier
	s_waitcnt lgkmcnt(0)
	ds_read2_b32 v[24:25], v11 offset1:1
	ds_read2_b32 v[22:23], v11 offset0:2 offset1:3
	ds_read2_b32 v[6:7], v11 offset0:4 offset1:5
	;; [unrolled: 1-line block ×3, first 2 shown]
	s_waitcnt lgkmcnt(3)
	v_add_u32_e32 v38, v25, v24
	s_waitcnt lgkmcnt(2)
	v_add3_u32 v38, v38, v22, v23
	s_waitcnt lgkmcnt(1)
	v_add3_u32 v38, v38, v6, v7
	;; [unrolled: 2-line block ×3, first 2 shown]
	s_nop 1
	v_mov_b32_dpp v38, v9 row_shr:1 row_mask:0xf bank_mask:0xf
	v_cndmask_b32_e64 v38, v38, 0, s[6:7]
	v_add_u32_e32 v9, v38, v9
	s_nop 1
	v_mov_b32_dpp v38, v9 row_shr:2 row_mask:0xf bank_mask:0xf
	v_cndmask_b32_e64 v38, 0, v38, s[8:9]
	v_add_u32_e32 v9, v9, v38
	;; [unrolled: 4-line block ×4, first 2 shown]
	s_and_saveexec_b64 s[22:23], s[14:15]
	s_cbranch_execz .LBB204_24
; %bb.23:                               ;   in Loop: Header=BB204_15 Depth=1
	ds_write_b32 v33, v9 offset:512
.LBB204_24:                             ;   in Loop: Header=BB204_15 Depth=1
	s_or_b64 exec, exec, s[22:23]
	ds_bpermute_b32 v9, v29, v9
	s_waitcnt lgkmcnt(0)
	; wave barrier
	s_waitcnt lgkmcnt(0)
	ds_read_b32 v38, v33 offset:512
	s_cmp_gt_u32 s34, 27
	v_cndmask_b32_e64 v9, v9, 0, s[16:17]
	s_waitcnt lgkmcnt(0)
	v_lshl_add_u32 v9, v38, 16, v9
	v_add_u32_e32 v24, v9, v24
	v_add_u32_e32 v25, v24, v25
	ds_write2_b32 v11, v9, v24 offset1:1
	v_add_u32_e32 v9, v25, v22
	v_add_u32_e32 v22, v9, v23
	;; [unrolled: 1-line block ×5, first 2 shown]
	ds_write2_b32 v11, v25, v9 offset0:2 offset1:3
	ds_write2_b32 v11, v22, v6 offset0:4 offset1:5
	;; [unrolled: 1-line block ×3, first 2 shown]
	s_waitcnt lgkmcnt(0)
	; wave barrier
	s_waitcnt lgkmcnt(0)
	ds_read_u16 v6, v35
	ds_read_u16 v7, v37
	s_waitcnt lgkmcnt(1)
	v_add_u32_sdwa v24, v6, v34 dst_sel:DWORD dst_unused:UNUSED_PAD src0_sel:DWORD src1_sel:WORD_0
	s_waitcnt lgkmcnt(0)
	v_add_u32_sdwa v25, v7, v36 dst_sel:DWORD dst_unused:UNUSED_PAD src0_sel:DWORD src1_sel:WORD_0
	s_cbranch_scc0 .LBB204_14
; %bb.25:
                                        ; implicit-def: $vgpr8_vgpr9
                                        ; implicit-def: $sgpr34
                                        ; implicit-def: $vgpr22_vgpr23
.LBB204_26:
	v_lshlrev_b32_e32 v6, 2, v24
	s_waitcnt lgkmcnt(0)
	; wave barrier
	ds_write_b32 v6, v20
	v_lshlrev_b32_e32 v6, 2, v25
	ds_write_b32 v6, v21
	s_waitcnt lgkmcnt(0)
	; wave barrier
	s_waitcnt lgkmcnt(0)
	ds_read2_b32 v[20:21], v28 offset1:1
	v_lshlrev_b32_e32 v6, 3, v24
	v_lshlrev_b32_e32 v7, 3, v25
	s_waitcnt lgkmcnt(0)
	; wave barrier
	s_waitcnt lgkmcnt(0)
	ds_write_b64 v6, v[18:19]
	ds_write_b64 v7, v[16:17]
	s_waitcnt lgkmcnt(0)
	; wave barrier
	s_waitcnt lgkmcnt(0)
	ds_read2_b64 v[6:9], v13 offset1:1
	v_bfrev_b32_e32 v16, 1
	v_cmp_lt_i32_e32 vcc, -1, v20
	v_cndmask_b32_e64 v18, v16, -1, vcc
	v_cmp_lt_i32_e32 vcc, -1, v21
	v_cndmask_b32_e64 v16, v16, -1, vcc
	v_xor_b32_e32 v17, v16, v21
	v_xor_b32_e32 v16, v18, v20
	s_branch .LBB204_42
.LBB204_27:
                                        ; implicit-def: $vgpr8_vgpr9
                                        ; implicit-def: $vgpr16_vgpr17
	s_cbranch_execz .LBB204_42
; %bb.28:
	v_bfrev_b32_e32 v20, -2
	v_cmp_gt_i32_e32 vcc, 0, v14
	s_waitcnt lgkmcnt(0)
	v_cndmask_b32_e64 v6, v20, 0, vcc
	v_cmp_gt_i32_e32 vcc, 0, v15
	v_xor_b32_e32 v16, v6, v14
	v_cndmask_b32_e64 v6, v20, 0, vcc
	s_mov_b32 s34, 0
	v_xor_b32_e32 v17, v6, v15
	v_and_b32_e32 v21, 14, v30
	v_mov_b32_e32 v22, 0
	s_brev_b32 s35, 1
	s_movk_i32 s36, 0x70
	s_branch .LBB204_30
.LBB204_29:                             ;   in Loop: Header=BB204_30 Depth=1
	v_lshlrev_b32_e32 v2, 2, v18
	s_waitcnt lgkmcnt(0)
	; wave barrier
	ds_write_b32 v2, v14
	v_lshlrev_b32_e32 v2, 2, v19
	ds_write_b32 v2, v15
	v_lshlrev_b32_e32 v2, 3, v18
	s_waitcnt lgkmcnt(0)
	; wave barrier
	s_waitcnt lgkmcnt(0)
	ds_read2_b32 v[16:17], v28 offset1:1
	s_waitcnt lgkmcnt(0)
	; wave barrier
	s_waitcnt lgkmcnt(0)
	ds_write_b64 v2, v[8:9]
	v_lshlrev_b32_e32 v2, 3, v19
	ds_write_b64 v2, v[6:7]
	s_waitcnt lgkmcnt(0)
	; wave barrier
	s_waitcnt lgkmcnt(0)
	ds_read2_b64 v[2:5], v13 offset1:1
	s_add_i32 s34, s34, 4
	s_waitcnt lgkmcnt(0)
	; wave barrier
	s_waitcnt lgkmcnt(0)
	s_cbranch_execz .LBB204_41
.LBB204_30:                             ; =>This Loop Header: Depth=1
                                        ;     Child Loop BB204_33 Depth 2
	v_pk_mov_b32 v[6:7], v[4:5], v[4:5] op_sel:[0,1]
	v_pk_mov_b32 v[8:9], v[2:3], v[2:3] op_sel:[0,1]
	;; [unrolled: 1-line block ×3, first 2 shown]
	s_and_saveexec_b64 s[22:23], s[4:5]
	s_cbranch_execz .LBB204_37
; %bb.31:                               ;   in Loop: Header=BB204_30 Depth=1
	s_mov_b32 s37, 0
	s_mov_b64 s[24:25], 0
	v_pk_mov_b32 v[2:3], v[0:1], v[0:1] op_sel:[0,1]
	s_branch .LBB204_33
.LBB204_32:                             ;   in Loop: Header=BB204_33 Depth=2
	s_or_b64 exec, exec, s[28:29]
	s_add_i32 s37, s37, 2
	v_cmp_eq_u32_e32 vcc, s37, v21
	v_add_u32_e32 v3, 32, v3
	s_or_b64 s[24:25], vcc, s[24:25]
	v_add_u32_e32 v2, 32, v2
	s_andn2_b64 exec, exec, s[24:25]
	s_cbranch_execz .LBB204_37
.LBB204_33:                             ;   Parent Loop BB204_30 Depth=1
                                        ; =>  This Inner Loop Header: Depth=2
	s_or_b32 s26, s37, 1
	v_cmp_le_u32_e64 s[26:27], s26, 7
	v_cmp_le_u32_e64 s[38:39], s37, 7
	s_and_saveexec_b64 s[28:29], s[38:39]
	s_cbranch_execz .LBB204_35
; %bb.34:                               ;   in Loop: Header=BB204_33 Depth=2
	v_lshlrev_b32_e32 v4, 2, v2
	ds_write_b32 v4, v22
.LBB204_35:                             ;   in Loop: Header=BB204_33 Depth=2
	s_or_b64 exec, exec, s[28:29]
	s_and_saveexec_b64 s[28:29], s[26:27]
	s_cbranch_execz .LBB204_32
; %bb.36:                               ;   in Loop: Header=BB204_33 Depth=2
	v_lshlrev_b32_e32 v4, 2, v3
	ds_write_b32 v4, v22
	s_branch .LBB204_32
.LBB204_37:                             ;   in Loop: Header=BB204_30 Depth=1
	s_or_b64 exec, exec, s[22:23]
	s_sub_i32 s22, 32, s34
	s_min_u32 s22, s33, s22
	v_cmp_ne_u32_e32 vcc, s35, v14
	s_lshl_b32 s22, -1, s22
	v_cndmask_b32_e32 v2, v20, v14, vcc
	s_not_b32 s22, s22
	v_lshrrev_b32_e32 v2, s34, v2
	v_and_b32_e32 v2, s22, v2
	v_lshrrev_b32_e32 v3, 3, v2
	v_lshlrev_b32_e32 v2, 4, v2
	v_and_or_b32 v2, v2, s36, v0
	v_lshlrev_b32_e32 v2, 1, v2
	v_add_lshl_u32 v24, v2, v3, 1
	ds_read_u16 v23, v24
	v_cmp_ne_u32_e32 vcc, s35, v15
	s_waitcnt lgkmcnt(0)
	v_add_u16_e32 v2, 1, v23
	ds_write_b16 v24, v2
	v_cndmask_b32_e32 v2, v20, v15, vcc
	v_lshrrev_b32_e32 v2, s34, v2
	v_and_b32_e32 v2, s22, v2
	v_lshrrev_b32_e32 v3, 3, v2
	v_lshlrev_b32_e32 v2, 4, v2
	v_and_or_b32 v2, v2, s36, v0
	v_lshlrev_b32_e32 v2, 1, v2
	v_add_lshl_u32 v30, v2, v3, 1
	ds_read_u16 v25, v30
	s_waitcnt lgkmcnt(0)
	v_add_u16_e32 v2, 1, v25
	ds_write_b16 v30, v2
	s_waitcnt lgkmcnt(0)
	; wave barrier
	s_waitcnt lgkmcnt(0)
	ds_read2_b32 v[18:19], v11 offset1:1
	ds_read2_b32 v[16:17], v11 offset0:2 offset1:3
	ds_read2_b32 v[2:3], v11 offset0:4 offset1:5
	;; [unrolled: 1-line block ×3, first 2 shown]
	s_waitcnt lgkmcnt(3)
	v_add_u32_e32 v31, v19, v18
	s_waitcnt lgkmcnt(2)
	v_add3_u32 v31, v31, v16, v17
	s_waitcnt lgkmcnt(1)
	v_add3_u32 v31, v31, v2, v3
	;; [unrolled: 2-line block ×3, first 2 shown]
	s_nop 1
	v_mov_b32_dpp v31, v5 row_shr:1 row_mask:0xf bank_mask:0xf
	v_cndmask_b32_e64 v31, v31, 0, s[6:7]
	v_add_u32_e32 v5, v31, v5
	s_nop 1
	v_mov_b32_dpp v31, v5 row_shr:2 row_mask:0xf bank_mask:0xf
	v_cndmask_b32_e64 v31, 0, v31, s[8:9]
	v_add_u32_e32 v5, v5, v31
	;; [unrolled: 4-line block ×4, first 2 shown]
	s_and_saveexec_b64 s[22:23], s[14:15]
	s_cbranch_execz .LBB204_39
; %bb.38:                               ;   in Loop: Header=BB204_30 Depth=1
	ds_write_b32 v22, v5 offset:512
.LBB204_39:                             ;   in Loop: Header=BB204_30 Depth=1
	s_or_b64 exec, exec, s[22:23]
	ds_bpermute_b32 v5, v29, v5
	s_waitcnt lgkmcnt(0)
	; wave barrier
	s_waitcnt lgkmcnt(0)
	ds_read_b32 v31, v22 offset:512
	s_cmp_gt_u32 s34, 27
	v_cndmask_b32_e64 v5, v5, 0, s[16:17]
	s_waitcnt lgkmcnt(0)
	v_lshl_add_u32 v5, v31, 16, v5
	v_add_u32_e32 v18, v5, v18
	v_add_u32_e32 v19, v18, v19
	ds_write2_b32 v11, v5, v18 offset1:1
	v_add_u32_e32 v5, v19, v16
	v_add_u32_e32 v16, v5, v17
	;; [unrolled: 1-line block ×5, first 2 shown]
	ds_write2_b32 v11, v19, v5 offset0:2 offset1:3
	ds_write2_b32 v11, v16, v2 offset0:4 offset1:5
	;; [unrolled: 1-line block ×3, first 2 shown]
	s_waitcnt lgkmcnt(0)
	; wave barrier
	s_waitcnt lgkmcnt(0)
	ds_read_u16 v2, v24
	ds_read_u16 v3, v30
	s_waitcnt lgkmcnt(1)
	v_add_u32_sdwa v18, v2, v23 dst_sel:DWORD dst_unused:UNUSED_PAD src0_sel:DWORD src1_sel:WORD_0
	s_waitcnt lgkmcnt(0)
	v_add_u32_sdwa v19, v3, v25 dst_sel:DWORD dst_unused:UNUSED_PAD src0_sel:DWORD src1_sel:WORD_0
	s_cbranch_scc0 .LBB204_29
; %bb.40:
                                        ; implicit-def: $vgpr4_vgpr5
                                        ; implicit-def: $sgpr34
                                        ; implicit-def: $vgpr16_vgpr17
.LBB204_41:
	v_lshlrev_b32_e32 v0, 2, v18
	s_waitcnt lgkmcnt(0)
	; wave barrier
	ds_write_b32 v0, v14
	v_lshlrev_b32_e32 v0, 2, v19
	ds_write_b32 v0, v15
	s_waitcnt lgkmcnt(0)
	; wave barrier
	s_waitcnt lgkmcnt(0)
	ds_read2_b32 v[0:1], v28 offset1:1
	v_lshlrev_b32_e32 v2, 3, v18
	v_lshlrev_b32_e32 v3, 3, v19
	s_waitcnt lgkmcnt(0)
	; wave barrier
	s_waitcnt lgkmcnt(0)
	ds_write_b64 v2, v[8:9]
	ds_write_b64 v3, v[6:7]
	s_waitcnt lgkmcnt(0)
	; wave barrier
	s_waitcnt lgkmcnt(0)
	ds_read2_b64 v[6:9], v13 offset1:1
	v_bfrev_b32_e32 v2, -2
	v_cmp_gt_i32_e32 vcc, 0, v0
	v_cndmask_b32_e64 v3, v2, 0, vcc
	v_cmp_gt_i32_e32 vcc, 0, v1
	v_cndmask_b32_e64 v2, v2, 0, vcc
	v_xor_b32_e32 v17, v2, v1
	v_xor_b32_e32 v16, v3, v0
.LBB204_42:
	s_waitcnt lgkmcnt(0)
	; wave barrier
	s_waitcnt lgkmcnt(0)
	ds_write2_b32 v26, v16, v17 offset1:1
	s_waitcnt lgkmcnt(0)
	; wave barrier
	s_waitcnt lgkmcnt(0)
	ds_read_b32 v2, v27 offset:64
	v_mov_b32_e32 v11, 0
	v_lshlrev_b64 v[0:1], 2, v[10:11]
	v_mov_b32_e32 v3, s21
	v_add_co_u32_e32 v0, vcc, s19, v0
	v_addc_co_u32_e32 v1, vcc, v3, v1, vcc
	s_and_saveexec_b64 s[4:5], s[0:1]
	s_cbranch_execz .LBB204_44
; %bb.43:
	ds_read_b32 v3, v27
	s_waitcnt lgkmcnt(0)
	global_store_dword v[0:1], v3, off
.LBB204_44:
	s_or_b64 exec, exec, s[4:5]
	s_and_saveexec_b64 s[4:5], s[2:3]
	s_cbranch_execz .LBB204_46
; %bb.45:
	s_lshl_b32 s6, s18, 4
	s_mov_b32 s7, 0
	s_lshl_b64 s[6:7], s[6:7], 2
	v_mov_b32_e32 v3, s7
	v_add_co_u32_e32 v0, vcc, s6, v0
	v_addc_co_u32_e32 v1, vcc, v1, v3, vcc
	s_waitcnt lgkmcnt(0)
	global_store_dword v[0:1], v2, off
.LBB204_46:
	s_or_b64 exec, exec, s[4:5]
	s_waitcnt lgkmcnt(0)
	; wave barrier
	s_waitcnt lgkmcnt(0)
	ds_write2_b64 v13, v[6:7], v[8:9] offset1:1
	s_waitcnt lgkmcnt(0)
	; wave barrier
	s_waitcnt lgkmcnt(0)
	ds_read_b64 v[0:1], v26 offset:128
	v_mov_b32_e32 v13, 0
	v_lshlrev_b64 v[2:3], 3, v[12:13]
	v_mov_b32_e32 v4, s31
	v_add_co_u32_e32 v2, vcc, s30, v2
	v_addc_co_u32_e32 v3, vcc, v4, v3, vcc
	s_and_saveexec_b64 s[4:5], s[0:1]
	s_cbranch_execz .LBB204_48
; %bb.47:
	ds_read_b64 v[4:5], v26
	s_waitcnt lgkmcnt(0)
	global_store_dwordx2 v[2:3], v[4:5], off
.LBB204_48:
	s_or_b64 exec, exec, s[4:5]
	s_and_saveexec_b64 s[0:1], s[2:3]
	s_cbranch_execz .LBB204_50
; %bb.49:
	s_lshl_b32 s0, s20, 4
	s_mov_b32 s1, 0
	s_lshl_b64 s[0:1], s[0:1], 3
	v_mov_b32_e32 v4, s1
	v_add_co_u32_e32 v2, vcc, s0, v2
	v_addc_co_u32_e32 v3, vcc, v3, v4, vcc
	s_waitcnt lgkmcnt(0)
	global_store_dwordx2 v[2:3], v[0:1], off
.LBB204_50:
	s_endpgm
	.section	.rodata,"a",@progbits
	.p2align	6, 0x0
	.amdhsa_kernel _ZN2at6native18radixSortKVInPlaceILin2ELin1ELi16ELi2EfljEEvNS_4cuda6detail10TensorInfoIT3_T5_EES6_S6_S6_NS4_IT4_S6_EES6_b
		.amdhsa_group_segment_fixed_size 528
		.amdhsa_private_segment_fixed_size 0
		.amdhsa_kernarg_size 712
		.amdhsa_user_sgpr_count 6
		.amdhsa_user_sgpr_private_segment_buffer 1
		.amdhsa_user_sgpr_dispatch_ptr 0
		.amdhsa_user_sgpr_queue_ptr 0
		.amdhsa_user_sgpr_kernarg_segment_ptr 1
		.amdhsa_user_sgpr_dispatch_id 0
		.amdhsa_user_sgpr_flat_scratch_init 0
		.amdhsa_user_sgpr_kernarg_preload_length 0
		.amdhsa_user_sgpr_kernarg_preload_offset 0
		.amdhsa_user_sgpr_private_segment_size 0
		.amdhsa_uses_dynamic_stack 0
		.amdhsa_system_sgpr_private_segment_wavefront_offset 0
		.amdhsa_system_sgpr_workgroup_id_x 1
		.amdhsa_system_sgpr_workgroup_id_y 1
		.amdhsa_system_sgpr_workgroup_id_z 1
		.amdhsa_system_sgpr_workgroup_info 0
		.amdhsa_system_vgpr_workitem_id 0
		.amdhsa_next_free_vgpr 39
		.amdhsa_next_free_sgpr 40
		.amdhsa_accum_offset 40
		.amdhsa_reserve_vcc 1
		.amdhsa_reserve_flat_scratch 0
		.amdhsa_float_round_mode_32 0
		.amdhsa_float_round_mode_16_64 0
		.amdhsa_float_denorm_mode_32 3
		.amdhsa_float_denorm_mode_16_64 3
		.amdhsa_dx10_clamp 1
		.amdhsa_ieee_mode 1
		.amdhsa_fp16_overflow 0
		.amdhsa_tg_split 0
		.amdhsa_exception_fp_ieee_invalid_op 0
		.amdhsa_exception_fp_denorm_src 0
		.amdhsa_exception_fp_ieee_div_zero 0
		.amdhsa_exception_fp_ieee_overflow 0
		.amdhsa_exception_fp_ieee_underflow 0
		.amdhsa_exception_fp_ieee_inexact 0
		.amdhsa_exception_int_div_zero 0
	.end_amdhsa_kernel
	.section	.text._ZN2at6native18radixSortKVInPlaceILin2ELin1ELi16ELi2EfljEEvNS_4cuda6detail10TensorInfoIT3_T5_EES6_S6_S6_NS4_IT4_S6_EES6_b,"axG",@progbits,_ZN2at6native18radixSortKVInPlaceILin2ELin1ELi16ELi2EfljEEvNS_4cuda6detail10TensorInfoIT3_T5_EES6_S6_S6_NS4_IT4_S6_EES6_b,comdat
.Lfunc_end204:
	.size	_ZN2at6native18radixSortKVInPlaceILin2ELin1ELi16ELi2EfljEEvNS_4cuda6detail10TensorInfoIT3_T5_EES6_S6_S6_NS4_IT4_S6_EES6_b, .Lfunc_end204-_ZN2at6native18radixSortKVInPlaceILin2ELin1ELi16ELi2EfljEEvNS_4cuda6detail10TensorInfoIT3_T5_EES6_S6_S6_NS4_IT4_S6_EES6_b
                                        ; -- End function
	.section	.AMDGPU.csdata,"",@progbits
; Kernel info:
; codeLenInByte = 3136
; NumSgprs: 44
; NumVgprs: 39
; NumAgprs: 0
; TotalNumVgprs: 39
; ScratchSize: 0
; MemoryBound: 0
; FloatMode: 240
; IeeeMode: 1
; LDSByteSize: 528 bytes/workgroup (compile time only)
; SGPRBlocks: 5
; VGPRBlocks: 4
; NumSGPRsForWavesPerEU: 44
; NumVGPRsForWavesPerEU: 39
; AccumOffset: 40
; Occupancy: 8
; WaveLimiterHint : 1
; COMPUTE_PGM_RSRC2:SCRATCH_EN: 0
; COMPUTE_PGM_RSRC2:USER_SGPR: 6
; COMPUTE_PGM_RSRC2:TRAP_HANDLER: 0
; COMPUTE_PGM_RSRC2:TGID_X_EN: 1
; COMPUTE_PGM_RSRC2:TGID_Y_EN: 1
; COMPUTE_PGM_RSRC2:TGID_Z_EN: 1
; COMPUTE_PGM_RSRC2:TIDIG_COMP_CNT: 0
; COMPUTE_PGM_RSRC3_GFX90A:ACCUM_OFFSET: 9
; COMPUTE_PGM_RSRC3_GFX90A:TG_SPLIT: 0
	.section	.text._ZN2at6native18radixSortKVInPlaceILi2ELin1ELi512ELi8EfljEEvNS_4cuda6detail10TensorInfoIT3_T5_EES6_S6_S6_NS4_IT4_S6_EES6_b,"axG",@progbits,_ZN2at6native18radixSortKVInPlaceILi2ELin1ELi512ELi8EfljEEvNS_4cuda6detail10TensorInfoIT3_T5_EES6_S6_S6_NS4_IT4_S6_EES6_b,comdat
	.protected	_ZN2at6native18radixSortKVInPlaceILi2ELin1ELi512ELi8EfljEEvNS_4cuda6detail10TensorInfoIT3_T5_EES6_S6_S6_NS4_IT4_S6_EES6_b ; -- Begin function _ZN2at6native18radixSortKVInPlaceILi2ELin1ELi512ELi8EfljEEvNS_4cuda6detail10TensorInfoIT3_T5_EES6_S6_S6_NS4_IT4_S6_EES6_b
	.globl	_ZN2at6native18radixSortKVInPlaceILi2ELin1ELi512ELi8EfljEEvNS_4cuda6detail10TensorInfoIT3_T5_EES6_S6_S6_NS4_IT4_S6_EES6_b
	.p2align	8
	.type	_ZN2at6native18radixSortKVInPlaceILi2ELin1ELi512ELi8EfljEEvNS_4cuda6detail10TensorInfoIT3_T5_EES6_S6_S6_NS4_IT4_S6_EES6_b,@function
_ZN2at6native18radixSortKVInPlaceILi2ELin1ELi512ELi8EfljEEvNS_4cuda6detail10TensorInfoIT3_T5_EES6_S6_S6_NS4_IT4_S6_EES6_b: ; @_ZN2at6native18radixSortKVInPlaceILi2ELin1ELi512ELi8EfljEEvNS_4cuda6detail10TensorInfoIT3_T5_EES6_S6_S6_NS4_IT4_S6_EES6_b
; %bb.0:
	s_load_dwordx2 s[0:1], s[4:5], 0x1c8
	s_load_dwordx4 s[48:51], s[4:5], 0xd8
	s_add_u32 s54, s4, 0x1c8
	s_addc_u32 s55, s5, 0
	s_waitcnt lgkmcnt(0)
	s_mul_i32 s1, s1, s8
	s_add_i32 s1, s1, s7
	s_mul_i32 s8, s1, s0
	s_add_i32 s8, s8, s6
	s_cmp_ge_u32 s8, s48
	s_cbranch_scc1 .LBB205_110
; %bb.1:
	s_load_dword s9, s[4:5], 0xc
	s_load_dwordx2 s[0:1], s[4:5], 0x6c
	s_load_dword s6, s[4:5], 0x1b8
	s_add_u32 s14, s4, 0xe8
	s_load_dwordx2 s[2:3], s[4:5], 0x0
	s_waitcnt lgkmcnt(0)
	v_cvt_f32_u32_e32 v1, s9
	s_addc_u32 s15, s5, 0
	s_sub_i32 s7, 0, s9
	s_mov_b32 s17, 0
	v_rcp_iflag_f32_e32 v1, v1
	s_mov_b32 s16, s8
	v_mul_f32_e32 v1, 0x4f7ffffe, v1
	v_cvt_u32_f32_e32 v1, v1
	v_readfirstlane_b32 s10, v1
	s_mul_i32 s7, s7, s10
	s_mul_hi_u32 s7, s10, s7
	s_add_i32 s10, s10, s7
	s_mul_hi_u32 s10, s8, s10
	s_cmp_lt_i32 s6, 2
	s_cbranch_scc1 .LBB205_4
; %bb.2:
	s_add_i32 s16, s6, -1
	s_add_i32 s11, s6, 1
	s_lshl_b64 s[6:7], s[16:17], 2
	s_add_u32 s6, s6, s14
	s_addc_u32 s7, s7, s15
	s_add_u32 s6, s6, 8
	s_addc_u32 s7, s7, 0
	s_mov_b32 s16, s8
.LBB205_3:                              ; =>This Inner Loop Header: Depth=1
	s_load_dword s12, s[6:7], 0x0
	s_load_dword s18, s[6:7], 0x64
	s_mov_b32 s13, s16
	s_waitcnt lgkmcnt(0)
	v_cvt_f32_u32_e32 v1, s12
	s_sub_i32 s16, 0, s12
	v_rcp_iflag_f32_e32 v1, v1
	v_mul_f32_e32 v1, 0x4f7ffffe, v1
	v_cvt_u32_f32_e32 v1, v1
	v_readfirstlane_b32 s19, v1
	s_mul_i32 s16, s16, s19
	s_mul_hi_u32 s16, s19, s16
	s_add_i32 s19, s19, s16
	s_mul_hi_u32 s16, s13, s19
	s_mul_i32 s19, s16, s12
	s_sub_i32 s19, s13, s19
	s_add_i32 s20, s16, 1
	s_sub_i32 s21, s19, s12
	s_cmp_ge_u32 s19, s12
	s_cselect_b32 s16, s20, s16
	s_cselect_b32 s19, s21, s19
	s_add_i32 s20, s16, 1
	s_cmp_ge_u32 s19, s12
	s_cselect_b32 s16, s20, s16
	s_mul_i32 s12, s16, s12
	s_sub_i32 s12, s13, s12
	s_mul_i32 s12, s18, s12
	s_add_i32 s11, s11, -1
	s_add_i32 s17, s12, s17
	s_add_u32 s6, s6, -4
	s_addc_u32 s7, s7, -1
	s_cmp_gt_u32 s11, 2
	s_cbranch_scc1 .LBB205_3
.LBB205_4:
	s_mul_i32 s6, s10, s9
	s_sub_i32 s6, s8, s6
	s_add_i32 s7, s10, 1
	s_sub_i32 s11, s6, s9
	s_cmp_ge_u32 s6, s9
	s_cselect_b32 s7, s7, s10
	s_cselect_b32 s6, s11, s6
	s_add_i32 s10, s7, 1
	s_cmp_ge_u32 s6, s9
	s_cselect_b32 s6, s10, s7
	s_load_dwordx2 s[52:53], s[4:5], 0x1c0
	s_mul_i32 s7, s6, s9
	s_sub_i32 s4, s8, s7
	s_mul_i32 s4, s4, s1
	s_mul_i32 s0, s6, s0
	s_add_i32 s0, s0, s4
	s_waitcnt lgkmcnt(0)
	s_bitcmp1_b32 s53, 0
	s_mov_b32 s1, 0
	v_bfrev_b32_e32 v1, -2
	s_cselect_b64 s[34:35], -1, 0
	s_lshl_b64 s[0:1], s[0:1], 2
	s_add_u32 s33, s2, s0
	v_cndmask_b32_e64 v1, v1, -1, s[34:35]
	v_and_b32_e32 v38, 0x3ff, v0
	s_addc_u32 s48, s3, s1
	v_mov_b32_e32 v2, v1
	v_mov_b32_e32 v3, v1
	;; [unrolled: 1-line block ×6, first 2 shown]
	v_cmp_gt_u32_e64 s[0:1], s49, v38
	v_mul_lo_u32 v34, v38, s50
	v_mov_b32_e32 v8, v1
	s_and_saveexec_b64 s[2:3], s[0:1]
	s_cbranch_execz .LBB205_6
; %bb.5:
	v_mov_b32_e32 v35, 0
	v_lshlrev_b64 v[8:9], 2, v[34:35]
	v_mov_b32_e32 v10, s48
	v_add_co_u32_e32 v8, vcc, s33, v8
	v_addc_co_u32_e32 v9, vcc, v10, v9, vcc
	global_load_dword v8, v[8:9], off
.LBB205_6:
	s_or_b64 exec, exec, s[2:3]
	v_add_u32_e32 v30, 0x200, v38
	v_cmp_gt_u32_e64 s[2:3], s49, v30
	s_and_saveexec_b64 s[4:5], s[2:3]
	s_cbranch_execz .LBB205_8
; %bb.7:
	v_mul_lo_u32 v10, v30, s50
	v_mov_b32_e32 v11, 0
	v_lshlrev_b64 v[10:11], 2, v[10:11]
	v_mov_b32_e32 v1, s48
	v_add_co_u32_e32 v10, vcc, s33, v10
	v_addc_co_u32_e32 v11, vcc, v1, v11, vcc
	global_load_dword v1, v[10:11], off
.LBB205_8:
	s_or_b64 exec, exec, s[4:5]
	v_or_b32_e32 v28, 0x400, v38
	v_cmp_gt_u32_e64 s[4:5], s49, v28
	s_and_saveexec_b64 s[6:7], s[4:5]
	s_cbranch_execz .LBB205_10
; %bb.9:
	v_mul_lo_u32 v10, v28, s50
	v_mov_b32_e32 v11, 0
	v_lshlrev_b64 v[10:11], 2, v[10:11]
	v_mov_b32_e32 v2, s48
	v_add_co_u32_e32 v10, vcc, s33, v10
	v_addc_co_u32_e32 v11, vcc, v2, v11, vcc
	global_load_dword v2, v[10:11], off
.LBB205_10:
	s_or_b64 exec, exec, s[6:7]
	v_add_u32_e32 v26, 0x600, v38
	v_cmp_gt_u32_e64 s[6:7], s49, v26
	s_and_saveexec_b64 s[8:9], s[6:7]
	s_cbranch_execz .LBB205_12
; %bb.11:
	v_mul_lo_u32 v10, v26, s50
	v_mov_b32_e32 v11, 0
	v_lshlrev_b64 v[10:11], 2, v[10:11]
	v_mov_b32_e32 v3, s48
	v_add_co_u32_e32 v10, vcc, s33, v10
	v_addc_co_u32_e32 v11, vcc, v3, v11, vcc
	global_load_dword v3, v[10:11], off
.LBB205_12:
	s_or_b64 exec, exec, s[8:9]
	v_or_b32_e32 v24, 0x800, v38
	v_cmp_gt_u32_e64 s[8:9], s49, v24
	s_and_saveexec_b64 s[10:11], s[8:9]
	s_cbranch_execz .LBB205_14
; %bb.13:
	v_mul_lo_u32 v10, v24, s50
	v_mov_b32_e32 v11, 0
	v_lshlrev_b64 v[10:11], 2, v[10:11]
	v_mov_b32_e32 v4, s48
	v_add_co_u32_e32 v10, vcc, s33, v10
	v_addc_co_u32_e32 v11, vcc, v4, v11, vcc
	global_load_dword v4, v[10:11], off
.LBB205_14:
	s_or_b64 exec, exec, s[10:11]
	v_add_u32_e32 v21, 0xa00, v38
	v_cmp_gt_u32_e64 s[10:11], s49, v21
	s_and_saveexec_b64 s[12:13], s[10:11]
	s_cbranch_execz .LBB205_16
; %bb.15:
	v_mul_lo_u32 v10, v21, s50
	v_mov_b32_e32 v11, 0
	v_lshlrev_b64 v[10:11], 2, v[10:11]
	v_mov_b32_e32 v5, s48
	v_add_co_u32_e32 v10, vcc, s33, v10
	v_addc_co_u32_e32 v11, vcc, v5, v11, vcc
	global_load_dword v5, v[10:11], off
.LBB205_16:
	s_or_b64 exec, exec, s[12:13]
	s_load_dwordx2 s[18:19], s[14:15], 0x0
	v_or_b32_e32 v19, 0xc00, v38
	v_cmp_gt_u32_e64 s[12:13], s49, v19
	s_and_saveexec_b64 s[20:21], s[12:13]
	s_cbranch_execz .LBB205_18
; %bb.17:
	v_mul_lo_u32 v10, v19, s50
	v_mov_b32_e32 v11, 0
	v_lshlrev_b64 v[10:11], 2, v[10:11]
	v_mov_b32_e32 v6, s48
	v_add_co_u32_e32 v10, vcc, s33, v10
	v_addc_co_u32_e32 v11, vcc, v6, v11, vcc
	global_load_dword v6, v[10:11], off
.LBB205_18:
	s_or_b64 exec, exec, s[20:21]
	s_load_dword s22, s[14:15], 0x6c
	v_add_u32_e32 v18, 0xe00, v38
	v_cmp_gt_u32_e64 s[14:15], s49, v18
	s_and_saveexec_b64 s[20:21], s[14:15]
	s_cbranch_execz .LBB205_20
; %bb.19:
	v_mul_lo_u32 v10, v18, s50
	v_mov_b32_e32 v11, 0
	v_lshlrev_b64 v[10:11], 2, v[10:11]
	v_mov_b32_e32 v7, s48
	v_add_co_u32_e32 v10, vcc, s33, v10
	v_addc_co_u32_e32 v11, vcc, v7, v11, vcc
	global_load_dword v7, v[10:11], off
.LBB205_20:
	s_or_b64 exec, exec, s[20:21]
	v_lshrrev_b32_e32 v9, 5, v38
	v_add_u32_e32 v32, v9, v38
	v_lshlrev_b32_e32 v39, 2, v32
	s_waitcnt vmcnt(0)
	ds_write_b32 v39, v8
	v_lshrrev_b32_e32 v8, 5, v30
	v_add_u32_e32 v31, v8, v38
	v_lshlrev_b32_e32 v35, 2, v31
	ds_write_b32 v35, v1 offset:2048
	v_lshrrev_b32_e32 v1, 5, v28
	v_add_u32_e32 v29, v1, v38
	v_lshrrev_b32_e32 v1, 5, v26
	v_add_u32_e32 v27, v1, v38
	;; [unrolled: 2-line block ×3, first 2 shown]
	v_lshrrev_b32_e32 v1, 5, v21
	v_lshlrev_b32_e32 v72, 2, v29
	v_add_u32_e32 v23, v1, v38
	v_lshrrev_b32_e32 v1, 5, v19
	ds_write_b32 v72, v2 offset:4096
	v_add_u32_e32 v20, v1, v38
	v_lshrrev_b32_e32 v1, 5, v18
	v_lshlrev_b32_e32 v87, 3, v38
	v_lshrrev_b32_e32 v2, 2, v38
	v_add_u32_e32 v1, v1, v38
	v_add_u32_e32 v22, v2, v87
	v_lshlrev_b32_e32 v73, 2, v27
	v_lshlrev_b32_e32 v74, 2, v25
	;; [unrolled: 1-line block ×6, first 2 shown]
	ds_write_b32 v73, v3 offset:6144
	ds_write_b32 v74, v4 offset:8192
	;; [unrolled: 1-line block ×5, first 2 shown]
	s_waitcnt lgkmcnt(0)
	s_barrier
	ds_read2_b32 v[46:47], v78 offset1:1
	ds_read2_b32 v[44:45], v78 offset0:2 offset1:3
	ds_read2_b32 v[42:43], v78 offset0:4 offset1:5
	;; [unrolled: 1-line block ×3, first 2 shown]
	s_mul_i32 s16, s22, s16
	s_add_i32 s16, s16, s17
	s_mov_b32 s17, 0
	s_lshl_b64 s[20:21], s[16:17], 3
	s_add_u32 s49, s18, s20
	s_mov_b32 s16, s17
	s_addc_u32 s51, s19, s21
	s_mov_b32 s18, s17
	s_mov_b32 s19, s17
	;; [unrolled: 1-line block ×14, first 2 shown]
	v_pk_mov_b32 v[2:3], s[16:17], s[16:17] op_sel:[0,1]
	v_pk_mov_b32 v[4:5], s[18:19], s[18:19] op_sel:[0,1]
	;; [unrolled: 1-line block ×8, first 2 shown]
	v_pk_mov_b32 v[2:3], 0, 0
	v_mul_lo_u32 v36, v38, s52
	s_waitcnt lgkmcnt(0)
	s_barrier
	s_and_saveexec_b64 s[16:17], s[0:1]
	s_cbranch_execnz .LBB205_57
; %bb.21:
	s_or_b64 exec, exec, s[16:17]
	s_and_saveexec_b64 s[16:17], s[2:3]
	s_cbranch_execnz .LBB205_58
.LBB205_22:
	s_or_b64 exec, exec, s[16:17]
	s_and_saveexec_b64 s[16:17], s[4:5]
	s_cbranch_execnz .LBB205_59
.LBB205_23:
	s_or_b64 exec, exec, s[16:17]
	s_and_saveexec_b64 s[16:17], s[6:7]
	s_cbranch_execnz .LBB205_60
.LBB205_24:
	s_or_b64 exec, exec, s[16:17]
	s_and_saveexec_b64 s[16:17], s[8:9]
	s_cbranch_execnz .LBB205_61
.LBB205_25:
	s_or_b64 exec, exec, s[16:17]
	s_and_saveexec_b64 s[16:17], s[10:11]
	s_cbranch_execnz .LBB205_62
.LBB205_26:
	s_or_b64 exec, exec, s[16:17]
	s_and_saveexec_b64 s[16:17], s[12:13]
	s_cbranch_execnz .LBB205_63
.LBB205_27:
	s_or_b64 exec, exec, s[16:17]
	s_xor_b64 s[16:17], s[34:35], -1
	s_and_saveexec_b64 s[18:19], s[14:15]
	s_cbranch_execz .LBB205_29
.LBB205_28:
	v_mul_lo_u32 v16, v18, s52
	v_mov_b32_e32 v17, 0
	v_lshlrev_b64 v[16:17], 3, v[16:17]
	v_mov_b32_e32 v18, s51
	v_add_co_u32_e32 v16, vcc, s49, v16
	v_addc_co_u32_e32 v17, vcc, v18, v17, vcc
	global_load_dwordx2 v[16:17], v[16:17], off
.LBB205_29:
	s_or_b64 exec, exec, s[18:19]
	v_lshlrev_b32_e32 v79, 3, v32
	v_lshlrev_b32_e32 v37, 3, v31
	;; [unrolled: 1-line block ×9, first 2 shown]
	s_waitcnt vmcnt(0)
	ds_write_b64 v79, v[2:3]
	ds_write_b64 v37, v[4:5] offset:4096
	ds_write_b64 v80, v[6:7] offset:8192
	;; [unrolled: 1-line block ×7, first 2 shown]
	s_waitcnt lgkmcnt(0)
	s_barrier
	ds_read2_b64 v[14:17], v86 offset1:1
	ds_read2_b64 v[10:13], v86 offset0:2 offset1:3
	ds_read2_b64 v[6:9], v86 offset0:4 offset1:5
	;; [unrolled: 1-line block ×3, first 2 shown]
	s_and_b64 vcc, exec, s[16:17]
	v_bfe_u32 v91, v0, 10, 10
	v_bfe_u32 v92, v0, 20, 10
	v_mbcnt_lo_u32_b32 v93, -1, 0
	v_lshlrev_b32_e32 v88, 2, v38
	v_lshlrev_b32_e32 v89, 4, v38
	v_cmp_gt_u32_e64 s[16:17], 8, v38
	v_cmp_lt_u32_e64 s[18:19], 63, v38
	v_cmp_eq_u32_e64 s[20:21], 0, v38
	v_lshrrev_b32_e32 v90, 4, v38
	s_waitcnt lgkmcnt(0)
	s_barrier
	s_cbranch_vccz .LBB205_64
; %bb.30:
	v_bfrev_b32_e32 v94, 1
	v_cmp_lt_i32_e32 vcc, -1, v46
	v_mbcnt_hi_u32_b32 v48, -1, v93
	v_and_b32_e32 v49, 0x3c0, v38
	v_cndmask_b32_e32 v18, -1, v94, vcc
	v_cmp_lt_i32_e32 vcc, -1, v47
	v_add_u32_e32 v0, v48, v49
	v_cndmask_b32_e32 v19, -1, v94, vcc
	v_lshlrev_b32_e32 v1, 5, v0
	v_xor_b32_e32 v19, v19, v47
	v_xor_b32_e32 v18, v18, v46
	v_cmp_lt_i32_e32 vcc, -1, v44
	ds_write2_b32 v1, v18, v19 offset1:1
	v_cndmask_b32_e32 v18, -1, v94, vcc
	v_cmp_lt_i32_e32 vcc, -1, v45
	v_cndmask_b32_e32 v19, -1, v94, vcc
	v_xor_b32_e32 v19, v19, v45
	v_xor_b32_e32 v18, v18, v44
	v_cmp_lt_i32_e32 vcc, -1, v42
	ds_write2_b32 v1, v18, v19 offset0:2 offset1:3
	v_cndmask_b32_e32 v18, -1, v94, vcc
	v_cmp_lt_i32_e32 vcc, -1, v43
	v_cndmask_b32_e32 v19, -1, v94, vcc
	v_xor_b32_e32 v19, v19, v43
	v_xor_b32_e32 v18, v18, v42
	v_cmp_lt_i32_e32 vcc, -1, v40
	ds_write2_b32 v1, v18, v19 offset0:4 offset1:5
	v_cndmask_b32_e32 v18, -1, v94, vcc
	v_cmp_lt_i32_e32 vcc, -1, v41
	v_cndmask_b32_e32 v19, -1, v94, vcc
	v_xor_b32_e32 v19, v19, v41
	v_xor_b32_e32 v18, v18, v40
	v_and_b32_e32 v50, 0x1e00, v87
	ds_write2_b32 v1, v18, v19 offset0:6 offset1:7
	v_or_b32_e32 v1, v48, v50
	v_lshlrev_b32_e32 v18, 2, v1
	v_lshlrev_b32_e32 v0, 6, v0
	; wave barrier
	ds_read2st64_b32 v[64:65], v18 offset1:1
	ds_read2st64_b32 v[66:67], v18 offset0:2 offset1:3
	ds_read2st64_b32 v[68:69], v18 offset0:4 offset1:5
	;; [unrolled: 1-line block ×3, first 2 shown]
	s_waitcnt lgkmcnt(0)
	s_barrier
	ds_write2_b64 v0, v[14:15], v[16:17] offset1:1
	ds_write2_b64 v0, v[10:11], v[12:13] offset0:2 offset1:3
	ds_write2_b64 v0, v[6:7], v[8:9] offset0:4 offset1:5
	;; [unrolled: 1-line block ×3, first 2 shown]
	v_lshlrev_b32_e32 v0, 3, v1
	; wave barrier
	ds_read2st64_b64 v[18:21], v0 offset1:1
	ds_read2st64_b64 v[22:25], v0 offset0:2 offset1:3
	ds_read2st64_b64 v[26:29], v0 offset0:4 offset1:5
	;; [unrolled: 1-line block ×3, first 2 shown]
	s_waitcnt lgkmcnt(0)
	s_barrier
	s_load_dword s24, s[54:55], 0xc
	s_getpc_b64 s[22:23]
	s_add_u32 s22, s22, _ZN7rocprim17ROCPRIM_400000_NS16block_radix_sortIfLj512ELj8ElLj1ELj1ELj0ELNS0_26block_radix_rank_algorithmE1ELNS0_18block_padding_hintE2ELNS0_4arch9wavefront6targetE1EE19radix_bits_per_passE@rel32@lo+4
	s_addc_u32 s23, s23, _ZN7rocprim17ROCPRIM_400000_NS16block_radix_sortIfLj512ELj8ElLj1ELj1ELj0ELNS0_26block_radix_rank_algorithmE1ELNS0_18block_padding_hintE2ELNS0_4arch9wavefront6targetE1EE19radix_bits_per_passE@rel32@hi+12
	s_load_dword s53, s[22:23], 0x0
	v_and_b32_e32 v98, 60, v90
	s_mov_b32 s56, 0
	s_waitcnt lgkmcnt(0)
	s_lshr_b32 s22, s24, 16
	s_and_b32 s23, s24, 0xffff
	v_mad_u32_u24 v0, v92, s22, v91
	v_mad_u64_u32 v[0:1], s[22:23], v0, s23, v[38:39]
	v_lshrrev_b32_e32 v96, 6, v0
	v_and_b32_e32 v0, 15, v48
	v_cmp_eq_u32_e64 s[22:23], 0, v0
	v_cmp_lt_u32_e64 s[24:25], 1, v0
	v_cmp_lt_u32_e64 s[26:27], 3, v0
	;; [unrolled: 1-line block ×3, first 2 shown]
	v_and_b32_e32 v0, 16, v48
	v_cmp_eq_u32_e64 s[30:31], 0, v0
	v_min_u32_e32 v0, 0x1c0, v49
	v_or_b32_e32 v0, 63, v0
	v_cmp_eq_u32_e64 s[36:37], v0, v38
	v_add_u32_e32 v0, -1, v48
	v_and_b32_e32 v1, 64, v48
	v_cmp_lt_i32_e32 vcc, v0, v1
	v_cndmask_b32_e32 v0, v0, v48, vcc
	v_lshlrev_b32_e32 v97, 2, v0
	v_and_b32_e32 v0, 7, v48
	v_cmp_eq_u32_e64 s[40:41], 0, v0
	v_cmp_lt_u32_e64 s[42:43], 1, v0
	v_cmp_lt_u32_e64 s[44:45], 3, v0
	v_and_or_b32 v0, v48, 63, v50
	s_mov_b32 s57, 32
	v_add_u32_e32 v95, 32, v89
	v_cmp_lt_u32_e64 s[34:35], 31, v48
	v_cmp_eq_u32_e64 s[38:39], 0, v48
	v_add_u32_e32 v99, -4, v98
	v_lshlrev_b32_e32 v100, 2, v0
	v_lshlrev_b32_e32 v101, 3, v0
	v_mov_b32_e32 v62, 0
	s_brev_b32 s58, -2
	s_branch .LBB205_32
.LBB205_31:                             ;   in Loop: Header=BB205_32 Depth=1
	v_lshlrev_b32_e32 v18, 2, v63
	s_barrier
	ds_write_b32 v18, v109
	v_lshlrev_b32_e32 v18, 2, v111
	ds_write_b32 v18, v108
	v_lshlrev_b32_e32 v18, 2, v112
	;; [unrolled: 2-line block ×8, first 2 shown]
	s_waitcnt lgkmcnt(0)
	s_barrier
	ds_read2st64_b32 v[64:65], v100 offset1:1
	ds_read2st64_b32 v[66:67], v100 offset0:2 offset1:3
	ds_read2st64_b32 v[68:69], v100 offset0:4 offset1:5
	;; [unrolled: 1-line block ×3, first 2 shown]
	s_waitcnt lgkmcnt(0)
	s_barrier
	ds_write_b64 v18, v[60:61]
	v_lshlrev_b32_e32 v18, 3, v111
	ds_write_b64 v18, v[58:59]
	v_lshlrev_b32_e32 v18, 3, v112
	ds_write_b64 v18, v[56:57]
	v_lshlrev_b32_e32 v18, 3, v113
	ds_write_b64 v18, v[54:55]
	v_lshlrev_b32_e32 v18, 3, v114
	ds_write_b64 v18, v[52:53]
	v_lshlrev_b32_e32 v18, 3, v115
	ds_write_b64 v18, v[50:51]
	v_lshlrev_b32_e32 v18, 3, v116
	ds_write_b64 v18, v[48:49]
	v_lshlrev_b32_e32 v18, 3, v110
	ds_write_b64 v18, v[0:1]
	s_waitcnt lgkmcnt(0)
	s_barrier
	ds_read2st64_b64 v[18:21], v101 offset1:1
	ds_read2st64_b64 v[22:25], v101 offset0:2 offset1:3
	ds_read2st64_b64 v[26:29], v101 offset0:4 offset1:5
	;; [unrolled: 1-line block ×3, first 2 shown]
	s_add_i32 s56, s56, 8
	s_add_i32 s57, s57, -8
	s_waitcnt lgkmcnt(0)
	s_barrier
	s_cbranch_execz .LBB205_56
.LBB205_32:                             ; =>This Inner Loop Header: Depth=1
	v_mov_b32_e32 v109, v64
	s_min_u32 s46, s53, s57
	v_cmp_ne_u32_e32 vcc, s58, v109
	v_pk_mov_b32 v[60:61], v[18:19], v[18:19] op_sel:[0,1]
	s_lshl_b32 s46, -1, s46
	v_cndmask_b32_e32 v18, v94, v109, vcc
	s_not_b32 s59, s46
	v_lshrrev_b32_e32 v18, s56, v18
	v_and_b32_e32 v18, s59, v18
	v_lshl_add_u32 v19, v18, 3, v96
	v_pk_mov_b32 v[56:57], v[22:23], v[22:23] op_sel:[0,1]
	v_lshl_add_u32 v22, v19, 2, 32
	v_and_b32_e32 v19, 1, v18
	v_pk_mov_b32 v[58:59], v[20:21], v[20:21] op_sel:[0,1]
	v_add_co_u32_e32 v20, vcc, -1, v19
	v_addc_co_u32_e64 v21, s[46:47], 0, -1, vcc
	v_cmp_ne_u32_e32 vcc, 0, v19
	v_lshlrev_b32_e32 v63, 30, v18
	v_xor_b32_e32 v19, vcc_hi, v21
	v_not_b32_e32 v21, v63
	v_xor_b32_e32 v20, vcc_lo, v20
	v_cmp_gt_i64_e32 vcc, 0, v[62:63]
	v_ashrrev_i32_e32 v21, 31, v21
	v_and_b32_e32 v20, exec_lo, v20
	v_xor_b32_e32 v23, vcc_hi, v21
	v_xor_b32_e32 v21, vcc_lo, v21
	v_lshlrev_b32_e32 v63, 29, v18
	v_and_b32_e32 v20, v20, v21
	v_not_b32_e32 v21, v63
	v_and_b32_e32 v19, exec_hi, v19
	v_cmp_gt_i64_e32 vcc, 0, v[62:63]
	v_ashrrev_i32_e32 v21, 31, v21
	v_and_b32_e32 v19, v19, v23
	v_xor_b32_e32 v23, vcc_hi, v21
	v_xor_b32_e32 v21, vcc_lo, v21
	v_lshlrev_b32_e32 v63, 28, v18
	v_and_b32_e32 v20, v20, v21
	v_not_b32_e32 v21, v63
	v_cmp_gt_i64_e32 vcc, 0, v[62:63]
	v_ashrrev_i32_e32 v21, 31, v21
	v_and_b32_e32 v19, v19, v23
	v_xor_b32_e32 v23, vcc_hi, v21
	v_xor_b32_e32 v21, vcc_lo, v21
	v_lshlrev_b32_e32 v63, 27, v18
	v_and_b32_e32 v20, v20, v21
	v_not_b32_e32 v21, v63
	;; [unrolled: 8-line block ×3, first 2 shown]
	v_cmp_gt_i64_e32 vcc, 0, v[62:63]
	v_ashrrev_i32_e32 v21, 31, v21
	v_and_b32_e32 v19, v19, v23
	v_xor_b32_e32 v23, vcc_hi, v21
	v_xor_b32_e32 v21, vcc_lo, v21
	v_lshlrev_b32_e32 v63, 25, v18
	v_and_b32_e32 v20, v20, v21
	v_cmp_gt_i64_e32 vcc, 0, v[62:63]
	v_not_b32_e32 v21, v63
	v_lshlrev_b32_e32 v63, 24, v18
	v_ashrrev_i32_e32 v21, 31, v21
	v_not_b32_e32 v18, v63
	v_and_b32_e32 v19, v19, v23
	v_xor_b32_e32 v23, vcc_hi, v21
	v_xor_b32_e32 v21, vcc_lo, v21
	v_cmp_gt_i64_e32 vcc, 0, v[62:63]
	v_ashrrev_i32_e32 v18, 31, v18
	v_and_b32_e32 v20, v20, v21
	v_xor_b32_e32 v21, vcc_hi, v18
	v_xor_b32_e32 v18, vcc_lo, v18
	v_and_b32_e32 v19, v19, v23
	v_and_b32_e32 v18, v20, v18
	v_and_b32_e32 v19, v19, v21
	v_mbcnt_lo_u32_b32 v20, v18, 0
	v_mbcnt_hi_u32_b32 v23, v19, v20
	v_cmp_eq_u32_e32 vcc, 0, v23
	v_cmp_ne_u64_e64 s[46:47], 0, v[18:19]
	v_mov_b32_e32 v102, v71
	v_mov_b32_e32 v103, v70
	;; [unrolled: 1-line block ×7, first 2 shown]
	v_pk_mov_b32 v[0:1], v[32:33], v[32:33] op_sel:[0,1]
	v_pk_mov_b32 v[48:49], v[30:31], v[30:31] op_sel:[0,1]
	;; [unrolled: 1-line block ×5, first 2 shown]
	s_and_b64 s[60:61], s[46:47], vcc
	ds_write2_b32 v89, v62, v62 offset0:8 offset1:9
	ds_write2_b32 v95, v62, v62 offset0:2 offset1:3
	s_waitcnt lgkmcnt(0)
	s_barrier
	s_waitcnt lgkmcnt(0)
	; wave barrier
	s_and_saveexec_b64 s[46:47], s[60:61]
	s_cbranch_execz .LBB205_34
; %bb.33:                               ;   in Loop: Header=BB205_32 Depth=1
	v_bcnt_u32_b32 v18, v18, 0
	v_bcnt_u32_b32 v18, v19, v18
	ds_write_b32 v22, v18
.LBB205_34:                             ;   in Loop: Header=BB205_32 Depth=1
	s_or_b64 exec, exec, s[46:47]
	v_cmp_ne_u32_e32 vcc, s58, v108
	v_cndmask_b32_e32 v18, v94, v108, vcc
	v_lshrrev_b32_e32 v18, s56, v18
	v_and_b32_e32 v18, s59, v18
	v_lshlrev_b32_e32 v19, 3, v18
	v_add_lshl_u32 v19, v19, v96, 2
	; wave barrier
	v_add_u32_e32 v25, 32, v19
	ds_read_b32 v24, v19 offset:32
	v_and_b32_e32 v19, 1, v18
	v_add_co_u32_e32 v20, vcc, -1, v19
	v_addc_co_u32_e64 v21, s[46:47], 0, -1, vcc
	v_cmp_ne_u32_e32 vcc, 0, v19
	v_lshlrev_b32_e32 v63, 30, v18
	v_xor_b32_e32 v19, vcc_hi, v21
	v_not_b32_e32 v21, v63
	v_xor_b32_e32 v20, vcc_lo, v20
	v_cmp_gt_i64_e32 vcc, 0, v[62:63]
	v_ashrrev_i32_e32 v21, 31, v21
	v_and_b32_e32 v20, exec_lo, v20
	v_xor_b32_e32 v26, vcc_hi, v21
	v_xor_b32_e32 v21, vcc_lo, v21
	v_lshlrev_b32_e32 v63, 29, v18
	v_and_b32_e32 v20, v20, v21
	v_not_b32_e32 v21, v63
	v_and_b32_e32 v19, exec_hi, v19
	v_cmp_gt_i64_e32 vcc, 0, v[62:63]
	v_ashrrev_i32_e32 v21, 31, v21
	v_and_b32_e32 v19, v19, v26
	v_xor_b32_e32 v26, vcc_hi, v21
	v_xor_b32_e32 v21, vcc_lo, v21
	v_lshlrev_b32_e32 v63, 28, v18
	v_and_b32_e32 v20, v20, v21
	v_not_b32_e32 v21, v63
	v_cmp_gt_i64_e32 vcc, 0, v[62:63]
	v_ashrrev_i32_e32 v21, 31, v21
	v_and_b32_e32 v19, v19, v26
	v_xor_b32_e32 v26, vcc_hi, v21
	v_xor_b32_e32 v21, vcc_lo, v21
	v_lshlrev_b32_e32 v63, 27, v18
	v_and_b32_e32 v20, v20, v21
	v_not_b32_e32 v21, v63
	;; [unrolled: 8-line block ×3, first 2 shown]
	v_cmp_gt_i64_e32 vcc, 0, v[62:63]
	v_ashrrev_i32_e32 v21, 31, v21
	v_and_b32_e32 v19, v19, v26
	v_xor_b32_e32 v26, vcc_hi, v21
	v_xor_b32_e32 v21, vcc_lo, v21
	v_lshlrev_b32_e32 v63, 25, v18
	v_and_b32_e32 v20, v20, v21
	v_cmp_gt_i64_e32 vcc, 0, v[62:63]
	v_not_b32_e32 v21, v63
	v_lshlrev_b32_e32 v63, 24, v18
	v_ashrrev_i32_e32 v21, 31, v21
	v_not_b32_e32 v18, v63
	v_and_b32_e32 v19, v19, v26
	v_xor_b32_e32 v26, vcc_hi, v21
	v_xor_b32_e32 v21, vcc_lo, v21
	v_cmp_gt_i64_e32 vcc, 0, v[62:63]
	v_ashrrev_i32_e32 v18, 31, v18
	v_and_b32_e32 v20, v20, v21
	v_xor_b32_e32 v21, vcc_hi, v18
	v_xor_b32_e32 v18, vcc_lo, v18
	v_and_b32_e32 v19, v19, v26
	v_and_b32_e32 v18, v20, v18
	;; [unrolled: 1-line block ×3, first 2 shown]
	v_mbcnt_lo_u32_b32 v20, v18, 0
	v_mbcnt_hi_u32_b32 v26, v19, v20
	v_cmp_eq_u32_e32 vcc, 0, v26
	v_cmp_ne_u64_e64 s[46:47], 0, v[18:19]
	s_and_b64 s[60:61], s[46:47], vcc
	; wave barrier
	s_and_saveexec_b64 s[46:47], s[60:61]
	s_cbranch_execz .LBB205_36
; %bb.35:                               ;   in Loop: Header=BB205_32 Depth=1
	v_bcnt_u32_b32 v18, v18, 0
	v_bcnt_u32_b32 v18, v19, v18
	s_waitcnt lgkmcnt(0)
	v_add_u32_e32 v18, v24, v18
	ds_write_b32 v25, v18
.LBB205_36:                             ;   in Loop: Header=BB205_32 Depth=1
	s_or_b64 exec, exec, s[46:47]
	v_cmp_ne_u32_e32 vcc, s58, v107
	v_cndmask_b32_e32 v18, v94, v107, vcc
	v_lshrrev_b32_e32 v18, s56, v18
	v_and_b32_e32 v18, s59, v18
	v_lshlrev_b32_e32 v19, 3, v18
	v_add_lshl_u32 v19, v19, v96, 2
	; wave barrier
	v_add_u32_e32 v28, 32, v19
	ds_read_b32 v27, v19 offset:32
	v_and_b32_e32 v19, 1, v18
	v_add_co_u32_e32 v20, vcc, -1, v19
	v_addc_co_u32_e64 v21, s[46:47], 0, -1, vcc
	v_cmp_ne_u32_e32 vcc, 0, v19
	v_lshlrev_b32_e32 v63, 30, v18
	v_xor_b32_e32 v19, vcc_hi, v21
	v_not_b32_e32 v21, v63
	v_xor_b32_e32 v20, vcc_lo, v20
	v_cmp_gt_i64_e32 vcc, 0, v[62:63]
	v_ashrrev_i32_e32 v21, 31, v21
	v_and_b32_e32 v20, exec_lo, v20
	v_xor_b32_e32 v29, vcc_hi, v21
	v_xor_b32_e32 v21, vcc_lo, v21
	v_lshlrev_b32_e32 v63, 29, v18
	v_and_b32_e32 v20, v20, v21
	v_not_b32_e32 v21, v63
	v_and_b32_e32 v19, exec_hi, v19
	v_cmp_gt_i64_e32 vcc, 0, v[62:63]
	v_ashrrev_i32_e32 v21, 31, v21
	v_and_b32_e32 v19, v19, v29
	v_xor_b32_e32 v29, vcc_hi, v21
	v_xor_b32_e32 v21, vcc_lo, v21
	v_lshlrev_b32_e32 v63, 28, v18
	v_and_b32_e32 v20, v20, v21
	v_not_b32_e32 v21, v63
	v_cmp_gt_i64_e32 vcc, 0, v[62:63]
	v_ashrrev_i32_e32 v21, 31, v21
	v_and_b32_e32 v19, v19, v29
	v_xor_b32_e32 v29, vcc_hi, v21
	v_xor_b32_e32 v21, vcc_lo, v21
	v_lshlrev_b32_e32 v63, 27, v18
	v_and_b32_e32 v20, v20, v21
	v_not_b32_e32 v21, v63
	;; [unrolled: 8-line block ×3, first 2 shown]
	v_cmp_gt_i64_e32 vcc, 0, v[62:63]
	v_ashrrev_i32_e32 v21, 31, v21
	v_and_b32_e32 v19, v19, v29
	v_xor_b32_e32 v29, vcc_hi, v21
	v_xor_b32_e32 v21, vcc_lo, v21
	v_lshlrev_b32_e32 v63, 25, v18
	v_and_b32_e32 v20, v20, v21
	v_cmp_gt_i64_e32 vcc, 0, v[62:63]
	v_not_b32_e32 v21, v63
	v_lshlrev_b32_e32 v63, 24, v18
	v_ashrrev_i32_e32 v21, 31, v21
	v_not_b32_e32 v18, v63
	v_and_b32_e32 v19, v19, v29
	v_xor_b32_e32 v29, vcc_hi, v21
	v_xor_b32_e32 v21, vcc_lo, v21
	v_cmp_gt_i64_e32 vcc, 0, v[62:63]
	v_ashrrev_i32_e32 v18, 31, v18
	v_and_b32_e32 v20, v20, v21
	v_xor_b32_e32 v21, vcc_hi, v18
	v_xor_b32_e32 v18, vcc_lo, v18
	v_and_b32_e32 v19, v19, v29
	v_and_b32_e32 v18, v20, v18
	;; [unrolled: 1-line block ×3, first 2 shown]
	v_mbcnt_lo_u32_b32 v20, v18, 0
	v_mbcnt_hi_u32_b32 v29, v19, v20
	v_cmp_eq_u32_e32 vcc, 0, v29
	v_cmp_ne_u64_e64 s[46:47], 0, v[18:19]
	s_and_b64 s[60:61], s[46:47], vcc
	; wave barrier
	s_and_saveexec_b64 s[46:47], s[60:61]
	s_cbranch_execz .LBB205_38
; %bb.37:                               ;   in Loop: Header=BB205_32 Depth=1
	v_bcnt_u32_b32 v18, v18, 0
	v_bcnt_u32_b32 v18, v19, v18
	s_waitcnt lgkmcnt(0)
	v_add_u32_e32 v18, v27, v18
	ds_write_b32 v28, v18
.LBB205_38:                             ;   in Loop: Header=BB205_32 Depth=1
	s_or_b64 exec, exec, s[46:47]
	v_cmp_ne_u32_e32 vcc, s58, v106
	v_cndmask_b32_e32 v18, v94, v106, vcc
	v_lshrrev_b32_e32 v18, s56, v18
	v_and_b32_e32 v18, s59, v18
	v_lshlrev_b32_e32 v19, 3, v18
	v_add_lshl_u32 v19, v19, v96, 2
	; wave barrier
	v_add_u32_e32 v31, 32, v19
	ds_read_b32 v30, v19 offset:32
	v_and_b32_e32 v19, 1, v18
	v_add_co_u32_e32 v20, vcc, -1, v19
	v_addc_co_u32_e64 v21, s[46:47], 0, -1, vcc
	v_cmp_ne_u32_e32 vcc, 0, v19
	v_lshlrev_b32_e32 v63, 30, v18
	v_xor_b32_e32 v19, vcc_hi, v21
	v_not_b32_e32 v21, v63
	v_xor_b32_e32 v20, vcc_lo, v20
	v_cmp_gt_i64_e32 vcc, 0, v[62:63]
	v_ashrrev_i32_e32 v21, 31, v21
	v_and_b32_e32 v20, exec_lo, v20
	v_xor_b32_e32 v32, vcc_hi, v21
	v_xor_b32_e32 v21, vcc_lo, v21
	v_lshlrev_b32_e32 v63, 29, v18
	v_and_b32_e32 v20, v20, v21
	v_not_b32_e32 v21, v63
	v_and_b32_e32 v19, exec_hi, v19
	v_cmp_gt_i64_e32 vcc, 0, v[62:63]
	v_ashrrev_i32_e32 v21, 31, v21
	v_and_b32_e32 v19, v19, v32
	v_xor_b32_e32 v32, vcc_hi, v21
	v_xor_b32_e32 v21, vcc_lo, v21
	v_lshlrev_b32_e32 v63, 28, v18
	v_and_b32_e32 v20, v20, v21
	v_not_b32_e32 v21, v63
	v_cmp_gt_i64_e32 vcc, 0, v[62:63]
	v_ashrrev_i32_e32 v21, 31, v21
	v_and_b32_e32 v19, v19, v32
	v_xor_b32_e32 v32, vcc_hi, v21
	v_xor_b32_e32 v21, vcc_lo, v21
	v_lshlrev_b32_e32 v63, 27, v18
	v_and_b32_e32 v20, v20, v21
	v_not_b32_e32 v21, v63
	v_cmp_gt_i64_e32 vcc, 0, v[62:63]
	v_ashrrev_i32_e32 v21, 31, v21
	v_and_b32_e32 v19, v19, v32
	v_xor_b32_e32 v32, vcc_hi, v21
	v_xor_b32_e32 v21, vcc_lo, v21
	v_lshlrev_b32_e32 v63, 26, v18
	v_and_b32_e32 v20, v20, v21
	v_not_b32_e32 v21, v63
	v_cmp_gt_i64_e32 vcc, 0, v[62:63]
	v_ashrrev_i32_e32 v21, 31, v21
	v_and_b32_e32 v19, v19, v32
	v_xor_b32_e32 v32, vcc_hi, v21
	v_xor_b32_e32 v21, vcc_lo, v21
	v_lshlrev_b32_e32 v63, 25, v18
	v_and_b32_e32 v20, v20, v21
	v_cmp_gt_i64_e32 vcc, 0, v[62:63]
	v_not_b32_e32 v21, v63
	v_lshlrev_b32_e32 v63, 24, v18
	v_ashrrev_i32_e32 v21, 31, v21
	v_not_b32_e32 v18, v63
	v_and_b32_e32 v19, v19, v32
	v_xor_b32_e32 v32, vcc_hi, v21
	v_xor_b32_e32 v21, vcc_lo, v21
	v_cmp_gt_i64_e32 vcc, 0, v[62:63]
	v_ashrrev_i32_e32 v18, 31, v18
	v_and_b32_e32 v20, v20, v21
	v_xor_b32_e32 v21, vcc_hi, v18
	v_xor_b32_e32 v18, vcc_lo, v18
	v_and_b32_e32 v19, v19, v32
	v_and_b32_e32 v18, v20, v18
	;; [unrolled: 1-line block ×3, first 2 shown]
	v_mbcnt_lo_u32_b32 v20, v18, 0
	v_mbcnt_hi_u32_b32 v32, v19, v20
	v_cmp_eq_u32_e32 vcc, 0, v32
	v_cmp_ne_u64_e64 s[46:47], 0, v[18:19]
	s_and_b64 s[60:61], s[46:47], vcc
	; wave barrier
	s_and_saveexec_b64 s[46:47], s[60:61]
	s_cbranch_execz .LBB205_40
; %bb.39:                               ;   in Loop: Header=BB205_32 Depth=1
	v_bcnt_u32_b32 v18, v18, 0
	v_bcnt_u32_b32 v18, v19, v18
	s_waitcnt lgkmcnt(0)
	v_add_u32_e32 v18, v30, v18
	ds_write_b32 v31, v18
.LBB205_40:                             ;   in Loop: Header=BB205_32 Depth=1
	s_or_b64 exec, exec, s[46:47]
	v_cmp_ne_u32_e32 vcc, s58, v105
	v_cndmask_b32_e32 v18, v94, v105, vcc
	v_lshrrev_b32_e32 v18, s56, v18
	v_and_b32_e32 v18, s59, v18
	v_lshlrev_b32_e32 v19, 3, v18
	v_add_lshl_u32 v19, v19, v96, 2
	; wave barrier
	v_add_u32_e32 v64, 32, v19
	ds_read_b32 v33, v19 offset:32
	v_and_b32_e32 v19, 1, v18
	v_add_co_u32_e32 v20, vcc, -1, v19
	v_addc_co_u32_e64 v21, s[46:47], 0, -1, vcc
	v_cmp_ne_u32_e32 vcc, 0, v19
	v_lshlrev_b32_e32 v63, 30, v18
	v_xor_b32_e32 v19, vcc_hi, v21
	v_not_b32_e32 v21, v63
	v_xor_b32_e32 v20, vcc_lo, v20
	v_cmp_gt_i64_e32 vcc, 0, v[62:63]
	v_ashrrev_i32_e32 v21, 31, v21
	v_and_b32_e32 v19, exec_hi, v19
	v_xor_b32_e32 v63, vcc_hi, v21
	v_and_b32_e32 v20, exec_lo, v20
	v_xor_b32_e32 v21, vcc_lo, v21
	v_and_b32_e32 v19, v19, v63
	v_lshlrev_b32_e32 v63, 29, v18
	v_and_b32_e32 v20, v20, v21
	v_not_b32_e32 v21, v63
	v_cmp_gt_i64_e32 vcc, 0, v[62:63]
	v_ashrrev_i32_e32 v21, 31, v21
	v_xor_b32_e32 v63, vcc_hi, v21
	v_xor_b32_e32 v21, vcc_lo, v21
	v_and_b32_e32 v19, v19, v63
	v_lshlrev_b32_e32 v63, 28, v18
	v_and_b32_e32 v20, v20, v21
	v_not_b32_e32 v21, v63
	v_cmp_gt_i64_e32 vcc, 0, v[62:63]
	v_ashrrev_i32_e32 v21, 31, v21
	v_xor_b32_e32 v63, vcc_hi, v21
	;; [unrolled: 8-line block ×5, first 2 shown]
	v_and_b32_e32 v19, v19, v63
	v_lshlrev_b32_e32 v63, 24, v18
	v_not_b32_e32 v18, v63
	v_xor_b32_e32 v21, vcc_lo, v21
	v_cmp_gt_i64_e32 vcc, 0, v[62:63]
	v_ashrrev_i32_e32 v18, 31, v18
	v_and_b32_e32 v20, v20, v21
	v_xor_b32_e32 v21, vcc_hi, v18
	v_xor_b32_e32 v18, vcc_lo, v18
	v_and_b32_e32 v18, v20, v18
	v_and_b32_e32 v19, v19, v21
	v_mbcnt_lo_u32_b32 v20, v18, 0
	v_mbcnt_hi_u32_b32 v65, v19, v20
	v_cmp_eq_u32_e32 vcc, 0, v65
	v_cmp_ne_u64_e64 s[46:47], 0, v[18:19]
	s_and_b64 s[60:61], s[46:47], vcc
	; wave barrier
	s_and_saveexec_b64 s[46:47], s[60:61]
	s_cbranch_execz .LBB205_42
; %bb.41:                               ;   in Loop: Header=BB205_32 Depth=1
	v_bcnt_u32_b32 v18, v18, 0
	v_bcnt_u32_b32 v18, v19, v18
	s_waitcnt lgkmcnt(0)
	v_add_u32_e32 v18, v33, v18
	ds_write_b32 v64, v18
.LBB205_42:                             ;   in Loop: Header=BB205_32 Depth=1
	s_or_b64 exec, exec, s[46:47]
	v_cmp_ne_u32_e32 vcc, s58, v104
	v_cndmask_b32_e32 v18, v94, v104, vcc
	v_lshrrev_b32_e32 v18, s56, v18
	v_and_b32_e32 v18, s59, v18
	v_lshlrev_b32_e32 v19, 3, v18
	v_add_lshl_u32 v19, v19, v96, 2
	; wave barrier
	v_add_u32_e32 v67, 32, v19
	ds_read_b32 v66, v19 offset:32
	v_and_b32_e32 v19, 1, v18
	v_add_co_u32_e32 v20, vcc, -1, v19
	v_addc_co_u32_e64 v21, s[46:47], 0, -1, vcc
	v_cmp_ne_u32_e32 vcc, 0, v19
	v_lshlrev_b32_e32 v63, 30, v18
	v_xor_b32_e32 v19, vcc_hi, v21
	v_not_b32_e32 v21, v63
	v_xor_b32_e32 v20, vcc_lo, v20
	v_cmp_gt_i64_e32 vcc, 0, v[62:63]
	v_ashrrev_i32_e32 v21, 31, v21
	v_and_b32_e32 v19, exec_hi, v19
	v_xor_b32_e32 v63, vcc_hi, v21
	v_and_b32_e32 v20, exec_lo, v20
	v_xor_b32_e32 v21, vcc_lo, v21
	v_and_b32_e32 v19, v19, v63
	v_lshlrev_b32_e32 v63, 29, v18
	v_and_b32_e32 v20, v20, v21
	v_not_b32_e32 v21, v63
	v_cmp_gt_i64_e32 vcc, 0, v[62:63]
	v_ashrrev_i32_e32 v21, 31, v21
	v_xor_b32_e32 v63, vcc_hi, v21
	v_xor_b32_e32 v21, vcc_lo, v21
	v_and_b32_e32 v19, v19, v63
	v_lshlrev_b32_e32 v63, 28, v18
	v_and_b32_e32 v20, v20, v21
	v_not_b32_e32 v21, v63
	v_cmp_gt_i64_e32 vcc, 0, v[62:63]
	v_ashrrev_i32_e32 v21, 31, v21
	v_xor_b32_e32 v63, vcc_hi, v21
	;; [unrolled: 8-line block ×5, first 2 shown]
	v_and_b32_e32 v19, v19, v63
	v_lshlrev_b32_e32 v63, 24, v18
	v_not_b32_e32 v18, v63
	v_xor_b32_e32 v21, vcc_lo, v21
	v_cmp_gt_i64_e32 vcc, 0, v[62:63]
	v_ashrrev_i32_e32 v18, 31, v18
	v_and_b32_e32 v20, v20, v21
	v_xor_b32_e32 v21, vcc_hi, v18
	v_xor_b32_e32 v18, vcc_lo, v18
	v_and_b32_e32 v18, v20, v18
	v_and_b32_e32 v19, v19, v21
	v_mbcnt_lo_u32_b32 v20, v18, 0
	v_mbcnt_hi_u32_b32 v68, v19, v20
	v_cmp_eq_u32_e32 vcc, 0, v68
	v_cmp_ne_u64_e64 s[46:47], 0, v[18:19]
	s_and_b64 s[60:61], s[46:47], vcc
	; wave barrier
	s_and_saveexec_b64 s[46:47], s[60:61]
	s_cbranch_execz .LBB205_44
; %bb.43:                               ;   in Loop: Header=BB205_32 Depth=1
	v_bcnt_u32_b32 v18, v18, 0
	v_bcnt_u32_b32 v18, v19, v18
	s_waitcnt lgkmcnt(0)
	v_add_u32_e32 v18, v66, v18
	ds_write_b32 v67, v18
.LBB205_44:                             ;   in Loop: Header=BB205_32 Depth=1
	s_or_b64 exec, exec, s[46:47]
	v_cmp_ne_u32_e32 vcc, s58, v103
	v_cndmask_b32_e32 v18, v94, v103, vcc
	v_lshrrev_b32_e32 v18, s56, v18
	v_and_b32_e32 v18, s59, v18
	v_lshlrev_b32_e32 v19, 3, v18
	v_add_lshl_u32 v19, v19, v96, 2
	; wave barrier
	v_add_u32_e32 v70, 32, v19
	ds_read_b32 v69, v19 offset:32
	v_and_b32_e32 v19, 1, v18
	v_add_co_u32_e32 v20, vcc, -1, v19
	v_addc_co_u32_e64 v21, s[46:47], 0, -1, vcc
	v_cmp_ne_u32_e32 vcc, 0, v19
	v_lshlrev_b32_e32 v63, 30, v18
	v_xor_b32_e32 v19, vcc_hi, v21
	v_not_b32_e32 v21, v63
	v_xor_b32_e32 v20, vcc_lo, v20
	v_cmp_gt_i64_e32 vcc, 0, v[62:63]
	v_ashrrev_i32_e32 v21, 31, v21
	v_and_b32_e32 v19, exec_hi, v19
	v_xor_b32_e32 v63, vcc_hi, v21
	v_and_b32_e32 v20, exec_lo, v20
	v_xor_b32_e32 v21, vcc_lo, v21
	v_and_b32_e32 v19, v19, v63
	v_lshlrev_b32_e32 v63, 29, v18
	v_and_b32_e32 v20, v20, v21
	v_not_b32_e32 v21, v63
	v_cmp_gt_i64_e32 vcc, 0, v[62:63]
	v_ashrrev_i32_e32 v21, 31, v21
	v_xor_b32_e32 v63, vcc_hi, v21
	v_xor_b32_e32 v21, vcc_lo, v21
	v_and_b32_e32 v19, v19, v63
	v_lshlrev_b32_e32 v63, 28, v18
	v_and_b32_e32 v20, v20, v21
	v_not_b32_e32 v21, v63
	v_cmp_gt_i64_e32 vcc, 0, v[62:63]
	v_ashrrev_i32_e32 v21, 31, v21
	v_xor_b32_e32 v63, vcc_hi, v21
	;; [unrolled: 8-line block ×5, first 2 shown]
	v_and_b32_e32 v19, v19, v63
	v_lshlrev_b32_e32 v63, 24, v18
	v_not_b32_e32 v18, v63
	v_xor_b32_e32 v21, vcc_lo, v21
	v_cmp_gt_i64_e32 vcc, 0, v[62:63]
	v_ashrrev_i32_e32 v18, 31, v18
	v_and_b32_e32 v20, v20, v21
	v_xor_b32_e32 v21, vcc_hi, v18
	v_xor_b32_e32 v18, vcc_lo, v18
	v_and_b32_e32 v18, v20, v18
	v_and_b32_e32 v19, v19, v21
	v_mbcnt_lo_u32_b32 v20, v18, 0
	v_mbcnt_hi_u32_b32 v71, v19, v20
	v_cmp_eq_u32_e32 vcc, 0, v71
	v_cmp_ne_u64_e64 s[46:47], 0, v[18:19]
	s_and_b64 s[60:61], s[46:47], vcc
	; wave barrier
	s_and_saveexec_b64 s[46:47], s[60:61]
	s_cbranch_execz .LBB205_46
; %bb.45:                               ;   in Loop: Header=BB205_32 Depth=1
	v_bcnt_u32_b32 v18, v18, 0
	v_bcnt_u32_b32 v18, v19, v18
	s_waitcnt lgkmcnt(0)
	v_add_u32_e32 v18, v69, v18
	ds_write_b32 v70, v18
.LBB205_46:                             ;   in Loop: Header=BB205_32 Depth=1
	s_or_b64 exec, exec, s[46:47]
	v_cmp_ne_u32_e32 vcc, s58, v102
	v_cndmask_b32_e32 v18, v94, v102, vcc
	v_lshrrev_b32_e32 v18, s56, v18
	v_and_b32_e32 v18, s59, v18
	v_lshlrev_b32_e32 v19, 3, v18
	v_add_lshl_u32 v19, v19, v96, 2
	; wave barrier
	v_add_u32_e32 v111, 32, v19
	ds_read_b32 v110, v19 offset:32
	v_and_b32_e32 v19, 1, v18
	v_add_co_u32_e32 v20, vcc, -1, v19
	v_addc_co_u32_e64 v21, s[46:47], 0, -1, vcc
	v_cmp_ne_u32_e32 vcc, 0, v19
	v_lshlrev_b32_e32 v63, 30, v18
	v_xor_b32_e32 v19, vcc_hi, v21
	v_not_b32_e32 v21, v63
	v_xor_b32_e32 v20, vcc_lo, v20
	v_cmp_gt_i64_e32 vcc, 0, v[62:63]
	v_ashrrev_i32_e32 v21, 31, v21
	v_and_b32_e32 v19, exec_hi, v19
	v_xor_b32_e32 v63, vcc_hi, v21
	v_and_b32_e32 v20, exec_lo, v20
	v_xor_b32_e32 v21, vcc_lo, v21
	v_and_b32_e32 v19, v19, v63
	v_lshlrev_b32_e32 v63, 29, v18
	v_and_b32_e32 v20, v20, v21
	v_not_b32_e32 v21, v63
	v_cmp_gt_i64_e32 vcc, 0, v[62:63]
	v_ashrrev_i32_e32 v21, 31, v21
	v_xor_b32_e32 v63, vcc_hi, v21
	v_xor_b32_e32 v21, vcc_lo, v21
	v_and_b32_e32 v19, v19, v63
	v_lshlrev_b32_e32 v63, 28, v18
	v_and_b32_e32 v20, v20, v21
	v_not_b32_e32 v21, v63
	v_cmp_gt_i64_e32 vcc, 0, v[62:63]
	v_ashrrev_i32_e32 v21, 31, v21
	v_xor_b32_e32 v63, vcc_hi, v21
	;; [unrolled: 8-line block ×5, first 2 shown]
	v_and_b32_e32 v19, v19, v63
	v_lshlrev_b32_e32 v63, 24, v18
	v_not_b32_e32 v18, v63
	v_xor_b32_e32 v21, vcc_lo, v21
	v_cmp_gt_i64_e32 vcc, 0, v[62:63]
	v_ashrrev_i32_e32 v18, 31, v18
	v_and_b32_e32 v20, v20, v21
	v_xor_b32_e32 v21, vcc_hi, v18
	v_xor_b32_e32 v18, vcc_lo, v18
	v_and_b32_e32 v18, v20, v18
	v_and_b32_e32 v19, v19, v21
	v_mbcnt_lo_u32_b32 v20, v18, 0
	v_mbcnt_hi_u32_b32 v117, v19, v20
	v_cmp_eq_u32_e32 vcc, 0, v117
	v_cmp_ne_u64_e64 s[46:47], 0, v[18:19]
	s_and_b64 s[60:61], s[46:47], vcc
	; wave barrier
	s_and_saveexec_b64 s[46:47], s[60:61]
	s_cbranch_execz .LBB205_48
; %bb.47:                               ;   in Loop: Header=BB205_32 Depth=1
	v_bcnt_u32_b32 v18, v18, 0
	v_bcnt_u32_b32 v18, v19, v18
	s_waitcnt lgkmcnt(0)
	v_add_u32_e32 v18, v110, v18
	ds_write_b32 v111, v18
.LBB205_48:                             ;   in Loop: Header=BB205_32 Depth=1
	s_or_b64 exec, exec, s[46:47]
	; wave barrier
	s_waitcnt lgkmcnt(0)
	s_barrier
	ds_read2_b32 v[20:21], v89 offset0:8 offset1:9
	ds_read2_b32 v[18:19], v95 offset0:2 offset1:3
	s_waitcnt lgkmcnt(1)
	v_add_u32_e32 v63, v21, v20
	s_waitcnt lgkmcnt(0)
	v_add3_u32 v19, v63, v18, v19
	s_nop 1
	v_mov_b32_dpp v63, v19 row_shr:1 row_mask:0xf bank_mask:0xf
	v_cndmask_b32_e64 v63, v63, 0, s[22:23]
	v_add_u32_e32 v19, v63, v19
	s_nop 1
	v_mov_b32_dpp v63, v19 row_shr:2 row_mask:0xf bank_mask:0xf
	v_cndmask_b32_e64 v63, 0, v63, s[24:25]
	v_add_u32_e32 v19, v19, v63
	s_nop 1
	v_mov_b32_dpp v63, v19 row_shr:4 row_mask:0xf bank_mask:0xf
	v_cndmask_b32_e64 v63, 0, v63, s[26:27]
	v_add_u32_e32 v19, v19, v63
	s_nop 1
	v_mov_b32_dpp v63, v19 row_shr:8 row_mask:0xf bank_mask:0xf
	v_cndmask_b32_e64 v63, 0, v63, s[28:29]
	v_add_u32_e32 v19, v19, v63
	s_nop 1
	v_mov_b32_dpp v63, v19 row_bcast:15 row_mask:0xf bank_mask:0xf
	v_cndmask_b32_e64 v63, v63, 0, s[30:31]
	v_add_u32_e32 v19, v19, v63
	s_nop 1
	v_mov_b32_dpp v63, v19 row_bcast:31 row_mask:0xf bank_mask:0xf
	v_cndmask_b32_e64 v63, 0, v63, s[34:35]
	v_add_u32_e32 v19, v19, v63
	s_and_saveexec_b64 s[46:47], s[36:37]
	s_cbranch_execz .LBB205_50
; %bb.49:                               ;   in Loop: Header=BB205_32 Depth=1
	ds_write_b32 v98, v19
.LBB205_50:                             ;   in Loop: Header=BB205_32 Depth=1
	s_or_b64 exec, exec, s[46:47]
	s_waitcnt lgkmcnt(0)
	s_barrier
	s_and_saveexec_b64 s[46:47], s[16:17]
	s_cbranch_execz .LBB205_52
; %bb.51:                               ;   in Loop: Header=BB205_32 Depth=1
	ds_read_b32 v63, v88
	s_waitcnt lgkmcnt(0)
	s_nop 0
	v_mov_b32_dpp v112, v63 row_shr:1 row_mask:0xf bank_mask:0xf
	v_cndmask_b32_e64 v112, v112, 0, s[40:41]
	v_add_u32_e32 v63, v112, v63
	s_nop 1
	v_mov_b32_dpp v112, v63 row_shr:2 row_mask:0xf bank_mask:0xf
	v_cndmask_b32_e64 v112, 0, v112, s[42:43]
	v_add_u32_e32 v63, v63, v112
	;; [unrolled: 4-line block ×3, first 2 shown]
	ds_write_b32 v88, v63
.LBB205_52:                             ;   in Loop: Header=BB205_32 Depth=1
	s_or_b64 exec, exec, s[46:47]
	v_mov_b32_e32 v63, 0
	s_waitcnt lgkmcnt(0)
	s_barrier
	s_and_saveexec_b64 s[46:47], s[18:19]
	s_cbranch_execz .LBB205_54
; %bb.53:                               ;   in Loop: Header=BB205_32 Depth=1
	ds_read_b32 v63, v99
.LBB205_54:                             ;   in Loop: Header=BB205_32 Depth=1
	s_or_b64 exec, exec, s[46:47]
	s_waitcnt lgkmcnt(0)
	v_add_u32_e32 v19, v63, v19
	ds_bpermute_b32 v19, v97, v19
	s_cmp_gt_u32 s56, 23
	s_waitcnt lgkmcnt(0)
	v_cndmask_b32_e64 v19, v19, v63, s[38:39]
	v_cndmask_b32_e64 v19, v19, 0, s[20:21]
	v_add_u32_e32 v20, v19, v20
	v_add_u32_e32 v21, v20, v21
	;; [unrolled: 1-line block ×3, first 2 shown]
	ds_write2_b32 v89, v19, v20 offset0:8 offset1:9
	ds_write2_b32 v95, v21, v18 offset0:2 offset1:3
	s_waitcnt lgkmcnt(0)
	s_barrier
	ds_read_b32 v18, v22
	ds_read_b32 v19, v25
	;; [unrolled: 1-line block ×8, first 2 shown]
	s_waitcnt lgkmcnt(7)
	v_add_u32_e32 v63, v18, v23
	s_waitcnt lgkmcnt(6)
	v_add3_u32 v111, v26, v24, v19
	s_waitcnt lgkmcnt(5)
	v_add3_u32 v112, v29, v27, v20
	;; [unrolled: 2-line block ×7, first 2 shown]
	s_cbranch_scc0 .LBB205_31
; %bb.55:
                                        ; implicit-def: $vgpr71
                                        ; implicit-def: $vgpr69
                                        ; implicit-def: $vgpr67
                                        ; implicit-def: $vgpr65
                                        ; implicit-def: $vgpr32_vgpr33
                                        ; implicit-def: $vgpr28_vgpr29
                                        ; implicit-def: $vgpr24_vgpr25
                                        ; implicit-def: $vgpr20_vgpr21
                                        ; implicit-def: $sgpr56
                                        ; implicit-def: $sgpr57
.LBB205_56:
	v_lshlrev_b32_e32 v18, 2, v63
	s_barrier
	ds_write_b32 v18, v109
	v_lshlrev_b32_e32 v18, 2, v111
	ds_write_b32 v18, v108
	v_lshlrev_b32_e32 v18, 2, v112
	;; [unrolled: 2-line block ×7, first 2 shown]
	v_lshlrev_b32_e32 v24, 2, v87
	ds_write_b32 v18, v102
	s_waitcnt lgkmcnt(0)
	s_barrier
	ds_read2_b32 v[18:19], v24 offset1:1
	ds_read2_b32 v[20:21], v24 offset0:2 offset1:3
	ds_read2_b32 v[22:23], v24 offset0:4 offset1:5
	;; [unrolled: 1-line block ×3, first 2 shown]
	v_bfrev_b32_e32 v70, 1
	v_lshlrev_b32_e32 v25, 3, v63
	v_lshlrev_b32_e32 v26, 3, v111
	s_waitcnt lgkmcnt(3)
	v_cmp_lt_i32_e32 vcc, -1, v19
	v_cndmask_b32_e64 v24, v70, -1, vcc
	v_cmp_lt_i32_e32 vcc, -1, v18
	v_cndmask_b32_e64 v62, v70, -1, vcc
	s_waitcnt lgkmcnt(2)
	v_cmp_lt_i32_e32 vcc, -1, v21
	v_xor_b32_e32 v62, v62, v18
	v_cndmask_b32_e64 v18, v70, -1, vcc
	v_cmp_lt_i32_e32 vcc, -1, v20
	v_xor_b32_e32 v63, v24, v19
	v_cndmask_b32_e64 v19, v70, -1, vcc
	s_waitcnt lgkmcnt(1)
	v_cmp_lt_i32_e32 vcc, -1, v23
	v_xor_b32_e32 v65, v18, v21
	v_cndmask_b32_e64 v18, v70, -1, vcc
	v_cmp_lt_i32_e32 vcc, -1, v22
	v_lshlrev_b32_e32 v27, 3, v112
	v_lshlrev_b32_e32 v28, 3, v113
	;; [unrolled: 1-line block ×7, first 2 shown]
	v_xor_b32_e32 v64, v19, v20
	v_cndmask_b32_e64 v19, v70, -1, vcc
	v_xor_b32_e32 v66, v19, v22
	v_xor_b32_e32 v67, v18, v23
	s_waitcnt lgkmcnt(0)
	s_barrier
	ds_write_b64 v25, v[60:61]
	ds_write_b64 v26, v[58:59]
	;; [unrolled: 1-line block ×8, first 2 shown]
	s_waitcnt lgkmcnt(0)
	s_barrier
	ds_read2_b64 v[18:21], v33 offset1:1
	ds_read2_b64 v[22:25], v33 offset0:2 offset1:3
	ds_read2_b64 v[26:29], v33 offset0:4 offset1:5
	;; [unrolled: 1-line block ×3, first 2 shown]
	v_cmp_lt_i32_e32 vcc, -1, v69
	v_cndmask_b32_e64 v1, v70, -1, vcc
	v_cmp_lt_i32_e32 vcc, -1, v68
	v_cndmask_b32_e64 v0, v70, -1, vcc
	v_xor_b32_e32 v0, v0, v68
	v_xor_b32_e32 v1, v1, v69
	s_branch .LBB205_92
.LBB205_57:
	v_mov_b32_e32 v37, 0
	v_lshlrev_b64 v[2:3], 3, v[36:37]
	v_mov_b32_e32 v4, s51
	v_add_co_u32_e32 v2, vcc, s49, v2
	v_addc_co_u32_e32 v3, vcc, v4, v3, vcc
	global_load_dwordx2 v[2:3], v[2:3], off
	v_mov_b32_e32 v4, v37
	v_mov_b32_e32 v5, v37
	;; [unrolled: 1-line block ×14, first 2 shown]
	s_or_b64 exec, exec, s[16:17]
	s_and_saveexec_b64 s[16:17], s[2:3]
	s_cbranch_execz .LBB205_22
.LBB205_58:
	v_mul_lo_u32 v4, v30, s52
	v_mov_b32_e32 v5, 0
	v_lshlrev_b64 v[4:5], 3, v[4:5]
	v_mov_b32_e32 v30, s51
	v_add_co_u32_e32 v4, vcc, s49, v4
	v_addc_co_u32_e32 v5, vcc, v30, v5, vcc
	global_load_dwordx2 v[4:5], v[4:5], off
	s_or_b64 exec, exec, s[16:17]
	s_and_saveexec_b64 s[16:17], s[4:5]
	s_cbranch_execz .LBB205_23
.LBB205_59:
	v_mul_lo_u32 v6, v28, s52
	v_mov_b32_e32 v7, 0
	v_lshlrev_b64 v[6:7], 3, v[6:7]
	v_mov_b32_e32 v28, s51
	v_add_co_u32_e32 v6, vcc, s49, v6
	v_addc_co_u32_e32 v7, vcc, v28, v7, vcc
	global_load_dwordx2 v[6:7], v[6:7], off
	s_or_b64 exec, exec, s[16:17]
	s_and_saveexec_b64 s[16:17], s[6:7]
	s_cbranch_execz .LBB205_24
.LBB205_60:
	v_mul_lo_u32 v8, v26, s52
	v_mov_b32_e32 v9, 0
	v_lshlrev_b64 v[8:9], 3, v[8:9]
	v_mov_b32_e32 v26, s51
	v_add_co_u32_e32 v8, vcc, s49, v8
	v_addc_co_u32_e32 v9, vcc, v26, v9, vcc
	global_load_dwordx2 v[8:9], v[8:9], off
	s_or_b64 exec, exec, s[16:17]
	s_and_saveexec_b64 s[16:17], s[8:9]
	s_cbranch_execz .LBB205_25
.LBB205_61:
	v_mul_lo_u32 v10, v24, s52
	v_mov_b32_e32 v11, 0
	v_lshlrev_b64 v[10:11], 3, v[10:11]
	v_mov_b32_e32 v24, s51
	v_add_co_u32_e32 v10, vcc, s49, v10
	v_addc_co_u32_e32 v11, vcc, v24, v11, vcc
	global_load_dwordx2 v[10:11], v[10:11], off
	s_or_b64 exec, exec, s[16:17]
	s_and_saveexec_b64 s[16:17], s[10:11]
	s_cbranch_execz .LBB205_26
.LBB205_62:
	v_mul_lo_u32 v12, v21, s52
	v_mov_b32_e32 v13, 0
	v_lshlrev_b64 v[12:13], 3, v[12:13]
	v_mov_b32_e32 v21, s51
	v_add_co_u32_e32 v12, vcc, s49, v12
	v_addc_co_u32_e32 v13, vcc, v21, v13, vcc
	global_load_dwordx2 v[12:13], v[12:13], off
	s_or_b64 exec, exec, s[16:17]
	s_and_saveexec_b64 s[16:17], s[12:13]
	s_cbranch_execz .LBB205_27
.LBB205_63:
	v_mul_lo_u32 v14, v19, s52
	v_mov_b32_e32 v15, 0
	v_lshlrev_b64 v[14:15], 3, v[14:15]
	v_mov_b32_e32 v19, s51
	v_add_co_u32_e32 v14, vcc, s49, v14
	v_addc_co_u32_e32 v15, vcc, v19, v15, vcc
	global_load_dwordx2 v[14:15], v[14:15], off
	s_or_b64 exec, exec, s[16:17]
	s_xor_b64 s[16:17], s[34:35], -1
	s_and_saveexec_b64 s[18:19], s[14:15]
	s_cbranch_execnz .LBB205_28
	s_branch .LBB205_29
.LBB205_64:
                                        ; implicit-def: $vgpr1
                                        ; implicit-def: $vgpr0
                                        ; implicit-def: $vgpr67
                                        ; implicit-def: $vgpr66
                                        ; implicit-def: $vgpr65
                                        ; implicit-def: $vgpr64
                                        ; implicit-def: $vgpr63
                                        ; implicit-def: $vgpr62
                                        ; implicit-def: $vgpr32_vgpr33
                                        ; implicit-def: $vgpr28_vgpr29
                                        ; implicit-def: $vgpr24_vgpr25
                                        ; implicit-def: $vgpr20_vgpr21
	s_cbranch_execz .LBB205_92
; %bb.65:
	v_bfrev_b32_e32 v48, -2
	v_cmp_gt_i32_e32 vcc, 0, v46
	s_waitcnt lgkmcnt(3)
	v_mbcnt_hi_u32_b32 v18, -1, v93
	v_and_b32_e32 v19, 0x3c0, v38
	v_cndmask_b32_e64 v20, v48, 0, vcc
	v_cmp_gt_i32_e32 vcc, 0, v47
	v_add_u32_e32 v0, v18, v19
	v_cndmask_b32_e64 v21, v48, 0, vcc
	v_lshlrev_b32_e32 v1, 5, v0
	v_xor_b32_e32 v21, v21, v47
	v_xor_b32_e32 v20, v20, v46
	v_cmp_gt_i32_e32 vcc, 0, v44
	ds_write2_b32 v1, v20, v21 offset1:1
	v_cndmask_b32_e64 v20, v48, 0, vcc
	v_cmp_gt_i32_e32 vcc, 0, v45
	v_cndmask_b32_e64 v21, v48, 0, vcc
	v_xor_b32_e32 v21, v21, v45
	v_xor_b32_e32 v20, v20, v44
	v_cmp_gt_i32_e32 vcc, 0, v42
	ds_write2_b32 v1, v20, v21 offset0:2 offset1:3
	v_cndmask_b32_e64 v20, v48, 0, vcc
	v_cmp_gt_i32_e32 vcc, 0, v43
	v_cndmask_b32_e64 v21, v48, 0, vcc
	v_xor_b32_e32 v21, v21, v43
	v_xor_b32_e32 v20, v20, v42
	v_cmp_gt_i32_e32 vcc, 0, v40
	ds_write2_b32 v1, v20, v21 offset0:4 offset1:5
	v_cndmask_b32_e64 v20, v48, 0, vcc
	v_cmp_gt_i32_e32 vcc, 0, v41
	v_cndmask_b32_e64 v21, v48, 0, vcc
	v_xor_b32_e32 v21, v21, v41
	v_xor_b32_e32 v20, v20, v40
	ds_write2_b32 v1, v20, v21 offset0:6 offset1:7
	v_and_b32_e32 v20, 0x1e00, v87
	v_or_b32_e32 v1, v18, v20
	v_lshlrev_b32_e32 v21, 2, v1
	v_lshlrev_b32_e32 v0, 6, v0
	; wave barrier
	ds_read2st64_b32 v[40:41], v21 offset1:1
	ds_read2st64_b32 v[42:43], v21 offset0:2 offset1:3
	ds_read2st64_b32 v[44:45], v21 offset0:4 offset1:5
	ds_read2st64_b32 v[46:47], v21 offset0:6 offset1:7
	s_waitcnt lgkmcnt(0)
	s_barrier
	ds_write2_b64 v0, v[14:15], v[16:17] offset1:1
	ds_write2_b64 v0, v[10:11], v[12:13] offset0:2 offset1:3
	ds_write2_b64 v0, v[6:7], v[8:9] offset0:4 offset1:5
	;; [unrolled: 1-line block ×3, first 2 shown]
	v_lshlrev_b32_e32 v12, 3, v1
	; wave barrier
	ds_read2st64_b64 v[0:3], v12 offset1:1
	ds_read2st64_b64 v[4:7], v12 offset0:2 offset1:3
	ds_read2st64_b64 v[8:11], v12 offset0:4 offset1:5
	;; [unrolled: 1-line block ×3, first 2 shown]
	s_waitcnt lgkmcnt(0)
	s_barrier
	s_load_dword s18, s[54:55], 0xc
	s_getpc_b64 s[16:17]
	s_add_u32 s16, s16, _ZN7rocprim17ROCPRIM_400000_NS16block_radix_sortIfLj512ELj8ElLj1ELj1ELj0ELNS0_26block_radix_rank_algorithmE1ELNS0_18block_padding_hintE2ELNS0_4arch9wavefront6targetE1EE19radix_bits_per_passE@rel32@lo+4
	s_addc_u32 s17, s17, _ZN7rocprim17ROCPRIM_400000_NS16block_radix_sortIfLj512ELj8ElLj1ELj1ELj0ELNS0_26block_radix_rank_algorithmE1ELNS0_18block_padding_hintE2ELNS0_4arch9wavefront6targetE1EE19radix_bits_per_passE@rel32@hi+12
	s_load_dword s53, s[16:17], 0x0
	v_cmp_gt_u32_e64 s[30:31], 8, v38
	v_cmp_lt_u32_e64 s[34:35], 63, v38
	s_waitcnt lgkmcnt(0)
	s_lshr_b32 s16, s18, 16
	s_and_b32 s17, s18, 0xffff
	v_mad_u32_u24 v16, v92, s16, v91
	v_mad_u64_u32 v[16:17], s[16:17], v16, s17, v[38:39]
	v_lshrrev_b32_e32 v50, 6, v16
	v_and_b32_e32 v16, 15, v18
	v_cmp_eq_u32_e64 s[16:17], 0, v16
	v_cmp_lt_u32_e64 s[18:19], 1, v16
	v_cmp_lt_u32_e64 s[20:21], 3, v16
	;; [unrolled: 1-line block ×3, first 2 shown]
	v_and_b32_e32 v16, 16, v18
	v_cmp_eq_u32_e64 s[24:25], 0, v16
	v_min_u32_e32 v16, 0x1c0, v19
	v_or_b32_e32 v16, 63, v16
	v_cmp_eq_u32_e64 s[28:29], v16, v38
	v_add_u32_e32 v16, -1, v18
	v_and_b32_e32 v17, 64, v18
	v_cmp_lt_i32_e32 vcc, v16, v17
	v_cndmask_b32_e32 v16, v16, v18, vcc
	v_lshlrev_b32_e32 v51, 2, v16
	v_and_b32_e32 v16, 7, v18
	v_cmp_eq_u32_e64 s[38:39], 0, v38
	v_and_b32_e32 v38, 60, v90
	v_cmp_eq_u32_e64 s[40:41], 0, v16
	v_cmp_lt_u32_e64 s[42:43], 1, v16
	v_cmp_lt_u32_e64 s[44:45], 3, v16
	v_and_or_b32 v16, v18, 63, v20
	s_mov_b32 s54, 0
	s_mov_b32 s55, 32
	v_add_u32_e32 v49, 32, v89
	v_cmp_lt_u32_e64 s[26:27], 31, v18
	v_cmp_eq_u32_e64 s[36:37], 0, v18
	v_add_u32_e32 v52, -4, v38
	v_lshlrev_b32_e32 v53, 2, v16
	v_lshlrev_b32_e32 v54, 3, v16
	v_mov_b32_e32 v32, 0
	s_brev_b32 s56, 1
	s_branch .LBB205_67
.LBB205_66:                             ;   in Loop: Header=BB205_67 Depth=1
	v_lshlrev_b32_e32 v0, 2, v33
	s_barrier
	ds_write_b32 v0, v62
	v_lshlrev_b32_e32 v0, 2, v64
	ds_write_b32 v0, v61
	v_lshlrev_b32_e32 v0, 2, v65
	;; [unrolled: 2-line block ×8, first 2 shown]
	s_waitcnt lgkmcnt(0)
	s_barrier
	ds_read2st64_b32 v[40:41], v53 offset1:1
	ds_read2st64_b32 v[42:43], v53 offset0:2 offset1:3
	ds_read2st64_b32 v[44:45], v53 offset0:4 offset1:5
	;; [unrolled: 1-line block ×3, first 2 shown]
	s_waitcnt lgkmcnt(0)
	s_barrier
	ds_write_b64 v0, v[30:31]
	v_lshlrev_b32_e32 v0, 3, v64
	ds_write_b64 v0, v[28:29]
	v_lshlrev_b32_e32 v0, 3, v65
	;; [unrolled: 2-line block ×7, first 2 shown]
	ds_write_b64 v0, v[16:17]
	s_waitcnt lgkmcnt(0)
	s_barrier
	ds_read2st64_b64 v[0:3], v54 offset1:1
	ds_read2st64_b64 v[4:7], v54 offset0:2 offset1:3
	ds_read2st64_b64 v[8:11], v54 offset0:4 offset1:5
	;; [unrolled: 1-line block ×3, first 2 shown]
	s_add_i32 s54, s54, 8
	s_add_i32 s55, s55, -8
	s_waitcnt lgkmcnt(0)
	s_barrier
	s_cbranch_execz .LBB205_91
.LBB205_67:                             ; =>This Inner Loop Header: Depth=1
	v_mov_b32_e32 v62, v40
	s_min_u32 s46, s53, s55
	v_cmp_ne_u32_e32 vcc, s56, v62
	v_pk_mov_b32 v[30:31], v[0:1], v[0:1] op_sel:[0,1]
	s_lshl_b32 s46, -1, s46
	v_cndmask_b32_e32 v0, v48, v62, vcc
	s_not_b32 s57, s46
	v_lshrrev_b32_e32 v0, s54, v0
	v_and_b32_e32 v0, s57, v0
	v_lshl_add_u32 v1, v0, 3, v50
	v_pk_mov_b32 v[26:27], v[4:5], v[4:5] op_sel:[0,1]
	v_lshl_add_u32 v4, v1, 2, 32
	v_and_b32_e32 v1, 1, v0
	v_pk_mov_b32 v[28:29], v[2:3], v[2:3] op_sel:[0,1]
	v_add_co_u32_e32 v2, vcc, -1, v1
	v_addc_co_u32_e64 v3, s[46:47], 0, -1, vcc
	v_cmp_ne_u32_e32 vcc, 0, v1
	v_lshlrev_b32_e32 v33, 30, v0
	v_xor_b32_e32 v1, vcc_hi, v3
	v_not_b32_e32 v3, v33
	v_xor_b32_e32 v2, vcc_lo, v2
	v_cmp_gt_i64_e32 vcc, 0, v[32:33]
	v_ashrrev_i32_e32 v3, 31, v3
	v_and_b32_e32 v2, exec_lo, v2
	v_xor_b32_e32 v5, vcc_hi, v3
	v_xor_b32_e32 v3, vcc_lo, v3
	v_lshlrev_b32_e32 v33, 29, v0
	v_and_b32_e32 v2, v2, v3
	v_not_b32_e32 v3, v33
	v_and_b32_e32 v1, exec_hi, v1
	v_cmp_gt_i64_e32 vcc, 0, v[32:33]
	v_ashrrev_i32_e32 v3, 31, v3
	v_and_b32_e32 v1, v1, v5
	v_xor_b32_e32 v5, vcc_hi, v3
	v_xor_b32_e32 v3, vcc_lo, v3
	v_lshlrev_b32_e32 v33, 28, v0
	v_and_b32_e32 v2, v2, v3
	v_not_b32_e32 v3, v33
	v_cmp_gt_i64_e32 vcc, 0, v[32:33]
	v_ashrrev_i32_e32 v3, 31, v3
	v_and_b32_e32 v1, v1, v5
	v_xor_b32_e32 v5, vcc_hi, v3
	v_xor_b32_e32 v3, vcc_lo, v3
	v_lshlrev_b32_e32 v33, 27, v0
	v_and_b32_e32 v2, v2, v3
	v_not_b32_e32 v3, v33
	;; [unrolled: 8-line block ×3, first 2 shown]
	v_cmp_gt_i64_e32 vcc, 0, v[32:33]
	v_ashrrev_i32_e32 v3, 31, v3
	v_and_b32_e32 v1, v1, v5
	v_xor_b32_e32 v5, vcc_hi, v3
	v_xor_b32_e32 v3, vcc_lo, v3
	v_lshlrev_b32_e32 v33, 25, v0
	v_and_b32_e32 v2, v2, v3
	v_cmp_gt_i64_e32 vcc, 0, v[32:33]
	v_not_b32_e32 v3, v33
	v_lshlrev_b32_e32 v33, 24, v0
	v_ashrrev_i32_e32 v3, 31, v3
	v_not_b32_e32 v0, v33
	v_and_b32_e32 v1, v1, v5
	v_xor_b32_e32 v5, vcc_hi, v3
	v_xor_b32_e32 v3, vcc_lo, v3
	v_cmp_gt_i64_e32 vcc, 0, v[32:33]
	v_ashrrev_i32_e32 v0, 31, v0
	v_and_b32_e32 v2, v2, v3
	v_xor_b32_e32 v3, vcc_hi, v0
	v_xor_b32_e32 v0, vcc_lo, v0
	v_and_b32_e32 v1, v1, v5
	v_and_b32_e32 v0, v2, v0
	;; [unrolled: 1-line block ×3, first 2 shown]
	v_mbcnt_lo_u32_b32 v2, v0, 0
	v_mbcnt_hi_u32_b32 v5, v1, v2
	v_cmp_eq_u32_e32 vcc, 0, v5
	v_cmp_ne_u64_e64 s[46:47], 0, v[0:1]
	v_mov_b32_e32 v55, v47
	v_mov_b32_e32 v56, v46
	v_mov_b32_e32 v57, v45
	v_mov_b32_e32 v58, v44
	v_mov_b32_e32 v59, v43
	v_mov_b32_e32 v60, v42
	v_mov_b32_e32 v61, v41
	v_pk_mov_b32 v[16:17], v[14:15], v[14:15] op_sel:[0,1]
	v_pk_mov_b32 v[18:19], v[12:13], v[12:13] op_sel:[0,1]
	;; [unrolled: 1-line block ×5, first 2 shown]
	s_and_b64 s[58:59], s[46:47], vcc
	ds_write2_b32 v89, v32, v32 offset0:8 offset1:9
	ds_write2_b32 v49, v32, v32 offset0:2 offset1:3
	s_waitcnt lgkmcnt(0)
	s_barrier
	s_waitcnt lgkmcnt(0)
	; wave barrier
	s_and_saveexec_b64 s[46:47], s[58:59]
	s_cbranch_execz .LBB205_69
; %bb.68:                               ;   in Loop: Header=BB205_67 Depth=1
	v_bcnt_u32_b32 v0, v0, 0
	v_bcnt_u32_b32 v0, v1, v0
	ds_write_b32 v4, v0
.LBB205_69:                             ;   in Loop: Header=BB205_67 Depth=1
	s_or_b64 exec, exec, s[46:47]
	v_cmp_ne_u32_e32 vcc, s56, v61
	v_cndmask_b32_e32 v0, v48, v61, vcc
	v_lshrrev_b32_e32 v0, s54, v0
	v_and_b32_e32 v0, s57, v0
	v_lshlrev_b32_e32 v1, 3, v0
	v_add_lshl_u32 v1, v1, v50, 2
	; wave barrier
	v_add_u32_e32 v7, 32, v1
	ds_read_b32 v6, v1 offset:32
	v_and_b32_e32 v1, 1, v0
	v_add_co_u32_e32 v2, vcc, -1, v1
	v_addc_co_u32_e64 v3, s[46:47], 0, -1, vcc
	v_cmp_ne_u32_e32 vcc, 0, v1
	v_lshlrev_b32_e32 v33, 30, v0
	v_xor_b32_e32 v1, vcc_hi, v3
	v_not_b32_e32 v3, v33
	v_xor_b32_e32 v2, vcc_lo, v2
	v_cmp_gt_i64_e32 vcc, 0, v[32:33]
	v_ashrrev_i32_e32 v3, 31, v3
	v_and_b32_e32 v2, exec_lo, v2
	v_xor_b32_e32 v8, vcc_hi, v3
	v_xor_b32_e32 v3, vcc_lo, v3
	v_lshlrev_b32_e32 v33, 29, v0
	v_and_b32_e32 v2, v2, v3
	v_not_b32_e32 v3, v33
	v_and_b32_e32 v1, exec_hi, v1
	v_cmp_gt_i64_e32 vcc, 0, v[32:33]
	v_ashrrev_i32_e32 v3, 31, v3
	v_and_b32_e32 v1, v1, v8
	v_xor_b32_e32 v8, vcc_hi, v3
	v_xor_b32_e32 v3, vcc_lo, v3
	v_lshlrev_b32_e32 v33, 28, v0
	v_and_b32_e32 v2, v2, v3
	v_not_b32_e32 v3, v33
	v_cmp_gt_i64_e32 vcc, 0, v[32:33]
	v_ashrrev_i32_e32 v3, 31, v3
	v_and_b32_e32 v1, v1, v8
	v_xor_b32_e32 v8, vcc_hi, v3
	v_xor_b32_e32 v3, vcc_lo, v3
	v_lshlrev_b32_e32 v33, 27, v0
	v_and_b32_e32 v2, v2, v3
	v_not_b32_e32 v3, v33
	;; [unrolled: 8-line block ×3, first 2 shown]
	v_cmp_gt_i64_e32 vcc, 0, v[32:33]
	v_ashrrev_i32_e32 v3, 31, v3
	v_and_b32_e32 v1, v1, v8
	v_xor_b32_e32 v8, vcc_hi, v3
	v_xor_b32_e32 v3, vcc_lo, v3
	v_lshlrev_b32_e32 v33, 25, v0
	v_and_b32_e32 v2, v2, v3
	v_cmp_gt_i64_e32 vcc, 0, v[32:33]
	v_not_b32_e32 v3, v33
	v_lshlrev_b32_e32 v33, 24, v0
	v_ashrrev_i32_e32 v3, 31, v3
	v_not_b32_e32 v0, v33
	v_and_b32_e32 v1, v1, v8
	v_xor_b32_e32 v8, vcc_hi, v3
	v_xor_b32_e32 v3, vcc_lo, v3
	v_cmp_gt_i64_e32 vcc, 0, v[32:33]
	v_ashrrev_i32_e32 v0, 31, v0
	v_and_b32_e32 v2, v2, v3
	v_xor_b32_e32 v3, vcc_hi, v0
	v_xor_b32_e32 v0, vcc_lo, v0
	v_and_b32_e32 v1, v1, v8
	v_and_b32_e32 v0, v2, v0
	;; [unrolled: 1-line block ×3, first 2 shown]
	v_mbcnt_lo_u32_b32 v2, v0, 0
	v_mbcnt_hi_u32_b32 v8, v1, v2
	v_cmp_eq_u32_e32 vcc, 0, v8
	v_cmp_ne_u64_e64 s[46:47], 0, v[0:1]
	s_and_b64 s[58:59], s[46:47], vcc
	; wave barrier
	s_and_saveexec_b64 s[46:47], s[58:59]
	s_cbranch_execz .LBB205_71
; %bb.70:                               ;   in Loop: Header=BB205_67 Depth=1
	v_bcnt_u32_b32 v0, v0, 0
	v_bcnt_u32_b32 v0, v1, v0
	s_waitcnt lgkmcnt(0)
	v_add_u32_e32 v0, v6, v0
	ds_write_b32 v7, v0
.LBB205_71:                             ;   in Loop: Header=BB205_67 Depth=1
	s_or_b64 exec, exec, s[46:47]
	v_cmp_ne_u32_e32 vcc, s56, v60
	v_cndmask_b32_e32 v0, v48, v60, vcc
	v_lshrrev_b32_e32 v0, s54, v0
	v_and_b32_e32 v0, s57, v0
	v_lshlrev_b32_e32 v1, 3, v0
	v_add_lshl_u32 v1, v1, v50, 2
	; wave barrier
	v_add_u32_e32 v10, 32, v1
	ds_read_b32 v9, v1 offset:32
	v_and_b32_e32 v1, 1, v0
	v_add_co_u32_e32 v2, vcc, -1, v1
	v_addc_co_u32_e64 v3, s[46:47], 0, -1, vcc
	v_cmp_ne_u32_e32 vcc, 0, v1
	v_lshlrev_b32_e32 v33, 30, v0
	v_xor_b32_e32 v1, vcc_hi, v3
	v_not_b32_e32 v3, v33
	v_xor_b32_e32 v2, vcc_lo, v2
	v_cmp_gt_i64_e32 vcc, 0, v[32:33]
	v_ashrrev_i32_e32 v3, 31, v3
	v_and_b32_e32 v2, exec_lo, v2
	v_xor_b32_e32 v11, vcc_hi, v3
	v_xor_b32_e32 v3, vcc_lo, v3
	v_lshlrev_b32_e32 v33, 29, v0
	v_and_b32_e32 v2, v2, v3
	v_not_b32_e32 v3, v33
	v_and_b32_e32 v1, exec_hi, v1
	v_cmp_gt_i64_e32 vcc, 0, v[32:33]
	v_ashrrev_i32_e32 v3, 31, v3
	v_and_b32_e32 v1, v1, v11
	v_xor_b32_e32 v11, vcc_hi, v3
	v_xor_b32_e32 v3, vcc_lo, v3
	v_lshlrev_b32_e32 v33, 28, v0
	v_and_b32_e32 v2, v2, v3
	v_not_b32_e32 v3, v33
	v_cmp_gt_i64_e32 vcc, 0, v[32:33]
	v_ashrrev_i32_e32 v3, 31, v3
	v_and_b32_e32 v1, v1, v11
	v_xor_b32_e32 v11, vcc_hi, v3
	v_xor_b32_e32 v3, vcc_lo, v3
	v_lshlrev_b32_e32 v33, 27, v0
	v_and_b32_e32 v2, v2, v3
	v_not_b32_e32 v3, v33
	;; [unrolled: 8-line block ×3, first 2 shown]
	v_cmp_gt_i64_e32 vcc, 0, v[32:33]
	v_ashrrev_i32_e32 v3, 31, v3
	v_and_b32_e32 v1, v1, v11
	v_xor_b32_e32 v11, vcc_hi, v3
	v_xor_b32_e32 v3, vcc_lo, v3
	v_lshlrev_b32_e32 v33, 25, v0
	v_and_b32_e32 v2, v2, v3
	v_cmp_gt_i64_e32 vcc, 0, v[32:33]
	v_not_b32_e32 v3, v33
	v_lshlrev_b32_e32 v33, 24, v0
	v_ashrrev_i32_e32 v3, 31, v3
	v_not_b32_e32 v0, v33
	v_and_b32_e32 v1, v1, v11
	v_xor_b32_e32 v11, vcc_hi, v3
	v_xor_b32_e32 v3, vcc_lo, v3
	v_cmp_gt_i64_e32 vcc, 0, v[32:33]
	v_ashrrev_i32_e32 v0, 31, v0
	v_and_b32_e32 v2, v2, v3
	v_xor_b32_e32 v3, vcc_hi, v0
	v_xor_b32_e32 v0, vcc_lo, v0
	v_and_b32_e32 v1, v1, v11
	v_and_b32_e32 v0, v2, v0
	v_and_b32_e32 v1, v1, v3
	v_mbcnt_lo_u32_b32 v2, v0, 0
	v_mbcnt_hi_u32_b32 v11, v1, v2
	v_cmp_eq_u32_e32 vcc, 0, v11
	v_cmp_ne_u64_e64 s[46:47], 0, v[0:1]
	s_and_b64 s[58:59], s[46:47], vcc
	; wave barrier
	s_and_saveexec_b64 s[46:47], s[58:59]
	s_cbranch_execz .LBB205_73
; %bb.72:                               ;   in Loop: Header=BB205_67 Depth=1
	v_bcnt_u32_b32 v0, v0, 0
	v_bcnt_u32_b32 v0, v1, v0
	s_waitcnt lgkmcnt(0)
	v_add_u32_e32 v0, v9, v0
	ds_write_b32 v10, v0
.LBB205_73:                             ;   in Loop: Header=BB205_67 Depth=1
	s_or_b64 exec, exec, s[46:47]
	v_cmp_ne_u32_e32 vcc, s56, v59
	v_cndmask_b32_e32 v0, v48, v59, vcc
	v_lshrrev_b32_e32 v0, s54, v0
	v_and_b32_e32 v0, s57, v0
	v_lshlrev_b32_e32 v1, 3, v0
	v_add_lshl_u32 v1, v1, v50, 2
	; wave barrier
	v_add_u32_e32 v13, 32, v1
	ds_read_b32 v12, v1 offset:32
	v_and_b32_e32 v1, 1, v0
	v_add_co_u32_e32 v2, vcc, -1, v1
	v_addc_co_u32_e64 v3, s[46:47], 0, -1, vcc
	v_cmp_ne_u32_e32 vcc, 0, v1
	v_lshlrev_b32_e32 v33, 30, v0
	v_xor_b32_e32 v1, vcc_hi, v3
	v_not_b32_e32 v3, v33
	v_xor_b32_e32 v2, vcc_lo, v2
	v_cmp_gt_i64_e32 vcc, 0, v[32:33]
	v_ashrrev_i32_e32 v3, 31, v3
	v_and_b32_e32 v2, exec_lo, v2
	v_xor_b32_e32 v14, vcc_hi, v3
	v_xor_b32_e32 v3, vcc_lo, v3
	v_lshlrev_b32_e32 v33, 29, v0
	v_and_b32_e32 v2, v2, v3
	v_not_b32_e32 v3, v33
	v_and_b32_e32 v1, exec_hi, v1
	v_cmp_gt_i64_e32 vcc, 0, v[32:33]
	v_ashrrev_i32_e32 v3, 31, v3
	v_and_b32_e32 v1, v1, v14
	v_xor_b32_e32 v14, vcc_hi, v3
	v_xor_b32_e32 v3, vcc_lo, v3
	v_lshlrev_b32_e32 v33, 28, v0
	v_and_b32_e32 v2, v2, v3
	v_not_b32_e32 v3, v33
	v_cmp_gt_i64_e32 vcc, 0, v[32:33]
	v_ashrrev_i32_e32 v3, 31, v3
	v_and_b32_e32 v1, v1, v14
	v_xor_b32_e32 v14, vcc_hi, v3
	v_xor_b32_e32 v3, vcc_lo, v3
	v_lshlrev_b32_e32 v33, 27, v0
	v_and_b32_e32 v2, v2, v3
	v_not_b32_e32 v3, v33
	;; [unrolled: 8-line block ×3, first 2 shown]
	v_cmp_gt_i64_e32 vcc, 0, v[32:33]
	v_ashrrev_i32_e32 v3, 31, v3
	v_and_b32_e32 v1, v1, v14
	v_xor_b32_e32 v14, vcc_hi, v3
	v_xor_b32_e32 v3, vcc_lo, v3
	v_lshlrev_b32_e32 v33, 25, v0
	v_and_b32_e32 v2, v2, v3
	v_cmp_gt_i64_e32 vcc, 0, v[32:33]
	v_not_b32_e32 v3, v33
	v_lshlrev_b32_e32 v33, 24, v0
	v_ashrrev_i32_e32 v3, 31, v3
	v_not_b32_e32 v0, v33
	v_and_b32_e32 v1, v1, v14
	v_xor_b32_e32 v14, vcc_hi, v3
	v_xor_b32_e32 v3, vcc_lo, v3
	v_cmp_gt_i64_e32 vcc, 0, v[32:33]
	v_ashrrev_i32_e32 v0, 31, v0
	v_and_b32_e32 v2, v2, v3
	v_xor_b32_e32 v3, vcc_hi, v0
	v_xor_b32_e32 v0, vcc_lo, v0
	v_and_b32_e32 v1, v1, v14
	v_and_b32_e32 v0, v2, v0
	;; [unrolled: 1-line block ×3, first 2 shown]
	v_mbcnt_lo_u32_b32 v2, v0, 0
	v_mbcnt_hi_u32_b32 v14, v1, v2
	v_cmp_eq_u32_e32 vcc, 0, v14
	v_cmp_ne_u64_e64 s[46:47], 0, v[0:1]
	s_and_b64 s[58:59], s[46:47], vcc
	; wave barrier
	s_and_saveexec_b64 s[46:47], s[58:59]
	s_cbranch_execz .LBB205_75
; %bb.74:                               ;   in Loop: Header=BB205_67 Depth=1
	v_bcnt_u32_b32 v0, v0, 0
	v_bcnt_u32_b32 v0, v1, v0
	s_waitcnt lgkmcnt(0)
	v_add_u32_e32 v0, v12, v0
	ds_write_b32 v13, v0
.LBB205_75:                             ;   in Loop: Header=BB205_67 Depth=1
	s_or_b64 exec, exec, s[46:47]
	v_cmp_ne_u32_e32 vcc, s56, v58
	v_cndmask_b32_e32 v0, v48, v58, vcc
	v_lshrrev_b32_e32 v0, s54, v0
	v_and_b32_e32 v0, s57, v0
	v_lshlrev_b32_e32 v1, 3, v0
	v_add_lshl_u32 v1, v1, v50, 2
	; wave barrier
	v_add_u32_e32 v40, 32, v1
	ds_read_b32 v15, v1 offset:32
	v_and_b32_e32 v1, 1, v0
	v_add_co_u32_e32 v2, vcc, -1, v1
	v_addc_co_u32_e64 v3, s[46:47], 0, -1, vcc
	v_cmp_ne_u32_e32 vcc, 0, v1
	v_lshlrev_b32_e32 v33, 30, v0
	v_xor_b32_e32 v1, vcc_hi, v3
	v_not_b32_e32 v3, v33
	v_xor_b32_e32 v2, vcc_lo, v2
	v_cmp_gt_i64_e32 vcc, 0, v[32:33]
	v_ashrrev_i32_e32 v3, 31, v3
	v_and_b32_e32 v1, exec_hi, v1
	v_xor_b32_e32 v33, vcc_hi, v3
	v_and_b32_e32 v2, exec_lo, v2
	v_xor_b32_e32 v3, vcc_lo, v3
	v_and_b32_e32 v1, v1, v33
	v_lshlrev_b32_e32 v33, 29, v0
	v_and_b32_e32 v2, v2, v3
	v_not_b32_e32 v3, v33
	v_cmp_gt_i64_e32 vcc, 0, v[32:33]
	v_ashrrev_i32_e32 v3, 31, v3
	v_xor_b32_e32 v33, vcc_hi, v3
	v_xor_b32_e32 v3, vcc_lo, v3
	v_and_b32_e32 v1, v1, v33
	v_lshlrev_b32_e32 v33, 28, v0
	v_and_b32_e32 v2, v2, v3
	v_not_b32_e32 v3, v33
	v_cmp_gt_i64_e32 vcc, 0, v[32:33]
	v_ashrrev_i32_e32 v3, 31, v3
	v_xor_b32_e32 v33, vcc_hi, v3
	;; [unrolled: 8-line block ×5, first 2 shown]
	v_and_b32_e32 v1, v1, v33
	v_lshlrev_b32_e32 v33, 24, v0
	v_not_b32_e32 v0, v33
	v_xor_b32_e32 v3, vcc_lo, v3
	v_cmp_gt_i64_e32 vcc, 0, v[32:33]
	v_ashrrev_i32_e32 v0, 31, v0
	v_and_b32_e32 v2, v2, v3
	v_xor_b32_e32 v3, vcc_hi, v0
	v_xor_b32_e32 v0, vcc_lo, v0
	v_and_b32_e32 v0, v2, v0
	v_and_b32_e32 v1, v1, v3
	v_mbcnt_lo_u32_b32 v2, v0, 0
	v_mbcnt_hi_u32_b32 v41, v1, v2
	v_cmp_eq_u32_e32 vcc, 0, v41
	v_cmp_ne_u64_e64 s[46:47], 0, v[0:1]
	s_and_b64 s[58:59], s[46:47], vcc
	; wave barrier
	s_and_saveexec_b64 s[46:47], s[58:59]
	s_cbranch_execz .LBB205_77
; %bb.76:                               ;   in Loop: Header=BB205_67 Depth=1
	v_bcnt_u32_b32 v0, v0, 0
	v_bcnt_u32_b32 v0, v1, v0
	s_waitcnt lgkmcnt(0)
	v_add_u32_e32 v0, v15, v0
	ds_write_b32 v40, v0
.LBB205_77:                             ;   in Loop: Header=BB205_67 Depth=1
	s_or_b64 exec, exec, s[46:47]
	v_cmp_ne_u32_e32 vcc, s56, v57
	v_cndmask_b32_e32 v0, v48, v57, vcc
	v_lshrrev_b32_e32 v0, s54, v0
	v_and_b32_e32 v0, s57, v0
	v_lshlrev_b32_e32 v1, 3, v0
	v_add_lshl_u32 v1, v1, v50, 2
	; wave barrier
	v_add_u32_e32 v43, 32, v1
	ds_read_b32 v42, v1 offset:32
	v_and_b32_e32 v1, 1, v0
	v_add_co_u32_e32 v2, vcc, -1, v1
	v_addc_co_u32_e64 v3, s[46:47], 0, -1, vcc
	v_cmp_ne_u32_e32 vcc, 0, v1
	v_lshlrev_b32_e32 v33, 30, v0
	v_xor_b32_e32 v1, vcc_hi, v3
	v_not_b32_e32 v3, v33
	v_xor_b32_e32 v2, vcc_lo, v2
	v_cmp_gt_i64_e32 vcc, 0, v[32:33]
	v_ashrrev_i32_e32 v3, 31, v3
	v_and_b32_e32 v1, exec_hi, v1
	v_xor_b32_e32 v33, vcc_hi, v3
	v_and_b32_e32 v2, exec_lo, v2
	v_xor_b32_e32 v3, vcc_lo, v3
	v_and_b32_e32 v1, v1, v33
	v_lshlrev_b32_e32 v33, 29, v0
	v_and_b32_e32 v2, v2, v3
	v_not_b32_e32 v3, v33
	v_cmp_gt_i64_e32 vcc, 0, v[32:33]
	v_ashrrev_i32_e32 v3, 31, v3
	v_xor_b32_e32 v33, vcc_hi, v3
	v_xor_b32_e32 v3, vcc_lo, v3
	v_and_b32_e32 v1, v1, v33
	v_lshlrev_b32_e32 v33, 28, v0
	v_and_b32_e32 v2, v2, v3
	v_not_b32_e32 v3, v33
	v_cmp_gt_i64_e32 vcc, 0, v[32:33]
	v_ashrrev_i32_e32 v3, 31, v3
	v_xor_b32_e32 v33, vcc_hi, v3
	;; [unrolled: 8-line block ×5, first 2 shown]
	v_and_b32_e32 v1, v1, v33
	v_lshlrev_b32_e32 v33, 24, v0
	v_not_b32_e32 v0, v33
	v_xor_b32_e32 v3, vcc_lo, v3
	v_cmp_gt_i64_e32 vcc, 0, v[32:33]
	v_ashrrev_i32_e32 v0, 31, v0
	v_and_b32_e32 v2, v2, v3
	v_xor_b32_e32 v3, vcc_hi, v0
	v_xor_b32_e32 v0, vcc_lo, v0
	v_and_b32_e32 v0, v2, v0
	v_and_b32_e32 v1, v1, v3
	v_mbcnt_lo_u32_b32 v2, v0, 0
	v_mbcnt_hi_u32_b32 v44, v1, v2
	v_cmp_eq_u32_e32 vcc, 0, v44
	v_cmp_ne_u64_e64 s[46:47], 0, v[0:1]
	s_and_b64 s[58:59], s[46:47], vcc
	; wave barrier
	s_and_saveexec_b64 s[46:47], s[58:59]
	s_cbranch_execz .LBB205_79
; %bb.78:                               ;   in Loop: Header=BB205_67 Depth=1
	v_bcnt_u32_b32 v0, v0, 0
	v_bcnt_u32_b32 v0, v1, v0
	s_waitcnt lgkmcnt(0)
	v_add_u32_e32 v0, v42, v0
	ds_write_b32 v43, v0
.LBB205_79:                             ;   in Loop: Header=BB205_67 Depth=1
	s_or_b64 exec, exec, s[46:47]
	v_cmp_ne_u32_e32 vcc, s56, v56
	v_cndmask_b32_e32 v0, v48, v56, vcc
	v_lshrrev_b32_e32 v0, s54, v0
	v_and_b32_e32 v0, s57, v0
	v_lshlrev_b32_e32 v1, 3, v0
	v_add_lshl_u32 v1, v1, v50, 2
	; wave barrier
	v_add_u32_e32 v46, 32, v1
	ds_read_b32 v45, v1 offset:32
	v_and_b32_e32 v1, 1, v0
	v_add_co_u32_e32 v2, vcc, -1, v1
	v_addc_co_u32_e64 v3, s[46:47], 0, -1, vcc
	v_cmp_ne_u32_e32 vcc, 0, v1
	v_lshlrev_b32_e32 v33, 30, v0
	v_xor_b32_e32 v1, vcc_hi, v3
	v_not_b32_e32 v3, v33
	v_xor_b32_e32 v2, vcc_lo, v2
	v_cmp_gt_i64_e32 vcc, 0, v[32:33]
	v_ashrrev_i32_e32 v3, 31, v3
	v_and_b32_e32 v1, exec_hi, v1
	v_xor_b32_e32 v33, vcc_hi, v3
	v_and_b32_e32 v2, exec_lo, v2
	v_xor_b32_e32 v3, vcc_lo, v3
	v_and_b32_e32 v1, v1, v33
	v_lshlrev_b32_e32 v33, 29, v0
	v_and_b32_e32 v2, v2, v3
	v_not_b32_e32 v3, v33
	v_cmp_gt_i64_e32 vcc, 0, v[32:33]
	v_ashrrev_i32_e32 v3, 31, v3
	v_xor_b32_e32 v33, vcc_hi, v3
	v_xor_b32_e32 v3, vcc_lo, v3
	v_and_b32_e32 v1, v1, v33
	v_lshlrev_b32_e32 v33, 28, v0
	v_and_b32_e32 v2, v2, v3
	v_not_b32_e32 v3, v33
	v_cmp_gt_i64_e32 vcc, 0, v[32:33]
	v_ashrrev_i32_e32 v3, 31, v3
	v_xor_b32_e32 v33, vcc_hi, v3
	v_xor_b32_e32 v3, vcc_lo, v3
	v_and_b32_e32 v1, v1, v33
	v_lshlrev_b32_e32 v33, 27, v0
	v_and_b32_e32 v2, v2, v3
	v_not_b32_e32 v3, v33
	v_cmp_gt_i64_e32 vcc, 0, v[32:33]
	v_ashrrev_i32_e32 v3, 31, v3
	v_xor_b32_e32 v33, vcc_hi, v3
	v_xor_b32_e32 v3, vcc_lo, v3
	v_and_b32_e32 v1, v1, v33
	v_lshlrev_b32_e32 v33, 26, v0
	v_and_b32_e32 v2, v2, v3
	v_not_b32_e32 v3, v33
	v_cmp_gt_i64_e32 vcc, 0, v[32:33]
	v_ashrrev_i32_e32 v3, 31, v3
	v_xor_b32_e32 v33, vcc_hi, v3
	v_xor_b32_e32 v3, vcc_lo, v3
	v_and_b32_e32 v1, v1, v33
	v_lshlrev_b32_e32 v33, 25, v0
	v_and_b32_e32 v2, v2, v3
	v_not_b32_e32 v3, v33
	v_cmp_gt_i64_e32 vcc, 0, v[32:33]
	v_ashrrev_i32_e32 v3, 31, v3
	v_xor_b32_e32 v33, vcc_hi, v3
	v_and_b32_e32 v1, v1, v33
	v_lshlrev_b32_e32 v33, 24, v0
	v_not_b32_e32 v0, v33
	v_xor_b32_e32 v3, vcc_lo, v3
	v_cmp_gt_i64_e32 vcc, 0, v[32:33]
	v_ashrrev_i32_e32 v0, 31, v0
	v_and_b32_e32 v2, v2, v3
	v_xor_b32_e32 v3, vcc_hi, v0
	v_xor_b32_e32 v0, vcc_lo, v0
	v_and_b32_e32 v0, v2, v0
	v_and_b32_e32 v1, v1, v3
	v_mbcnt_lo_u32_b32 v2, v0, 0
	v_mbcnt_hi_u32_b32 v47, v1, v2
	v_cmp_eq_u32_e32 vcc, 0, v47
	v_cmp_ne_u64_e64 s[46:47], 0, v[0:1]
	s_and_b64 s[58:59], s[46:47], vcc
	; wave barrier
	s_and_saveexec_b64 s[46:47], s[58:59]
	s_cbranch_execz .LBB205_81
; %bb.80:                               ;   in Loop: Header=BB205_67 Depth=1
	v_bcnt_u32_b32 v0, v0, 0
	v_bcnt_u32_b32 v0, v1, v0
	s_waitcnt lgkmcnt(0)
	v_add_u32_e32 v0, v45, v0
	ds_write_b32 v46, v0
.LBB205_81:                             ;   in Loop: Header=BB205_67 Depth=1
	s_or_b64 exec, exec, s[46:47]
	v_cmp_ne_u32_e32 vcc, s56, v55
	v_cndmask_b32_e32 v0, v48, v55, vcc
	v_lshrrev_b32_e32 v0, s54, v0
	v_and_b32_e32 v0, s57, v0
	v_lshlrev_b32_e32 v1, 3, v0
	v_add_lshl_u32 v1, v1, v50, 2
	; wave barrier
	v_add_u32_e32 v64, 32, v1
	ds_read_b32 v63, v1 offset:32
	v_and_b32_e32 v1, 1, v0
	v_add_co_u32_e32 v2, vcc, -1, v1
	v_addc_co_u32_e64 v3, s[46:47], 0, -1, vcc
	v_cmp_ne_u32_e32 vcc, 0, v1
	v_lshlrev_b32_e32 v33, 30, v0
	v_xor_b32_e32 v1, vcc_hi, v3
	v_not_b32_e32 v3, v33
	v_xor_b32_e32 v2, vcc_lo, v2
	v_cmp_gt_i64_e32 vcc, 0, v[32:33]
	v_ashrrev_i32_e32 v3, 31, v3
	v_and_b32_e32 v1, exec_hi, v1
	v_xor_b32_e32 v33, vcc_hi, v3
	v_and_b32_e32 v2, exec_lo, v2
	v_xor_b32_e32 v3, vcc_lo, v3
	v_and_b32_e32 v1, v1, v33
	v_lshlrev_b32_e32 v33, 29, v0
	v_and_b32_e32 v2, v2, v3
	v_not_b32_e32 v3, v33
	v_cmp_gt_i64_e32 vcc, 0, v[32:33]
	v_ashrrev_i32_e32 v3, 31, v3
	v_xor_b32_e32 v33, vcc_hi, v3
	v_xor_b32_e32 v3, vcc_lo, v3
	v_and_b32_e32 v1, v1, v33
	v_lshlrev_b32_e32 v33, 28, v0
	v_and_b32_e32 v2, v2, v3
	v_not_b32_e32 v3, v33
	v_cmp_gt_i64_e32 vcc, 0, v[32:33]
	v_ashrrev_i32_e32 v3, 31, v3
	v_xor_b32_e32 v33, vcc_hi, v3
	;; [unrolled: 8-line block ×5, first 2 shown]
	v_and_b32_e32 v1, v1, v33
	v_lshlrev_b32_e32 v33, 24, v0
	v_not_b32_e32 v0, v33
	v_xor_b32_e32 v3, vcc_lo, v3
	v_cmp_gt_i64_e32 vcc, 0, v[32:33]
	v_ashrrev_i32_e32 v0, 31, v0
	v_and_b32_e32 v2, v2, v3
	v_xor_b32_e32 v3, vcc_hi, v0
	v_xor_b32_e32 v0, vcc_lo, v0
	v_and_b32_e32 v0, v2, v0
	v_and_b32_e32 v1, v1, v3
	v_mbcnt_lo_u32_b32 v2, v0, 0
	v_mbcnt_hi_u32_b32 v70, v1, v2
	v_cmp_eq_u32_e32 vcc, 0, v70
	v_cmp_ne_u64_e64 s[46:47], 0, v[0:1]
	s_and_b64 s[58:59], s[46:47], vcc
	; wave barrier
	s_and_saveexec_b64 s[46:47], s[58:59]
	s_cbranch_execz .LBB205_83
; %bb.82:                               ;   in Loop: Header=BB205_67 Depth=1
	v_bcnt_u32_b32 v0, v0, 0
	v_bcnt_u32_b32 v0, v1, v0
	s_waitcnt lgkmcnt(0)
	v_add_u32_e32 v0, v63, v0
	ds_write_b32 v64, v0
.LBB205_83:                             ;   in Loop: Header=BB205_67 Depth=1
	s_or_b64 exec, exec, s[46:47]
	; wave barrier
	s_waitcnt lgkmcnt(0)
	s_barrier
	ds_read2_b32 v[2:3], v89 offset0:8 offset1:9
	ds_read2_b32 v[0:1], v49 offset0:2 offset1:3
	s_waitcnt lgkmcnt(1)
	v_add_u32_e32 v33, v3, v2
	s_waitcnt lgkmcnt(0)
	v_add3_u32 v1, v33, v0, v1
	s_nop 1
	v_mov_b32_dpp v33, v1 row_shr:1 row_mask:0xf bank_mask:0xf
	v_cndmask_b32_e64 v33, v33, 0, s[16:17]
	v_add_u32_e32 v1, v33, v1
	s_nop 1
	v_mov_b32_dpp v33, v1 row_shr:2 row_mask:0xf bank_mask:0xf
	v_cndmask_b32_e64 v33, 0, v33, s[18:19]
	v_add_u32_e32 v1, v1, v33
	;; [unrolled: 4-line block ×4, first 2 shown]
	s_nop 1
	v_mov_b32_dpp v33, v1 row_bcast:15 row_mask:0xf bank_mask:0xf
	v_cndmask_b32_e64 v33, v33, 0, s[24:25]
	v_add_u32_e32 v1, v1, v33
	s_nop 1
	v_mov_b32_dpp v33, v1 row_bcast:31 row_mask:0xf bank_mask:0xf
	v_cndmask_b32_e64 v33, 0, v33, s[26:27]
	v_add_u32_e32 v1, v1, v33
	s_and_saveexec_b64 s[46:47], s[28:29]
	s_cbranch_execz .LBB205_85
; %bb.84:                               ;   in Loop: Header=BB205_67 Depth=1
	ds_write_b32 v38, v1
.LBB205_85:                             ;   in Loop: Header=BB205_67 Depth=1
	s_or_b64 exec, exec, s[46:47]
	s_waitcnt lgkmcnt(0)
	s_barrier
	s_and_saveexec_b64 s[46:47], s[30:31]
	s_cbranch_execz .LBB205_87
; %bb.86:                               ;   in Loop: Header=BB205_67 Depth=1
	ds_read_b32 v33, v88
	s_waitcnt lgkmcnt(0)
	s_nop 0
	v_mov_b32_dpp v65, v33 row_shr:1 row_mask:0xf bank_mask:0xf
	v_cndmask_b32_e64 v65, v65, 0, s[40:41]
	v_add_u32_e32 v33, v65, v33
	s_nop 1
	v_mov_b32_dpp v65, v33 row_shr:2 row_mask:0xf bank_mask:0xf
	v_cndmask_b32_e64 v65, 0, v65, s[42:43]
	v_add_u32_e32 v33, v33, v65
	;; [unrolled: 4-line block ×3, first 2 shown]
	ds_write_b32 v88, v33
.LBB205_87:                             ;   in Loop: Header=BB205_67 Depth=1
	s_or_b64 exec, exec, s[46:47]
	v_mov_b32_e32 v33, 0
	s_waitcnt lgkmcnt(0)
	s_barrier
	s_and_saveexec_b64 s[46:47], s[34:35]
	s_cbranch_execz .LBB205_89
; %bb.88:                               ;   in Loop: Header=BB205_67 Depth=1
	ds_read_b32 v33, v52
.LBB205_89:                             ;   in Loop: Header=BB205_67 Depth=1
	s_or_b64 exec, exec, s[46:47]
	s_waitcnt lgkmcnt(0)
	v_add_u32_e32 v1, v33, v1
	ds_bpermute_b32 v1, v51, v1
	s_cmp_gt_u32 s54, 23
	s_waitcnt lgkmcnt(0)
	v_cndmask_b32_e64 v1, v1, v33, s[36:37]
	v_cndmask_b32_e64 v1, v1, 0, s[38:39]
	v_add_u32_e32 v2, v1, v2
	v_add_u32_e32 v3, v2, v3
	;; [unrolled: 1-line block ×3, first 2 shown]
	ds_write2_b32 v89, v1, v2 offset0:8 offset1:9
	ds_write2_b32 v49, v3, v0 offset0:2 offset1:3
	s_waitcnt lgkmcnt(0)
	s_barrier
	ds_read_b32 v0, v4
	ds_read_b32 v1, v7
	;; [unrolled: 1-line block ×8, first 2 shown]
	s_waitcnt lgkmcnt(7)
	v_add_u32_e32 v33, v0, v5
	s_waitcnt lgkmcnt(6)
	v_add3_u32 v64, v8, v6, v1
	s_waitcnt lgkmcnt(5)
	v_add3_u32 v65, v11, v9, v2
	;; [unrolled: 2-line block ×7, first 2 shown]
	s_cbranch_scc0 .LBB205_66
; %bb.90:
                                        ; implicit-def: $vgpr47
                                        ; implicit-def: $vgpr45
                                        ; implicit-def: $vgpr43
                                        ; implicit-def: $vgpr41
                                        ; implicit-def: $vgpr14_vgpr15
                                        ; implicit-def: $vgpr10_vgpr11
                                        ; implicit-def: $vgpr6_vgpr7
                                        ; implicit-def: $vgpr2_vgpr3
                                        ; implicit-def: $sgpr54
                                        ; implicit-def: $sgpr55
.LBB205_91:
	v_lshlrev_b32_e32 v0, 2, v33
	s_barrier
	ds_write_b32 v0, v62
	v_lshlrev_b32_e32 v0, 2, v64
	ds_write_b32 v0, v61
	v_lshlrev_b32_e32 v0, 2, v65
	;; [unrolled: 2-line block ×7, first 2 shown]
	v_lshlrev_b32_e32 v6, 2, v87
	ds_write_b32 v0, v55
	s_waitcnt lgkmcnt(0)
	s_barrier
	ds_read2_b32 v[0:1], v6 offset1:1
	ds_read2_b32 v[2:3], v6 offset0:2 offset1:3
	ds_read2_b32 v[4:5], v6 offset0:4 offset1:5
	;; [unrolled: 1-line block ×3, first 2 shown]
	v_bfrev_b32_e32 v38, -2
	v_lshlrev_b32_e32 v8, 3, v33
	v_lshlrev_b32_e32 v32, 3, v87
	s_waitcnt lgkmcnt(3)
	v_cmp_gt_i32_e32 vcc, 0, v1
	v_cndmask_b32_e64 v33, v38, 0, vcc
	v_cmp_gt_i32_e32 vcc, 0, v0
	v_lshlrev_b32_e32 v9, 3, v64
	v_lshlrev_b32_e32 v10, 3, v65
	;; [unrolled: 1-line block ×7, first 2 shown]
	v_cndmask_b32_e64 v40, v38, 0, vcc
	v_xor_b32_e32 v63, v33, v1
	s_waitcnt lgkmcnt(2)
	v_cmp_gt_i32_e32 vcc, 0, v3
	s_waitcnt lgkmcnt(0)
	s_barrier
	ds_write_b64 v8, v[30:31]
	ds_write_b64 v9, v[28:29]
	ds_write_b64 v10, v[26:27]
	ds_write_b64 v11, v[24:25]
	ds_write_b64 v12, v[22:23]
	ds_write_b64 v13, v[20:21]
	ds_write_b64 v14, v[18:19]
	ds_write_b64 v15, v[16:17]
	s_waitcnt lgkmcnt(0)
	s_barrier
	ds_read2_b64 v[18:21], v32 offset1:1
	ds_read2_b64 v[22:25], v32 offset0:2 offset1:3
	ds_read2_b64 v[26:29], v32 offset0:4 offset1:5
	;; [unrolled: 1-line block ×3, first 2 shown]
	v_xor_b32_e32 v62, v40, v0
	v_cndmask_b32_e64 v0, v38, 0, vcc
	v_cmp_gt_i32_e32 vcc, 0, v2
	v_cndmask_b32_e64 v1, v38, 0, vcc
	v_cmp_gt_i32_e32 vcc, 0, v5
	v_xor_b32_e32 v65, v0, v3
	v_cndmask_b32_e64 v0, v38, 0, vcc
	v_cmp_gt_i32_e32 vcc, 0, v4
	v_xor_b32_e32 v64, v1, v2
	;; [unrolled: 3-line block ×4, first 2 shown]
	v_cndmask_b32_e64 v0, v38, 0, vcc
	v_xor_b32_e32 v0, v0, v6
	v_xor_b32_e32 v1, v1, v7
.LBB205_92:
	s_waitcnt lgkmcnt(0)
	s_barrier
	ds_write2_b32 v78, v62, v63 offset1:1
	ds_write2_b32 v78, v64, v65 offset0:2 offset1:3
	ds_write2_b32 v78, v66, v67 offset0:4 offset1:5
	ds_write2_b32 v78, v0, v1 offset0:6 offset1:7
	s_waitcnt lgkmcnt(0)
	s_barrier
	ds_read_b32 v8, v35 offset:2048
	ds_read_b32 v7, v72 offset:4096
	;; [unrolled: 1-line block ×7, first 2 shown]
	v_mov_b32_e32 v35, 0
	v_lshlrev_b64 v[0:1], 2, v[34:35]
	v_mov_b32_e32 v9, s48
	v_add_co_u32_e32 v0, vcc, s33, v0
	v_addc_co_u32_e32 v1, vcc, v9, v1, vcc
	s_and_saveexec_b64 s[16:17], s[0:1]
	s_cbranch_execnz .LBB205_111
; %bb.93:
	s_or_b64 exec, exec, s[16:17]
	s_and_saveexec_b64 s[16:17], s[2:3]
	s_cbranch_execnz .LBB205_112
.LBB205_94:
	s_or_b64 exec, exec, s[16:17]
	s_and_saveexec_b64 s[16:17], s[4:5]
	s_cbranch_execnz .LBB205_113
.LBB205_95:
	s_or_b64 exec, exec, s[16:17]
	s_and_saveexec_b64 s[16:17], s[6:7]
	s_cbranch_execnz .LBB205_114
.LBB205_96:
	s_or_b64 exec, exec, s[16:17]
	s_and_saveexec_b64 s[16:17], s[8:9]
	s_cbranch_execnz .LBB205_115
.LBB205_97:
	s_or_b64 exec, exec, s[16:17]
	s_and_saveexec_b64 s[16:17], s[10:11]
	s_cbranch_execnz .LBB205_116
.LBB205_98:
	s_or_b64 exec, exec, s[16:17]
	s_and_saveexec_b64 s[16:17], s[12:13]
	s_cbranch_execnz .LBB205_117
.LBB205_99:
	s_or_b64 exec, exec, s[16:17]
	s_and_saveexec_b64 s[16:17], s[14:15]
	s_cbranch_execz .LBB205_101
.LBB205_100:
	s_mul_i32 s18, s50, 0xe00
	s_mov_b32 s19, 0
	s_lshl_b64 s[18:19], s[18:19], 2
	s_waitcnt lgkmcnt(1)
	v_mov_b32_e32 v3, s19
	v_add_co_u32_e32 v0, vcc, s18, v0
	v_addc_co_u32_e32 v1, vcc, v1, v3, vcc
	s_waitcnt lgkmcnt(0)
	global_store_dword v[0:1], v2, off
.LBB205_101:
	s_or_b64 exec, exec, s[16:17]
	s_waitcnt lgkmcnt(0)
	s_barrier
	ds_write2_b64 v86, v[18:19], v[20:21] offset1:1
	ds_write2_b64 v86, v[22:23], v[24:25] offset0:2 offset1:3
	ds_write2_b64 v86, v[26:27], v[28:29] offset0:4 offset1:5
	;; [unrolled: 1-line block ×3, first 2 shown]
	s_waitcnt lgkmcnt(0)
	s_barrier
	ds_read_b64 v[14:15], v37 offset:4096
	ds_read_b64 v[12:13], v80 offset:8192
	;; [unrolled: 1-line block ×7, first 2 shown]
	v_mov_b32_e32 v37, 0
	v_lshlrev_b64 v[2:3], 3, v[36:37]
	v_mov_b32_e32 v16, s51
	v_add_co_u32_e32 v2, vcc, s49, v2
	v_addc_co_u32_e32 v3, vcc, v16, v3, vcc
	s_and_saveexec_b64 s[16:17], s[0:1]
	s_cbranch_execnz .LBB205_118
; %bb.102:
	s_or_b64 exec, exec, s[16:17]
	s_and_saveexec_b64 s[0:1], s[2:3]
	s_cbranch_execnz .LBB205_119
.LBB205_103:
	s_or_b64 exec, exec, s[0:1]
	s_and_saveexec_b64 s[0:1], s[4:5]
	s_cbranch_execnz .LBB205_120
.LBB205_104:
	s_or_b64 exec, exec, s[0:1]
	s_and_saveexec_b64 s[0:1], s[6:7]
	s_cbranch_execnz .LBB205_121
.LBB205_105:
	s_or_b64 exec, exec, s[0:1]
	s_and_saveexec_b64 s[0:1], s[8:9]
	s_cbranch_execnz .LBB205_122
.LBB205_106:
	s_or_b64 exec, exec, s[0:1]
	s_and_saveexec_b64 s[0:1], s[10:11]
	s_cbranch_execnz .LBB205_123
.LBB205_107:
	s_or_b64 exec, exec, s[0:1]
	s_and_saveexec_b64 s[0:1], s[12:13]
	s_cbranch_execnz .LBB205_124
.LBB205_108:
	s_or_b64 exec, exec, s[0:1]
	s_and_saveexec_b64 s[0:1], s[14:15]
	s_cbranch_execz .LBB205_110
.LBB205_109:
	s_mul_i32 s0, s52, 0xe00
	s_mov_b32 s1, 0
	s_lshl_b64 s[0:1], s[0:1], 3
	s_waitcnt lgkmcnt(1)
	v_mov_b32_e32 v4, s1
	v_add_co_u32_e32 v2, vcc, s0, v2
	v_addc_co_u32_e32 v3, vcc, v3, v4, vcc
	s_waitcnt lgkmcnt(0)
	global_store_dwordx2 v[2:3], v[0:1], off
.LBB205_110:
	s_endpgm
.LBB205_111:
	ds_read_b32 v9, v39
	s_waitcnt lgkmcnt(0)
	global_store_dword v[0:1], v9, off
	s_or_b64 exec, exec, s[16:17]
	s_and_saveexec_b64 s[16:17], s[2:3]
	s_cbranch_execz .LBB205_94
.LBB205_112:
	s_lshl_b32 s18, s50, 9
	s_mov_b32 s19, 0
	s_lshl_b64 s[18:19], s[18:19], 2
	v_mov_b32_e32 v9, s19
	v_add_co_u32_e32 v10, vcc, s18, v0
	v_addc_co_u32_e32 v11, vcc, v1, v9, vcc
	s_waitcnt lgkmcnt(6)
	global_store_dword v[10:11], v8, off
	s_or_b64 exec, exec, s[16:17]
	s_and_saveexec_b64 s[16:17], s[4:5]
	s_cbranch_execz .LBB205_95
.LBB205_113:
	s_lshl_b32 s18, s50, 10
	s_mov_b32 s19, 0
	s_lshl_b64 s[18:19], s[18:19], 2
	v_mov_b32_e32 v9, s19
	s_waitcnt lgkmcnt(6)
	v_add_co_u32_e32 v8, vcc, s18, v0
	v_addc_co_u32_e32 v9, vcc, v1, v9, vcc
	s_waitcnt lgkmcnt(5)
	global_store_dword v[8:9], v7, off
	s_or_b64 exec, exec, s[16:17]
	s_and_saveexec_b64 s[16:17], s[6:7]
	s_cbranch_execz .LBB205_96
.LBB205_114:
	s_mul_i32 s18, s50, 0x600
	s_mov_b32 s19, 0
	s_lshl_b64 s[18:19], s[18:19], 2
	s_waitcnt lgkmcnt(5)
	v_mov_b32_e32 v7, s19
	v_add_co_u32_e32 v8, vcc, s18, v0
	v_addc_co_u32_e32 v9, vcc, v1, v7, vcc
	s_waitcnt lgkmcnt(4)
	global_store_dword v[8:9], v6, off
	s_or_b64 exec, exec, s[16:17]
	s_and_saveexec_b64 s[16:17], s[8:9]
	s_cbranch_execz .LBB205_97
.LBB205_115:
	s_lshl_b32 s18, s50, 11
	s_mov_b32 s19, 0
	s_lshl_b64 s[18:19], s[18:19], 2
	s_waitcnt lgkmcnt(5)
	v_mov_b32_e32 v7, s19
	s_waitcnt lgkmcnt(4)
	v_add_co_u32_e32 v6, vcc, s18, v0
	v_addc_co_u32_e32 v7, vcc, v1, v7, vcc
	s_waitcnt lgkmcnt(3)
	global_store_dword v[6:7], v5, off
	s_or_b64 exec, exec, s[16:17]
	s_and_saveexec_b64 s[16:17], s[10:11]
	s_cbranch_execz .LBB205_98
.LBB205_116:
	s_mul_i32 s18, s50, 0xa00
	s_mov_b32 s19, 0
	s_lshl_b64 s[18:19], s[18:19], 2
	s_waitcnt lgkmcnt(3)
	v_mov_b32_e32 v5, s19
	v_add_co_u32_e32 v6, vcc, s18, v0
	v_addc_co_u32_e32 v7, vcc, v1, v5, vcc
	s_waitcnt lgkmcnt(2)
	global_store_dword v[6:7], v4, off
	s_or_b64 exec, exec, s[16:17]
	s_and_saveexec_b64 s[16:17], s[12:13]
	s_cbranch_execz .LBB205_99
.LBB205_117:
	s_mul_i32 s18, s50, 0xc00
	s_mov_b32 s19, 0
	s_lshl_b64 s[18:19], s[18:19], 2
	s_waitcnt lgkmcnt(3)
	v_mov_b32_e32 v5, s19
	s_waitcnt lgkmcnt(2)
	v_add_co_u32_e32 v4, vcc, s18, v0
	v_addc_co_u32_e32 v5, vcc, v1, v5, vcc
	s_waitcnt lgkmcnt(1)
	global_store_dword v[4:5], v3, off
	s_or_b64 exec, exec, s[16:17]
	s_and_saveexec_b64 s[16:17], s[14:15]
	s_cbranch_execnz .LBB205_100
	s_branch .LBB205_101
.LBB205_118:
	ds_read_b64 v[16:17], v79
	s_waitcnt lgkmcnt(0)
	global_store_dwordx2 v[2:3], v[16:17], off
	s_or_b64 exec, exec, s[16:17]
	s_and_saveexec_b64 s[0:1], s[2:3]
	s_cbranch_execz .LBB205_103
.LBB205_119:
	s_lshl_b32 s2, s52, 9
	s_mov_b32 s3, 0
	s_lshl_b64 s[2:3], s[2:3], 3
	v_mov_b32_e32 v17, s3
	v_add_co_u32_e32 v16, vcc, s2, v2
	v_addc_co_u32_e32 v17, vcc, v3, v17, vcc
	s_waitcnt lgkmcnt(6)
	global_store_dwordx2 v[16:17], v[14:15], off
	s_or_b64 exec, exec, s[0:1]
	s_and_saveexec_b64 s[0:1], s[4:5]
	s_cbranch_execz .LBB205_104
.LBB205_120:
	s_lshl_b32 s2, s52, 10
	s_mov_b32 s3, 0
	s_lshl_b64 s[2:3], s[2:3], 3
	s_waitcnt lgkmcnt(6)
	v_mov_b32_e32 v15, s3
	v_add_co_u32_e32 v14, vcc, s2, v2
	v_addc_co_u32_e32 v15, vcc, v3, v15, vcc
	s_waitcnt lgkmcnt(5)
	global_store_dwordx2 v[14:15], v[12:13], off
	s_or_b64 exec, exec, s[0:1]
	s_and_saveexec_b64 s[0:1], s[6:7]
	s_cbranch_execz .LBB205_105
.LBB205_121:
	s_mul_i32 s2, s52, 0x600
	s_mov_b32 s3, 0
	s_lshl_b64 s[2:3], s[2:3], 3
	s_waitcnt lgkmcnt(5)
	v_mov_b32_e32 v13, s3
	v_add_co_u32_e32 v12, vcc, s2, v2
	v_addc_co_u32_e32 v13, vcc, v3, v13, vcc
	s_waitcnt lgkmcnt(4)
	global_store_dwordx2 v[12:13], v[10:11], off
	s_or_b64 exec, exec, s[0:1]
	s_and_saveexec_b64 s[0:1], s[8:9]
	s_cbranch_execz .LBB205_106
.LBB205_122:
	s_lshl_b32 s2, s52, 11
	s_mov_b32 s3, 0
	s_lshl_b64 s[2:3], s[2:3], 3
	s_waitcnt lgkmcnt(4)
	v_mov_b32_e32 v11, s3
	v_add_co_u32_e32 v10, vcc, s2, v2
	v_addc_co_u32_e32 v11, vcc, v3, v11, vcc
	s_waitcnt lgkmcnt(3)
	global_store_dwordx2 v[10:11], v[8:9], off
	s_or_b64 exec, exec, s[0:1]
	s_and_saveexec_b64 s[0:1], s[10:11]
	s_cbranch_execz .LBB205_107
.LBB205_123:
	s_mul_i32 s2, s52, 0xa00
	s_mov_b32 s3, 0
	s_lshl_b64 s[2:3], s[2:3], 3
	s_waitcnt lgkmcnt(3)
	v_mov_b32_e32 v9, s3
	v_add_co_u32_e32 v8, vcc, s2, v2
	v_addc_co_u32_e32 v9, vcc, v3, v9, vcc
	s_waitcnt lgkmcnt(2)
	global_store_dwordx2 v[8:9], v[6:7], off
	s_or_b64 exec, exec, s[0:1]
	s_and_saveexec_b64 s[0:1], s[12:13]
	s_cbranch_execz .LBB205_108
.LBB205_124:
	s_mul_i32 s2, s52, 0xc00
	s_mov_b32 s3, 0
	s_lshl_b64 s[2:3], s[2:3], 3
	s_waitcnt lgkmcnt(2)
	v_mov_b32_e32 v7, s3
	v_add_co_u32_e32 v6, vcc, s2, v2
	v_addc_co_u32_e32 v7, vcc, v3, v7, vcc
	s_waitcnt lgkmcnt(1)
	global_store_dwordx2 v[6:7], v[4:5], off
	s_or_b64 exec, exec, s[0:1]
	s_and_saveexec_b64 s[0:1], s[14:15]
	s_cbranch_execnz .LBB205_109
	s_branch .LBB205_110
	.section	.rodata,"a",@progbits
	.p2align	6, 0x0
	.amdhsa_kernel _ZN2at6native18radixSortKVInPlaceILi2ELin1ELi512ELi8EfljEEvNS_4cuda6detail10TensorInfoIT3_T5_EES6_S6_S6_NS4_IT4_S6_EES6_b
		.amdhsa_group_segment_fixed_size 33792
		.amdhsa_private_segment_fixed_size 0
		.amdhsa_kernarg_size 712
		.amdhsa_user_sgpr_count 6
		.amdhsa_user_sgpr_private_segment_buffer 1
		.amdhsa_user_sgpr_dispatch_ptr 0
		.amdhsa_user_sgpr_queue_ptr 0
		.amdhsa_user_sgpr_kernarg_segment_ptr 1
		.amdhsa_user_sgpr_dispatch_id 0
		.amdhsa_user_sgpr_flat_scratch_init 0
		.amdhsa_user_sgpr_kernarg_preload_length 0
		.amdhsa_user_sgpr_kernarg_preload_offset 0
		.amdhsa_user_sgpr_private_segment_size 0
		.amdhsa_uses_dynamic_stack 0
		.amdhsa_system_sgpr_private_segment_wavefront_offset 0
		.amdhsa_system_sgpr_workgroup_id_x 1
		.amdhsa_system_sgpr_workgroup_id_y 1
		.amdhsa_system_sgpr_workgroup_id_z 1
		.amdhsa_system_sgpr_workgroup_info 0
		.amdhsa_system_vgpr_workitem_id 2
		.amdhsa_next_free_vgpr 118
		.amdhsa_next_free_sgpr 62
		.amdhsa_accum_offset 120
		.amdhsa_reserve_vcc 1
		.amdhsa_reserve_flat_scratch 0
		.amdhsa_float_round_mode_32 0
		.amdhsa_float_round_mode_16_64 0
		.amdhsa_float_denorm_mode_32 3
		.amdhsa_float_denorm_mode_16_64 3
		.amdhsa_dx10_clamp 1
		.amdhsa_ieee_mode 1
		.amdhsa_fp16_overflow 0
		.amdhsa_tg_split 0
		.amdhsa_exception_fp_ieee_invalid_op 0
		.amdhsa_exception_fp_denorm_src 0
		.amdhsa_exception_fp_ieee_div_zero 0
		.amdhsa_exception_fp_ieee_overflow 0
		.amdhsa_exception_fp_ieee_underflow 0
		.amdhsa_exception_fp_ieee_inexact 0
		.amdhsa_exception_int_div_zero 0
	.end_amdhsa_kernel
	.section	.text._ZN2at6native18radixSortKVInPlaceILi2ELin1ELi512ELi8EfljEEvNS_4cuda6detail10TensorInfoIT3_T5_EES6_S6_S6_NS4_IT4_S6_EES6_b,"axG",@progbits,_ZN2at6native18radixSortKVInPlaceILi2ELin1ELi512ELi8EfljEEvNS_4cuda6detail10TensorInfoIT3_T5_EES6_S6_S6_NS4_IT4_S6_EES6_b,comdat
.Lfunc_end205:
	.size	_ZN2at6native18radixSortKVInPlaceILi2ELin1ELi512ELi8EfljEEvNS_4cuda6detail10TensorInfoIT3_T5_EES6_S6_S6_NS4_IT4_S6_EES6_b, .Lfunc_end205-_ZN2at6native18radixSortKVInPlaceILi2ELin1ELi512ELi8EfljEEvNS_4cuda6detail10TensorInfoIT3_T5_EES6_S6_S6_NS4_IT4_S6_EES6_b
                                        ; -- End function
	.section	.AMDGPU.csdata,"",@progbits
; Kernel info:
; codeLenInByte = 13528
; NumSgprs: 66
; NumVgprs: 118
; NumAgprs: 0
; TotalNumVgprs: 118
; ScratchSize: 0
; MemoryBound: 0
; FloatMode: 240
; IeeeMode: 1
; LDSByteSize: 33792 bytes/workgroup (compile time only)
; SGPRBlocks: 8
; VGPRBlocks: 14
; NumSGPRsForWavesPerEU: 66
; NumVGPRsForWavesPerEU: 118
; AccumOffset: 120
; Occupancy: 2
; WaveLimiterHint : 1
; COMPUTE_PGM_RSRC2:SCRATCH_EN: 0
; COMPUTE_PGM_RSRC2:USER_SGPR: 6
; COMPUTE_PGM_RSRC2:TRAP_HANDLER: 0
; COMPUTE_PGM_RSRC2:TGID_X_EN: 1
; COMPUTE_PGM_RSRC2:TGID_Y_EN: 1
; COMPUTE_PGM_RSRC2:TGID_Z_EN: 1
; COMPUTE_PGM_RSRC2:TIDIG_COMP_CNT: 2
; COMPUTE_PGM_RSRC3_GFX90A:ACCUM_OFFSET: 29
; COMPUTE_PGM_RSRC3_GFX90A:TG_SPLIT: 0
	.section	.text._ZN2at6native18radixSortKVInPlaceILi2ELin1ELi256ELi8EfljEEvNS_4cuda6detail10TensorInfoIT3_T5_EES6_S6_S6_NS4_IT4_S6_EES6_b,"axG",@progbits,_ZN2at6native18radixSortKVInPlaceILi2ELin1ELi256ELi8EfljEEvNS_4cuda6detail10TensorInfoIT3_T5_EES6_S6_S6_NS4_IT4_S6_EES6_b,comdat
	.protected	_ZN2at6native18radixSortKVInPlaceILi2ELin1ELi256ELi8EfljEEvNS_4cuda6detail10TensorInfoIT3_T5_EES6_S6_S6_NS4_IT4_S6_EES6_b ; -- Begin function _ZN2at6native18radixSortKVInPlaceILi2ELin1ELi256ELi8EfljEEvNS_4cuda6detail10TensorInfoIT3_T5_EES6_S6_S6_NS4_IT4_S6_EES6_b
	.globl	_ZN2at6native18radixSortKVInPlaceILi2ELin1ELi256ELi8EfljEEvNS_4cuda6detail10TensorInfoIT3_T5_EES6_S6_S6_NS4_IT4_S6_EES6_b
	.p2align	8
	.type	_ZN2at6native18radixSortKVInPlaceILi2ELin1ELi256ELi8EfljEEvNS_4cuda6detail10TensorInfoIT3_T5_EES6_S6_S6_NS4_IT4_S6_EES6_b,@function
_ZN2at6native18radixSortKVInPlaceILi2ELin1ELi256ELi8EfljEEvNS_4cuda6detail10TensorInfoIT3_T5_EES6_S6_S6_NS4_IT4_S6_EES6_b: ; @_ZN2at6native18radixSortKVInPlaceILi2ELin1ELi256ELi8EfljEEvNS_4cuda6detail10TensorInfoIT3_T5_EES6_S6_S6_NS4_IT4_S6_EES6_b
; %bb.0:
	s_load_dwordx2 s[0:1], s[4:5], 0x1c8
	s_load_dwordx4 s[44:47], s[4:5], 0xd8
	s_add_u32 s50, s4, 0x1c8
	s_addc_u32 s51, s5, 0
	s_waitcnt lgkmcnt(0)
	s_mul_i32 s1, s1, s8
	s_add_i32 s1, s1, s7
	s_mul_i32 s8, s1, s0
	s_add_i32 s8, s8, s6
	s_cmp_ge_u32 s8, s44
	s_cbranch_scc1 .LBB206_110
; %bb.1:
	s_load_dword s9, s[4:5], 0xc
	s_load_dwordx2 s[0:1], s[4:5], 0x6c
	s_load_dword s6, s[4:5], 0x1b8
	s_add_u32 s14, s4, 0xe8
	s_load_dwordx2 s[2:3], s[4:5], 0x0
	s_waitcnt lgkmcnt(0)
	v_cvt_f32_u32_e32 v1, s9
	s_addc_u32 s15, s5, 0
	s_sub_i32 s7, 0, s9
	s_mov_b32 s17, 0
	v_rcp_iflag_f32_e32 v1, v1
	s_mov_b32 s16, s8
	v_mul_f32_e32 v1, 0x4f7ffffe, v1
	v_cvt_u32_f32_e32 v1, v1
	v_readfirstlane_b32 s10, v1
	s_mul_i32 s7, s7, s10
	s_mul_hi_u32 s7, s10, s7
	s_add_i32 s10, s10, s7
	s_mul_hi_u32 s10, s8, s10
	s_cmp_lt_i32 s6, 2
	s_cbranch_scc1 .LBB206_4
; %bb.2:
	s_add_i32 s16, s6, -1
	s_add_i32 s11, s6, 1
	s_lshl_b64 s[6:7], s[16:17], 2
	s_add_u32 s6, s6, s14
	s_addc_u32 s7, s7, s15
	s_add_u32 s6, s6, 8
	s_addc_u32 s7, s7, 0
	s_mov_b32 s16, s8
.LBB206_3:                              ; =>This Inner Loop Header: Depth=1
	s_load_dword s12, s[6:7], 0x0
	s_load_dword s18, s[6:7], 0x64
	s_mov_b32 s13, s16
	s_waitcnt lgkmcnt(0)
	v_cvt_f32_u32_e32 v1, s12
	s_sub_i32 s16, 0, s12
	v_rcp_iflag_f32_e32 v1, v1
	v_mul_f32_e32 v1, 0x4f7ffffe, v1
	v_cvt_u32_f32_e32 v1, v1
	v_readfirstlane_b32 s19, v1
	s_mul_i32 s16, s16, s19
	s_mul_hi_u32 s16, s19, s16
	s_add_i32 s19, s19, s16
	s_mul_hi_u32 s16, s13, s19
	s_mul_i32 s19, s16, s12
	s_sub_i32 s19, s13, s19
	s_add_i32 s20, s16, 1
	s_sub_i32 s21, s19, s12
	s_cmp_ge_u32 s19, s12
	s_cselect_b32 s16, s20, s16
	s_cselect_b32 s19, s21, s19
	s_add_i32 s20, s16, 1
	s_cmp_ge_u32 s19, s12
	s_cselect_b32 s16, s20, s16
	s_mul_i32 s12, s16, s12
	s_sub_i32 s12, s13, s12
	s_mul_i32 s12, s18, s12
	s_add_i32 s11, s11, -1
	s_add_i32 s17, s12, s17
	s_add_u32 s6, s6, -4
	s_addc_u32 s7, s7, -1
	s_cmp_gt_u32 s11, 2
	s_cbranch_scc1 .LBB206_3
.LBB206_4:
	s_mul_i32 s6, s10, s9
	s_sub_i32 s6, s8, s6
	s_add_i32 s7, s10, 1
	s_sub_i32 s11, s6, s9
	s_cmp_ge_u32 s6, s9
	s_cselect_b32 s7, s7, s10
	s_cselect_b32 s6, s11, s6
	s_add_i32 s10, s7, 1
	s_cmp_ge_u32 s6, s9
	s_cselect_b32 s6, s10, s7
	s_load_dwordx2 s[48:49], s[4:5], 0x1c0
	s_mul_i32 s7, s6, s9
	s_sub_i32 s4, s8, s7
	s_mul_i32 s4, s4, s1
	s_mul_i32 s0, s6, s0
	s_add_i32 s0, s0, s4
	s_waitcnt lgkmcnt(0)
	s_bitcmp1_b32 s49, 0
	s_mov_b32 s1, 0
	v_bfrev_b32_e32 v1, -2
	s_cselect_b64 s[34:35], -1, 0
	s_lshl_b64 s[0:1], s[0:1], 2
	s_add_u32 s33, s2, s0
	v_cndmask_b32_e64 v1, v1, -1, s[34:35]
	v_and_b32_e32 v38, 0x3ff, v0
	s_addc_u32 s47, s3, s1
	v_mov_b32_e32 v2, v1
	v_mov_b32_e32 v3, v1
	;; [unrolled: 1-line block ×6, first 2 shown]
	v_cmp_gt_u32_e64 s[0:1], s45, v38
	v_mul_lo_u32 v34, v38, s46
	v_mov_b32_e32 v8, v1
	s_and_saveexec_b64 s[2:3], s[0:1]
	s_cbranch_execz .LBB206_6
; %bb.5:
	v_mov_b32_e32 v35, 0
	v_lshlrev_b64 v[8:9], 2, v[34:35]
	v_mov_b32_e32 v10, s47
	v_add_co_u32_e32 v8, vcc, s33, v8
	v_addc_co_u32_e32 v9, vcc, v10, v9, vcc
	global_load_dword v8, v[8:9], off
.LBB206_6:
	s_or_b64 exec, exec, s[2:3]
	v_add_u32_e32 v30, 0x100, v38
	v_cmp_gt_u32_e64 s[2:3], s45, v30
	s_and_saveexec_b64 s[4:5], s[2:3]
	s_cbranch_execz .LBB206_8
; %bb.7:
	v_mul_lo_u32 v10, v30, s46
	v_mov_b32_e32 v11, 0
	v_lshlrev_b64 v[10:11], 2, v[10:11]
	v_mov_b32_e32 v1, s47
	v_add_co_u32_e32 v10, vcc, s33, v10
	v_addc_co_u32_e32 v11, vcc, v1, v11, vcc
	global_load_dword v1, v[10:11], off
.LBB206_8:
	s_or_b64 exec, exec, s[4:5]
	v_add_u32_e32 v28, 0x200, v38
	v_cmp_gt_u32_e64 s[4:5], s45, v28
	s_and_saveexec_b64 s[6:7], s[4:5]
	s_cbranch_execz .LBB206_10
; %bb.9:
	v_mul_lo_u32 v10, v28, s46
	v_mov_b32_e32 v11, 0
	v_lshlrev_b64 v[10:11], 2, v[10:11]
	v_mov_b32_e32 v2, s47
	v_add_co_u32_e32 v10, vcc, s33, v10
	v_addc_co_u32_e32 v11, vcc, v2, v11, vcc
	global_load_dword v2, v[10:11], off
.LBB206_10:
	;; [unrolled: 14-line block ×3, first 2 shown]
	s_or_b64 exec, exec, s[8:9]
	v_or_b32_e32 v24, 0x400, v38
	v_cmp_gt_u32_e64 s[8:9], s45, v24
	s_and_saveexec_b64 s[10:11], s[8:9]
	s_cbranch_execz .LBB206_14
; %bb.13:
	v_mul_lo_u32 v10, v24, s46
	v_mov_b32_e32 v11, 0
	v_lshlrev_b64 v[10:11], 2, v[10:11]
	v_mov_b32_e32 v4, s47
	v_add_co_u32_e32 v10, vcc, s33, v10
	v_addc_co_u32_e32 v11, vcc, v4, v11, vcc
	global_load_dword v4, v[10:11], off
.LBB206_14:
	s_or_b64 exec, exec, s[10:11]
	v_add_u32_e32 v21, 0x500, v38
	v_cmp_gt_u32_e64 s[10:11], s45, v21
	s_and_saveexec_b64 s[12:13], s[10:11]
	s_cbranch_execz .LBB206_16
; %bb.15:
	v_mul_lo_u32 v10, v21, s46
	v_mov_b32_e32 v11, 0
	v_lshlrev_b64 v[10:11], 2, v[10:11]
	v_mov_b32_e32 v5, s47
	v_add_co_u32_e32 v10, vcc, s33, v10
	v_addc_co_u32_e32 v11, vcc, v5, v11, vcc
	global_load_dword v5, v[10:11], off
.LBB206_16:
	s_or_b64 exec, exec, s[12:13]
	s_load_dwordx2 s[18:19], s[14:15], 0x0
	v_add_u32_e32 v19, 0x600, v38
	v_cmp_gt_u32_e64 s[12:13], s45, v19
	s_and_saveexec_b64 s[20:21], s[12:13]
	s_cbranch_execz .LBB206_18
; %bb.17:
	v_mul_lo_u32 v10, v19, s46
	v_mov_b32_e32 v11, 0
	v_lshlrev_b64 v[10:11], 2, v[10:11]
	v_mov_b32_e32 v6, s47
	v_add_co_u32_e32 v10, vcc, s33, v10
	v_addc_co_u32_e32 v11, vcc, v6, v11, vcc
	global_load_dword v6, v[10:11], off
.LBB206_18:
	s_or_b64 exec, exec, s[20:21]
	s_load_dword s22, s[14:15], 0x6c
	v_add_u32_e32 v18, 0x700, v38
	v_cmp_gt_u32_e64 s[14:15], s45, v18
	s_and_saveexec_b64 s[20:21], s[14:15]
	s_cbranch_execz .LBB206_20
; %bb.19:
	v_mul_lo_u32 v10, v18, s46
	v_mov_b32_e32 v11, 0
	v_lshlrev_b64 v[10:11], 2, v[10:11]
	v_mov_b32_e32 v7, s47
	v_add_co_u32_e32 v10, vcc, s33, v10
	v_addc_co_u32_e32 v11, vcc, v7, v11, vcc
	global_load_dword v7, v[10:11], off
.LBB206_20:
	s_or_b64 exec, exec, s[20:21]
	v_lshrrev_b32_e32 v9, 5, v38
	v_add_u32_e32 v32, v9, v38
	v_lshlrev_b32_e32 v39, 2, v32
	s_waitcnt vmcnt(0)
	ds_write_b32 v39, v8
	v_lshrrev_b32_e32 v8, 5, v30
	v_add_u32_e32 v31, v8, v38
	v_lshlrev_b32_e32 v35, 2, v31
	ds_write_b32 v35, v1 offset:1024
	v_lshrrev_b32_e32 v1, 5, v28
	v_add_u32_e32 v29, v1, v38
	v_lshrrev_b32_e32 v1, 5, v26
	v_add_u32_e32 v27, v1, v38
	;; [unrolled: 2-line block ×3, first 2 shown]
	v_lshrrev_b32_e32 v1, 5, v21
	v_lshlrev_b32_e32 v72, 2, v29
	v_add_u32_e32 v23, v1, v38
	v_lshrrev_b32_e32 v1, 5, v19
	ds_write_b32 v72, v2 offset:2048
	v_add_u32_e32 v20, v1, v38
	v_lshrrev_b32_e32 v1, 5, v18
	v_lshlrev_b32_e32 v87, 3, v38
	v_lshrrev_b32_e32 v2, 2, v38
	v_add_u32_e32 v1, v1, v38
	v_add_u32_e32 v22, v2, v87
	v_lshlrev_b32_e32 v73, 2, v27
	v_lshlrev_b32_e32 v74, 2, v25
	;; [unrolled: 1-line block ×6, first 2 shown]
	ds_write_b32 v73, v3 offset:3072
	ds_write_b32 v74, v4 offset:4096
	;; [unrolled: 1-line block ×5, first 2 shown]
	s_waitcnt lgkmcnt(0)
	s_barrier
	ds_read2_b32 v[46:47], v78 offset1:1
	ds_read2_b32 v[44:45], v78 offset0:2 offset1:3
	ds_read2_b32 v[42:43], v78 offset0:4 offset1:5
	;; [unrolled: 1-line block ×3, first 2 shown]
	s_mul_i32 s16, s22, s16
	s_add_i32 s16, s16, s17
	s_mov_b32 s17, 0
	s_lshl_b64 s[20:21], s[16:17], 3
	s_add_u32 s49, s18, s20
	s_mov_b32 s16, s17
	s_addc_u32 s52, s19, s21
	s_mov_b32 s18, s17
	s_mov_b32 s19, s17
	;; [unrolled: 1-line block ×14, first 2 shown]
	v_pk_mov_b32 v[2:3], s[16:17], s[16:17] op_sel:[0,1]
	v_pk_mov_b32 v[4:5], s[18:19], s[18:19] op_sel:[0,1]
	v_pk_mov_b32 v[6:7], s[20:21], s[20:21] op_sel:[0,1]
	v_pk_mov_b32 v[8:9], s[22:23], s[22:23] op_sel:[0,1]
	v_pk_mov_b32 v[10:11], s[24:25], s[24:25] op_sel:[0,1]
	v_pk_mov_b32 v[12:13], s[26:27], s[26:27] op_sel:[0,1]
	v_pk_mov_b32 v[14:15], s[28:29], s[28:29] op_sel:[0,1]
	v_pk_mov_b32 v[16:17], s[30:31], s[30:31] op_sel:[0,1]
	v_pk_mov_b32 v[2:3], 0, 0
	v_mul_lo_u32 v36, v38, s48
	s_waitcnt lgkmcnt(0)
	s_barrier
	s_and_saveexec_b64 s[16:17], s[0:1]
	s_cbranch_execnz .LBB206_57
; %bb.21:
	s_or_b64 exec, exec, s[16:17]
	s_and_saveexec_b64 s[16:17], s[2:3]
	s_cbranch_execnz .LBB206_58
.LBB206_22:
	s_or_b64 exec, exec, s[16:17]
	s_and_saveexec_b64 s[16:17], s[4:5]
	s_cbranch_execnz .LBB206_59
.LBB206_23:
	s_or_b64 exec, exec, s[16:17]
	s_and_saveexec_b64 s[16:17], s[6:7]
	s_cbranch_execnz .LBB206_60
.LBB206_24:
	s_or_b64 exec, exec, s[16:17]
	s_and_saveexec_b64 s[16:17], s[8:9]
	s_cbranch_execnz .LBB206_61
.LBB206_25:
	s_or_b64 exec, exec, s[16:17]
	s_and_saveexec_b64 s[16:17], s[10:11]
	s_cbranch_execnz .LBB206_62
.LBB206_26:
	s_or_b64 exec, exec, s[16:17]
	s_and_saveexec_b64 s[16:17], s[12:13]
	s_cbranch_execnz .LBB206_63
.LBB206_27:
	s_or_b64 exec, exec, s[16:17]
	s_xor_b64 s[16:17], s[34:35], -1
	s_and_saveexec_b64 s[18:19], s[14:15]
	s_cbranch_execz .LBB206_29
.LBB206_28:
	v_mul_lo_u32 v16, v18, s48
	v_mov_b32_e32 v17, 0
	v_lshlrev_b64 v[16:17], 3, v[16:17]
	v_mov_b32_e32 v18, s52
	v_add_co_u32_e32 v16, vcc, s49, v16
	v_addc_co_u32_e32 v17, vcc, v18, v17, vcc
	global_load_dwordx2 v[16:17], v[16:17], off
.LBB206_29:
	s_or_b64 exec, exec, s[18:19]
	v_lshlrev_b32_e32 v79, 3, v32
	v_lshlrev_b32_e32 v37, 3, v31
	;; [unrolled: 1-line block ×9, first 2 shown]
	s_waitcnt vmcnt(0)
	ds_write_b64 v79, v[2:3]
	ds_write_b64 v37, v[4:5] offset:2048
	ds_write_b64 v80, v[6:7] offset:4096
	;; [unrolled: 1-line block ×7, first 2 shown]
	s_waitcnt lgkmcnt(0)
	s_barrier
	ds_read2_b64 v[14:17], v86 offset1:1
	ds_read2_b64 v[10:13], v86 offset0:2 offset1:3
	ds_read2_b64 v[6:9], v86 offset0:4 offset1:5
	;; [unrolled: 1-line block ×3, first 2 shown]
	s_and_b64 vcc, exec, s[16:17]
	v_bfe_u32 v91, v0, 10, 10
	v_bfe_u32 v92, v0, 20, 10
	v_mbcnt_lo_u32_b32 v93, -1, 0
	v_lshlrev_b32_e32 v88, 2, v38
	v_lshlrev_b32_e32 v89, 4, v38
	v_cmp_gt_u32_e64 s[16:17], 4, v38
	v_cmp_lt_u32_e64 s[18:19], 63, v38
	v_cmp_eq_u32_e64 s[20:21], 0, v38
	v_lshrrev_b32_e32 v90, 4, v38
	s_waitcnt lgkmcnt(0)
	s_barrier
	s_cbranch_vccz .LBB206_64
; %bb.30:
	v_bfrev_b32_e32 v94, 1
	v_cmp_lt_i32_e32 vcc, -1, v46
	v_mbcnt_hi_u32_b32 v48, -1, v93
	v_and_b32_e32 v49, 0x3c0, v38
	v_cndmask_b32_e32 v18, -1, v94, vcc
	v_cmp_lt_i32_e32 vcc, -1, v47
	v_add_u32_e32 v0, v48, v49
	v_cndmask_b32_e32 v19, -1, v94, vcc
	v_lshlrev_b32_e32 v1, 5, v0
	v_xor_b32_e32 v19, v19, v47
	v_xor_b32_e32 v18, v18, v46
	v_cmp_lt_i32_e32 vcc, -1, v44
	ds_write2_b32 v1, v18, v19 offset1:1
	v_cndmask_b32_e32 v18, -1, v94, vcc
	v_cmp_lt_i32_e32 vcc, -1, v45
	v_cndmask_b32_e32 v19, -1, v94, vcc
	v_xor_b32_e32 v19, v19, v45
	v_xor_b32_e32 v18, v18, v44
	v_cmp_lt_i32_e32 vcc, -1, v42
	ds_write2_b32 v1, v18, v19 offset0:2 offset1:3
	v_cndmask_b32_e32 v18, -1, v94, vcc
	v_cmp_lt_i32_e32 vcc, -1, v43
	v_cndmask_b32_e32 v19, -1, v94, vcc
	v_xor_b32_e32 v19, v19, v43
	v_xor_b32_e32 v18, v18, v42
	v_cmp_lt_i32_e32 vcc, -1, v40
	ds_write2_b32 v1, v18, v19 offset0:4 offset1:5
	v_cndmask_b32_e32 v18, -1, v94, vcc
	v_cmp_lt_i32_e32 vcc, -1, v41
	v_cndmask_b32_e32 v19, -1, v94, vcc
	v_xor_b32_e32 v19, v19, v41
	v_xor_b32_e32 v18, v18, v40
	v_and_b32_e32 v50, 0x1e00, v87
	ds_write2_b32 v1, v18, v19 offset0:6 offset1:7
	v_or_b32_e32 v1, v48, v50
	v_lshlrev_b32_e32 v18, 2, v1
	v_lshlrev_b32_e32 v0, 6, v0
	; wave barrier
	ds_read2st64_b32 v[64:65], v18 offset1:1
	ds_read2st64_b32 v[66:67], v18 offset0:2 offset1:3
	ds_read2st64_b32 v[68:69], v18 offset0:4 offset1:5
	;; [unrolled: 1-line block ×3, first 2 shown]
	s_waitcnt lgkmcnt(0)
	s_barrier
	ds_write2_b64 v0, v[14:15], v[16:17] offset1:1
	ds_write2_b64 v0, v[10:11], v[12:13] offset0:2 offset1:3
	ds_write2_b64 v0, v[6:7], v[8:9] offset0:4 offset1:5
	;; [unrolled: 1-line block ×3, first 2 shown]
	v_lshlrev_b32_e32 v0, 3, v1
	; wave barrier
	ds_read2st64_b64 v[18:21], v0 offset1:1
	ds_read2st64_b64 v[22:25], v0 offset0:2 offset1:3
	ds_read2st64_b64 v[26:29], v0 offset0:4 offset1:5
	;; [unrolled: 1-line block ×3, first 2 shown]
	s_waitcnt lgkmcnt(0)
	s_barrier
	s_load_dword s24, s[50:51], 0xc
	s_getpc_b64 s[22:23]
	s_add_u32 s22, s22, _ZN7rocprim17ROCPRIM_400000_NS16block_radix_sortIfLj256ELj8ElLj1ELj1ELj0ELNS0_26block_radix_rank_algorithmE1ELNS0_18block_padding_hintE2ELNS0_4arch9wavefront6targetE1EE19radix_bits_per_passE@rel32@lo+4
	s_addc_u32 s23, s23, _ZN7rocprim17ROCPRIM_400000_NS16block_radix_sortIfLj256ELj8ElLj1ELj1ELj0ELNS0_26block_radix_rank_algorithmE1ELNS0_18block_padding_hintE2ELNS0_4arch9wavefront6targetE1EE19radix_bits_per_passE@rel32@hi+12
	s_load_dword s53, s[22:23], 0x0
	v_and_b32_e32 v98, 60, v90
	s_mov_b32 s54, 0
	s_waitcnt lgkmcnt(0)
	s_lshr_b32 s22, s24, 16
	s_and_b32 s23, s24, 0xffff
	v_mad_u32_u24 v0, v92, s22, v91
	v_mad_u64_u32 v[0:1], s[22:23], v0, s23, v[38:39]
	v_lshrrev_b32_e32 v96, 6, v0
	v_and_b32_e32 v0, 15, v48
	v_cmp_eq_u32_e64 s[22:23], 0, v0
	v_cmp_lt_u32_e64 s[24:25], 1, v0
	v_cmp_lt_u32_e64 s[26:27], 3, v0
	;; [unrolled: 1-line block ×3, first 2 shown]
	v_and_b32_e32 v0, 16, v48
	v_cmp_eq_u32_e64 s[30:31], 0, v0
	v_min_u32_e32 v0, 0xc0, v49
	v_or_b32_e32 v0, 63, v0
	v_cmp_eq_u32_e64 s[36:37], v0, v38
	v_add_u32_e32 v0, -1, v48
	v_and_b32_e32 v1, 64, v48
	v_cmp_lt_i32_e32 vcc, v0, v1
	v_cndmask_b32_e32 v0, v0, v48, vcc
	v_lshlrev_b32_e32 v97, 2, v0
	v_and_b32_e32 v0, 3, v48
	v_cmp_eq_u32_e64 s[40:41], 0, v0
	v_cmp_lt_u32_e64 s[42:43], 1, v0
	v_and_or_b32 v0, v48, 63, v50
	v_add_u32_e32 v95, 16, v89
	v_cmp_lt_u32_e64 s[34:35], 31, v48
	v_cmp_eq_u32_e64 s[38:39], 0, v48
	v_add_u32_e32 v99, -4, v98
	v_lshlrev_b32_e32 v100, 2, v0
	v_lshlrev_b32_e32 v101, 3, v0
	s_mov_b32 s56, 32
	s_brev_b32 s55, -2
	v_mov_b32_e32 v62, 0
	s_branch .LBB206_32
.LBB206_31:                             ;   in Loop: Header=BB206_32 Depth=1
	v_lshlrev_b32_e32 v18, 2, v63
	s_barrier
	ds_write_b32 v18, v109
	v_lshlrev_b32_e32 v18, 2, v111
	ds_write_b32 v18, v108
	v_lshlrev_b32_e32 v18, 2, v112
	;; [unrolled: 2-line block ×8, first 2 shown]
	s_waitcnt lgkmcnt(0)
	s_barrier
	ds_read2st64_b32 v[64:65], v100 offset1:1
	ds_read2st64_b32 v[66:67], v100 offset0:2 offset1:3
	ds_read2st64_b32 v[68:69], v100 offset0:4 offset1:5
	;; [unrolled: 1-line block ×3, first 2 shown]
	s_waitcnt lgkmcnt(0)
	s_barrier
	ds_write_b64 v18, v[60:61]
	v_lshlrev_b32_e32 v18, 3, v111
	ds_write_b64 v18, v[58:59]
	v_lshlrev_b32_e32 v18, 3, v112
	;; [unrolled: 2-line block ×7, first 2 shown]
	ds_write_b64 v18, v[0:1]
	s_waitcnt lgkmcnt(0)
	s_barrier
	ds_read2st64_b64 v[18:21], v101 offset1:1
	ds_read2st64_b64 v[22:25], v101 offset0:2 offset1:3
	ds_read2st64_b64 v[26:29], v101 offset0:4 offset1:5
	ds_read2st64_b64 v[30:33], v101 offset0:6 offset1:7
	s_add_i32 s54, s54, 8
	s_add_i32 s56, s56, -8
	s_waitcnt lgkmcnt(0)
	s_barrier
	s_cbranch_execz .LBB206_56
.LBB206_32:                             ; =>This Inner Loop Header: Depth=1
	v_mov_b32_e32 v109, v64
	s_min_u32 s44, s53, s56
	v_cmp_ne_u32_e32 vcc, s55, v109
	v_pk_mov_b32 v[60:61], v[18:19], v[18:19] op_sel:[0,1]
	s_lshl_b32 s44, -1, s44
	v_cndmask_b32_e32 v18, v94, v109, vcc
	s_not_b32 s57, s44
	v_lshrrev_b32_e32 v18, s54, v18
	v_and_b32_e32 v18, s57, v18
	v_lshl_add_u32 v19, v18, 2, v96
	v_pk_mov_b32 v[56:57], v[22:23], v[22:23] op_sel:[0,1]
	v_lshl_add_u32 v22, v19, 2, 16
	v_and_b32_e32 v19, 1, v18
	v_pk_mov_b32 v[58:59], v[20:21], v[20:21] op_sel:[0,1]
	v_add_co_u32_e32 v20, vcc, -1, v19
	v_addc_co_u32_e64 v21, s[44:45], 0, -1, vcc
	v_cmp_ne_u32_e32 vcc, 0, v19
	v_lshlrev_b32_e32 v63, 30, v18
	v_xor_b32_e32 v19, vcc_hi, v21
	v_not_b32_e32 v21, v63
	v_xor_b32_e32 v20, vcc_lo, v20
	v_cmp_gt_i64_e32 vcc, 0, v[62:63]
	v_ashrrev_i32_e32 v21, 31, v21
	v_and_b32_e32 v20, exec_lo, v20
	v_xor_b32_e32 v23, vcc_hi, v21
	v_xor_b32_e32 v21, vcc_lo, v21
	v_lshlrev_b32_e32 v63, 29, v18
	v_and_b32_e32 v20, v20, v21
	v_not_b32_e32 v21, v63
	v_and_b32_e32 v19, exec_hi, v19
	v_cmp_gt_i64_e32 vcc, 0, v[62:63]
	v_ashrrev_i32_e32 v21, 31, v21
	v_and_b32_e32 v19, v19, v23
	v_xor_b32_e32 v23, vcc_hi, v21
	v_xor_b32_e32 v21, vcc_lo, v21
	v_lshlrev_b32_e32 v63, 28, v18
	v_and_b32_e32 v20, v20, v21
	v_not_b32_e32 v21, v63
	v_cmp_gt_i64_e32 vcc, 0, v[62:63]
	v_ashrrev_i32_e32 v21, 31, v21
	v_and_b32_e32 v19, v19, v23
	v_xor_b32_e32 v23, vcc_hi, v21
	v_xor_b32_e32 v21, vcc_lo, v21
	v_lshlrev_b32_e32 v63, 27, v18
	v_and_b32_e32 v20, v20, v21
	v_not_b32_e32 v21, v63
	v_cmp_gt_i64_e32 vcc, 0, v[62:63]
	v_ashrrev_i32_e32 v21, 31, v21
	v_and_b32_e32 v19, v19, v23
	v_xor_b32_e32 v23, vcc_hi, v21
	v_xor_b32_e32 v21, vcc_lo, v21
	v_lshlrev_b32_e32 v63, 26, v18
	v_and_b32_e32 v20, v20, v21
	v_not_b32_e32 v21, v63
	v_cmp_gt_i64_e32 vcc, 0, v[62:63]
	v_ashrrev_i32_e32 v21, 31, v21
	v_and_b32_e32 v19, v19, v23
	v_xor_b32_e32 v23, vcc_hi, v21
	v_xor_b32_e32 v21, vcc_lo, v21
	v_lshlrev_b32_e32 v63, 25, v18
	v_and_b32_e32 v20, v20, v21
	v_cmp_gt_i64_e32 vcc, 0, v[62:63]
	v_not_b32_e32 v21, v63
	v_lshlrev_b32_e32 v63, 24, v18
	v_ashrrev_i32_e32 v21, 31, v21
	v_not_b32_e32 v18, v63
	v_and_b32_e32 v19, v19, v23
	v_xor_b32_e32 v23, vcc_hi, v21
	v_xor_b32_e32 v21, vcc_lo, v21
	v_cmp_gt_i64_e32 vcc, 0, v[62:63]
	v_ashrrev_i32_e32 v18, 31, v18
	v_and_b32_e32 v20, v20, v21
	v_xor_b32_e32 v21, vcc_hi, v18
	v_xor_b32_e32 v18, vcc_lo, v18
	v_and_b32_e32 v19, v19, v23
	v_and_b32_e32 v18, v20, v18
	;; [unrolled: 1-line block ×3, first 2 shown]
	v_mbcnt_lo_u32_b32 v20, v18, 0
	v_mbcnt_hi_u32_b32 v23, v19, v20
	v_cmp_eq_u32_e32 vcc, 0, v23
	v_cmp_ne_u64_e64 s[44:45], 0, v[18:19]
	v_mov_b32_e32 v102, v71
	v_mov_b32_e32 v103, v70
	;; [unrolled: 1-line block ×7, first 2 shown]
	v_pk_mov_b32 v[0:1], v[32:33], v[32:33] op_sel:[0,1]
	v_pk_mov_b32 v[48:49], v[30:31], v[30:31] op_sel:[0,1]
	;; [unrolled: 1-line block ×5, first 2 shown]
	s_and_b64 s[58:59], s[44:45], vcc
	ds_write2_b32 v89, v62, v62 offset0:4 offset1:5
	ds_write2_b32 v95, v62, v62 offset0:2 offset1:3
	s_waitcnt lgkmcnt(0)
	s_barrier
	s_waitcnt lgkmcnt(0)
	; wave barrier
	s_and_saveexec_b64 s[44:45], s[58:59]
	s_cbranch_execz .LBB206_34
; %bb.33:                               ;   in Loop: Header=BB206_32 Depth=1
	v_bcnt_u32_b32 v18, v18, 0
	v_bcnt_u32_b32 v18, v19, v18
	ds_write_b32 v22, v18
.LBB206_34:                             ;   in Loop: Header=BB206_32 Depth=1
	s_or_b64 exec, exec, s[44:45]
	v_cmp_ne_u32_e32 vcc, s55, v108
	v_cndmask_b32_e32 v18, v94, v108, vcc
	v_lshrrev_b32_e32 v18, s54, v18
	v_and_b32_e32 v18, s57, v18
	v_lshlrev_b32_e32 v19, 2, v18
	v_add_lshl_u32 v19, v19, v96, 2
	; wave barrier
	v_add_u32_e32 v25, 16, v19
	ds_read_b32 v24, v19 offset:16
	v_and_b32_e32 v19, 1, v18
	v_add_co_u32_e32 v20, vcc, -1, v19
	v_addc_co_u32_e64 v21, s[44:45], 0, -1, vcc
	v_cmp_ne_u32_e32 vcc, 0, v19
	v_lshlrev_b32_e32 v63, 30, v18
	v_xor_b32_e32 v19, vcc_hi, v21
	v_not_b32_e32 v21, v63
	v_xor_b32_e32 v20, vcc_lo, v20
	v_cmp_gt_i64_e32 vcc, 0, v[62:63]
	v_ashrrev_i32_e32 v21, 31, v21
	v_and_b32_e32 v20, exec_lo, v20
	v_xor_b32_e32 v26, vcc_hi, v21
	v_xor_b32_e32 v21, vcc_lo, v21
	v_lshlrev_b32_e32 v63, 29, v18
	v_and_b32_e32 v20, v20, v21
	v_not_b32_e32 v21, v63
	v_and_b32_e32 v19, exec_hi, v19
	v_cmp_gt_i64_e32 vcc, 0, v[62:63]
	v_ashrrev_i32_e32 v21, 31, v21
	v_and_b32_e32 v19, v19, v26
	v_xor_b32_e32 v26, vcc_hi, v21
	v_xor_b32_e32 v21, vcc_lo, v21
	v_lshlrev_b32_e32 v63, 28, v18
	v_and_b32_e32 v20, v20, v21
	v_not_b32_e32 v21, v63
	v_cmp_gt_i64_e32 vcc, 0, v[62:63]
	v_ashrrev_i32_e32 v21, 31, v21
	v_and_b32_e32 v19, v19, v26
	v_xor_b32_e32 v26, vcc_hi, v21
	v_xor_b32_e32 v21, vcc_lo, v21
	v_lshlrev_b32_e32 v63, 27, v18
	v_and_b32_e32 v20, v20, v21
	v_not_b32_e32 v21, v63
	;; [unrolled: 8-line block ×3, first 2 shown]
	v_cmp_gt_i64_e32 vcc, 0, v[62:63]
	v_ashrrev_i32_e32 v21, 31, v21
	v_and_b32_e32 v19, v19, v26
	v_xor_b32_e32 v26, vcc_hi, v21
	v_xor_b32_e32 v21, vcc_lo, v21
	v_lshlrev_b32_e32 v63, 25, v18
	v_and_b32_e32 v20, v20, v21
	v_cmp_gt_i64_e32 vcc, 0, v[62:63]
	v_not_b32_e32 v21, v63
	v_lshlrev_b32_e32 v63, 24, v18
	v_ashrrev_i32_e32 v21, 31, v21
	v_not_b32_e32 v18, v63
	v_and_b32_e32 v19, v19, v26
	v_xor_b32_e32 v26, vcc_hi, v21
	v_xor_b32_e32 v21, vcc_lo, v21
	v_cmp_gt_i64_e32 vcc, 0, v[62:63]
	v_ashrrev_i32_e32 v18, 31, v18
	v_and_b32_e32 v20, v20, v21
	v_xor_b32_e32 v21, vcc_hi, v18
	v_xor_b32_e32 v18, vcc_lo, v18
	v_and_b32_e32 v19, v19, v26
	v_and_b32_e32 v18, v20, v18
	;; [unrolled: 1-line block ×3, first 2 shown]
	v_mbcnt_lo_u32_b32 v20, v18, 0
	v_mbcnt_hi_u32_b32 v26, v19, v20
	v_cmp_eq_u32_e32 vcc, 0, v26
	v_cmp_ne_u64_e64 s[44:45], 0, v[18:19]
	s_and_b64 s[58:59], s[44:45], vcc
	; wave barrier
	s_and_saveexec_b64 s[44:45], s[58:59]
	s_cbranch_execz .LBB206_36
; %bb.35:                               ;   in Loop: Header=BB206_32 Depth=1
	v_bcnt_u32_b32 v18, v18, 0
	v_bcnt_u32_b32 v18, v19, v18
	s_waitcnt lgkmcnt(0)
	v_add_u32_e32 v18, v24, v18
	ds_write_b32 v25, v18
.LBB206_36:                             ;   in Loop: Header=BB206_32 Depth=1
	s_or_b64 exec, exec, s[44:45]
	v_cmp_ne_u32_e32 vcc, s55, v107
	v_cndmask_b32_e32 v18, v94, v107, vcc
	v_lshrrev_b32_e32 v18, s54, v18
	v_and_b32_e32 v18, s57, v18
	v_lshlrev_b32_e32 v19, 2, v18
	v_add_lshl_u32 v19, v19, v96, 2
	; wave barrier
	v_add_u32_e32 v28, 16, v19
	ds_read_b32 v27, v19 offset:16
	v_and_b32_e32 v19, 1, v18
	v_add_co_u32_e32 v20, vcc, -1, v19
	v_addc_co_u32_e64 v21, s[44:45], 0, -1, vcc
	v_cmp_ne_u32_e32 vcc, 0, v19
	v_lshlrev_b32_e32 v63, 30, v18
	v_xor_b32_e32 v19, vcc_hi, v21
	v_not_b32_e32 v21, v63
	v_xor_b32_e32 v20, vcc_lo, v20
	v_cmp_gt_i64_e32 vcc, 0, v[62:63]
	v_ashrrev_i32_e32 v21, 31, v21
	v_and_b32_e32 v20, exec_lo, v20
	v_xor_b32_e32 v29, vcc_hi, v21
	v_xor_b32_e32 v21, vcc_lo, v21
	v_lshlrev_b32_e32 v63, 29, v18
	v_and_b32_e32 v20, v20, v21
	v_not_b32_e32 v21, v63
	v_and_b32_e32 v19, exec_hi, v19
	v_cmp_gt_i64_e32 vcc, 0, v[62:63]
	v_ashrrev_i32_e32 v21, 31, v21
	v_and_b32_e32 v19, v19, v29
	v_xor_b32_e32 v29, vcc_hi, v21
	v_xor_b32_e32 v21, vcc_lo, v21
	v_lshlrev_b32_e32 v63, 28, v18
	v_and_b32_e32 v20, v20, v21
	v_not_b32_e32 v21, v63
	v_cmp_gt_i64_e32 vcc, 0, v[62:63]
	v_ashrrev_i32_e32 v21, 31, v21
	v_and_b32_e32 v19, v19, v29
	v_xor_b32_e32 v29, vcc_hi, v21
	v_xor_b32_e32 v21, vcc_lo, v21
	v_lshlrev_b32_e32 v63, 27, v18
	v_and_b32_e32 v20, v20, v21
	v_not_b32_e32 v21, v63
	;; [unrolled: 8-line block ×3, first 2 shown]
	v_cmp_gt_i64_e32 vcc, 0, v[62:63]
	v_ashrrev_i32_e32 v21, 31, v21
	v_and_b32_e32 v19, v19, v29
	v_xor_b32_e32 v29, vcc_hi, v21
	v_xor_b32_e32 v21, vcc_lo, v21
	v_lshlrev_b32_e32 v63, 25, v18
	v_and_b32_e32 v20, v20, v21
	v_cmp_gt_i64_e32 vcc, 0, v[62:63]
	v_not_b32_e32 v21, v63
	v_lshlrev_b32_e32 v63, 24, v18
	v_ashrrev_i32_e32 v21, 31, v21
	v_not_b32_e32 v18, v63
	v_and_b32_e32 v19, v19, v29
	v_xor_b32_e32 v29, vcc_hi, v21
	v_xor_b32_e32 v21, vcc_lo, v21
	v_cmp_gt_i64_e32 vcc, 0, v[62:63]
	v_ashrrev_i32_e32 v18, 31, v18
	v_and_b32_e32 v20, v20, v21
	v_xor_b32_e32 v21, vcc_hi, v18
	v_xor_b32_e32 v18, vcc_lo, v18
	v_and_b32_e32 v19, v19, v29
	v_and_b32_e32 v18, v20, v18
	;; [unrolled: 1-line block ×3, first 2 shown]
	v_mbcnt_lo_u32_b32 v20, v18, 0
	v_mbcnt_hi_u32_b32 v29, v19, v20
	v_cmp_eq_u32_e32 vcc, 0, v29
	v_cmp_ne_u64_e64 s[44:45], 0, v[18:19]
	s_and_b64 s[58:59], s[44:45], vcc
	; wave barrier
	s_and_saveexec_b64 s[44:45], s[58:59]
	s_cbranch_execz .LBB206_38
; %bb.37:                               ;   in Loop: Header=BB206_32 Depth=1
	v_bcnt_u32_b32 v18, v18, 0
	v_bcnt_u32_b32 v18, v19, v18
	s_waitcnt lgkmcnt(0)
	v_add_u32_e32 v18, v27, v18
	ds_write_b32 v28, v18
.LBB206_38:                             ;   in Loop: Header=BB206_32 Depth=1
	s_or_b64 exec, exec, s[44:45]
	v_cmp_ne_u32_e32 vcc, s55, v106
	v_cndmask_b32_e32 v18, v94, v106, vcc
	v_lshrrev_b32_e32 v18, s54, v18
	v_and_b32_e32 v18, s57, v18
	v_lshlrev_b32_e32 v19, 2, v18
	v_add_lshl_u32 v19, v19, v96, 2
	; wave barrier
	v_add_u32_e32 v31, 16, v19
	ds_read_b32 v30, v19 offset:16
	v_and_b32_e32 v19, 1, v18
	v_add_co_u32_e32 v20, vcc, -1, v19
	v_addc_co_u32_e64 v21, s[44:45], 0, -1, vcc
	v_cmp_ne_u32_e32 vcc, 0, v19
	v_lshlrev_b32_e32 v63, 30, v18
	v_xor_b32_e32 v19, vcc_hi, v21
	v_not_b32_e32 v21, v63
	v_xor_b32_e32 v20, vcc_lo, v20
	v_cmp_gt_i64_e32 vcc, 0, v[62:63]
	v_ashrrev_i32_e32 v21, 31, v21
	v_and_b32_e32 v20, exec_lo, v20
	v_xor_b32_e32 v32, vcc_hi, v21
	v_xor_b32_e32 v21, vcc_lo, v21
	v_lshlrev_b32_e32 v63, 29, v18
	v_and_b32_e32 v20, v20, v21
	v_not_b32_e32 v21, v63
	v_and_b32_e32 v19, exec_hi, v19
	v_cmp_gt_i64_e32 vcc, 0, v[62:63]
	v_ashrrev_i32_e32 v21, 31, v21
	v_and_b32_e32 v19, v19, v32
	v_xor_b32_e32 v32, vcc_hi, v21
	v_xor_b32_e32 v21, vcc_lo, v21
	v_lshlrev_b32_e32 v63, 28, v18
	v_and_b32_e32 v20, v20, v21
	v_not_b32_e32 v21, v63
	v_cmp_gt_i64_e32 vcc, 0, v[62:63]
	v_ashrrev_i32_e32 v21, 31, v21
	v_and_b32_e32 v19, v19, v32
	v_xor_b32_e32 v32, vcc_hi, v21
	v_xor_b32_e32 v21, vcc_lo, v21
	v_lshlrev_b32_e32 v63, 27, v18
	v_and_b32_e32 v20, v20, v21
	v_not_b32_e32 v21, v63
	;; [unrolled: 8-line block ×3, first 2 shown]
	v_cmp_gt_i64_e32 vcc, 0, v[62:63]
	v_ashrrev_i32_e32 v21, 31, v21
	v_and_b32_e32 v19, v19, v32
	v_xor_b32_e32 v32, vcc_hi, v21
	v_xor_b32_e32 v21, vcc_lo, v21
	v_lshlrev_b32_e32 v63, 25, v18
	v_and_b32_e32 v20, v20, v21
	v_cmp_gt_i64_e32 vcc, 0, v[62:63]
	v_not_b32_e32 v21, v63
	v_lshlrev_b32_e32 v63, 24, v18
	v_ashrrev_i32_e32 v21, 31, v21
	v_not_b32_e32 v18, v63
	v_and_b32_e32 v19, v19, v32
	v_xor_b32_e32 v32, vcc_hi, v21
	v_xor_b32_e32 v21, vcc_lo, v21
	v_cmp_gt_i64_e32 vcc, 0, v[62:63]
	v_ashrrev_i32_e32 v18, 31, v18
	v_and_b32_e32 v20, v20, v21
	v_xor_b32_e32 v21, vcc_hi, v18
	v_xor_b32_e32 v18, vcc_lo, v18
	v_and_b32_e32 v19, v19, v32
	v_and_b32_e32 v18, v20, v18
	;; [unrolled: 1-line block ×3, first 2 shown]
	v_mbcnt_lo_u32_b32 v20, v18, 0
	v_mbcnt_hi_u32_b32 v32, v19, v20
	v_cmp_eq_u32_e32 vcc, 0, v32
	v_cmp_ne_u64_e64 s[44:45], 0, v[18:19]
	s_and_b64 s[58:59], s[44:45], vcc
	; wave barrier
	s_and_saveexec_b64 s[44:45], s[58:59]
	s_cbranch_execz .LBB206_40
; %bb.39:                               ;   in Loop: Header=BB206_32 Depth=1
	v_bcnt_u32_b32 v18, v18, 0
	v_bcnt_u32_b32 v18, v19, v18
	s_waitcnt lgkmcnt(0)
	v_add_u32_e32 v18, v30, v18
	ds_write_b32 v31, v18
.LBB206_40:                             ;   in Loop: Header=BB206_32 Depth=1
	s_or_b64 exec, exec, s[44:45]
	v_cmp_ne_u32_e32 vcc, s55, v105
	v_cndmask_b32_e32 v18, v94, v105, vcc
	v_lshrrev_b32_e32 v18, s54, v18
	v_and_b32_e32 v18, s57, v18
	v_lshlrev_b32_e32 v19, 2, v18
	v_add_lshl_u32 v19, v19, v96, 2
	; wave barrier
	v_add_u32_e32 v64, 16, v19
	ds_read_b32 v33, v19 offset:16
	v_and_b32_e32 v19, 1, v18
	v_add_co_u32_e32 v20, vcc, -1, v19
	v_addc_co_u32_e64 v21, s[44:45], 0, -1, vcc
	v_cmp_ne_u32_e32 vcc, 0, v19
	v_lshlrev_b32_e32 v63, 30, v18
	v_xor_b32_e32 v19, vcc_hi, v21
	v_not_b32_e32 v21, v63
	v_xor_b32_e32 v20, vcc_lo, v20
	v_cmp_gt_i64_e32 vcc, 0, v[62:63]
	v_ashrrev_i32_e32 v21, 31, v21
	v_and_b32_e32 v19, exec_hi, v19
	v_xor_b32_e32 v63, vcc_hi, v21
	v_and_b32_e32 v20, exec_lo, v20
	v_xor_b32_e32 v21, vcc_lo, v21
	v_and_b32_e32 v19, v19, v63
	v_lshlrev_b32_e32 v63, 29, v18
	v_and_b32_e32 v20, v20, v21
	v_not_b32_e32 v21, v63
	v_cmp_gt_i64_e32 vcc, 0, v[62:63]
	v_ashrrev_i32_e32 v21, 31, v21
	v_xor_b32_e32 v63, vcc_hi, v21
	v_xor_b32_e32 v21, vcc_lo, v21
	v_and_b32_e32 v19, v19, v63
	v_lshlrev_b32_e32 v63, 28, v18
	v_and_b32_e32 v20, v20, v21
	v_not_b32_e32 v21, v63
	v_cmp_gt_i64_e32 vcc, 0, v[62:63]
	v_ashrrev_i32_e32 v21, 31, v21
	v_xor_b32_e32 v63, vcc_hi, v21
	v_xor_b32_e32 v21, vcc_lo, v21
	v_and_b32_e32 v19, v19, v63
	v_lshlrev_b32_e32 v63, 27, v18
	v_and_b32_e32 v20, v20, v21
	v_not_b32_e32 v21, v63
	v_cmp_gt_i64_e32 vcc, 0, v[62:63]
	v_ashrrev_i32_e32 v21, 31, v21
	v_xor_b32_e32 v63, vcc_hi, v21
	v_xor_b32_e32 v21, vcc_lo, v21
	v_and_b32_e32 v19, v19, v63
	v_lshlrev_b32_e32 v63, 26, v18
	v_and_b32_e32 v20, v20, v21
	v_not_b32_e32 v21, v63
	v_cmp_gt_i64_e32 vcc, 0, v[62:63]
	v_ashrrev_i32_e32 v21, 31, v21
	v_xor_b32_e32 v63, vcc_hi, v21
	v_xor_b32_e32 v21, vcc_lo, v21
	v_and_b32_e32 v19, v19, v63
	v_lshlrev_b32_e32 v63, 25, v18
	v_and_b32_e32 v20, v20, v21
	v_not_b32_e32 v21, v63
	v_cmp_gt_i64_e32 vcc, 0, v[62:63]
	v_ashrrev_i32_e32 v21, 31, v21
	v_xor_b32_e32 v63, vcc_hi, v21
	v_and_b32_e32 v19, v19, v63
	v_lshlrev_b32_e32 v63, 24, v18
	v_not_b32_e32 v18, v63
	v_xor_b32_e32 v21, vcc_lo, v21
	v_cmp_gt_i64_e32 vcc, 0, v[62:63]
	v_ashrrev_i32_e32 v18, 31, v18
	v_and_b32_e32 v20, v20, v21
	v_xor_b32_e32 v21, vcc_hi, v18
	v_xor_b32_e32 v18, vcc_lo, v18
	v_and_b32_e32 v18, v20, v18
	v_and_b32_e32 v19, v19, v21
	v_mbcnt_lo_u32_b32 v20, v18, 0
	v_mbcnt_hi_u32_b32 v65, v19, v20
	v_cmp_eq_u32_e32 vcc, 0, v65
	v_cmp_ne_u64_e64 s[44:45], 0, v[18:19]
	s_and_b64 s[58:59], s[44:45], vcc
	; wave barrier
	s_and_saveexec_b64 s[44:45], s[58:59]
	s_cbranch_execz .LBB206_42
; %bb.41:                               ;   in Loop: Header=BB206_32 Depth=1
	v_bcnt_u32_b32 v18, v18, 0
	v_bcnt_u32_b32 v18, v19, v18
	s_waitcnt lgkmcnt(0)
	v_add_u32_e32 v18, v33, v18
	ds_write_b32 v64, v18
.LBB206_42:                             ;   in Loop: Header=BB206_32 Depth=1
	s_or_b64 exec, exec, s[44:45]
	v_cmp_ne_u32_e32 vcc, s55, v104
	v_cndmask_b32_e32 v18, v94, v104, vcc
	v_lshrrev_b32_e32 v18, s54, v18
	v_and_b32_e32 v18, s57, v18
	v_lshlrev_b32_e32 v19, 2, v18
	v_add_lshl_u32 v19, v19, v96, 2
	; wave barrier
	v_add_u32_e32 v67, 16, v19
	ds_read_b32 v66, v19 offset:16
	v_and_b32_e32 v19, 1, v18
	v_add_co_u32_e32 v20, vcc, -1, v19
	v_addc_co_u32_e64 v21, s[44:45], 0, -1, vcc
	v_cmp_ne_u32_e32 vcc, 0, v19
	v_lshlrev_b32_e32 v63, 30, v18
	v_xor_b32_e32 v19, vcc_hi, v21
	v_not_b32_e32 v21, v63
	v_xor_b32_e32 v20, vcc_lo, v20
	v_cmp_gt_i64_e32 vcc, 0, v[62:63]
	v_ashrrev_i32_e32 v21, 31, v21
	v_and_b32_e32 v19, exec_hi, v19
	v_xor_b32_e32 v63, vcc_hi, v21
	v_and_b32_e32 v20, exec_lo, v20
	v_xor_b32_e32 v21, vcc_lo, v21
	v_and_b32_e32 v19, v19, v63
	v_lshlrev_b32_e32 v63, 29, v18
	v_and_b32_e32 v20, v20, v21
	v_not_b32_e32 v21, v63
	v_cmp_gt_i64_e32 vcc, 0, v[62:63]
	v_ashrrev_i32_e32 v21, 31, v21
	v_xor_b32_e32 v63, vcc_hi, v21
	v_xor_b32_e32 v21, vcc_lo, v21
	v_and_b32_e32 v19, v19, v63
	v_lshlrev_b32_e32 v63, 28, v18
	v_and_b32_e32 v20, v20, v21
	v_not_b32_e32 v21, v63
	v_cmp_gt_i64_e32 vcc, 0, v[62:63]
	v_ashrrev_i32_e32 v21, 31, v21
	v_xor_b32_e32 v63, vcc_hi, v21
	;; [unrolled: 8-line block ×5, first 2 shown]
	v_and_b32_e32 v19, v19, v63
	v_lshlrev_b32_e32 v63, 24, v18
	v_not_b32_e32 v18, v63
	v_xor_b32_e32 v21, vcc_lo, v21
	v_cmp_gt_i64_e32 vcc, 0, v[62:63]
	v_ashrrev_i32_e32 v18, 31, v18
	v_and_b32_e32 v20, v20, v21
	v_xor_b32_e32 v21, vcc_hi, v18
	v_xor_b32_e32 v18, vcc_lo, v18
	v_and_b32_e32 v18, v20, v18
	v_and_b32_e32 v19, v19, v21
	v_mbcnt_lo_u32_b32 v20, v18, 0
	v_mbcnt_hi_u32_b32 v68, v19, v20
	v_cmp_eq_u32_e32 vcc, 0, v68
	v_cmp_ne_u64_e64 s[44:45], 0, v[18:19]
	s_and_b64 s[58:59], s[44:45], vcc
	; wave barrier
	s_and_saveexec_b64 s[44:45], s[58:59]
	s_cbranch_execz .LBB206_44
; %bb.43:                               ;   in Loop: Header=BB206_32 Depth=1
	v_bcnt_u32_b32 v18, v18, 0
	v_bcnt_u32_b32 v18, v19, v18
	s_waitcnt lgkmcnt(0)
	v_add_u32_e32 v18, v66, v18
	ds_write_b32 v67, v18
.LBB206_44:                             ;   in Loop: Header=BB206_32 Depth=1
	s_or_b64 exec, exec, s[44:45]
	v_cmp_ne_u32_e32 vcc, s55, v103
	v_cndmask_b32_e32 v18, v94, v103, vcc
	v_lshrrev_b32_e32 v18, s54, v18
	v_and_b32_e32 v18, s57, v18
	v_lshlrev_b32_e32 v19, 2, v18
	v_add_lshl_u32 v19, v19, v96, 2
	; wave barrier
	v_add_u32_e32 v70, 16, v19
	ds_read_b32 v69, v19 offset:16
	v_and_b32_e32 v19, 1, v18
	v_add_co_u32_e32 v20, vcc, -1, v19
	v_addc_co_u32_e64 v21, s[44:45], 0, -1, vcc
	v_cmp_ne_u32_e32 vcc, 0, v19
	v_lshlrev_b32_e32 v63, 30, v18
	v_xor_b32_e32 v19, vcc_hi, v21
	v_not_b32_e32 v21, v63
	v_xor_b32_e32 v20, vcc_lo, v20
	v_cmp_gt_i64_e32 vcc, 0, v[62:63]
	v_ashrrev_i32_e32 v21, 31, v21
	v_and_b32_e32 v19, exec_hi, v19
	v_xor_b32_e32 v63, vcc_hi, v21
	v_and_b32_e32 v20, exec_lo, v20
	v_xor_b32_e32 v21, vcc_lo, v21
	v_and_b32_e32 v19, v19, v63
	v_lshlrev_b32_e32 v63, 29, v18
	v_and_b32_e32 v20, v20, v21
	v_not_b32_e32 v21, v63
	v_cmp_gt_i64_e32 vcc, 0, v[62:63]
	v_ashrrev_i32_e32 v21, 31, v21
	v_xor_b32_e32 v63, vcc_hi, v21
	v_xor_b32_e32 v21, vcc_lo, v21
	v_and_b32_e32 v19, v19, v63
	v_lshlrev_b32_e32 v63, 28, v18
	v_and_b32_e32 v20, v20, v21
	v_not_b32_e32 v21, v63
	v_cmp_gt_i64_e32 vcc, 0, v[62:63]
	v_ashrrev_i32_e32 v21, 31, v21
	v_xor_b32_e32 v63, vcc_hi, v21
	;; [unrolled: 8-line block ×5, first 2 shown]
	v_and_b32_e32 v19, v19, v63
	v_lshlrev_b32_e32 v63, 24, v18
	v_not_b32_e32 v18, v63
	v_xor_b32_e32 v21, vcc_lo, v21
	v_cmp_gt_i64_e32 vcc, 0, v[62:63]
	v_ashrrev_i32_e32 v18, 31, v18
	v_and_b32_e32 v20, v20, v21
	v_xor_b32_e32 v21, vcc_hi, v18
	v_xor_b32_e32 v18, vcc_lo, v18
	v_and_b32_e32 v18, v20, v18
	v_and_b32_e32 v19, v19, v21
	v_mbcnt_lo_u32_b32 v20, v18, 0
	v_mbcnt_hi_u32_b32 v71, v19, v20
	v_cmp_eq_u32_e32 vcc, 0, v71
	v_cmp_ne_u64_e64 s[44:45], 0, v[18:19]
	s_and_b64 s[58:59], s[44:45], vcc
	; wave barrier
	s_and_saveexec_b64 s[44:45], s[58:59]
	s_cbranch_execz .LBB206_46
; %bb.45:                               ;   in Loop: Header=BB206_32 Depth=1
	v_bcnt_u32_b32 v18, v18, 0
	v_bcnt_u32_b32 v18, v19, v18
	s_waitcnt lgkmcnt(0)
	v_add_u32_e32 v18, v69, v18
	ds_write_b32 v70, v18
.LBB206_46:                             ;   in Loop: Header=BB206_32 Depth=1
	s_or_b64 exec, exec, s[44:45]
	v_cmp_ne_u32_e32 vcc, s55, v102
	v_cndmask_b32_e32 v18, v94, v102, vcc
	v_lshrrev_b32_e32 v18, s54, v18
	v_and_b32_e32 v18, s57, v18
	v_lshlrev_b32_e32 v19, 2, v18
	v_add_lshl_u32 v19, v19, v96, 2
	; wave barrier
	v_add_u32_e32 v111, 16, v19
	ds_read_b32 v110, v19 offset:16
	v_and_b32_e32 v19, 1, v18
	v_add_co_u32_e32 v20, vcc, -1, v19
	v_addc_co_u32_e64 v21, s[44:45], 0, -1, vcc
	v_cmp_ne_u32_e32 vcc, 0, v19
	v_lshlrev_b32_e32 v63, 30, v18
	v_xor_b32_e32 v19, vcc_hi, v21
	v_not_b32_e32 v21, v63
	v_xor_b32_e32 v20, vcc_lo, v20
	v_cmp_gt_i64_e32 vcc, 0, v[62:63]
	v_ashrrev_i32_e32 v21, 31, v21
	v_and_b32_e32 v19, exec_hi, v19
	v_xor_b32_e32 v63, vcc_hi, v21
	v_and_b32_e32 v20, exec_lo, v20
	v_xor_b32_e32 v21, vcc_lo, v21
	v_and_b32_e32 v19, v19, v63
	v_lshlrev_b32_e32 v63, 29, v18
	v_and_b32_e32 v20, v20, v21
	v_not_b32_e32 v21, v63
	v_cmp_gt_i64_e32 vcc, 0, v[62:63]
	v_ashrrev_i32_e32 v21, 31, v21
	v_xor_b32_e32 v63, vcc_hi, v21
	v_xor_b32_e32 v21, vcc_lo, v21
	v_and_b32_e32 v19, v19, v63
	v_lshlrev_b32_e32 v63, 28, v18
	v_and_b32_e32 v20, v20, v21
	v_not_b32_e32 v21, v63
	v_cmp_gt_i64_e32 vcc, 0, v[62:63]
	v_ashrrev_i32_e32 v21, 31, v21
	v_xor_b32_e32 v63, vcc_hi, v21
	;; [unrolled: 8-line block ×5, first 2 shown]
	v_and_b32_e32 v19, v19, v63
	v_lshlrev_b32_e32 v63, 24, v18
	v_not_b32_e32 v18, v63
	v_xor_b32_e32 v21, vcc_lo, v21
	v_cmp_gt_i64_e32 vcc, 0, v[62:63]
	v_ashrrev_i32_e32 v18, 31, v18
	v_and_b32_e32 v20, v20, v21
	v_xor_b32_e32 v21, vcc_hi, v18
	v_xor_b32_e32 v18, vcc_lo, v18
	v_and_b32_e32 v18, v20, v18
	v_and_b32_e32 v19, v19, v21
	v_mbcnt_lo_u32_b32 v20, v18, 0
	v_mbcnt_hi_u32_b32 v117, v19, v20
	v_cmp_eq_u32_e32 vcc, 0, v117
	v_cmp_ne_u64_e64 s[44:45], 0, v[18:19]
	s_and_b64 s[58:59], s[44:45], vcc
	; wave barrier
	s_and_saveexec_b64 s[44:45], s[58:59]
	s_cbranch_execz .LBB206_48
; %bb.47:                               ;   in Loop: Header=BB206_32 Depth=1
	v_bcnt_u32_b32 v18, v18, 0
	v_bcnt_u32_b32 v18, v19, v18
	s_waitcnt lgkmcnt(0)
	v_add_u32_e32 v18, v110, v18
	ds_write_b32 v111, v18
.LBB206_48:                             ;   in Loop: Header=BB206_32 Depth=1
	s_or_b64 exec, exec, s[44:45]
	; wave barrier
	s_waitcnt lgkmcnt(0)
	s_barrier
	ds_read2_b32 v[20:21], v89 offset0:4 offset1:5
	ds_read2_b32 v[18:19], v95 offset0:2 offset1:3
	s_waitcnt lgkmcnt(1)
	v_add_u32_e32 v63, v21, v20
	s_waitcnt lgkmcnt(0)
	v_add3_u32 v19, v63, v18, v19
	s_nop 1
	v_mov_b32_dpp v63, v19 row_shr:1 row_mask:0xf bank_mask:0xf
	v_cndmask_b32_e64 v63, v63, 0, s[22:23]
	v_add_u32_e32 v19, v63, v19
	s_nop 1
	v_mov_b32_dpp v63, v19 row_shr:2 row_mask:0xf bank_mask:0xf
	v_cndmask_b32_e64 v63, 0, v63, s[24:25]
	v_add_u32_e32 v19, v19, v63
	;; [unrolled: 4-line block ×4, first 2 shown]
	s_nop 1
	v_mov_b32_dpp v63, v19 row_bcast:15 row_mask:0xf bank_mask:0xf
	v_cndmask_b32_e64 v63, v63, 0, s[30:31]
	v_add_u32_e32 v19, v19, v63
	s_nop 1
	v_mov_b32_dpp v63, v19 row_bcast:31 row_mask:0xf bank_mask:0xf
	v_cndmask_b32_e64 v63, 0, v63, s[34:35]
	v_add_u32_e32 v19, v19, v63
	s_and_saveexec_b64 s[44:45], s[36:37]
	s_cbranch_execz .LBB206_50
; %bb.49:                               ;   in Loop: Header=BB206_32 Depth=1
	ds_write_b32 v98, v19
.LBB206_50:                             ;   in Loop: Header=BB206_32 Depth=1
	s_or_b64 exec, exec, s[44:45]
	s_waitcnt lgkmcnt(0)
	s_barrier
	s_and_saveexec_b64 s[44:45], s[16:17]
	s_cbranch_execz .LBB206_52
; %bb.51:                               ;   in Loop: Header=BB206_32 Depth=1
	ds_read_b32 v63, v88
	s_waitcnt lgkmcnt(0)
	s_nop 0
	v_mov_b32_dpp v112, v63 row_shr:1 row_mask:0xf bank_mask:0xf
	v_cndmask_b32_e64 v112, v112, 0, s[40:41]
	v_add_u32_e32 v63, v112, v63
	s_nop 1
	v_mov_b32_dpp v112, v63 row_shr:2 row_mask:0xf bank_mask:0xf
	v_cndmask_b32_e64 v112, 0, v112, s[42:43]
	v_add_u32_e32 v63, v63, v112
	ds_write_b32 v88, v63
.LBB206_52:                             ;   in Loop: Header=BB206_32 Depth=1
	s_or_b64 exec, exec, s[44:45]
	v_mov_b32_e32 v63, 0
	s_waitcnt lgkmcnt(0)
	s_barrier
	s_and_saveexec_b64 s[44:45], s[18:19]
	s_cbranch_execz .LBB206_54
; %bb.53:                               ;   in Loop: Header=BB206_32 Depth=1
	ds_read_b32 v63, v99
.LBB206_54:                             ;   in Loop: Header=BB206_32 Depth=1
	s_or_b64 exec, exec, s[44:45]
	s_waitcnt lgkmcnt(0)
	v_add_u32_e32 v19, v63, v19
	ds_bpermute_b32 v19, v97, v19
	s_cmp_gt_u32 s54, 23
	s_waitcnt lgkmcnt(0)
	v_cndmask_b32_e64 v19, v19, v63, s[38:39]
	v_cndmask_b32_e64 v19, v19, 0, s[20:21]
	v_add_u32_e32 v20, v19, v20
	v_add_u32_e32 v21, v20, v21
	v_add_u32_e32 v18, v21, v18
	ds_write2_b32 v89, v19, v20 offset0:4 offset1:5
	ds_write2_b32 v95, v21, v18 offset0:2 offset1:3
	s_waitcnt lgkmcnt(0)
	s_barrier
	ds_read_b32 v18, v22
	ds_read_b32 v19, v25
	;; [unrolled: 1-line block ×8, first 2 shown]
	s_waitcnt lgkmcnt(7)
	v_add_u32_e32 v63, v18, v23
	s_waitcnt lgkmcnt(6)
	v_add3_u32 v111, v26, v24, v19
	s_waitcnt lgkmcnt(5)
	v_add3_u32 v112, v29, v27, v20
	;; [unrolled: 2-line block ×7, first 2 shown]
	s_cbranch_scc0 .LBB206_31
; %bb.55:
                                        ; implicit-def: $vgpr71
                                        ; implicit-def: $vgpr69
                                        ; implicit-def: $vgpr67
                                        ; implicit-def: $vgpr65
                                        ; implicit-def: $vgpr32_vgpr33
                                        ; implicit-def: $vgpr28_vgpr29
                                        ; implicit-def: $vgpr24_vgpr25
                                        ; implicit-def: $vgpr20_vgpr21
                                        ; implicit-def: $sgpr54
                                        ; implicit-def: $sgpr56
.LBB206_56:
	v_lshlrev_b32_e32 v18, 2, v63
	s_barrier
	ds_write_b32 v18, v109
	v_lshlrev_b32_e32 v18, 2, v111
	ds_write_b32 v18, v108
	v_lshlrev_b32_e32 v18, 2, v112
	;; [unrolled: 2-line block ×7, first 2 shown]
	v_lshlrev_b32_e32 v24, 2, v87
	ds_write_b32 v18, v102
	s_waitcnt lgkmcnt(0)
	s_barrier
	ds_read2_b32 v[18:19], v24 offset1:1
	ds_read2_b32 v[20:21], v24 offset0:2 offset1:3
	ds_read2_b32 v[22:23], v24 offset0:4 offset1:5
	;; [unrolled: 1-line block ×3, first 2 shown]
	v_bfrev_b32_e32 v70, 1
	v_lshlrev_b32_e32 v25, 3, v63
	v_lshlrev_b32_e32 v26, 3, v111
	s_waitcnt lgkmcnt(3)
	v_cmp_lt_i32_e32 vcc, -1, v19
	v_cndmask_b32_e64 v24, v70, -1, vcc
	v_cmp_lt_i32_e32 vcc, -1, v18
	v_cndmask_b32_e64 v62, v70, -1, vcc
	s_waitcnt lgkmcnt(2)
	v_cmp_lt_i32_e32 vcc, -1, v21
	v_xor_b32_e32 v62, v62, v18
	v_cndmask_b32_e64 v18, v70, -1, vcc
	v_cmp_lt_i32_e32 vcc, -1, v20
	v_xor_b32_e32 v63, v24, v19
	v_cndmask_b32_e64 v19, v70, -1, vcc
	s_waitcnt lgkmcnt(1)
	v_cmp_lt_i32_e32 vcc, -1, v23
	v_xor_b32_e32 v65, v18, v21
	v_cndmask_b32_e64 v18, v70, -1, vcc
	v_cmp_lt_i32_e32 vcc, -1, v22
	v_lshlrev_b32_e32 v27, 3, v112
	v_lshlrev_b32_e32 v28, 3, v113
	;; [unrolled: 1-line block ×7, first 2 shown]
	v_xor_b32_e32 v64, v19, v20
	v_cndmask_b32_e64 v19, v70, -1, vcc
	v_xor_b32_e32 v66, v19, v22
	v_xor_b32_e32 v67, v18, v23
	s_waitcnt lgkmcnt(0)
	s_barrier
	ds_write_b64 v25, v[60:61]
	ds_write_b64 v26, v[58:59]
	;; [unrolled: 1-line block ×8, first 2 shown]
	s_waitcnt lgkmcnt(0)
	s_barrier
	ds_read2_b64 v[18:21], v33 offset1:1
	ds_read2_b64 v[22:25], v33 offset0:2 offset1:3
	ds_read2_b64 v[26:29], v33 offset0:4 offset1:5
	;; [unrolled: 1-line block ×3, first 2 shown]
	v_cmp_lt_i32_e32 vcc, -1, v69
	v_cndmask_b32_e64 v1, v70, -1, vcc
	v_cmp_lt_i32_e32 vcc, -1, v68
	v_cndmask_b32_e64 v0, v70, -1, vcc
	v_xor_b32_e32 v0, v0, v68
	v_xor_b32_e32 v1, v1, v69
	s_branch .LBB206_92
.LBB206_57:
	v_mov_b32_e32 v37, 0
	v_lshlrev_b64 v[2:3], 3, v[36:37]
	v_mov_b32_e32 v4, s52
	v_add_co_u32_e32 v2, vcc, s49, v2
	v_addc_co_u32_e32 v3, vcc, v4, v3, vcc
	global_load_dwordx2 v[2:3], v[2:3], off
	v_mov_b32_e32 v4, v37
	v_mov_b32_e32 v5, v37
	;; [unrolled: 1-line block ×14, first 2 shown]
	s_or_b64 exec, exec, s[16:17]
	s_and_saveexec_b64 s[16:17], s[2:3]
	s_cbranch_execz .LBB206_22
.LBB206_58:
	v_mul_lo_u32 v4, v30, s48
	v_mov_b32_e32 v5, 0
	v_lshlrev_b64 v[4:5], 3, v[4:5]
	v_mov_b32_e32 v30, s52
	v_add_co_u32_e32 v4, vcc, s49, v4
	v_addc_co_u32_e32 v5, vcc, v30, v5, vcc
	global_load_dwordx2 v[4:5], v[4:5], off
	s_or_b64 exec, exec, s[16:17]
	s_and_saveexec_b64 s[16:17], s[4:5]
	s_cbranch_execz .LBB206_23
.LBB206_59:
	v_mul_lo_u32 v6, v28, s48
	v_mov_b32_e32 v7, 0
	v_lshlrev_b64 v[6:7], 3, v[6:7]
	v_mov_b32_e32 v28, s52
	v_add_co_u32_e32 v6, vcc, s49, v6
	v_addc_co_u32_e32 v7, vcc, v28, v7, vcc
	global_load_dwordx2 v[6:7], v[6:7], off
	s_or_b64 exec, exec, s[16:17]
	s_and_saveexec_b64 s[16:17], s[6:7]
	s_cbranch_execz .LBB206_24
.LBB206_60:
	v_mul_lo_u32 v8, v26, s48
	v_mov_b32_e32 v9, 0
	v_lshlrev_b64 v[8:9], 3, v[8:9]
	v_mov_b32_e32 v26, s52
	v_add_co_u32_e32 v8, vcc, s49, v8
	v_addc_co_u32_e32 v9, vcc, v26, v9, vcc
	global_load_dwordx2 v[8:9], v[8:9], off
	s_or_b64 exec, exec, s[16:17]
	s_and_saveexec_b64 s[16:17], s[8:9]
	s_cbranch_execz .LBB206_25
.LBB206_61:
	v_mul_lo_u32 v10, v24, s48
	v_mov_b32_e32 v11, 0
	v_lshlrev_b64 v[10:11], 3, v[10:11]
	v_mov_b32_e32 v24, s52
	v_add_co_u32_e32 v10, vcc, s49, v10
	v_addc_co_u32_e32 v11, vcc, v24, v11, vcc
	global_load_dwordx2 v[10:11], v[10:11], off
	s_or_b64 exec, exec, s[16:17]
	s_and_saveexec_b64 s[16:17], s[10:11]
	s_cbranch_execz .LBB206_26
.LBB206_62:
	v_mul_lo_u32 v12, v21, s48
	v_mov_b32_e32 v13, 0
	v_lshlrev_b64 v[12:13], 3, v[12:13]
	v_mov_b32_e32 v21, s52
	v_add_co_u32_e32 v12, vcc, s49, v12
	v_addc_co_u32_e32 v13, vcc, v21, v13, vcc
	global_load_dwordx2 v[12:13], v[12:13], off
	s_or_b64 exec, exec, s[16:17]
	s_and_saveexec_b64 s[16:17], s[12:13]
	s_cbranch_execz .LBB206_27
.LBB206_63:
	v_mul_lo_u32 v14, v19, s48
	v_mov_b32_e32 v15, 0
	v_lshlrev_b64 v[14:15], 3, v[14:15]
	v_mov_b32_e32 v19, s52
	v_add_co_u32_e32 v14, vcc, s49, v14
	v_addc_co_u32_e32 v15, vcc, v19, v15, vcc
	global_load_dwordx2 v[14:15], v[14:15], off
	s_or_b64 exec, exec, s[16:17]
	s_xor_b64 s[16:17], s[34:35], -1
	s_and_saveexec_b64 s[18:19], s[14:15]
	s_cbranch_execnz .LBB206_28
	s_branch .LBB206_29
.LBB206_64:
                                        ; implicit-def: $vgpr1
                                        ; implicit-def: $vgpr0
                                        ; implicit-def: $vgpr67
                                        ; implicit-def: $vgpr66
                                        ; implicit-def: $vgpr65
                                        ; implicit-def: $vgpr64
                                        ; implicit-def: $vgpr63
                                        ; implicit-def: $vgpr62
                                        ; implicit-def: $vgpr32_vgpr33
                                        ; implicit-def: $vgpr28_vgpr29
                                        ; implicit-def: $vgpr24_vgpr25
                                        ; implicit-def: $vgpr20_vgpr21
	s_cbranch_execz .LBB206_92
; %bb.65:
	v_bfrev_b32_e32 v48, -2
	v_cmp_gt_i32_e32 vcc, 0, v46
	s_waitcnt lgkmcnt(3)
	v_mbcnt_hi_u32_b32 v18, -1, v93
	v_and_b32_e32 v19, 0x3c0, v38
	v_cndmask_b32_e64 v20, v48, 0, vcc
	v_cmp_gt_i32_e32 vcc, 0, v47
	v_add_u32_e32 v0, v18, v19
	v_cndmask_b32_e64 v21, v48, 0, vcc
	v_lshlrev_b32_e32 v1, 5, v0
	v_xor_b32_e32 v21, v21, v47
	v_xor_b32_e32 v20, v20, v46
	v_cmp_gt_i32_e32 vcc, 0, v44
	ds_write2_b32 v1, v20, v21 offset1:1
	v_cndmask_b32_e64 v20, v48, 0, vcc
	v_cmp_gt_i32_e32 vcc, 0, v45
	v_cndmask_b32_e64 v21, v48, 0, vcc
	v_xor_b32_e32 v21, v21, v45
	v_xor_b32_e32 v20, v20, v44
	v_cmp_gt_i32_e32 vcc, 0, v42
	ds_write2_b32 v1, v20, v21 offset0:2 offset1:3
	v_cndmask_b32_e64 v20, v48, 0, vcc
	v_cmp_gt_i32_e32 vcc, 0, v43
	v_cndmask_b32_e64 v21, v48, 0, vcc
	v_xor_b32_e32 v21, v21, v43
	v_xor_b32_e32 v20, v20, v42
	v_cmp_gt_i32_e32 vcc, 0, v40
	ds_write2_b32 v1, v20, v21 offset0:4 offset1:5
	v_cndmask_b32_e64 v20, v48, 0, vcc
	v_cmp_gt_i32_e32 vcc, 0, v41
	v_cndmask_b32_e64 v21, v48, 0, vcc
	v_xor_b32_e32 v21, v21, v41
	v_xor_b32_e32 v20, v20, v40
	ds_write2_b32 v1, v20, v21 offset0:6 offset1:7
	v_and_b32_e32 v20, 0x1e00, v87
	v_or_b32_e32 v1, v18, v20
	v_lshlrev_b32_e32 v21, 2, v1
	v_lshlrev_b32_e32 v0, 6, v0
	; wave barrier
	ds_read2st64_b32 v[40:41], v21 offset1:1
	ds_read2st64_b32 v[42:43], v21 offset0:2 offset1:3
	ds_read2st64_b32 v[44:45], v21 offset0:4 offset1:5
	;; [unrolled: 1-line block ×3, first 2 shown]
	s_waitcnt lgkmcnt(0)
	s_barrier
	ds_write2_b64 v0, v[14:15], v[16:17] offset1:1
	ds_write2_b64 v0, v[10:11], v[12:13] offset0:2 offset1:3
	ds_write2_b64 v0, v[6:7], v[8:9] offset0:4 offset1:5
	ds_write2_b64 v0, v[2:3], v[4:5] offset0:6 offset1:7
	v_lshlrev_b32_e32 v12, 3, v1
	; wave barrier
	ds_read2st64_b64 v[0:3], v12 offset1:1
	ds_read2st64_b64 v[4:7], v12 offset0:2 offset1:3
	ds_read2st64_b64 v[8:11], v12 offset0:4 offset1:5
	;; [unrolled: 1-line block ×3, first 2 shown]
	s_waitcnt lgkmcnt(0)
	s_barrier
	s_load_dword s18, s[50:51], 0xc
	s_getpc_b64 s[16:17]
	s_add_u32 s16, s16, _ZN7rocprim17ROCPRIM_400000_NS16block_radix_sortIfLj256ELj8ElLj1ELj1ELj0ELNS0_26block_radix_rank_algorithmE1ELNS0_18block_padding_hintE2ELNS0_4arch9wavefront6targetE1EE19radix_bits_per_passE@rel32@lo+4
	s_addc_u32 s17, s17, _ZN7rocprim17ROCPRIM_400000_NS16block_radix_sortIfLj256ELj8ElLj1ELj1ELj0ELNS0_26block_radix_rank_algorithmE1ELNS0_18block_padding_hintE2ELNS0_4arch9wavefront6targetE1EE19radix_bits_per_passE@rel32@hi+12
	s_load_dword s50, s[16:17], 0x0
	v_cmp_gt_u32_e64 s[30:31], 4, v38
	v_cmp_lt_u32_e64 s[34:35], 63, v38
	s_waitcnt lgkmcnt(0)
	s_lshr_b32 s16, s18, 16
	s_and_b32 s17, s18, 0xffff
	v_mad_u32_u24 v16, v92, s16, v91
	v_mad_u64_u32 v[16:17], s[16:17], v16, s17, v[38:39]
	v_lshrrev_b32_e32 v50, 6, v16
	v_and_b32_e32 v16, 15, v18
	v_cmp_eq_u32_e64 s[16:17], 0, v16
	v_cmp_lt_u32_e64 s[18:19], 1, v16
	v_cmp_lt_u32_e64 s[20:21], 3, v16
	;; [unrolled: 1-line block ×3, first 2 shown]
	v_and_b32_e32 v16, 16, v18
	v_cmp_eq_u32_e64 s[24:25], 0, v16
	v_min_u32_e32 v16, 0xc0, v19
	v_or_b32_e32 v16, 63, v16
	v_cmp_eq_u32_e64 s[28:29], v16, v38
	v_add_u32_e32 v16, -1, v18
	v_and_b32_e32 v17, 64, v18
	v_cmp_lt_i32_e32 vcc, v16, v17
	v_cndmask_b32_e32 v16, v16, v18, vcc
	v_lshlrev_b32_e32 v51, 2, v16
	v_and_b32_e32 v16, 3, v18
	v_cmp_eq_u32_e64 s[38:39], 0, v38
	v_and_b32_e32 v38, 60, v90
	v_cmp_eq_u32_e64 s[40:41], 0, v16
	v_cmp_lt_u32_e64 s[42:43], 1, v16
	v_and_or_b32 v16, v18, 63, v20
	s_mov_b32 s51, 0
	v_add_u32_e32 v49, 16, v89
	v_cmp_lt_u32_e64 s[26:27], 31, v18
	v_cmp_eq_u32_e64 s[36:37], 0, v18
	v_add_u32_e32 v52, -4, v38
	v_lshlrev_b32_e32 v53, 2, v16
	v_lshlrev_b32_e32 v54, 3, v16
	s_mov_b32 s54, 32
	v_mov_b32_e32 v32, 0
	s_brev_b32 s53, 1
	s_branch .LBB206_67
.LBB206_66:                             ;   in Loop: Header=BB206_67 Depth=1
	v_lshlrev_b32_e32 v0, 2, v33
	s_barrier
	ds_write_b32 v0, v62
	v_lshlrev_b32_e32 v0, 2, v64
	ds_write_b32 v0, v61
	v_lshlrev_b32_e32 v0, 2, v65
	;; [unrolled: 2-line block ×8, first 2 shown]
	s_waitcnt lgkmcnt(0)
	s_barrier
	ds_read2st64_b32 v[40:41], v53 offset1:1
	ds_read2st64_b32 v[42:43], v53 offset0:2 offset1:3
	ds_read2st64_b32 v[44:45], v53 offset0:4 offset1:5
	;; [unrolled: 1-line block ×3, first 2 shown]
	s_waitcnt lgkmcnt(0)
	s_barrier
	ds_write_b64 v0, v[30:31]
	v_lshlrev_b32_e32 v0, 3, v64
	ds_write_b64 v0, v[28:29]
	v_lshlrev_b32_e32 v0, 3, v65
	;; [unrolled: 2-line block ×7, first 2 shown]
	ds_write_b64 v0, v[16:17]
	s_waitcnt lgkmcnt(0)
	s_barrier
	ds_read2st64_b64 v[0:3], v54 offset1:1
	ds_read2st64_b64 v[4:7], v54 offset0:2 offset1:3
	ds_read2st64_b64 v[8:11], v54 offset0:4 offset1:5
	;; [unrolled: 1-line block ×3, first 2 shown]
	s_add_i32 s51, s51, 8
	s_add_i32 s54, s54, -8
	s_waitcnt lgkmcnt(0)
	s_barrier
	s_cbranch_execz .LBB206_91
.LBB206_67:                             ; =>This Inner Loop Header: Depth=1
	v_mov_b32_e32 v62, v40
	s_min_u32 s44, s50, s54
	v_cmp_ne_u32_e32 vcc, s53, v62
	v_pk_mov_b32 v[30:31], v[0:1], v[0:1] op_sel:[0,1]
	s_lshl_b32 s44, -1, s44
	v_cndmask_b32_e32 v0, v48, v62, vcc
	s_not_b32 s55, s44
	v_lshrrev_b32_e32 v0, s51, v0
	v_and_b32_e32 v0, s55, v0
	v_lshl_add_u32 v1, v0, 2, v50
	v_pk_mov_b32 v[26:27], v[4:5], v[4:5] op_sel:[0,1]
	v_lshl_add_u32 v4, v1, 2, 16
	v_and_b32_e32 v1, 1, v0
	v_pk_mov_b32 v[28:29], v[2:3], v[2:3] op_sel:[0,1]
	v_add_co_u32_e32 v2, vcc, -1, v1
	v_addc_co_u32_e64 v3, s[44:45], 0, -1, vcc
	v_cmp_ne_u32_e32 vcc, 0, v1
	v_lshlrev_b32_e32 v33, 30, v0
	v_xor_b32_e32 v1, vcc_hi, v3
	v_not_b32_e32 v3, v33
	v_xor_b32_e32 v2, vcc_lo, v2
	v_cmp_gt_i64_e32 vcc, 0, v[32:33]
	v_ashrrev_i32_e32 v3, 31, v3
	v_and_b32_e32 v2, exec_lo, v2
	v_xor_b32_e32 v5, vcc_hi, v3
	v_xor_b32_e32 v3, vcc_lo, v3
	v_lshlrev_b32_e32 v33, 29, v0
	v_and_b32_e32 v2, v2, v3
	v_not_b32_e32 v3, v33
	v_and_b32_e32 v1, exec_hi, v1
	v_cmp_gt_i64_e32 vcc, 0, v[32:33]
	v_ashrrev_i32_e32 v3, 31, v3
	v_and_b32_e32 v1, v1, v5
	v_xor_b32_e32 v5, vcc_hi, v3
	v_xor_b32_e32 v3, vcc_lo, v3
	v_lshlrev_b32_e32 v33, 28, v0
	v_and_b32_e32 v2, v2, v3
	v_not_b32_e32 v3, v33
	v_cmp_gt_i64_e32 vcc, 0, v[32:33]
	v_ashrrev_i32_e32 v3, 31, v3
	v_and_b32_e32 v1, v1, v5
	v_xor_b32_e32 v5, vcc_hi, v3
	v_xor_b32_e32 v3, vcc_lo, v3
	v_lshlrev_b32_e32 v33, 27, v0
	v_and_b32_e32 v2, v2, v3
	v_not_b32_e32 v3, v33
	;; [unrolled: 8-line block ×3, first 2 shown]
	v_cmp_gt_i64_e32 vcc, 0, v[32:33]
	v_ashrrev_i32_e32 v3, 31, v3
	v_and_b32_e32 v1, v1, v5
	v_xor_b32_e32 v5, vcc_hi, v3
	v_xor_b32_e32 v3, vcc_lo, v3
	v_lshlrev_b32_e32 v33, 25, v0
	v_and_b32_e32 v2, v2, v3
	v_cmp_gt_i64_e32 vcc, 0, v[32:33]
	v_not_b32_e32 v3, v33
	v_lshlrev_b32_e32 v33, 24, v0
	v_ashrrev_i32_e32 v3, 31, v3
	v_not_b32_e32 v0, v33
	v_and_b32_e32 v1, v1, v5
	v_xor_b32_e32 v5, vcc_hi, v3
	v_xor_b32_e32 v3, vcc_lo, v3
	v_cmp_gt_i64_e32 vcc, 0, v[32:33]
	v_ashrrev_i32_e32 v0, 31, v0
	v_and_b32_e32 v2, v2, v3
	v_xor_b32_e32 v3, vcc_hi, v0
	v_xor_b32_e32 v0, vcc_lo, v0
	v_and_b32_e32 v1, v1, v5
	v_and_b32_e32 v0, v2, v0
	;; [unrolled: 1-line block ×3, first 2 shown]
	v_mbcnt_lo_u32_b32 v2, v0, 0
	v_mbcnt_hi_u32_b32 v5, v1, v2
	v_cmp_eq_u32_e32 vcc, 0, v5
	v_cmp_ne_u64_e64 s[44:45], 0, v[0:1]
	v_mov_b32_e32 v55, v47
	v_mov_b32_e32 v56, v46
	;; [unrolled: 1-line block ×7, first 2 shown]
	v_pk_mov_b32 v[16:17], v[14:15], v[14:15] op_sel:[0,1]
	v_pk_mov_b32 v[18:19], v[12:13], v[12:13] op_sel:[0,1]
	;; [unrolled: 1-line block ×5, first 2 shown]
	s_and_b64 s[56:57], s[44:45], vcc
	ds_write2_b32 v89, v32, v32 offset0:4 offset1:5
	ds_write2_b32 v49, v32, v32 offset0:2 offset1:3
	s_waitcnt lgkmcnt(0)
	s_barrier
	s_waitcnt lgkmcnt(0)
	; wave barrier
	s_and_saveexec_b64 s[44:45], s[56:57]
	s_cbranch_execz .LBB206_69
; %bb.68:                               ;   in Loop: Header=BB206_67 Depth=1
	v_bcnt_u32_b32 v0, v0, 0
	v_bcnt_u32_b32 v0, v1, v0
	ds_write_b32 v4, v0
.LBB206_69:                             ;   in Loop: Header=BB206_67 Depth=1
	s_or_b64 exec, exec, s[44:45]
	v_cmp_ne_u32_e32 vcc, s53, v61
	v_cndmask_b32_e32 v0, v48, v61, vcc
	v_lshrrev_b32_e32 v0, s51, v0
	v_and_b32_e32 v0, s55, v0
	v_lshlrev_b32_e32 v1, 2, v0
	v_add_lshl_u32 v1, v1, v50, 2
	; wave barrier
	v_add_u32_e32 v7, 16, v1
	ds_read_b32 v6, v1 offset:16
	v_and_b32_e32 v1, 1, v0
	v_add_co_u32_e32 v2, vcc, -1, v1
	v_addc_co_u32_e64 v3, s[44:45], 0, -1, vcc
	v_cmp_ne_u32_e32 vcc, 0, v1
	v_lshlrev_b32_e32 v33, 30, v0
	v_xor_b32_e32 v1, vcc_hi, v3
	v_not_b32_e32 v3, v33
	v_xor_b32_e32 v2, vcc_lo, v2
	v_cmp_gt_i64_e32 vcc, 0, v[32:33]
	v_ashrrev_i32_e32 v3, 31, v3
	v_and_b32_e32 v2, exec_lo, v2
	v_xor_b32_e32 v8, vcc_hi, v3
	v_xor_b32_e32 v3, vcc_lo, v3
	v_lshlrev_b32_e32 v33, 29, v0
	v_and_b32_e32 v2, v2, v3
	v_not_b32_e32 v3, v33
	v_and_b32_e32 v1, exec_hi, v1
	v_cmp_gt_i64_e32 vcc, 0, v[32:33]
	v_ashrrev_i32_e32 v3, 31, v3
	v_and_b32_e32 v1, v1, v8
	v_xor_b32_e32 v8, vcc_hi, v3
	v_xor_b32_e32 v3, vcc_lo, v3
	v_lshlrev_b32_e32 v33, 28, v0
	v_and_b32_e32 v2, v2, v3
	v_not_b32_e32 v3, v33
	v_cmp_gt_i64_e32 vcc, 0, v[32:33]
	v_ashrrev_i32_e32 v3, 31, v3
	v_and_b32_e32 v1, v1, v8
	v_xor_b32_e32 v8, vcc_hi, v3
	v_xor_b32_e32 v3, vcc_lo, v3
	v_lshlrev_b32_e32 v33, 27, v0
	v_and_b32_e32 v2, v2, v3
	v_not_b32_e32 v3, v33
	;; [unrolled: 8-line block ×3, first 2 shown]
	v_cmp_gt_i64_e32 vcc, 0, v[32:33]
	v_ashrrev_i32_e32 v3, 31, v3
	v_and_b32_e32 v1, v1, v8
	v_xor_b32_e32 v8, vcc_hi, v3
	v_xor_b32_e32 v3, vcc_lo, v3
	v_lshlrev_b32_e32 v33, 25, v0
	v_and_b32_e32 v2, v2, v3
	v_cmp_gt_i64_e32 vcc, 0, v[32:33]
	v_not_b32_e32 v3, v33
	v_lshlrev_b32_e32 v33, 24, v0
	v_ashrrev_i32_e32 v3, 31, v3
	v_not_b32_e32 v0, v33
	v_and_b32_e32 v1, v1, v8
	v_xor_b32_e32 v8, vcc_hi, v3
	v_xor_b32_e32 v3, vcc_lo, v3
	v_cmp_gt_i64_e32 vcc, 0, v[32:33]
	v_ashrrev_i32_e32 v0, 31, v0
	v_and_b32_e32 v2, v2, v3
	v_xor_b32_e32 v3, vcc_hi, v0
	v_xor_b32_e32 v0, vcc_lo, v0
	v_and_b32_e32 v1, v1, v8
	v_and_b32_e32 v0, v2, v0
	;; [unrolled: 1-line block ×3, first 2 shown]
	v_mbcnt_lo_u32_b32 v2, v0, 0
	v_mbcnt_hi_u32_b32 v8, v1, v2
	v_cmp_eq_u32_e32 vcc, 0, v8
	v_cmp_ne_u64_e64 s[44:45], 0, v[0:1]
	s_and_b64 s[56:57], s[44:45], vcc
	; wave barrier
	s_and_saveexec_b64 s[44:45], s[56:57]
	s_cbranch_execz .LBB206_71
; %bb.70:                               ;   in Loop: Header=BB206_67 Depth=1
	v_bcnt_u32_b32 v0, v0, 0
	v_bcnt_u32_b32 v0, v1, v0
	s_waitcnt lgkmcnt(0)
	v_add_u32_e32 v0, v6, v0
	ds_write_b32 v7, v0
.LBB206_71:                             ;   in Loop: Header=BB206_67 Depth=1
	s_or_b64 exec, exec, s[44:45]
	v_cmp_ne_u32_e32 vcc, s53, v60
	v_cndmask_b32_e32 v0, v48, v60, vcc
	v_lshrrev_b32_e32 v0, s51, v0
	v_and_b32_e32 v0, s55, v0
	v_lshlrev_b32_e32 v1, 2, v0
	v_add_lshl_u32 v1, v1, v50, 2
	; wave barrier
	v_add_u32_e32 v10, 16, v1
	ds_read_b32 v9, v1 offset:16
	v_and_b32_e32 v1, 1, v0
	v_add_co_u32_e32 v2, vcc, -1, v1
	v_addc_co_u32_e64 v3, s[44:45], 0, -1, vcc
	v_cmp_ne_u32_e32 vcc, 0, v1
	v_lshlrev_b32_e32 v33, 30, v0
	v_xor_b32_e32 v1, vcc_hi, v3
	v_not_b32_e32 v3, v33
	v_xor_b32_e32 v2, vcc_lo, v2
	v_cmp_gt_i64_e32 vcc, 0, v[32:33]
	v_ashrrev_i32_e32 v3, 31, v3
	v_and_b32_e32 v2, exec_lo, v2
	v_xor_b32_e32 v11, vcc_hi, v3
	v_xor_b32_e32 v3, vcc_lo, v3
	v_lshlrev_b32_e32 v33, 29, v0
	v_and_b32_e32 v2, v2, v3
	v_not_b32_e32 v3, v33
	v_and_b32_e32 v1, exec_hi, v1
	v_cmp_gt_i64_e32 vcc, 0, v[32:33]
	v_ashrrev_i32_e32 v3, 31, v3
	v_and_b32_e32 v1, v1, v11
	v_xor_b32_e32 v11, vcc_hi, v3
	v_xor_b32_e32 v3, vcc_lo, v3
	v_lshlrev_b32_e32 v33, 28, v0
	v_and_b32_e32 v2, v2, v3
	v_not_b32_e32 v3, v33
	v_cmp_gt_i64_e32 vcc, 0, v[32:33]
	v_ashrrev_i32_e32 v3, 31, v3
	v_and_b32_e32 v1, v1, v11
	v_xor_b32_e32 v11, vcc_hi, v3
	v_xor_b32_e32 v3, vcc_lo, v3
	v_lshlrev_b32_e32 v33, 27, v0
	v_and_b32_e32 v2, v2, v3
	v_not_b32_e32 v3, v33
	;; [unrolled: 8-line block ×3, first 2 shown]
	v_cmp_gt_i64_e32 vcc, 0, v[32:33]
	v_ashrrev_i32_e32 v3, 31, v3
	v_and_b32_e32 v1, v1, v11
	v_xor_b32_e32 v11, vcc_hi, v3
	v_xor_b32_e32 v3, vcc_lo, v3
	v_lshlrev_b32_e32 v33, 25, v0
	v_and_b32_e32 v2, v2, v3
	v_cmp_gt_i64_e32 vcc, 0, v[32:33]
	v_not_b32_e32 v3, v33
	v_lshlrev_b32_e32 v33, 24, v0
	v_ashrrev_i32_e32 v3, 31, v3
	v_not_b32_e32 v0, v33
	v_and_b32_e32 v1, v1, v11
	v_xor_b32_e32 v11, vcc_hi, v3
	v_xor_b32_e32 v3, vcc_lo, v3
	v_cmp_gt_i64_e32 vcc, 0, v[32:33]
	v_ashrrev_i32_e32 v0, 31, v0
	v_and_b32_e32 v2, v2, v3
	v_xor_b32_e32 v3, vcc_hi, v0
	v_xor_b32_e32 v0, vcc_lo, v0
	v_and_b32_e32 v1, v1, v11
	v_and_b32_e32 v0, v2, v0
	;; [unrolled: 1-line block ×3, first 2 shown]
	v_mbcnt_lo_u32_b32 v2, v0, 0
	v_mbcnt_hi_u32_b32 v11, v1, v2
	v_cmp_eq_u32_e32 vcc, 0, v11
	v_cmp_ne_u64_e64 s[44:45], 0, v[0:1]
	s_and_b64 s[56:57], s[44:45], vcc
	; wave barrier
	s_and_saveexec_b64 s[44:45], s[56:57]
	s_cbranch_execz .LBB206_73
; %bb.72:                               ;   in Loop: Header=BB206_67 Depth=1
	v_bcnt_u32_b32 v0, v0, 0
	v_bcnt_u32_b32 v0, v1, v0
	s_waitcnt lgkmcnt(0)
	v_add_u32_e32 v0, v9, v0
	ds_write_b32 v10, v0
.LBB206_73:                             ;   in Loop: Header=BB206_67 Depth=1
	s_or_b64 exec, exec, s[44:45]
	v_cmp_ne_u32_e32 vcc, s53, v59
	v_cndmask_b32_e32 v0, v48, v59, vcc
	v_lshrrev_b32_e32 v0, s51, v0
	v_and_b32_e32 v0, s55, v0
	v_lshlrev_b32_e32 v1, 2, v0
	v_add_lshl_u32 v1, v1, v50, 2
	; wave barrier
	v_add_u32_e32 v13, 16, v1
	ds_read_b32 v12, v1 offset:16
	v_and_b32_e32 v1, 1, v0
	v_add_co_u32_e32 v2, vcc, -1, v1
	v_addc_co_u32_e64 v3, s[44:45], 0, -1, vcc
	v_cmp_ne_u32_e32 vcc, 0, v1
	v_lshlrev_b32_e32 v33, 30, v0
	v_xor_b32_e32 v1, vcc_hi, v3
	v_not_b32_e32 v3, v33
	v_xor_b32_e32 v2, vcc_lo, v2
	v_cmp_gt_i64_e32 vcc, 0, v[32:33]
	v_ashrrev_i32_e32 v3, 31, v3
	v_and_b32_e32 v2, exec_lo, v2
	v_xor_b32_e32 v14, vcc_hi, v3
	v_xor_b32_e32 v3, vcc_lo, v3
	v_lshlrev_b32_e32 v33, 29, v0
	v_and_b32_e32 v2, v2, v3
	v_not_b32_e32 v3, v33
	v_and_b32_e32 v1, exec_hi, v1
	v_cmp_gt_i64_e32 vcc, 0, v[32:33]
	v_ashrrev_i32_e32 v3, 31, v3
	v_and_b32_e32 v1, v1, v14
	v_xor_b32_e32 v14, vcc_hi, v3
	v_xor_b32_e32 v3, vcc_lo, v3
	v_lshlrev_b32_e32 v33, 28, v0
	v_and_b32_e32 v2, v2, v3
	v_not_b32_e32 v3, v33
	v_cmp_gt_i64_e32 vcc, 0, v[32:33]
	v_ashrrev_i32_e32 v3, 31, v3
	v_and_b32_e32 v1, v1, v14
	v_xor_b32_e32 v14, vcc_hi, v3
	v_xor_b32_e32 v3, vcc_lo, v3
	v_lshlrev_b32_e32 v33, 27, v0
	v_and_b32_e32 v2, v2, v3
	v_not_b32_e32 v3, v33
	;; [unrolled: 8-line block ×3, first 2 shown]
	v_cmp_gt_i64_e32 vcc, 0, v[32:33]
	v_ashrrev_i32_e32 v3, 31, v3
	v_and_b32_e32 v1, v1, v14
	v_xor_b32_e32 v14, vcc_hi, v3
	v_xor_b32_e32 v3, vcc_lo, v3
	v_lshlrev_b32_e32 v33, 25, v0
	v_and_b32_e32 v2, v2, v3
	v_cmp_gt_i64_e32 vcc, 0, v[32:33]
	v_not_b32_e32 v3, v33
	v_lshlrev_b32_e32 v33, 24, v0
	v_ashrrev_i32_e32 v3, 31, v3
	v_not_b32_e32 v0, v33
	v_and_b32_e32 v1, v1, v14
	v_xor_b32_e32 v14, vcc_hi, v3
	v_xor_b32_e32 v3, vcc_lo, v3
	v_cmp_gt_i64_e32 vcc, 0, v[32:33]
	v_ashrrev_i32_e32 v0, 31, v0
	v_and_b32_e32 v2, v2, v3
	v_xor_b32_e32 v3, vcc_hi, v0
	v_xor_b32_e32 v0, vcc_lo, v0
	v_and_b32_e32 v1, v1, v14
	v_and_b32_e32 v0, v2, v0
	;; [unrolled: 1-line block ×3, first 2 shown]
	v_mbcnt_lo_u32_b32 v2, v0, 0
	v_mbcnt_hi_u32_b32 v14, v1, v2
	v_cmp_eq_u32_e32 vcc, 0, v14
	v_cmp_ne_u64_e64 s[44:45], 0, v[0:1]
	s_and_b64 s[56:57], s[44:45], vcc
	; wave barrier
	s_and_saveexec_b64 s[44:45], s[56:57]
	s_cbranch_execz .LBB206_75
; %bb.74:                               ;   in Loop: Header=BB206_67 Depth=1
	v_bcnt_u32_b32 v0, v0, 0
	v_bcnt_u32_b32 v0, v1, v0
	s_waitcnt lgkmcnt(0)
	v_add_u32_e32 v0, v12, v0
	ds_write_b32 v13, v0
.LBB206_75:                             ;   in Loop: Header=BB206_67 Depth=1
	s_or_b64 exec, exec, s[44:45]
	v_cmp_ne_u32_e32 vcc, s53, v58
	v_cndmask_b32_e32 v0, v48, v58, vcc
	v_lshrrev_b32_e32 v0, s51, v0
	v_and_b32_e32 v0, s55, v0
	v_lshlrev_b32_e32 v1, 2, v0
	v_add_lshl_u32 v1, v1, v50, 2
	; wave barrier
	v_add_u32_e32 v40, 16, v1
	ds_read_b32 v15, v1 offset:16
	v_and_b32_e32 v1, 1, v0
	v_add_co_u32_e32 v2, vcc, -1, v1
	v_addc_co_u32_e64 v3, s[44:45], 0, -1, vcc
	v_cmp_ne_u32_e32 vcc, 0, v1
	v_lshlrev_b32_e32 v33, 30, v0
	v_xor_b32_e32 v1, vcc_hi, v3
	v_not_b32_e32 v3, v33
	v_xor_b32_e32 v2, vcc_lo, v2
	v_cmp_gt_i64_e32 vcc, 0, v[32:33]
	v_ashrrev_i32_e32 v3, 31, v3
	v_and_b32_e32 v1, exec_hi, v1
	v_xor_b32_e32 v33, vcc_hi, v3
	v_and_b32_e32 v2, exec_lo, v2
	v_xor_b32_e32 v3, vcc_lo, v3
	v_and_b32_e32 v1, v1, v33
	v_lshlrev_b32_e32 v33, 29, v0
	v_and_b32_e32 v2, v2, v3
	v_not_b32_e32 v3, v33
	v_cmp_gt_i64_e32 vcc, 0, v[32:33]
	v_ashrrev_i32_e32 v3, 31, v3
	v_xor_b32_e32 v33, vcc_hi, v3
	v_xor_b32_e32 v3, vcc_lo, v3
	v_and_b32_e32 v1, v1, v33
	v_lshlrev_b32_e32 v33, 28, v0
	v_and_b32_e32 v2, v2, v3
	v_not_b32_e32 v3, v33
	v_cmp_gt_i64_e32 vcc, 0, v[32:33]
	v_ashrrev_i32_e32 v3, 31, v3
	v_xor_b32_e32 v33, vcc_hi, v3
	v_xor_b32_e32 v3, vcc_lo, v3
	v_and_b32_e32 v1, v1, v33
	v_lshlrev_b32_e32 v33, 27, v0
	v_and_b32_e32 v2, v2, v3
	v_not_b32_e32 v3, v33
	v_cmp_gt_i64_e32 vcc, 0, v[32:33]
	v_ashrrev_i32_e32 v3, 31, v3
	v_xor_b32_e32 v33, vcc_hi, v3
	v_xor_b32_e32 v3, vcc_lo, v3
	v_and_b32_e32 v1, v1, v33
	v_lshlrev_b32_e32 v33, 26, v0
	v_and_b32_e32 v2, v2, v3
	v_not_b32_e32 v3, v33
	v_cmp_gt_i64_e32 vcc, 0, v[32:33]
	v_ashrrev_i32_e32 v3, 31, v3
	v_xor_b32_e32 v33, vcc_hi, v3
	v_xor_b32_e32 v3, vcc_lo, v3
	v_and_b32_e32 v1, v1, v33
	v_lshlrev_b32_e32 v33, 25, v0
	v_and_b32_e32 v2, v2, v3
	v_not_b32_e32 v3, v33
	v_cmp_gt_i64_e32 vcc, 0, v[32:33]
	v_ashrrev_i32_e32 v3, 31, v3
	v_xor_b32_e32 v33, vcc_hi, v3
	v_and_b32_e32 v1, v1, v33
	v_lshlrev_b32_e32 v33, 24, v0
	v_not_b32_e32 v0, v33
	v_xor_b32_e32 v3, vcc_lo, v3
	v_cmp_gt_i64_e32 vcc, 0, v[32:33]
	v_ashrrev_i32_e32 v0, 31, v0
	v_and_b32_e32 v2, v2, v3
	v_xor_b32_e32 v3, vcc_hi, v0
	v_xor_b32_e32 v0, vcc_lo, v0
	v_and_b32_e32 v0, v2, v0
	v_and_b32_e32 v1, v1, v3
	v_mbcnt_lo_u32_b32 v2, v0, 0
	v_mbcnt_hi_u32_b32 v41, v1, v2
	v_cmp_eq_u32_e32 vcc, 0, v41
	v_cmp_ne_u64_e64 s[44:45], 0, v[0:1]
	s_and_b64 s[56:57], s[44:45], vcc
	; wave barrier
	s_and_saveexec_b64 s[44:45], s[56:57]
	s_cbranch_execz .LBB206_77
; %bb.76:                               ;   in Loop: Header=BB206_67 Depth=1
	v_bcnt_u32_b32 v0, v0, 0
	v_bcnt_u32_b32 v0, v1, v0
	s_waitcnt lgkmcnt(0)
	v_add_u32_e32 v0, v15, v0
	ds_write_b32 v40, v0
.LBB206_77:                             ;   in Loop: Header=BB206_67 Depth=1
	s_or_b64 exec, exec, s[44:45]
	v_cmp_ne_u32_e32 vcc, s53, v57
	v_cndmask_b32_e32 v0, v48, v57, vcc
	v_lshrrev_b32_e32 v0, s51, v0
	v_and_b32_e32 v0, s55, v0
	v_lshlrev_b32_e32 v1, 2, v0
	v_add_lshl_u32 v1, v1, v50, 2
	; wave barrier
	v_add_u32_e32 v43, 16, v1
	ds_read_b32 v42, v1 offset:16
	v_and_b32_e32 v1, 1, v0
	v_add_co_u32_e32 v2, vcc, -1, v1
	v_addc_co_u32_e64 v3, s[44:45], 0, -1, vcc
	v_cmp_ne_u32_e32 vcc, 0, v1
	v_lshlrev_b32_e32 v33, 30, v0
	v_xor_b32_e32 v1, vcc_hi, v3
	v_not_b32_e32 v3, v33
	v_xor_b32_e32 v2, vcc_lo, v2
	v_cmp_gt_i64_e32 vcc, 0, v[32:33]
	v_ashrrev_i32_e32 v3, 31, v3
	v_and_b32_e32 v1, exec_hi, v1
	v_xor_b32_e32 v33, vcc_hi, v3
	v_and_b32_e32 v2, exec_lo, v2
	v_xor_b32_e32 v3, vcc_lo, v3
	v_and_b32_e32 v1, v1, v33
	v_lshlrev_b32_e32 v33, 29, v0
	v_and_b32_e32 v2, v2, v3
	v_not_b32_e32 v3, v33
	v_cmp_gt_i64_e32 vcc, 0, v[32:33]
	v_ashrrev_i32_e32 v3, 31, v3
	v_xor_b32_e32 v33, vcc_hi, v3
	v_xor_b32_e32 v3, vcc_lo, v3
	v_and_b32_e32 v1, v1, v33
	v_lshlrev_b32_e32 v33, 28, v0
	v_and_b32_e32 v2, v2, v3
	v_not_b32_e32 v3, v33
	v_cmp_gt_i64_e32 vcc, 0, v[32:33]
	v_ashrrev_i32_e32 v3, 31, v3
	v_xor_b32_e32 v33, vcc_hi, v3
	v_xor_b32_e32 v3, vcc_lo, v3
	v_and_b32_e32 v1, v1, v33
	v_lshlrev_b32_e32 v33, 27, v0
	v_and_b32_e32 v2, v2, v3
	v_not_b32_e32 v3, v33
	v_cmp_gt_i64_e32 vcc, 0, v[32:33]
	v_ashrrev_i32_e32 v3, 31, v3
	v_xor_b32_e32 v33, vcc_hi, v3
	v_xor_b32_e32 v3, vcc_lo, v3
	v_and_b32_e32 v1, v1, v33
	v_lshlrev_b32_e32 v33, 26, v0
	v_and_b32_e32 v2, v2, v3
	v_not_b32_e32 v3, v33
	v_cmp_gt_i64_e32 vcc, 0, v[32:33]
	v_ashrrev_i32_e32 v3, 31, v3
	v_xor_b32_e32 v33, vcc_hi, v3
	v_xor_b32_e32 v3, vcc_lo, v3
	v_and_b32_e32 v1, v1, v33
	v_lshlrev_b32_e32 v33, 25, v0
	v_and_b32_e32 v2, v2, v3
	v_not_b32_e32 v3, v33
	v_cmp_gt_i64_e32 vcc, 0, v[32:33]
	v_ashrrev_i32_e32 v3, 31, v3
	v_xor_b32_e32 v33, vcc_hi, v3
	v_and_b32_e32 v1, v1, v33
	v_lshlrev_b32_e32 v33, 24, v0
	v_not_b32_e32 v0, v33
	v_xor_b32_e32 v3, vcc_lo, v3
	v_cmp_gt_i64_e32 vcc, 0, v[32:33]
	v_ashrrev_i32_e32 v0, 31, v0
	v_and_b32_e32 v2, v2, v3
	v_xor_b32_e32 v3, vcc_hi, v0
	v_xor_b32_e32 v0, vcc_lo, v0
	v_and_b32_e32 v0, v2, v0
	v_and_b32_e32 v1, v1, v3
	v_mbcnt_lo_u32_b32 v2, v0, 0
	v_mbcnt_hi_u32_b32 v44, v1, v2
	v_cmp_eq_u32_e32 vcc, 0, v44
	v_cmp_ne_u64_e64 s[44:45], 0, v[0:1]
	s_and_b64 s[56:57], s[44:45], vcc
	; wave barrier
	s_and_saveexec_b64 s[44:45], s[56:57]
	s_cbranch_execz .LBB206_79
; %bb.78:                               ;   in Loop: Header=BB206_67 Depth=1
	v_bcnt_u32_b32 v0, v0, 0
	v_bcnt_u32_b32 v0, v1, v0
	s_waitcnt lgkmcnt(0)
	v_add_u32_e32 v0, v42, v0
	ds_write_b32 v43, v0
.LBB206_79:                             ;   in Loop: Header=BB206_67 Depth=1
	s_or_b64 exec, exec, s[44:45]
	v_cmp_ne_u32_e32 vcc, s53, v56
	v_cndmask_b32_e32 v0, v48, v56, vcc
	v_lshrrev_b32_e32 v0, s51, v0
	v_and_b32_e32 v0, s55, v0
	v_lshlrev_b32_e32 v1, 2, v0
	v_add_lshl_u32 v1, v1, v50, 2
	; wave barrier
	v_add_u32_e32 v46, 16, v1
	ds_read_b32 v45, v1 offset:16
	v_and_b32_e32 v1, 1, v0
	v_add_co_u32_e32 v2, vcc, -1, v1
	v_addc_co_u32_e64 v3, s[44:45], 0, -1, vcc
	v_cmp_ne_u32_e32 vcc, 0, v1
	v_lshlrev_b32_e32 v33, 30, v0
	v_xor_b32_e32 v1, vcc_hi, v3
	v_not_b32_e32 v3, v33
	v_xor_b32_e32 v2, vcc_lo, v2
	v_cmp_gt_i64_e32 vcc, 0, v[32:33]
	v_ashrrev_i32_e32 v3, 31, v3
	v_and_b32_e32 v1, exec_hi, v1
	v_xor_b32_e32 v33, vcc_hi, v3
	v_and_b32_e32 v2, exec_lo, v2
	v_xor_b32_e32 v3, vcc_lo, v3
	v_and_b32_e32 v1, v1, v33
	v_lshlrev_b32_e32 v33, 29, v0
	v_and_b32_e32 v2, v2, v3
	v_not_b32_e32 v3, v33
	v_cmp_gt_i64_e32 vcc, 0, v[32:33]
	v_ashrrev_i32_e32 v3, 31, v3
	v_xor_b32_e32 v33, vcc_hi, v3
	v_xor_b32_e32 v3, vcc_lo, v3
	v_and_b32_e32 v1, v1, v33
	v_lshlrev_b32_e32 v33, 28, v0
	v_and_b32_e32 v2, v2, v3
	v_not_b32_e32 v3, v33
	v_cmp_gt_i64_e32 vcc, 0, v[32:33]
	v_ashrrev_i32_e32 v3, 31, v3
	v_xor_b32_e32 v33, vcc_hi, v3
	;; [unrolled: 8-line block ×5, first 2 shown]
	v_and_b32_e32 v1, v1, v33
	v_lshlrev_b32_e32 v33, 24, v0
	v_not_b32_e32 v0, v33
	v_xor_b32_e32 v3, vcc_lo, v3
	v_cmp_gt_i64_e32 vcc, 0, v[32:33]
	v_ashrrev_i32_e32 v0, 31, v0
	v_and_b32_e32 v2, v2, v3
	v_xor_b32_e32 v3, vcc_hi, v0
	v_xor_b32_e32 v0, vcc_lo, v0
	v_and_b32_e32 v0, v2, v0
	v_and_b32_e32 v1, v1, v3
	v_mbcnt_lo_u32_b32 v2, v0, 0
	v_mbcnt_hi_u32_b32 v47, v1, v2
	v_cmp_eq_u32_e32 vcc, 0, v47
	v_cmp_ne_u64_e64 s[44:45], 0, v[0:1]
	s_and_b64 s[56:57], s[44:45], vcc
	; wave barrier
	s_and_saveexec_b64 s[44:45], s[56:57]
	s_cbranch_execz .LBB206_81
; %bb.80:                               ;   in Loop: Header=BB206_67 Depth=1
	v_bcnt_u32_b32 v0, v0, 0
	v_bcnt_u32_b32 v0, v1, v0
	s_waitcnt lgkmcnt(0)
	v_add_u32_e32 v0, v45, v0
	ds_write_b32 v46, v0
.LBB206_81:                             ;   in Loop: Header=BB206_67 Depth=1
	s_or_b64 exec, exec, s[44:45]
	v_cmp_ne_u32_e32 vcc, s53, v55
	v_cndmask_b32_e32 v0, v48, v55, vcc
	v_lshrrev_b32_e32 v0, s51, v0
	v_and_b32_e32 v0, s55, v0
	v_lshlrev_b32_e32 v1, 2, v0
	v_add_lshl_u32 v1, v1, v50, 2
	; wave barrier
	v_add_u32_e32 v64, 16, v1
	ds_read_b32 v63, v1 offset:16
	v_and_b32_e32 v1, 1, v0
	v_add_co_u32_e32 v2, vcc, -1, v1
	v_addc_co_u32_e64 v3, s[44:45], 0, -1, vcc
	v_cmp_ne_u32_e32 vcc, 0, v1
	v_lshlrev_b32_e32 v33, 30, v0
	v_xor_b32_e32 v1, vcc_hi, v3
	v_not_b32_e32 v3, v33
	v_xor_b32_e32 v2, vcc_lo, v2
	v_cmp_gt_i64_e32 vcc, 0, v[32:33]
	v_ashrrev_i32_e32 v3, 31, v3
	v_and_b32_e32 v1, exec_hi, v1
	v_xor_b32_e32 v33, vcc_hi, v3
	v_and_b32_e32 v2, exec_lo, v2
	v_xor_b32_e32 v3, vcc_lo, v3
	v_and_b32_e32 v1, v1, v33
	v_lshlrev_b32_e32 v33, 29, v0
	v_and_b32_e32 v2, v2, v3
	v_not_b32_e32 v3, v33
	v_cmp_gt_i64_e32 vcc, 0, v[32:33]
	v_ashrrev_i32_e32 v3, 31, v3
	v_xor_b32_e32 v33, vcc_hi, v3
	v_xor_b32_e32 v3, vcc_lo, v3
	v_and_b32_e32 v1, v1, v33
	v_lshlrev_b32_e32 v33, 28, v0
	v_and_b32_e32 v2, v2, v3
	v_not_b32_e32 v3, v33
	v_cmp_gt_i64_e32 vcc, 0, v[32:33]
	v_ashrrev_i32_e32 v3, 31, v3
	v_xor_b32_e32 v33, vcc_hi, v3
	;; [unrolled: 8-line block ×5, first 2 shown]
	v_and_b32_e32 v1, v1, v33
	v_lshlrev_b32_e32 v33, 24, v0
	v_not_b32_e32 v0, v33
	v_xor_b32_e32 v3, vcc_lo, v3
	v_cmp_gt_i64_e32 vcc, 0, v[32:33]
	v_ashrrev_i32_e32 v0, 31, v0
	v_and_b32_e32 v2, v2, v3
	v_xor_b32_e32 v3, vcc_hi, v0
	v_xor_b32_e32 v0, vcc_lo, v0
	v_and_b32_e32 v0, v2, v0
	v_and_b32_e32 v1, v1, v3
	v_mbcnt_lo_u32_b32 v2, v0, 0
	v_mbcnt_hi_u32_b32 v70, v1, v2
	v_cmp_eq_u32_e32 vcc, 0, v70
	v_cmp_ne_u64_e64 s[44:45], 0, v[0:1]
	s_and_b64 s[56:57], s[44:45], vcc
	; wave barrier
	s_and_saveexec_b64 s[44:45], s[56:57]
	s_cbranch_execz .LBB206_83
; %bb.82:                               ;   in Loop: Header=BB206_67 Depth=1
	v_bcnt_u32_b32 v0, v0, 0
	v_bcnt_u32_b32 v0, v1, v0
	s_waitcnt lgkmcnt(0)
	v_add_u32_e32 v0, v63, v0
	ds_write_b32 v64, v0
.LBB206_83:                             ;   in Loop: Header=BB206_67 Depth=1
	s_or_b64 exec, exec, s[44:45]
	; wave barrier
	s_waitcnt lgkmcnt(0)
	s_barrier
	ds_read2_b32 v[2:3], v89 offset0:4 offset1:5
	ds_read2_b32 v[0:1], v49 offset0:2 offset1:3
	s_waitcnt lgkmcnt(1)
	v_add_u32_e32 v33, v3, v2
	s_waitcnt lgkmcnt(0)
	v_add3_u32 v1, v33, v0, v1
	s_nop 1
	v_mov_b32_dpp v33, v1 row_shr:1 row_mask:0xf bank_mask:0xf
	v_cndmask_b32_e64 v33, v33, 0, s[16:17]
	v_add_u32_e32 v1, v33, v1
	s_nop 1
	v_mov_b32_dpp v33, v1 row_shr:2 row_mask:0xf bank_mask:0xf
	v_cndmask_b32_e64 v33, 0, v33, s[18:19]
	v_add_u32_e32 v1, v1, v33
	;; [unrolled: 4-line block ×4, first 2 shown]
	s_nop 1
	v_mov_b32_dpp v33, v1 row_bcast:15 row_mask:0xf bank_mask:0xf
	v_cndmask_b32_e64 v33, v33, 0, s[24:25]
	v_add_u32_e32 v1, v1, v33
	s_nop 1
	v_mov_b32_dpp v33, v1 row_bcast:31 row_mask:0xf bank_mask:0xf
	v_cndmask_b32_e64 v33, 0, v33, s[26:27]
	v_add_u32_e32 v1, v1, v33
	s_and_saveexec_b64 s[44:45], s[28:29]
	s_cbranch_execz .LBB206_85
; %bb.84:                               ;   in Loop: Header=BB206_67 Depth=1
	ds_write_b32 v38, v1
.LBB206_85:                             ;   in Loop: Header=BB206_67 Depth=1
	s_or_b64 exec, exec, s[44:45]
	s_waitcnt lgkmcnt(0)
	s_barrier
	s_and_saveexec_b64 s[44:45], s[30:31]
	s_cbranch_execz .LBB206_87
; %bb.86:                               ;   in Loop: Header=BB206_67 Depth=1
	ds_read_b32 v33, v88
	s_waitcnt lgkmcnt(0)
	s_nop 0
	v_mov_b32_dpp v65, v33 row_shr:1 row_mask:0xf bank_mask:0xf
	v_cndmask_b32_e64 v65, v65, 0, s[40:41]
	v_add_u32_e32 v33, v65, v33
	s_nop 1
	v_mov_b32_dpp v65, v33 row_shr:2 row_mask:0xf bank_mask:0xf
	v_cndmask_b32_e64 v65, 0, v65, s[42:43]
	v_add_u32_e32 v33, v33, v65
	ds_write_b32 v88, v33
.LBB206_87:                             ;   in Loop: Header=BB206_67 Depth=1
	s_or_b64 exec, exec, s[44:45]
	v_mov_b32_e32 v33, 0
	s_waitcnt lgkmcnt(0)
	s_barrier
	s_and_saveexec_b64 s[44:45], s[34:35]
	s_cbranch_execz .LBB206_89
; %bb.88:                               ;   in Loop: Header=BB206_67 Depth=1
	ds_read_b32 v33, v52
.LBB206_89:                             ;   in Loop: Header=BB206_67 Depth=1
	s_or_b64 exec, exec, s[44:45]
	s_waitcnt lgkmcnt(0)
	v_add_u32_e32 v1, v33, v1
	ds_bpermute_b32 v1, v51, v1
	s_cmp_gt_u32 s51, 23
	s_waitcnt lgkmcnt(0)
	v_cndmask_b32_e64 v1, v1, v33, s[36:37]
	v_cndmask_b32_e64 v1, v1, 0, s[38:39]
	v_add_u32_e32 v2, v1, v2
	v_add_u32_e32 v3, v2, v3
	;; [unrolled: 1-line block ×3, first 2 shown]
	ds_write2_b32 v89, v1, v2 offset0:4 offset1:5
	ds_write2_b32 v49, v3, v0 offset0:2 offset1:3
	s_waitcnt lgkmcnt(0)
	s_barrier
	ds_read_b32 v0, v4
	ds_read_b32 v1, v7
	;; [unrolled: 1-line block ×8, first 2 shown]
	s_waitcnt lgkmcnt(7)
	v_add_u32_e32 v33, v0, v5
	s_waitcnt lgkmcnt(6)
	v_add3_u32 v64, v8, v6, v1
	s_waitcnt lgkmcnt(5)
	v_add3_u32 v65, v11, v9, v2
	;; [unrolled: 2-line block ×7, first 2 shown]
	s_cbranch_scc0 .LBB206_66
; %bb.90:
                                        ; implicit-def: $vgpr47
                                        ; implicit-def: $vgpr45
                                        ; implicit-def: $vgpr43
                                        ; implicit-def: $vgpr41
                                        ; implicit-def: $vgpr14_vgpr15
                                        ; implicit-def: $vgpr10_vgpr11
                                        ; implicit-def: $vgpr6_vgpr7
                                        ; implicit-def: $vgpr2_vgpr3
                                        ; implicit-def: $sgpr51
                                        ; implicit-def: $sgpr54
.LBB206_91:
	v_lshlrev_b32_e32 v0, 2, v33
	s_barrier
	ds_write_b32 v0, v62
	v_lshlrev_b32_e32 v0, 2, v64
	ds_write_b32 v0, v61
	v_lshlrev_b32_e32 v0, 2, v65
	;; [unrolled: 2-line block ×7, first 2 shown]
	v_lshlrev_b32_e32 v6, 2, v87
	ds_write_b32 v0, v55
	s_waitcnt lgkmcnt(0)
	s_barrier
	ds_read2_b32 v[0:1], v6 offset1:1
	ds_read2_b32 v[2:3], v6 offset0:2 offset1:3
	ds_read2_b32 v[4:5], v6 offset0:4 offset1:5
	;; [unrolled: 1-line block ×3, first 2 shown]
	v_bfrev_b32_e32 v38, -2
	v_lshlrev_b32_e32 v8, 3, v33
	v_lshlrev_b32_e32 v32, 3, v87
	s_waitcnt lgkmcnt(3)
	v_cmp_gt_i32_e32 vcc, 0, v1
	v_cndmask_b32_e64 v33, v38, 0, vcc
	v_cmp_gt_i32_e32 vcc, 0, v0
	v_lshlrev_b32_e32 v9, 3, v64
	v_lshlrev_b32_e32 v10, 3, v65
	;; [unrolled: 1-line block ×7, first 2 shown]
	v_cndmask_b32_e64 v40, v38, 0, vcc
	v_xor_b32_e32 v63, v33, v1
	s_waitcnt lgkmcnt(2)
	v_cmp_gt_i32_e32 vcc, 0, v3
	s_waitcnt lgkmcnt(0)
	s_barrier
	ds_write_b64 v8, v[30:31]
	ds_write_b64 v9, v[28:29]
	;; [unrolled: 1-line block ×8, first 2 shown]
	s_waitcnt lgkmcnt(0)
	s_barrier
	ds_read2_b64 v[18:21], v32 offset1:1
	ds_read2_b64 v[22:25], v32 offset0:2 offset1:3
	ds_read2_b64 v[26:29], v32 offset0:4 offset1:5
	;; [unrolled: 1-line block ×3, first 2 shown]
	v_xor_b32_e32 v62, v40, v0
	v_cndmask_b32_e64 v0, v38, 0, vcc
	v_cmp_gt_i32_e32 vcc, 0, v2
	v_cndmask_b32_e64 v1, v38, 0, vcc
	v_cmp_gt_i32_e32 vcc, 0, v5
	v_xor_b32_e32 v65, v0, v3
	v_cndmask_b32_e64 v0, v38, 0, vcc
	v_cmp_gt_i32_e32 vcc, 0, v4
	v_xor_b32_e32 v64, v1, v2
	;; [unrolled: 3-line block ×4, first 2 shown]
	v_cndmask_b32_e64 v0, v38, 0, vcc
	v_xor_b32_e32 v0, v0, v6
	v_xor_b32_e32 v1, v1, v7
.LBB206_92:
	s_waitcnt lgkmcnt(0)
	s_barrier
	ds_write2_b32 v78, v62, v63 offset1:1
	ds_write2_b32 v78, v64, v65 offset0:2 offset1:3
	ds_write2_b32 v78, v66, v67 offset0:4 offset1:5
	;; [unrolled: 1-line block ×3, first 2 shown]
	s_waitcnt lgkmcnt(0)
	s_barrier
	ds_read_b32 v8, v35 offset:1024
	ds_read_b32 v7, v72 offset:2048
	;; [unrolled: 1-line block ×7, first 2 shown]
	v_mov_b32_e32 v35, 0
	v_lshlrev_b64 v[0:1], 2, v[34:35]
	v_mov_b32_e32 v9, s47
	v_add_co_u32_e32 v0, vcc, s33, v0
	v_addc_co_u32_e32 v1, vcc, v9, v1, vcc
	s_and_saveexec_b64 s[16:17], s[0:1]
	s_cbranch_execnz .LBB206_111
; %bb.93:
	s_or_b64 exec, exec, s[16:17]
	s_and_saveexec_b64 s[16:17], s[2:3]
	s_cbranch_execnz .LBB206_112
.LBB206_94:
	s_or_b64 exec, exec, s[16:17]
	s_and_saveexec_b64 s[16:17], s[4:5]
	s_cbranch_execnz .LBB206_113
.LBB206_95:
	s_or_b64 exec, exec, s[16:17]
	s_and_saveexec_b64 s[16:17], s[6:7]
	s_cbranch_execnz .LBB206_114
.LBB206_96:
	s_or_b64 exec, exec, s[16:17]
	s_and_saveexec_b64 s[16:17], s[8:9]
	s_cbranch_execnz .LBB206_115
.LBB206_97:
	s_or_b64 exec, exec, s[16:17]
	s_and_saveexec_b64 s[16:17], s[10:11]
	s_cbranch_execnz .LBB206_116
.LBB206_98:
	s_or_b64 exec, exec, s[16:17]
	s_and_saveexec_b64 s[16:17], s[12:13]
	s_cbranch_execnz .LBB206_117
.LBB206_99:
	s_or_b64 exec, exec, s[16:17]
	s_and_saveexec_b64 s[16:17], s[14:15]
	s_cbranch_execz .LBB206_101
.LBB206_100:
	s_mul_i32 s18, s46, 0x700
	s_mov_b32 s19, 0
	s_lshl_b64 s[18:19], s[18:19], 2
	s_waitcnt lgkmcnt(1)
	v_mov_b32_e32 v3, s19
	v_add_co_u32_e32 v0, vcc, s18, v0
	v_addc_co_u32_e32 v1, vcc, v1, v3, vcc
	s_waitcnt lgkmcnt(0)
	global_store_dword v[0:1], v2, off
.LBB206_101:
	s_or_b64 exec, exec, s[16:17]
	s_waitcnt lgkmcnt(0)
	s_barrier
	ds_write2_b64 v86, v[18:19], v[20:21] offset1:1
	ds_write2_b64 v86, v[22:23], v[24:25] offset0:2 offset1:3
	ds_write2_b64 v86, v[26:27], v[28:29] offset0:4 offset1:5
	;; [unrolled: 1-line block ×3, first 2 shown]
	s_waitcnt lgkmcnt(0)
	s_barrier
	ds_read_b64 v[14:15], v37 offset:2048
	ds_read_b64 v[12:13], v80 offset:4096
	;; [unrolled: 1-line block ×7, first 2 shown]
	v_mov_b32_e32 v37, 0
	v_lshlrev_b64 v[2:3], 3, v[36:37]
	v_mov_b32_e32 v16, s52
	v_add_co_u32_e32 v2, vcc, s49, v2
	v_addc_co_u32_e32 v3, vcc, v16, v3, vcc
	s_and_saveexec_b64 s[16:17], s[0:1]
	s_cbranch_execnz .LBB206_118
; %bb.102:
	s_or_b64 exec, exec, s[16:17]
	s_and_saveexec_b64 s[0:1], s[2:3]
	s_cbranch_execnz .LBB206_119
.LBB206_103:
	s_or_b64 exec, exec, s[0:1]
	s_and_saveexec_b64 s[0:1], s[4:5]
	s_cbranch_execnz .LBB206_120
.LBB206_104:
	s_or_b64 exec, exec, s[0:1]
	s_and_saveexec_b64 s[0:1], s[6:7]
	s_cbranch_execnz .LBB206_121
.LBB206_105:
	s_or_b64 exec, exec, s[0:1]
	s_and_saveexec_b64 s[0:1], s[8:9]
	s_cbranch_execnz .LBB206_122
.LBB206_106:
	s_or_b64 exec, exec, s[0:1]
	s_and_saveexec_b64 s[0:1], s[10:11]
	s_cbranch_execnz .LBB206_123
.LBB206_107:
	s_or_b64 exec, exec, s[0:1]
	s_and_saveexec_b64 s[0:1], s[12:13]
	s_cbranch_execnz .LBB206_124
.LBB206_108:
	s_or_b64 exec, exec, s[0:1]
	s_and_saveexec_b64 s[0:1], s[14:15]
	s_cbranch_execz .LBB206_110
.LBB206_109:
	s_mul_i32 s0, s48, 0x700
	s_mov_b32 s1, 0
	s_lshl_b64 s[0:1], s[0:1], 3
	s_waitcnt lgkmcnt(1)
	v_mov_b32_e32 v4, s1
	v_add_co_u32_e32 v2, vcc, s0, v2
	v_addc_co_u32_e32 v3, vcc, v3, v4, vcc
	s_waitcnt lgkmcnt(0)
	global_store_dwordx2 v[2:3], v[0:1], off
.LBB206_110:
	s_endpgm
.LBB206_111:
	ds_read_b32 v9, v39
	s_waitcnt lgkmcnt(0)
	global_store_dword v[0:1], v9, off
	s_or_b64 exec, exec, s[16:17]
	s_and_saveexec_b64 s[16:17], s[2:3]
	s_cbranch_execz .LBB206_94
.LBB206_112:
	s_lshl_b32 s18, s46, 8
	s_mov_b32 s19, 0
	s_lshl_b64 s[18:19], s[18:19], 2
	v_mov_b32_e32 v9, s19
	v_add_co_u32_e32 v10, vcc, s18, v0
	v_addc_co_u32_e32 v11, vcc, v1, v9, vcc
	s_waitcnt lgkmcnt(6)
	global_store_dword v[10:11], v8, off
	s_or_b64 exec, exec, s[16:17]
	s_and_saveexec_b64 s[16:17], s[4:5]
	s_cbranch_execz .LBB206_95
.LBB206_113:
	s_lshl_b32 s18, s46, 9
	s_mov_b32 s19, 0
	s_lshl_b64 s[18:19], s[18:19], 2
	v_mov_b32_e32 v9, s19
	s_waitcnt lgkmcnt(6)
	v_add_co_u32_e32 v8, vcc, s18, v0
	v_addc_co_u32_e32 v9, vcc, v1, v9, vcc
	s_waitcnt lgkmcnt(5)
	global_store_dword v[8:9], v7, off
	s_or_b64 exec, exec, s[16:17]
	s_and_saveexec_b64 s[16:17], s[6:7]
	s_cbranch_execz .LBB206_96
.LBB206_114:
	s_mul_i32 s18, s46, 0x300
	s_mov_b32 s19, 0
	s_lshl_b64 s[18:19], s[18:19], 2
	s_waitcnt lgkmcnt(5)
	v_mov_b32_e32 v7, s19
	v_add_co_u32_e32 v8, vcc, s18, v0
	v_addc_co_u32_e32 v9, vcc, v1, v7, vcc
	s_waitcnt lgkmcnt(4)
	global_store_dword v[8:9], v6, off
	s_or_b64 exec, exec, s[16:17]
	s_and_saveexec_b64 s[16:17], s[8:9]
	s_cbranch_execz .LBB206_97
.LBB206_115:
	s_lshl_b32 s18, s46, 10
	s_mov_b32 s19, 0
	s_lshl_b64 s[18:19], s[18:19], 2
	s_waitcnt lgkmcnt(5)
	v_mov_b32_e32 v7, s19
	s_waitcnt lgkmcnt(4)
	v_add_co_u32_e32 v6, vcc, s18, v0
	v_addc_co_u32_e32 v7, vcc, v1, v7, vcc
	s_waitcnt lgkmcnt(3)
	global_store_dword v[6:7], v5, off
	s_or_b64 exec, exec, s[16:17]
	s_and_saveexec_b64 s[16:17], s[10:11]
	s_cbranch_execz .LBB206_98
.LBB206_116:
	s_mul_i32 s18, s46, 0x500
	s_mov_b32 s19, 0
	s_lshl_b64 s[18:19], s[18:19], 2
	s_waitcnt lgkmcnt(3)
	v_mov_b32_e32 v5, s19
	v_add_co_u32_e32 v6, vcc, s18, v0
	v_addc_co_u32_e32 v7, vcc, v1, v5, vcc
	s_waitcnt lgkmcnt(2)
	global_store_dword v[6:7], v4, off
	s_or_b64 exec, exec, s[16:17]
	s_and_saveexec_b64 s[16:17], s[12:13]
	s_cbranch_execz .LBB206_99
.LBB206_117:
	s_mul_i32 s18, s46, 0x600
	s_mov_b32 s19, 0
	s_lshl_b64 s[18:19], s[18:19], 2
	s_waitcnt lgkmcnt(3)
	v_mov_b32_e32 v5, s19
	s_waitcnt lgkmcnt(2)
	v_add_co_u32_e32 v4, vcc, s18, v0
	v_addc_co_u32_e32 v5, vcc, v1, v5, vcc
	s_waitcnt lgkmcnt(1)
	global_store_dword v[4:5], v3, off
	s_or_b64 exec, exec, s[16:17]
	s_and_saveexec_b64 s[16:17], s[14:15]
	s_cbranch_execnz .LBB206_100
	s_branch .LBB206_101
.LBB206_118:
	ds_read_b64 v[16:17], v79
	s_waitcnt lgkmcnt(0)
	global_store_dwordx2 v[2:3], v[16:17], off
	s_or_b64 exec, exec, s[16:17]
	s_and_saveexec_b64 s[0:1], s[2:3]
	s_cbranch_execz .LBB206_103
.LBB206_119:
	s_lshl_b32 s2, s48, 8
	s_mov_b32 s3, 0
	s_lshl_b64 s[2:3], s[2:3], 3
	v_mov_b32_e32 v17, s3
	v_add_co_u32_e32 v16, vcc, s2, v2
	v_addc_co_u32_e32 v17, vcc, v3, v17, vcc
	s_waitcnt lgkmcnt(6)
	global_store_dwordx2 v[16:17], v[14:15], off
	s_or_b64 exec, exec, s[0:1]
	s_and_saveexec_b64 s[0:1], s[4:5]
	s_cbranch_execz .LBB206_104
.LBB206_120:
	s_lshl_b32 s2, s48, 9
	s_mov_b32 s3, 0
	s_lshl_b64 s[2:3], s[2:3], 3
	s_waitcnt lgkmcnt(6)
	v_mov_b32_e32 v15, s3
	v_add_co_u32_e32 v14, vcc, s2, v2
	v_addc_co_u32_e32 v15, vcc, v3, v15, vcc
	s_waitcnt lgkmcnt(5)
	global_store_dwordx2 v[14:15], v[12:13], off
	s_or_b64 exec, exec, s[0:1]
	s_and_saveexec_b64 s[0:1], s[6:7]
	s_cbranch_execz .LBB206_105
.LBB206_121:
	s_mul_i32 s2, s48, 0x300
	s_mov_b32 s3, 0
	s_lshl_b64 s[2:3], s[2:3], 3
	s_waitcnt lgkmcnt(5)
	v_mov_b32_e32 v13, s3
	v_add_co_u32_e32 v12, vcc, s2, v2
	v_addc_co_u32_e32 v13, vcc, v3, v13, vcc
	s_waitcnt lgkmcnt(4)
	global_store_dwordx2 v[12:13], v[10:11], off
	s_or_b64 exec, exec, s[0:1]
	s_and_saveexec_b64 s[0:1], s[8:9]
	s_cbranch_execz .LBB206_106
.LBB206_122:
	s_lshl_b32 s2, s48, 10
	s_mov_b32 s3, 0
	s_lshl_b64 s[2:3], s[2:3], 3
	s_waitcnt lgkmcnt(4)
	v_mov_b32_e32 v11, s3
	v_add_co_u32_e32 v10, vcc, s2, v2
	v_addc_co_u32_e32 v11, vcc, v3, v11, vcc
	s_waitcnt lgkmcnt(3)
	global_store_dwordx2 v[10:11], v[8:9], off
	s_or_b64 exec, exec, s[0:1]
	s_and_saveexec_b64 s[0:1], s[10:11]
	s_cbranch_execz .LBB206_107
.LBB206_123:
	s_mul_i32 s2, s48, 0x500
	s_mov_b32 s3, 0
	s_lshl_b64 s[2:3], s[2:3], 3
	s_waitcnt lgkmcnt(3)
	v_mov_b32_e32 v9, s3
	v_add_co_u32_e32 v8, vcc, s2, v2
	v_addc_co_u32_e32 v9, vcc, v3, v9, vcc
	s_waitcnt lgkmcnt(2)
	global_store_dwordx2 v[8:9], v[6:7], off
	s_or_b64 exec, exec, s[0:1]
	s_and_saveexec_b64 s[0:1], s[12:13]
	s_cbranch_execz .LBB206_108
.LBB206_124:
	s_mul_i32 s2, s48, 0x600
	s_mov_b32 s3, 0
	s_lshl_b64 s[2:3], s[2:3], 3
	s_waitcnt lgkmcnt(2)
	v_mov_b32_e32 v7, s3
	v_add_co_u32_e32 v6, vcc, s2, v2
	v_addc_co_u32_e32 v7, vcc, v3, v7, vcc
	s_waitcnt lgkmcnt(1)
	global_store_dwordx2 v[6:7], v[4:5], off
	s_or_b64 exec, exec, s[0:1]
	s_and_saveexec_b64 s[0:1], s[14:15]
	s_cbranch_execnz .LBB206_109
	s_branch .LBB206_110
	.section	.rodata,"a",@progbits
	.p2align	6, 0x0
	.amdhsa_kernel _ZN2at6native18radixSortKVInPlaceILi2ELin1ELi256ELi8EfljEEvNS_4cuda6detail10TensorInfoIT3_T5_EES6_S6_S6_NS4_IT4_S6_EES6_b
		.amdhsa_group_segment_fixed_size 16896
		.amdhsa_private_segment_fixed_size 0
		.amdhsa_kernarg_size 712
		.amdhsa_user_sgpr_count 6
		.amdhsa_user_sgpr_private_segment_buffer 1
		.amdhsa_user_sgpr_dispatch_ptr 0
		.amdhsa_user_sgpr_queue_ptr 0
		.amdhsa_user_sgpr_kernarg_segment_ptr 1
		.amdhsa_user_sgpr_dispatch_id 0
		.amdhsa_user_sgpr_flat_scratch_init 0
		.amdhsa_user_sgpr_kernarg_preload_length 0
		.amdhsa_user_sgpr_kernarg_preload_offset 0
		.amdhsa_user_sgpr_private_segment_size 0
		.amdhsa_uses_dynamic_stack 0
		.amdhsa_system_sgpr_private_segment_wavefront_offset 0
		.amdhsa_system_sgpr_workgroup_id_x 1
		.amdhsa_system_sgpr_workgroup_id_y 1
		.amdhsa_system_sgpr_workgroup_id_z 1
		.amdhsa_system_sgpr_workgroup_info 0
		.amdhsa_system_vgpr_workitem_id 2
		.amdhsa_next_free_vgpr 118
		.amdhsa_next_free_sgpr 60
		.amdhsa_accum_offset 120
		.amdhsa_reserve_vcc 1
		.amdhsa_reserve_flat_scratch 0
		.amdhsa_float_round_mode_32 0
		.amdhsa_float_round_mode_16_64 0
		.amdhsa_float_denorm_mode_32 3
		.amdhsa_float_denorm_mode_16_64 3
		.amdhsa_dx10_clamp 1
		.amdhsa_ieee_mode 1
		.amdhsa_fp16_overflow 0
		.amdhsa_tg_split 0
		.amdhsa_exception_fp_ieee_invalid_op 0
		.amdhsa_exception_fp_denorm_src 0
		.amdhsa_exception_fp_ieee_div_zero 0
		.amdhsa_exception_fp_ieee_overflow 0
		.amdhsa_exception_fp_ieee_underflow 0
		.amdhsa_exception_fp_ieee_inexact 0
		.amdhsa_exception_int_div_zero 0
	.end_amdhsa_kernel
	.section	.text._ZN2at6native18radixSortKVInPlaceILi2ELin1ELi256ELi8EfljEEvNS_4cuda6detail10TensorInfoIT3_T5_EES6_S6_S6_NS4_IT4_S6_EES6_b,"axG",@progbits,_ZN2at6native18radixSortKVInPlaceILi2ELin1ELi256ELi8EfljEEvNS_4cuda6detail10TensorInfoIT3_T5_EES6_S6_S6_NS4_IT4_S6_EES6_b,comdat
.Lfunc_end206:
	.size	_ZN2at6native18radixSortKVInPlaceILi2ELin1ELi256ELi8EfljEEvNS_4cuda6detail10TensorInfoIT3_T5_EES6_S6_S6_NS4_IT4_S6_EES6_b, .Lfunc_end206-_ZN2at6native18radixSortKVInPlaceILi2ELin1ELi256ELi8EfljEEvNS_4cuda6detail10TensorInfoIT3_T5_EES6_S6_S6_NS4_IT4_S6_EES6_b
                                        ; -- End function
	.section	.AMDGPU.csdata,"",@progbits
; Kernel info:
; codeLenInByte = 13464
; NumSgprs: 64
; NumVgprs: 118
; NumAgprs: 0
; TotalNumVgprs: 118
; ScratchSize: 0
; MemoryBound: 0
; FloatMode: 240
; IeeeMode: 1
; LDSByteSize: 16896 bytes/workgroup (compile time only)
; SGPRBlocks: 7
; VGPRBlocks: 14
; NumSGPRsForWavesPerEU: 64
; NumVGPRsForWavesPerEU: 118
; AccumOffset: 120
; Occupancy: 3
; WaveLimiterHint : 1
; COMPUTE_PGM_RSRC2:SCRATCH_EN: 0
; COMPUTE_PGM_RSRC2:USER_SGPR: 6
; COMPUTE_PGM_RSRC2:TRAP_HANDLER: 0
; COMPUTE_PGM_RSRC2:TGID_X_EN: 1
; COMPUTE_PGM_RSRC2:TGID_Y_EN: 1
; COMPUTE_PGM_RSRC2:TGID_Z_EN: 1
; COMPUTE_PGM_RSRC2:TIDIG_COMP_CNT: 2
; COMPUTE_PGM_RSRC3_GFX90A:ACCUM_OFFSET: 29
; COMPUTE_PGM_RSRC3_GFX90A:TG_SPLIT: 0
	.section	.text._ZN2at6native18radixSortKVInPlaceILi2ELin1ELi128ELi8EfljEEvNS_4cuda6detail10TensorInfoIT3_T5_EES6_S6_S6_NS4_IT4_S6_EES6_b,"axG",@progbits,_ZN2at6native18radixSortKVInPlaceILi2ELin1ELi128ELi8EfljEEvNS_4cuda6detail10TensorInfoIT3_T5_EES6_S6_S6_NS4_IT4_S6_EES6_b,comdat
	.protected	_ZN2at6native18radixSortKVInPlaceILi2ELin1ELi128ELi8EfljEEvNS_4cuda6detail10TensorInfoIT3_T5_EES6_S6_S6_NS4_IT4_S6_EES6_b ; -- Begin function _ZN2at6native18radixSortKVInPlaceILi2ELin1ELi128ELi8EfljEEvNS_4cuda6detail10TensorInfoIT3_T5_EES6_S6_S6_NS4_IT4_S6_EES6_b
	.globl	_ZN2at6native18radixSortKVInPlaceILi2ELin1ELi128ELi8EfljEEvNS_4cuda6detail10TensorInfoIT3_T5_EES6_S6_S6_NS4_IT4_S6_EES6_b
	.p2align	8
	.type	_ZN2at6native18radixSortKVInPlaceILi2ELin1ELi128ELi8EfljEEvNS_4cuda6detail10TensorInfoIT3_T5_EES6_S6_S6_NS4_IT4_S6_EES6_b,@function
_ZN2at6native18radixSortKVInPlaceILi2ELin1ELi128ELi8EfljEEvNS_4cuda6detail10TensorInfoIT3_T5_EES6_S6_S6_NS4_IT4_S6_EES6_b: ; @_ZN2at6native18radixSortKVInPlaceILi2ELin1ELi128ELi8EfljEEvNS_4cuda6detail10TensorInfoIT3_T5_EES6_S6_S6_NS4_IT4_S6_EES6_b
; %bb.0:
	s_load_dwordx2 s[0:1], s[4:5], 0x1c8
	s_load_dwordx4 s[44:47], s[4:5], 0xd8
	s_add_u32 s50, s4, 0x1c8
	s_addc_u32 s51, s5, 0
	s_waitcnt lgkmcnt(0)
	s_mul_i32 s1, s1, s8
	s_add_i32 s1, s1, s7
	s_mul_i32 s8, s1, s0
	s_add_i32 s8, s8, s6
	s_cmp_ge_u32 s8, s44
	s_cbranch_scc1 .LBB207_110
; %bb.1:
	s_load_dword s9, s[4:5], 0xc
	s_load_dwordx2 s[0:1], s[4:5], 0x6c
	s_load_dword s6, s[4:5], 0x1b8
	s_add_u32 s14, s4, 0xe8
	s_load_dwordx2 s[2:3], s[4:5], 0x0
	s_waitcnt lgkmcnt(0)
	v_cvt_f32_u32_e32 v1, s9
	s_addc_u32 s15, s5, 0
	s_sub_i32 s7, 0, s9
	s_mov_b32 s17, 0
	v_rcp_iflag_f32_e32 v1, v1
	s_mov_b32 s16, s8
	v_mul_f32_e32 v1, 0x4f7ffffe, v1
	v_cvt_u32_f32_e32 v1, v1
	v_readfirstlane_b32 s10, v1
	s_mul_i32 s7, s7, s10
	s_mul_hi_u32 s7, s10, s7
	s_add_i32 s10, s10, s7
	s_mul_hi_u32 s10, s8, s10
	s_cmp_lt_i32 s6, 2
	s_cbranch_scc1 .LBB207_4
; %bb.2:
	s_add_i32 s16, s6, -1
	s_add_i32 s11, s6, 1
	s_lshl_b64 s[6:7], s[16:17], 2
	s_add_u32 s6, s6, s14
	s_addc_u32 s7, s7, s15
	s_add_u32 s6, s6, 8
	s_addc_u32 s7, s7, 0
	s_mov_b32 s16, s8
.LBB207_3:                              ; =>This Inner Loop Header: Depth=1
	s_load_dword s12, s[6:7], 0x0
	s_load_dword s18, s[6:7], 0x64
	s_mov_b32 s13, s16
	s_waitcnt lgkmcnt(0)
	v_cvt_f32_u32_e32 v1, s12
	s_sub_i32 s16, 0, s12
	v_rcp_iflag_f32_e32 v1, v1
	v_mul_f32_e32 v1, 0x4f7ffffe, v1
	v_cvt_u32_f32_e32 v1, v1
	v_readfirstlane_b32 s19, v1
	s_mul_i32 s16, s16, s19
	s_mul_hi_u32 s16, s19, s16
	s_add_i32 s19, s19, s16
	s_mul_hi_u32 s16, s13, s19
	s_mul_i32 s19, s16, s12
	s_sub_i32 s19, s13, s19
	s_add_i32 s20, s16, 1
	s_sub_i32 s21, s19, s12
	s_cmp_ge_u32 s19, s12
	s_cselect_b32 s16, s20, s16
	s_cselect_b32 s19, s21, s19
	s_add_i32 s20, s16, 1
	s_cmp_ge_u32 s19, s12
	s_cselect_b32 s16, s20, s16
	s_mul_i32 s12, s16, s12
	s_sub_i32 s12, s13, s12
	s_mul_i32 s12, s18, s12
	s_add_i32 s11, s11, -1
	s_add_i32 s17, s12, s17
	s_add_u32 s6, s6, -4
	s_addc_u32 s7, s7, -1
	s_cmp_gt_u32 s11, 2
	s_cbranch_scc1 .LBB207_3
.LBB207_4:
	s_mul_i32 s6, s10, s9
	s_sub_i32 s6, s8, s6
	s_add_i32 s7, s10, 1
	s_sub_i32 s11, s6, s9
	s_cmp_ge_u32 s6, s9
	s_cselect_b32 s7, s7, s10
	s_cselect_b32 s6, s11, s6
	s_add_i32 s10, s7, 1
	s_cmp_ge_u32 s6, s9
	s_cselect_b32 s6, s10, s7
	s_load_dwordx2 s[48:49], s[4:5], 0x1c0
	s_mul_i32 s7, s6, s9
	s_sub_i32 s4, s8, s7
	s_mul_i32 s4, s4, s1
	s_mul_i32 s0, s6, s0
	s_add_i32 s0, s0, s4
	s_waitcnt lgkmcnt(0)
	s_bitcmp1_b32 s49, 0
	s_mov_b32 s1, 0
	v_bfrev_b32_e32 v1, -2
	s_cselect_b64 s[34:35], -1, 0
	s_lshl_b64 s[0:1], s[0:1], 2
	s_add_u32 s33, s2, s0
	v_cndmask_b32_e64 v1, v1, -1, s[34:35]
	v_and_b32_e32 v38, 0x3ff, v0
	s_addc_u32 s44, s3, s1
	v_mov_b32_e32 v2, v1
	v_mov_b32_e32 v3, v1
	;; [unrolled: 1-line block ×6, first 2 shown]
	v_cmp_gt_u32_e64 s[0:1], s45, v38
	v_mul_lo_u32 v34, v38, s46
	v_mov_b32_e32 v8, v1
	s_and_saveexec_b64 s[2:3], s[0:1]
	s_cbranch_execz .LBB207_6
; %bb.5:
	v_mov_b32_e32 v35, 0
	v_lshlrev_b64 v[8:9], 2, v[34:35]
	v_mov_b32_e32 v10, s44
	v_add_co_u32_e32 v8, vcc, s33, v8
	v_addc_co_u32_e32 v9, vcc, v10, v9, vcc
	global_load_dword v8, v[8:9], off
.LBB207_6:
	s_or_b64 exec, exec, s[2:3]
	v_add_u32_e32 v30, 0x80, v38
	v_cmp_gt_u32_e64 s[2:3], s45, v30
	s_and_saveexec_b64 s[4:5], s[2:3]
	s_cbranch_execz .LBB207_8
; %bb.7:
	v_mul_lo_u32 v10, v30, s46
	v_mov_b32_e32 v11, 0
	v_lshlrev_b64 v[10:11], 2, v[10:11]
	v_mov_b32_e32 v1, s44
	v_add_co_u32_e32 v10, vcc, s33, v10
	v_addc_co_u32_e32 v11, vcc, v1, v11, vcc
	global_load_dword v1, v[10:11], off
.LBB207_8:
	s_or_b64 exec, exec, s[4:5]
	v_add_u32_e32 v28, 0x100, v38
	v_cmp_gt_u32_e64 s[4:5], s45, v28
	s_and_saveexec_b64 s[6:7], s[4:5]
	s_cbranch_execz .LBB207_10
; %bb.9:
	v_mul_lo_u32 v10, v28, s46
	v_mov_b32_e32 v11, 0
	v_lshlrev_b64 v[10:11], 2, v[10:11]
	v_mov_b32_e32 v2, s44
	v_add_co_u32_e32 v10, vcc, s33, v10
	v_addc_co_u32_e32 v11, vcc, v2, v11, vcc
	global_load_dword v2, v[10:11], off
.LBB207_10:
	;; [unrolled: 14-line block ×5, first 2 shown]
	s_or_b64 exec, exec, s[12:13]
	s_load_dwordx2 s[18:19], s[14:15], 0x0
	v_add_u32_e32 v19, 0x300, v38
	v_cmp_gt_u32_e64 s[12:13], s45, v19
	s_and_saveexec_b64 s[20:21], s[12:13]
	s_cbranch_execz .LBB207_18
; %bb.17:
	v_mul_lo_u32 v10, v19, s46
	v_mov_b32_e32 v11, 0
	v_lshlrev_b64 v[10:11], 2, v[10:11]
	v_mov_b32_e32 v6, s44
	v_add_co_u32_e32 v10, vcc, s33, v10
	v_addc_co_u32_e32 v11, vcc, v6, v11, vcc
	global_load_dword v6, v[10:11], off
.LBB207_18:
	s_or_b64 exec, exec, s[20:21]
	s_load_dword s22, s[14:15], 0x6c
	v_add_u32_e32 v18, 0x380, v38
	v_cmp_gt_u32_e64 s[14:15], s45, v18
	s_and_saveexec_b64 s[20:21], s[14:15]
	s_cbranch_execz .LBB207_20
; %bb.19:
	v_mul_lo_u32 v10, v18, s46
	v_mov_b32_e32 v11, 0
	v_lshlrev_b64 v[10:11], 2, v[10:11]
	v_mov_b32_e32 v7, s44
	v_add_co_u32_e32 v10, vcc, s33, v10
	v_addc_co_u32_e32 v11, vcc, v7, v11, vcc
	global_load_dword v7, v[10:11], off
.LBB207_20:
	s_or_b64 exec, exec, s[20:21]
	v_lshrrev_b32_e32 v9, 5, v38
	v_add_u32_e32 v32, v9, v38
	v_lshlrev_b32_e32 v39, 2, v32
	s_waitcnt vmcnt(0)
	ds_write_b32 v39, v8
	v_lshrrev_b32_e32 v8, 5, v30
	v_add_u32_e32 v31, v8, v38
	v_lshlrev_b32_e32 v35, 2, v31
	ds_write_b32 v35, v1 offset:512
	v_lshrrev_b32_e32 v1, 5, v28
	v_add_u32_e32 v29, v1, v38
	v_lshrrev_b32_e32 v1, 5, v26
	v_add_u32_e32 v27, v1, v38
	;; [unrolled: 2-line block ×3, first 2 shown]
	v_lshrrev_b32_e32 v1, 5, v21
	v_lshlrev_b32_e32 v72, 2, v29
	v_add_u32_e32 v23, v1, v38
	v_lshrrev_b32_e32 v1, 5, v19
	ds_write_b32 v72, v2 offset:1024
	v_add_u32_e32 v20, v1, v38
	v_lshrrev_b32_e32 v1, 5, v18
	v_lshlrev_b32_e32 v87, 3, v38
	v_lshrrev_b32_e32 v2, 2, v38
	v_add_u32_e32 v1, v1, v38
	v_add_u32_e32 v22, v2, v87
	v_lshlrev_b32_e32 v73, 2, v27
	v_lshlrev_b32_e32 v74, 2, v25
	;; [unrolled: 1-line block ×6, first 2 shown]
	ds_write_b32 v73, v3 offset:1536
	ds_write_b32 v74, v4 offset:2048
	;; [unrolled: 1-line block ×5, first 2 shown]
	s_waitcnt lgkmcnt(0)
	s_barrier
	ds_read2_b32 v[46:47], v78 offset1:1
	ds_read2_b32 v[44:45], v78 offset0:2 offset1:3
	ds_read2_b32 v[42:43], v78 offset0:4 offset1:5
	;; [unrolled: 1-line block ×3, first 2 shown]
	s_mul_i32 s16, s22, s16
	s_add_i32 s16, s16, s17
	s_mov_b32 s17, 0
	s_lshl_b64 s[20:21], s[16:17], 3
	s_add_u32 s45, s18, s20
	s_mov_b32 s16, s17
	s_addc_u32 s47, s19, s21
	s_mov_b32 s18, s17
	s_mov_b32 s19, s17
	;; [unrolled: 1-line block ×14, first 2 shown]
	v_pk_mov_b32 v[2:3], s[16:17], s[16:17] op_sel:[0,1]
	v_pk_mov_b32 v[4:5], s[18:19], s[18:19] op_sel:[0,1]
	;; [unrolled: 1-line block ×8, first 2 shown]
	v_pk_mov_b32 v[2:3], 0, 0
	v_mul_lo_u32 v36, v38, s48
	s_waitcnt lgkmcnt(0)
	s_barrier
	s_and_saveexec_b64 s[16:17], s[0:1]
	s_cbranch_execnz .LBB207_57
; %bb.21:
	s_or_b64 exec, exec, s[16:17]
	s_and_saveexec_b64 s[16:17], s[2:3]
	s_cbranch_execnz .LBB207_58
.LBB207_22:
	s_or_b64 exec, exec, s[16:17]
	s_and_saveexec_b64 s[16:17], s[4:5]
	s_cbranch_execnz .LBB207_59
.LBB207_23:
	s_or_b64 exec, exec, s[16:17]
	s_and_saveexec_b64 s[16:17], s[6:7]
	s_cbranch_execnz .LBB207_60
.LBB207_24:
	s_or_b64 exec, exec, s[16:17]
	s_and_saveexec_b64 s[16:17], s[8:9]
	s_cbranch_execnz .LBB207_61
.LBB207_25:
	s_or_b64 exec, exec, s[16:17]
	s_and_saveexec_b64 s[16:17], s[10:11]
	s_cbranch_execnz .LBB207_62
.LBB207_26:
	s_or_b64 exec, exec, s[16:17]
	s_and_saveexec_b64 s[16:17], s[12:13]
	s_cbranch_execnz .LBB207_63
.LBB207_27:
	s_or_b64 exec, exec, s[16:17]
	s_xor_b64 s[16:17], s[34:35], -1
	s_and_saveexec_b64 s[18:19], s[14:15]
	s_cbranch_execz .LBB207_29
.LBB207_28:
	v_mul_lo_u32 v16, v18, s48
	v_mov_b32_e32 v17, 0
	v_lshlrev_b64 v[16:17], 3, v[16:17]
	v_mov_b32_e32 v18, s47
	v_add_co_u32_e32 v16, vcc, s45, v16
	v_addc_co_u32_e32 v17, vcc, v18, v17, vcc
	global_load_dwordx2 v[16:17], v[16:17], off
.LBB207_29:
	s_or_b64 exec, exec, s[18:19]
	v_lshlrev_b32_e32 v79, 3, v32
	v_lshlrev_b32_e32 v37, 3, v31
	;; [unrolled: 1-line block ×9, first 2 shown]
	s_waitcnt vmcnt(0)
	ds_write_b64 v79, v[2:3]
	ds_write_b64 v37, v[4:5] offset:1024
	ds_write_b64 v80, v[6:7] offset:2048
	;; [unrolled: 1-line block ×7, first 2 shown]
	s_waitcnt lgkmcnt(0)
	s_barrier
	ds_read2_b64 v[14:17], v86 offset1:1
	ds_read2_b64 v[10:13], v86 offset0:2 offset1:3
	ds_read2_b64 v[6:9], v86 offset0:4 offset1:5
	ds_read2_b64 v[2:5], v86 offset0:6 offset1:7
	s_and_b64 vcc, exec, s[16:17]
	v_bfe_u32 v91, v0, 10, 10
	v_bfe_u32 v92, v0, 20, 10
	v_mbcnt_lo_u32_b32 v93, -1, 0
	v_lshlrev_b32_e32 v88, 2, v38
	v_lshlrev_b32_e32 v89, 4, v38
	v_cmp_gt_u32_e64 s[16:17], 2, v38
	v_cmp_lt_u32_e64 s[18:19], 63, v38
	v_cmp_eq_u32_e64 s[20:21], 0, v38
	v_lshrrev_b32_e32 v90, 4, v38
	s_waitcnt lgkmcnt(0)
	s_barrier
	s_cbranch_vccz .LBB207_64
; %bb.30:
	v_bfrev_b32_e32 v94, 1
	v_cmp_lt_i32_e32 vcc, -1, v46
	v_mbcnt_hi_u32_b32 v48, -1, v93
	v_and_b32_e32 v49, 0x3c0, v38
	v_cndmask_b32_e32 v18, -1, v94, vcc
	v_cmp_lt_i32_e32 vcc, -1, v47
	v_add_u32_e32 v0, v48, v49
	v_cndmask_b32_e32 v19, -1, v94, vcc
	v_lshlrev_b32_e32 v1, 5, v0
	v_xor_b32_e32 v19, v19, v47
	v_xor_b32_e32 v18, v18, v46
	v_cmp_lt_i32_e32 vcc, -1, v44
	ds_write2_b32 v1, v18, v19 offset1:1
	v_cndmask_b32_e32 v18, -1, v94, vcc
	v_cmp_lt_i32_e32 vcc, -1, v45
	v_cndmask_b32_e32 v19, -1, v94, vcc
	v_xor_b32_e32 v19, v19, v45
	v_xor_b32_e32 v18, v18, v44
	v_cmp_lt_i32_e32 vcc, -1, v42
	ds_write2_b32 v1, v18, v19 offset0:2 offset1:3
	v_cndmask_b32_e32 v18, -1, v94, vcc
	v_cmp_lt_i32_e32 vcc, -1, v43
	v_cndmask_b32_e32 v19, -1, v94, vcc
	v_xor_b32_e32 v19, v19, v43
	v_xor_b32_e32 v18, v18, v42
	v_cmp_lt_i32_e32 vcc, -1, v40
	ds_write2_b32 v1, v18, v19 offset0:4 offset1:5
	v_cndmask_b32_e32 v18, -1, v94, vcc
	v_cmp_lt_i32_e32 vcc, -1, v41
	v_cndmask_b32_e32 v19, -1, v94, vcc
	v_xor_b32_e32 v19, v19, v41
	v_xor_b32_e32 v18, v18, v40
	v_and_b32_e32 v50, 0x1e00, v87
	ds_write2_b32 v1, v18, v19 offset0:6 offset1:7
	v_or_b32_e32 v1, v48, v50
	v_lshlrev_b32_e32 v18, 2, v1
	v_lshlrev_b32_e32 v0, 6, v0
	; wave barrier
	ds_read2st64_b32 v[64:65], v18 offset1:1
	ds_read2st64_b32 v[66:67], v18 offset0:2 offset1:3
	ds_read2st64_b32 v[68:69], v18 offset0:4 offset1:5
	;; [unrolled: 1-line block ×3, first 2 shown]
	s_waitcnt lgkmcnt(0)
	s_barrier
	ds_write2_b64 v0, v[14:15], v[16:17] offset1:1
	ds_write2_b64 v0, v[10:11], v[12:13] offset0:2 offset1:3
	ds_write2_b64 v0, v[6:7], v[8:9] offset0:4 offset1:5
	;; [unrolled: 1-line block ×3, first 2 shown]
	v_lshlrev_b32_e32 v0, 3, v1
	; wave barrier
	ds_read2st64_b64 v[18:21], v0 offset1:1
	ds_read2st64_b64 v[22:25], v0 offset0:2 offset1:3
	ds_read2st64_b64 v[26:29], v0 offset0:4 offset1:5
	;; [unrolled: 1-line block ×3, first 2 shown]
	s_waitcnt lgkmcnt(0)
	s_barrier
	s_load_dword s24, s[50:51], 0xc
	s_getpc_b64 s[22:23]
	s_add_u32 s22, s22, _ZN7rocprim17ROCPRIM_400000_NS16block_radix_sortIfLj128ELj8ElLj1ELj1ELj0ELNS0_26block_radix_rank_algorithmE1ELNS0_18block_padding_hintE2ELNS0_4arch9wavefront6targetE1EE19radix_bits_per_passE@rel32@lo+4
	s_addc_u32 s23, s23, _ZN7rocprim17ROCPRIM_400000_NS16block_radix_sortIfLj128ELj8ElLj1ELj1ELj0ELNS0_26block_radix_rank_algorithmE1ELNS0_18block_padding_hintE2ELNS0_4arch9wavefront6targetE1EE19radix_bits_per_passE@rel32@hi+12
	s_load_dword s49, s[22:23], 0x0
	v_and_b32_e32 v98, 60, v90
	s_mov_b32 s52, 0
	s_waitcnt lgkmcnt(0)
	s_lshr_b32 s22, s24, 16
	s_and_b32 s23, s24, 0xffff
	v_mad_u32_u24 v0, v92, s22, v91
	v_mad_u64_u32 v[0:1], s[22:23], v0, s23, v[38:39]
	v_lshrrev_b32_e32 v96, 6, v0
	v_and_b32_e32 v0, 15, v48
	v_cmp_eq_u32_e64 s[22:23], 0, v0
	v_cmp_lt_u32_e64 s[24:25], 1, v0
	v_cmp_lt_u32_e64 s[26:27], 3, v0
	;; [unrolled: 1-line block ×3, first 2 shown]
	v_and_b32_e32 v0, 16, v48
	v_cmp_eq_u32_e64 s[30:31], 0, v0
	v_min_u32_e32 v0, 64, v49
	v_or_b32_e32 v0, 63, v0
	v_cmp_eq_u32_e64 s[36:37], v0, v38
	v_add_u32_e32 v0, -1, v48
	v_and_b32_e32 v1, 64, v48
	v_cmp_lt_i32_e32 vcc, v0, v1
	v_cndmask_b32_e32 v0, v0, v48, vcc
	v_lshlrev_b32_e32 v97, 2, v0
	v_and_b32_e32 v0, 1, v48
	v_cmp_eq_u32_e64 s[40:41], 0, v0
	v_and_or_b32 v0, v48, 63, v50
	v_or_b32_e32 v95, 8, v89
	v_cmp_lt_u32_e64 s[34:35], 31, v48
	v_cmp_eq_u32_e64 s[38:39], 0, v48
	v_add_u32_e32 v99, -4, v98
	v_lshlrev_b32_e32 v100, 2, v0
	v_lshlrev_b32_e32 v101, 3, v0
	s_mov_b32 s54, 32
	s_brev_b32 s53, -2
	v_mov_b32_e32 v62, 0
	s_branch .LBB207_32
.LBB207_31:                             ;   in Loop: Header=BB207_32 Depth=1
	v_lshlrev_b32_e32 v18, 2, v63
	s_barrier
	ds_write_b32 v18, v109
	v_lshlrev_b32_e32 v18, 2, v111
	ds_write_b32 v18, v108
	v_lshlrev_b32_e32 v18, 2, v112
	;; [unrolled: 2-line block ×8, first 2 shown]
	s_waitcnt lgkmcnt(0)
	s_barrier
	ds_read2st64_b32 v[64:65], v100 offset1:1
	ds_read2st64_b32 v[66:67], v100 offset0:2 offset1:3
	ds_read2st64_b32 v[68:69], v100 offset0:4 offset1:5
	;; [unrolled: 1-line block ×3, first 2 shown]
	s_waitcnt lgkmcnt(0)
	s_barrier
	ds_write_b64 v18, v[60:61]
	v_lshlrev_b32_e32 v18, 3, v111
	ds_write_b64 v18, v[58:59]
	v_lshlrev_b32_e32 v18, 3, v112
	;; [unrolled: 2-line block ×7, first 2 shown]
	ds_write_b64 v18, v[0:1]
	s_waitcnt lgkmcnt(0)
	s_barrier
	ds_read2st64_b64 v[18:21], v101 offset1:1
	ds_read2st64_b64 v[22:25], v101 offset0:2 offset1:3
	ds_read2st64_b64 v[26:29], v101 offset0:4 offset1:5
	;; [unrolled: 1-line block ×3, first 2 shown]
	s_add_i32 s52, s52, 8
	s_add_i32 s54, s54, -8
	s_waitcnt lgkmcnt(0)
	s_barrier
	s_cbranch_execz .LBB207_56
.LBB207_32:                             ; =>This Inner Loop Header: Depth=1
	v_mov_b32_e32 v109, v64
	s_min_u32 s42, s49, s54
	v_cmp_ne_u32_e32 vcc, s53, v109
	v_pk_mov_b32 v[60:61], v[18:19], v[18:19] op_sel:[0,1]
	s_lshl_b32 s42, -1, s42
	v_cndmask_b32_e32 v18, v94, v109, vcc
	s_not_b32 s55, s42
	v_lshrrev_b32_e32 v18, s52, v18
	v_and_b32_e32 v18, s55, v18
	v_lshl_add_u32 v19, v18, 1, v96
	v_pk_mov_b32 v[56:57], v[22:23], v[22:23] op_sel:[0,1]
	v_lshl_add_u32 v22, v19, 2, 8
	v_and_b32_e32 v19, 1, v18
	v_pk_mov_b32 v[58:59], v[20:21], v[20:21] op_sel:[0,1]
	v_add_co_u32_e32 v20, vcc, -1, v19
	v_addc_co_u32_e64 v21, s[42:43], 0, -1, vcc
	v_cmp_ne_u32_e32 vcc, 0, v19
	v_lshlrev_b32_e32 v63, 30, v18
	v_xor_b32_e32 v19, vcc_hi, v21
	v_not_b32_e32 v21, v63
	v_xor_b32_e32 v20, vcc_lo, v20
	v_cmp_gt_i64_e32 vcc, 0, v[62:63]
	v_ashrrev_i32_e32 v21, 31, v21
	v_and_b32_e32 v20, exec_lo, v20
	v_xor_b32_e32 v23, vcc_hi, v21
	v_xor_b32_e32 v21, vcc_lo, v21
	v_lshlrev_b32_e32 v63, 29, v18
	v_and_b32_e32 v20, v20, v21
	v_not_b32_e32 v21, v63
	v_and_b32_e32 v19, exec_hi, v19
	v_cmp_gt_i64_e32 vcc, 0, v[62:63]
	v_ashrrev_i32_e32 v21, 31, v21
	v_and_b32_e32 v19, v19, v23
	v_xor_b32_e32 v23, vcc_hi, v21
	v_xor_b32_e32 v21, vcc_lo, v21
	v_lshlrev_b32_e32 v63, 28, v18
	v_and_b32_e32 v20, v20, v21
	v_not_b32_e32 v21, v63
	v_cmp_gt_i64_e32 vcc, 0, v[62:63]
	v_ashrrev_i32_e32 v21, 31, v21
	v_and_b32_e32 v19, v19, v23
	v_xor_b32_e32 v23, vcc_hi, v21
	v_xor_b32_e32 v21, vcc_lo, v21
	v_lshlrev_b32_e32 v63, 27, v18
	v_and_b32_e32 v20, v20, v21
	v_not_b32_e32 v21, v63
	;; [unrolled: 8-line block ×3, first 2 shown]
	v_cmp_gt_i64_e32 vcc, 0, v[62:63]
	v_ashrrev_i32_e32 v21, 31, v21
	v_and_b32_e32 v19, v19, v23
	v_xor_b32_e32 v23, vcc_hi, v21
	v_xor_b32_e32 v21, vcc_lo, v21
	v_lshlrev_b32_e32 v63, 25, v18
	v_and_b32_e32 v20, v20, v21
	v_cmp_gt_i64_e32 vcc, 0, v[62:63]
	v_not_b32_e32 v21, v63
	v_lshlrev_b32_e32 v63, 24, v18
	v_ashrrev_i32_e32 v21, 31, v21
	v_not_b32_e32 v18, v63
	v_and_b32_e32 v19, v19, v23
	v_xor_b32_e32 v23, vcc_hi, v21
	v_xor_b32_e32 v21, vcc_lo, v21
	v_cmp_gt_i64_e32 vcc, 0, v[62:63]
	v_ashrrev_i32_e32 v18, 31, v18
	v_and_b32_e32 v20, v20, v21
	v_xor_b32_e32 v21, vcc_hi, v18
	v_xor_b32_e32 v18, vcc_lo, v18
	v_and_b32_e32 v19, v19, v23
	v_and_b32_e32 v18, v20, v18
	;; [unrolled: 1-line block ×3, first 2 shown]
	v_mbcnt_lo_u32_b32 v20, v18, 0
	v_mbcnt_hi_u32_b32 v23, v19, v20
	v_cmp_eq_u32_e32 vcc, 0, v23
	v_cmp_ne_u64_e64 s[42:43], 0, v[18:19]
	v_mov_b32_e32 v102, v71
	v_mov_b32_e32 v103, v70
	;; [unrolled: 1-line block ×7, first 2 shown]
	v_pk_mov_b32 v[0:1], v[32:33], v[32:33] op_sel:[0,1]
	v_pk_mov_b32 v[48:49], v[30:31], v[30:31] op_sel:[0,1]
	;; [unrolled: 1-line block ×5, first 2 shown]
	s_and_b64 s[56:57], s[42:43], vcc
	ds_write2_b32 v89, v62, v62 offset0:2 offset1:3
	ds_write2_b32 v95, v62, v62 offset0:2 offset1:3
	s_waitcnt lgkmcnt(0)
	s_barrier
	s_waitcnt lgkmcnt(0)
	; wave barrier
	s_and_saveexec_b64 s[42:43], s[56:57]
	s_cbranch_execz .LBB207_34
; %bb.33:                               ;   in Loop: Header=BB207_32 Depth=1
	v_bcnt_u32_b32 v18, v18, 0
	v_bcnt_u32_b32 v18, v19, v18
	ds_write_b32 v22, v18
.LBB207_34:                             ;   in Loop: Header=BB207_32 Depth=1
	s_or_b64 exec, exec, s[42:43]
	v_cmp_ne_u32_e32 vcc, s53, v108
	v_cndmask_b32_e32 v18, v94, v108, vcc
	v_lshrrev_b32_e32 v18, s52, v18
	v_and_b32_e32 v18, s55, v18
	v_lshlrev_b32_e32 v19, 1, v18
	v_add_lshl_u32 v19, v19, v96, 2
	; wave barrier
	v_add_u32_e32 v25, 8, v19
	ds_read_b32 v24, v19 offset:8
	v_and_b32_e32 v19, 1, v18
	v_add_co_u32_e32 v20, vcc, -1, v19
	v_addc_co_u32_e64 v21, s[42:43], 0, -1, vcc
	v_cmp_ne_u32_e32 vcc, 0, v19
	v_lshlrev_b32_e32 v63, 30, v18
	v_xor_b32_e32 v19, vcc_hi, v21
	v_not_b32_e32 v21, v63
	v_xor_b32_e32 v20, vcc_lo, v20
	v_cmp_gt_i64_e32 vcc, 0, v[62:63]
	v_ashrrev_i32_e32 v21, 31, v21
	v_and_b32_e32 v20, exec_lo, v20
	v_xor_b32_e32 v26, vcc_hi, v21
	v_xor_b32_e32 v21, vcc_lo, v21
	v_lshlrev_b32_e32 v63, 29, v18
	v_and_b32_e32 v20, v20, v21
	v_not_b32_e32 v21, v63
	v_and_b32_e32 v19, exec_hi, v19
	v_cmp_gt_i64_e32 vcc, 0, v[62:63]
	v_ashrrev_i32_e32 v21, 31, v21
	v_and_b32_e32 v19, v19, v26
	v_xor_b32_e32 v26, vcc_hi, v21
	v_xor_b32_e32 v21, vcc_lo, v21
	v_lshlrev_b32_e32 v63, 28, v18
	v_and_b32_e32 v20, v20, v21
	v_not_b32_e32 v21, v63
	v_cmp_gt_i64_e32 vcc, 0, v[62:63]
	v_ashrrev_i32_e32 v21, 31, v21
	v_and_b32_e32 v19, v19, v26
	v_xor_b32_e32 v26, vcc_hi, v21
	v_xor_b32_e32 v21, vcc_lo, v21
	v_lshlrev_b32_e32 v63, 27, v18
	v_and_b32_e32 v20, v20, v21
	v_not_b32_e32 v21, v63
	;; [unrolled: 8-line block ×3, first 2 shown]
	v_cmp_gt_i64_e32 vcc, 0, v[62:63]
	v_ashrrev_i32_e32 v21, 31, v21
	v_and_b32_e32 v19, v19, v26
	v_xor_b32_e32 v26, vcc_hi, v21
	v_xor_b32_e32 v21, vcc_lo, v21
	v_lshlrev_b32_e32 v63, 25, v18
	v_and_b32_e32 v20, v20, v21
	v_cmp_gt_i64_e32 vcc, 0, v[62:63]
	v_not_b32_e32 v21, v63
	v_lshlrev_b32_e32 v63, 24, v18
	v_ashrrev_i32_e32 v21, 31, v21
	v_not_b32_e32 v18, v63
	v_and_b32_e32 v19, v19, v26
	v_xor_b32_e32 v26, vcc_hi, v21
	v_xor_b32_e32 v21, vcc_lo, v21
	v_cmp_gt_i64_e32 vcc, 0, v[62:63]
	v_ashrrev_i32_e32 v18, 31, v18
	v_and_b32_e32 v20, v20, v21
	v_xor_b32_e32 v21, vcc_hi, v18
	v_xor_b32_e32 v18, vcc_lo, v18
	v_and_b32_e32 v19, v19, v26
	v_and_b32_e32 v18, v20, v18
	;; [unrolled: 1-line block ×3, first 2 shown]
	v_mbcnt_lo_u32_b32 v20, v18, 0
	v_mbcnt_hi_u32_b32 v26, v19, v20
	v_cmp_eq_u32_e32 vcc, 0, v26
	v_cmp_ne_u64_e64 s[42:43], 0, v[18:19]
	s_and_b64 s[56:57], s[42:43], vcc
	; wave barrier
	s_and_saveexec_b64 s[42:43], s[56:57]
	s_cbranch_execz .LBB207_36
; %bb.35:                               ;   in Loop: Header=BB207_32 Depth=1
	v_bcnt_u32_b32 v18, v18, 0
	v_bcnt_u32_b32 v18, v19, v18
	s_waitcnt lgkmcnt(0)
	v_add_u32_e32 v18, v24, v18
	ds_write_b32 v25, v18
.LBB207_36:                             ;   in Loop: Header=BB207_32 Depth=1
	s_or_b64 exec, exec, s[42:43]
	v_cmp_ne_u32_e32 vcc, s53, v107
	v_cndmask_b32_e32 v18, v94, v107, vcc
	v_lshrrev_b32_e32 v18, s52, v18
	v_and_b32_e32 v18, s55, v18
	v_lshlrev_b32_e32 v19, 1, v18
	v_add_lshl_u32 v19, v19, v96, 2
	; wave barrier
	v_add_u32_e32 v28, 8, v19
	ds_read_b32 v27, v19 offset:8
	v_and_b32_e32 v19, 1, v18
	v_add_co_u32_e32 v20, vcc, -1, v19
	v_addc_co_u32_e64 v21, s[42:43], 0, -1, vcc
	v_cmp_ne_u32_e32 vcc, 0, v19
	v_lshlrev_b32_e32 v63, 30, v18
	v_xor_b32_e32 v19, vcc_hi, v21
	v_not_b32_e32 v21, v63
	v_xor_b32_e32 v20, vcc_lo, v20
	v_cmp_gt_i64_e32 vcc, 0, v[62:63]
	v_ashrrev_i32_e32 v21, 31, v21
	v_and_b32_e32 v20, exec_lo, v20
	v_xor_b32_e32 v29, vcc_hi, v21
	v_xor_b32_e32 v21, vcc_lo, v21
	v_lshlrev_b32_e32 v63, 29, v18
	v_and_b32_e32 v20, v20, v21
	v_not_b32_e32 v21, v63
	v_and_b32_e32 v19, exec_hi, v19
	v_cmp_gt_i64_e32 vcc, 0, v[62:63]
	v_ashrrev_i32_e32 v21, 31, v21
	v_and_b32_e32 v19, v19, v29
	v_xor_b32_e32 v29, vcc_hi, v21
	v_xor_b32_e32 v21, vcc_lo, v21
	v_lshlrev_b32_e32 v63, 28, v18
	v_and_b32_e32 v20, v20, v21
	v_not_b32_e32 v21, v63
	v_cmp_gt_i64_e32 vcc, 0, v[62:63]
	v_ashrrev_i32_e32 v21, 31, v21
	v_and_b32_e32 v19, v19, v29
	v_xor_b32_e32 v29, vcc_hi, v21
	v_xor_b32_e32 v21, vcc_lo, v21
	v_lshlrev_b32_e32 v63, 27, v18
	v_and_b32_e32 v20, v20, v21
	v_not_b32_e32 v21, v63
	;; [unrolled: 8-line block ×3, first 2 shown]
	v_cmp_gt_i64_e32 vcc, 0, v[62:63]
	v_ashrrev_i32_e32 v21, 31, v21
	v_and_b32_e32 v19, v19, v29
	v_xor_b32_e32 v29, vcc_hi, v21
	v_xor_b32_e32 v21, vcc_lo, v21
	v_lshlrev_b32_e32 v63, 25, v18
	v_and_b32_e32 v20, v20, v21
	v_cmp_gt_i64_e32 vcc, 0, v[62:63]
	v_not_b32_e32 v21, v63
	v_lshlrev_b32_e32 v63, 24, v18
	v_ashrrev_i32_e32 v21, 31, v21
	v_not_b32_e32 v18, v63
	v_and_b32_e32 v19, v19, v29
	v_xor_b32_e32 v29, vcc_hi, v21
	v_xor_b32_e32 v21, vcc_lo, v21
	v_cmp_gt_i64_e32 vcc, 0, v[62:63]
	v_ashrrev_i32_e32 v18, 31, v18
	v_and_b32_e32 v20, v20, v21
	v_xor_b32_e32 v21, vcc_hi, v18
	v_xor_b32_e32 v18, vcc_lo, v18
	v_and_b32_e32 v19, v19, v29
	v_and_b32_e32 v18, v20, v18
	;; [unrolled: 1-line block ×3, first 2 shown]
	v_mbcnt_lo_u32_b32 v20, v18, 0
	v_mbcnt_hi_u32_b32 v29, v19, v20
	v_cmp_eq_u32_e32 vcc, 0, v29
	v_cmp_ne_u64_e64 s[42:43], 0, v[18:19]
	s_and_b64 s[56:57], s[42:43], vcc
	; wave barrier
	s_and_saveexec_b64 s[42:43], s[56:57]
	s_cbranch_execz .LBB207_38
; %bb.37:                               ;   in Loop: Header=BB207_32 Depth=1
	v_bcnt_u32_b32 v18, v18, 0
	v_bcnt_u32_b32 v18, v19, v18
	s_waitcnt lgkmcnt(0)
	v_add_u32_e32 v18, v27, v18
	ds_write_b32 v28, v18
.LBB207_38:                             ;   in Loop: Header=BB207_32 Depth=1
	s_or_b64 exec, exec, s[42:43]
	v_cmp_ne_u32_e32 vcc, s53, v106
	v_cndmask_b32_e32 v18, v94, v106, vcc
	v_lshrrev_b32_e32 v18, s52, v18
	v_and_b32_e32 v18, s55, v18
	v_lshlrev_b32_e32 v19, 1, v18
	v_add_lshl_u32 v19, v19, v96, 2
	; wave barrier
	v_add_u32_e32 v31, 8, v19
	ds_read_b32 v30, v19 offset:8
	v_and_b32_e32 v19, 1, v18
	v_add_co_u32_e32 v20, vcc, -1, v19
	v_addc_co_u32_e64 v21, s[42:43], 0, -1, vcc
	v_cmp_ne_u32_e32 vcc, 0, v19
	v_lshlrev_b32_e32 v63, 30, v18
	v_xor_b32_e32 v19, vcc_hi, v21
	v_not_b32_e32 v21, v63
	v_xor_b32_e32 v20, vcc_lo, v20
	v_cmp_gt_i64_e32 vcc, 0, v[62:63]
	v_ashrrev_i32_e32 v21, 31, v21
	v_and_b32_e32 v20, exec_lo, v20
	v_xor_b32_e32 v32, vcc_hi, v21
	v_xor_b32_e32 v21, vcc_lo, v21
	v_lshlrev_b32_e32 v63, 29, v18
	v_and_b32_e32 v20, v20, v21
	v_not_b32_e32 v21, v63
	v_and_b32_e32 v19, exec_hi, v19
	v_cmp_gt_i64_e32 vcc, 0, v[62:63]
	v_ashrrev_i32_e32 v21, 31, v21
	v_and_b32_e32 v19, v19, v32
	v_xor_b32_e32 v32, vcc_hi, v21
	v_xor_b32_e32 v21, vcc_lo, v21
	v_lshlrev_b32_e32 v63, 28, v18
	v_and_b32_e32 v20, v20, v21
	v_not_b32_e32 v21, v63
	v_cmp_gt_i64_e32 vcc, 0, v[62:63]
	v_ashrrev_i32_e32 v21, 31, v21
	v_and_b32_e32 v19, v19, v32
	v_xor_b32_e32 v32, vcc_hi, v21
	v_xor_b32_e32 v21, vcc_lo, v21
	v_lshlrev_b32_e32 v63, 27, v18
	v_and_b32_e32 v20, v20, v21
	v_not_b32_e32 v21, v63
	v_cmp_gt_i64_e32 vcc, 0, v[62:63]
	v_ashrrev_i32_e32 v21, 31, v21
	v_and_b32_e32 v19, v19, v32
	v_xor_b32_e32 v32, vcc_hi, v21
	v_xor_b32_e32 v21, vcc_lo, v21
	v_lshlrev_b32_e32 v63, 26, v18
	v_and_b32_e32 v20, v20, v21
	v_not_b32_e32 v21, v63
	v_cmp_gt_i64_e32 vcc, 0, v[62:63]
	v_ashrrev_i32_e32 v21, 31, v21
	v_and_b32_e32 v19, v19, v32
	v_xor_b32_e32 v32, vcc_hi, v21
	v_xor_b32_e32 v21, vcc_lo, v21
	v_lshlrev_b32_e32 v63, 25, v18
	v_and_b32_e32 v20, v20, v21
	v_cmp_gt_i64_e32 vcc, 0, v[62:63]
	v_not_b32_e32 v21, v63
	v_lshlrev_b32_e32 v63, 24, v18
	v_ashrrev_i32_e32 v21, 31, v21
	v_not_b32_e32 v18, v63
	v_and_b32_e32 v19, v19, v32
	v_xor_b32_e32 v32, vcc_hi, v21
	v_xor_b32_e32 v21, vcc_lo, v21
	v_cmp_gt_i64_e32 vcc, 0, v[62:63]
	v_ashrrev_i32_e32 v18, 31, v18
	v_and_b32_e32 v20, v20, v21
	v_xor_b32_e32 v21, vcc_hi, v18
	v_xor_b32_e32 v18, vcc_lo, v18
	v_and_b32_e32 v19, v19, v32
	v_and_b32_e32 v18, v20, v18
	;; [unrolled: 1-line block ×3, first 2 shown]
	v_mbcnt_lo_u32_b32 v20, v18, 0
	v_mbcnt_hi_u32_b32 v32, v19, v20
	v_cmp_eq_u32_e32 vcc, 0, v32
	v_cmp_ne_u64_e64 s[42:43], 0, v[18:19]
	s_and_b64 s[56:57], s[42:43], vcc
	; wave barrier
	s_and_saveexec_b64 s[42:43], s[56:57]
	s_cbranch_execz .LBB207_40
; %bb.39:                               ;   in Loop: Header=BB207_32 Depth=1
	v_bcnt_u32_b32 v18, v18, 0
	v_bcnt_u32_b32 v18, v19, v18
	s_waitcnt lgkmcnt(0)
	v_add_u32_e32 v18, v30, v18
	ds_write_b32 v31, v18
.LBB207_40:                             ;   in Loop: Header=BB207_32 Depth=1
	s_or_b64 exec, exec, s[42:43]
	v_cmp_ne_u32_e32 vcc, s53, v105
	v_cndmask_b32_e32 v18, v94, v105, vcc
	v_lshrrev_b32_e32 v18, s52, v18
	v_and_b32_e32 v18, s55, v18
	v_lshlrev_b32_e32 v19, 1, v18
	v_add_lshl_u32 v19, v19, v96, 2
	; wave barrier
	v_add_u32_e32 v64, 8, v19
	ds_read_b32 v33, v19 offset:8
	v_and_b32_e32 v19, 1, v18
	v_add_co_u32_e32 v20, vcc, -1, v19
	v_addc_co_u32_e64 v21, s[42:43], 0, -1, vcc
	v_cmp_ne_u32_e32 vcc, 0, v19
	v_lshlrev_b32_e32 v63, 30, v18
	v_xor_b32_e32 v19, vcc_hi, v21
	v_not_b32_e32 v21, v63
	v_xor_b32_e32 v20, vcc_lo, v20
	v_cmp_gt_i64_e32 vcc, 0, v[62:63]
	v_ashrrev_i32_e32 v21, 31, v21
	v_and_b32_e32 v19, exec_hi, v19
	v_xor_b32_e32 v63, vcc_hi, v21
	v_and_b32_e32 v20, exec_lo, v20
	v_xor_b32_e32 v21, vcc_lo, v21
	v_and_b32_e32 v19, v19, v63
	v_lshlrev_b32_e32 v63, 29, v18
	v_and_b32_e32 v20, v20, v21
	v_not_b32_e32 v21, v63
	v_cmp_gt_i64_e32 vcc, 0, v[62:63]
	v_ashrrev_i32_e32 v21, 31, v21
	v_xor_b32_e32 v63, vcc_hi, v21
	v_xor_b32_e32 v21, vcc_lo, v21
	v_and_b32_e32 v19, v19, v63
	v_lshlrev_b32_e32 v63, 28, v18
	v_and_b32_e32 v20, v20, v21
	v_not_b32_e32 v21, v63
	v_cmp_gt_i64_e32 vcc, 0, v[62:63]
	v_ashrrev_i32_e32 v21, 31, v21
	v_xor_b32_e32 v63, vcc_hi, v21
	;; [unrolled: 8-line block ×5, first 2 shown]
	v_and_b32_e32 v19, v19, v63
	v_lshlrev_b32_e32 v63, 24, v18
	v_not_b32_e32 v18, v63
	v_xor_b32_e32 v21, vcc_lo, v21
	v_cmp_gt_i64_e32 vcc, 0, v[62:63]
	v_ashrrev_i32_e32 v18, 31, v18
	v_and_b32_e32 v20, v20, v21
	v_xor_b32_e32 v21, vcc_hi, v18
	v_xor_b32_e32 v18, vcc_lo, v18
	v_and_b32_e32 v18, v20, v18
	v_and_b32_e32 v19, v19, v21
	v_mbcnt_lo_u32_b32 v20, v18, 0
	v_mbcnt_hi_u32_b32 v65, v19, v20
	v_cmp_eq_u32_e32 vcc, 0, v65
	v_cmp_ne_u64_e64 s[42:43], 0, v[18:19]
	s_and_b64 s[56:57], s[42:43], vcc
	; wave barrier
	s_and_saveexec_b64 s[42:43], s[56:57]
	s_cbranch_execz .LBB207_42
; %bb.41:                               ;   in Loop: Header=BB207_32 Depth=1
	v_bcnt_u32_b32 v18, v18, 0
	v_bcnt_u32_b32 v18, v19, v18
	s_waitcnt lgkmcnt(0)
	v_add_u32_e32 v18, v33, v18
	ds_write_b32 v64, v18
.LBB207_42:                             ;   in Loop: Header=BB207_32 Depth=1
	s_or_b64 exec, exec, s[42:43]
	v_cmp_ne_u32_e32 vcc, s53, v104
	v_cndmask_b32_e32 v18, v94, v104, vcc
	v_lshrrev_b32_e32 v18, s52, v18
	v_and_b32_e32 v18, s55, v18
	v_lshlrev_b32_e32 v19, 1, v18
	v_add_lshl_u32 v19, v19, v96, 2
	; wave barrier
	v_add_u32_e32 v67, 8, v19
	ds_read_b32 v66, v19 offset:8
	v_and_b32_e32 v19, 1, v18
	v_add_co_u32_e32 v20, vcc, -1, v19
	v_addc_co_u32_e64 v21, s[42:43], 0, -1, vcc
	v_cmp_ne_u32_e32 vcc, 0, v19
	v_lshlrev_b32_e32 v63, 30, v18
	v_xor_b32_e32 v19, vcc_hi, v21
	v_not_b32_e32 v21, v63
	v_xor_b32_e32 v20, vcc_lo, v20
	v_cmp_gt_i64_e32 vcc, 0, v[62:63]
	v_ashrrev_i32_e32 v21, 31, v21
	v_and_b32_e32 v19, exec_hi, v19
	v_xor_b32_e32 v63, vcc_hi, v21
	v_and_b32_e32 v20, exec_lo, v20
	v_xor_b32_e32 v21, vcc_lo, v21
	v_and_b32_e32 v19, v19, v63
	v_lshlrev_b32_e32 v63, 29, v18
	v_and_b32_e32 v20, v20, v21
	v_not_b32_e32 v21, v63
	v_cmp_gt_i64_e32 vcc, 0, v[62:63]
	v_ashrrev_i32_e32 v21, 31, v21
	v_xor_b32_e32 v63, vcc_hi, v21
	v_xor_b32_e32 v21, vcc_lo, v21
	v_and_b32_e32 v19, v19, v63
	v_lshlrev_b32_e32 v63, 28, v18
	v_and_b32_e32 v20, v20, v21
	v_not_b32_e32 v21, v63
	v_cmp_gt_i64_e32 vcc, 0, v[62:63]
	v_ashrrev_i32_e32 v21, 31, v21
	v_xor_b32_e32 v63, vcc_hi, v21
	;; [unrolled: 8-line block ×5, first 2 shown]
	v_and_b32_e32 v19, v19, v63
	v_lshlrev_b32_e32 v63, 24, v18
	v_not_b32_e32 v18, v63
	v_xor_b32_e32 v21, vcc_lo, v21
	v_cmp_gt_i64_e32 vcc, 0, v[62:63]
	v_ashrrev_i32_e32 v18, 31, v18
	v_and_b32_e32 v20, v20, v21
	v_xor_b32_e32 v21, vcc_hi, v18
	v_xor_b32_e32 v18, vcc_lo, v18
	v_and_b32_e32 v18, v20, v18
	v_and_b32_e32 v19, v19, v21
	v_mbcnt_lo_u32_b32 v20, v18, 0
	v_mbcnt_hi_u32_b32 v68, v19, v20
	v_cmp_eq_u32_e32 vcc, 0, v68
	v_cmp_ne_u64_e64 s[42:43], 0, v[18:19]
	s_and_b64 s[56:57], s[42:43], vcc
	; wave barrier
	s_and_saveexec_b64 s[42:43], s[56:57]
	s_cbranch_execz .LBB207_44
; %bb.43:                               ;   in Loop: Header=BB207_32 Depth=1
	v_bcnt_u32_b32 v18, v18, 0
	v_bcnt_u32_b32 v18, v19, v18
	s_waitcnt lgkmcnt(0)
	v_add_u32_e32 v18, v66, v18
	ds_write_b32 v67, v18
.LBB207_44:                             ;   in Loop: Header=BB207_32 Depth=1
	s_or_b64 exec, exec, s[42:43]
	v_cmp_ne_u32_e32 vcc, s53, v103
	v_cndmask_b32_e32 v18, v94, v103, vcc
	v_lshrrev_b32_e32 v18, s52, v18
	v_and_b32_e32 v18, s55, v18
	v_lshlrev_b32_e32 v19, 1, v18
	v_add_lshl_u32 v19, v19, v96, 2
	; wave barrier
	v_add_u32_e32 v70, 8, v19
	ds_read_b32 v69, v19 offset:8
	v_and_b32_e32 v19, 1, v18
	v_add_co_u32_e32 v20, vcc, -1, v19
	v_addc_co_u32_e64 v21, s[42:43], 0, -1, vcc
	v_cmp_ne_u32_e32 vcc, 0, v19
	v_lshlrev_b32_e32 v63, 30, v18
	v_xor_b32_e32 v19, vcc_hi, v21
	v_not_b32_e32 v21, v63
	v_xor_b32_e32 v20, vcc_lo, v20
	v_cmp_gt_i64_e32 vcc, 0, v[62:63]
	v_ashrrev_i32_e32 v21, 31, v21
	v_and_b32_e32 v19, exec_hi, v19
	v_xor_b32_e32 v63, vcc_hi, v21
	v_and_b32_e32 v20, exec_lo, v20
	v_xor_b32_e32 v21, vcc_lo, v21
	v_and_b32_e32 v19, v19, v63
	v_lshlrev_b32_e32 v63, 29, v18
	v_and_b32_e32 v20, v20, v21
	v_not_b32_e32 v21, v63
	v_cmp_gt_i64_e32 vcc, 0, v[62:63]
	v_ashrrev_i32_e32 v21, 31, v21
	v_xor_b32_e32 v63, vcc_hi, v21
	v_xor_b32_e32 v21, vcc_lo, v21
	v_and_b32_e32 v19, v19, v63
	v_lshlrev_b32_e32 v63, 28, v18
	v_and_b32_e32 v20, v20, v21
	v_not_b32_e32 v21, v63
	v_cmp_gt_i64_e32 vcc, 0, v[62:63]
	v_ashrrev_i32_e32 v21, 31, v21
	v_xor_b32_e32 v63, vcc_hi, v21
	;; [unrolled: 8-line block ×5, first 2 shown]
	v_and_b32_e32 v19, v19, v63
	v_lshlrev_b32_e32 v63, 24, v18
	v_not_b32_e32 v18, v63
	v_xor_b32_e32 v21, vcc_lo, v21
	v_cmp_gt_i64_e32 vcc, 0, v[62:63]
	v_ashrrev_i32_e32 v18, 31, v18
	v_and_b32_e32 v20, v20, v21
	v_xor_b32_e32 v21, vcc_hi, v18
	v_xor_b32_e32 v18, vcc_lo, v18
	v_and_b32_e32 v18, v20, v18
	v_and_b32_e32 v19, v19, v21
	v_mbcnt_lo_u32_b32 v20, v18, 0
	v_mbcnt_hi_u32_b32 v71, v19, v20
	v_cmp_eq_u32_e32 vcc, 0, v71
	v_cmp_ne_u64_e64 s[42:43], 0, v[18:19]
	s_and_b64 s[56:57], s[42:43], vcc
	; wave barrier
	s_and_saveexec_b64 s[42:43], s[56:57]
	s_cbranch_execz .LBB207_46
; %bb.45:                               ;   in Loop: Header=BB207_32 Depth=1
	v_bcnt_u32_b32 v18, v18, 0
	v_bcnt_u32_b32 v18, v19, v18
	s_waitcnt lgkmcnt(0)
	v_add_u32_e32 v18, v69, v18
	ds_write_b32 v70, v18
.LBB207_46:                             ;   in Loop: Header=BB207_32 Depth=1
	s_or_b64 exec, exec, s[42:43]
	v_cmp_ne_u32_e32 vcc, s53, v102
	v_cndmask_b32_e32 v18, v94, v102, vcc
	v_lshrrev_b32_e32 v18, s52, v18
	v_and_b32_e32 v18, s55, v18
	v_lshlrev_b32_e32 v19, 1, v18
	v_add_lshl_u32 v19, v19, v96, 2
	; wave barrier
	v_add_u32_e32 v111, 8, v19
	ds_read_b32 v110, v19 offset:8
	v_and_b32_e32 v19, 1, v18
	v_add_co_u32_e32 v20, vcc, -1, v19
	v_addc_co_u32_e64 v21, s[42:43], 0, -1, vcc
	v_cmp_ne_u32_e32 vcc, 0, v19
	v_lshlrev_b32_e32 v63, 30, v18
	v_xor_b32_e32 v19, vcc_hi, v21
	v_not_b32_e32 v21, v63
	v_xor_b32_e32 v20, vcc_lo, v20
	v_cmp_gt_i64_e32 vcc, 0, v[62:63]
	v_ashrrev_i32_e32 v21, 31, v21
	v_and_b32_e32 v19, exec_hi, v19
	v_xor_b32_e32 v63, vcc_hi, v21
	v_and_b32_e32 v20, exec_lo, v20
	v_xor_b32_e32 v21, vcc_lo, v21
	v_and_b32_e32 v19, v19, v63
	v_lshlrev_b32_e32 v63, 29, v18
	v_and_b32_e32 v20, v20, v21
	v_not_b32_e32 v21, v63
	v_cmp_gt_i64_e32 vcc, 0, v[62:63]
	v_ashrrev_i32_e32 v21, 31, v21
	v_xor_b32_e32 v63, vcc_hi, v21
	v_xor_b32_e32 v21, vcc_lo, v21
	v_and_b32_e32 v19, v19, v63
	v_lshlrev_b32_e32 v63, 28, v18
	v_and_b32_e32 v20, v20, v21
	v_not_b32_e32 v21, v63
	v_cmp_gt_i64_e32 vcc, 0, v[62:63]
	v_ashrrev_i32_e32 v21, 31, v21
	v_xor_b32_e32 v63, vcc_hi, v21
	;; [unrolled: 8-line block ×5, first 2 shown]
	v_and_b32_e32 v19, v19, v63
	v_lshlrev_b32_e32 v63, 24, v18
	v_not_b32_e32 v18, v63
	v_xor_b32_e32 v21, vcc_lo, v21
	v_cmp_gt_i64_e32 vcc, 0, v[62:63]
	v_ashrrev_i32_e32 v18, 31, v18
	v_and_b32_e32 v20, v20, v21
	v_xor_b32_e32 v21, vcc_hi, v18
	v_xor_b32_e32 v18, vcc_lo, v18
	v_and_b32_e32 v18, v20, v18
	v_and_b32_e32 v19, v19, v21
	v_mbcnt_lo_u32_b32 v20, v18, 0
	v_mbcnt_hi_u32_b32 v117, v19, v20
	v_cmp_eq_u32_e32 vcc, 0, v117
	v_cmp_ne_u64_e64 s[42:43], 0, v[18:19]
	s_and_b64 s[56:57], s[42:43], vcc
	; wave barrier
	s_and_saveexec_b64 s[42:43], s[56:57]
	s_cbranch_execz .LBB207_48
; %bb.47:                               ;   in Loop: Header=BB207_32 Depth=1
	v_bcnt_u32_b32 v18, v18, 0
	v_bcnt_u32_b32 v18, v19, v18
	s_waitcnt lgkmcnt(0)
	v_add_u32_e32 v18, v110, v18
	ds_write_b32 v111, v18
.LBB207_48:                             ;   in Loop: Header=BB207_32 Depth=1
	s_or_b64 exec, exec, s[42:43]
	; wave barrier
	s_waitcnt lgkmcnt(0)
	s_barrier
	ds_read2_b32 v[20:21], v89 offset0:2 offset1:3
	ds_read2_b32 v[18:19], v95 offset0:2 offset1:3
	s_waitcnt lgkmcnt(1)
	v_add_u32_e32 v63, v21, v20
	s_waitcnt lgkmcnt(0)
	v_add3_u32 v19, v63, v18, v19
	s_nop 1
	v_mov_b32_dpp v63, v19 row_shr:1 row_mask:0xf bank_mask:0xf
	v_cndmask_b32_e64 v63, v63, 0, s[22:23]
	v_add_u32_e32 v19, v63, v19
	s_nop 1
	v_mov_b32_dpp v63, v19 row_shr:2 row_mask:0xf bank_mask:0xf
	v_cndmask_b32_e64 v63, 0, v63, s[24:25]
	v_add_u32_e32 v19, v19, v63
	;; [unrolled: 4-line block ×4, first 2 shown]
	s_nop 1
	v_mov_b32_dpp v63, v19 row_bcast:15 row_mask:0xf bank_mask:0xf
	v_cndmask_b32_e64 v63, v63, 0, s[30:31]
	v_add_u32_e32 v19, v19, v63
	s_nop 1
	v_mov_b32_dpp v63, v19 row_bcast:31 row_mask:0xf bank_mask:0xf
	v_cndmask_b32_e64 v63, 0, v63, s[34:35]
	v_add_u32_e32 v19, v19, v63
	s_and_saveexec_b64 s[42:43], s[36:37]
	s_cbranch_execz .LBB207_50
; %bb.49:                               ;   in Loop: Header=BB207_32 Depth=1
	ds_write_b32 v98, v19
.LBB207_50:                             ;   in Loop: Header=BB207_32 Depth=1
	s_or_b64 exec, exec, s[42:43]
	s_waitcnt lgkmcnt(0)
	s_barrier
	s_and_saveexec_b64 s[42:43], s[16:17]
	s_cbranch_execz .LBB207_52
; %bb.51:                               ;   in Loop: Header=BB207_32 Depth=1
	ds_read_b32 v63, v88
	s_waitcnt lgkmcnt(0)
	s_nop 0
	v_mov_b32_dpp v112, v63 row_shr:1 row_mask:0xf bank_mask:0xf
	v_cndmask_b32_e64 v112, v112, 0, s[40:41]
	v_add_u32_e32 v63, v112, v63
	ds_write_b32 v88, v63
.LBB207_52:                             ;   in Loop: Header=BB207_32 Depth=1
	s_or_b64 exec, exec, s[42:43]
	v_mov_b32_e32 v63, 0
	s_waitcnt lgkmcnt(0)
	s_barrier
	s_and_saveexec_b64 s[42:43], s[18:19]
	s_cbranch_execz .LBB207_54
; %bb.53:                               ;   in Loop: Header=BB207_32 Depth=1
	ds_read_b32 v63, v99
.LBB207_54:                             ;   in Loop: Header=BB207_32 Depth=1
	s_or_b64 exec, exec, s[42:43]
	s_waitcnt lgkmcnt(0)
	v_add_u32_e32 v19, v63, v19
	ds_bpermute_b32 v19, v97, v19
	s_cmp_gt_u32 s52, 23
	s_waitcnt lgkmcnt(0)
	v_cndmask_b32_e64 v19, v19, v63, s[38:39]
	v_cndmask_b32_e64 v19, v19, 0, s[20:21]
	v_add_u32_e32 v20, v19, v20
	v_add_u32_e32 v21, v20, v21
	;; [unrolled: 1-line block ×3, first 2 shown]
	ds_write2_b32 v89, v19, v20 offset0:2 offset1:3
	ds_write2_b32 v95, v21, v18 offset0:2 offset1:3
	s_waitcnt lgkmcnt(0)
	s_barrier
	ds_read_b32 v18, v22
	ds_read_b32 v19, v25
	;; [unrolled: 1-line block ×8, first 2 shown]
	s_waitcnt lgkmcnt(7)
	v_add_u32_e32 v63, v18, v23
	s_waitcnt lgkmcnt(6)
	v_add3_u32 v111, v26, v24, v19
	s_waitcnt lgkmcnt(5)
	v_add3_u32 v112, v29, v27, v20
	;; [unrolled: 2-line block ×7, first 2 shown]
	s_cbranch_scc0 .LBB207_31
; %bb.55:
                                        ; implicit-def: $vgpr71
                                        ; implicit-def: $vgpr69
                                        ; implicit-def: $vgpr67
                                        ; implicit-def: $vgpr65
                                        ; implicit-def: $vgpr32_vgpr33
                                        ; implicit-def: $vgpr28_vgpr29
                                        ; implicit-def: $vgpr24_vgpr25
                                        ; implicit-def: $vgpr20_vgpr21
                                        ; implicit-def: $sgpr52
                                        ; implicit-def: $sgpr54
.LBB207_56:
	v_lshlrev_b32_e32 v18, 2, v63
	s_barrier
	ds_write_b32 v18, v109
	v_lshlrev_b32_e32 v18, 2, v111
	ds_write_b32 v18, v108
	v_lshlrev_b32_e32 v18, 2, v112
	;; [unrolled: 2-line block ×7, first 2 shown]
	v_lshlrev_b32_e32 v24, 2, v87
	ds_write_b32 v18, v102
	s_waitcnt lgkmcnt(0)
	s_barrier
	ds_read2_b32 v[18:19], v24 offset1:1
	ds_read2_b32 v[20:21], v24 offset0:2 offset1:3
	ds_read2_b32 v[22:23], v24 offset0:4 offset1:5
	;; [unrolled: 1-line block ×3, first 2 shown]
	v_bfrev_b32_e32 v70, 1
	v_lshlrev_b32_e32 v25, 3, v63
	v_lshlrev_b32_e32 v26, 3, v111
	s_waitcnt lgkmcnt(3)
	v_cmp_lt_i32_e32 vcc, -1, v19
	v_cndmask_b32_e64 v24, v70, -1, vcc
	v_cmp_lt_i32_e32 vcc, -1, v18
	v_cndmask_b32_e64 v62, v70, -1, vcc
	s_waitcnt lgkmcnt(2)
	v_cmp_lt_i32_e32 vcc, -1, v21
	v_xor_b32_e32 v62, v62, v18
	v_cndmask_b32_e64 v18, v70, -1, vcc
	v_cmp_lt_i32_e32 vcc, -1, v20
	v_xor_b32_e32 v63, v24, v19
	v_cndmask_b32_e64 v19, v70, -1, vcc
	s_waitcnt lgkmcnt(1)
	v_cmp_lt_i32_e32 vcc, -1, v23
	v_xor_b32_e32 v65, v18, v21
	v_cndmask_b32_e64 v18, v70, -1, vcc
	v_cmp_lt_i32_e32 vcc, -1, v22
	v_lshlrev_b32_e32 v27, 3, v112
	v_lshlrev_b32_e32 v28, 3, v113
	;; [unrolled: 1-line block ×7, first 2 shown]
	v_xor_b32_e32 v64, v19, v20
	v_cndmask_b32_e64 v19, v70, -1, vcc
	v_xor_b32_e32 v66, v19, v22
	v_xor_b32_e32 v67, v18, v23
	s_waitcnt lgkmcnt(0)
	s_barrier
	ds_write_b64 v25, v[60:61]
	ds_write_b64 v26, v[58:59]
	;; [unrolled: 1-line block ×8, first 2 shown]
	s_waitcnt lgkmcnt(0)
	s_barrier
	ds_read2_b64 v[18:21], v33 offset1:1
	ds_read2_b64 v[22:25], v33 offset0:2 offset1:3
	ds_read2_b64 v[26:29], v33 offset0:4 offset1:5
	;; [unrolled: 1-line block ×3, first 2 shown]
	v_cmp_lt_i32_e32 vcc, -1, v69
	v_cndmask_b32_e64 v1, v70, -1, vcc
	v_cmp_lt_i32_e32 vcc, -1, v68
	v_cndmask_b32_e64 v0, v70, -1, vcc
	v_xor_b32_e32 v0, v0, v68
	v_xor_b32_e32 v1, v1, v69
	s_branch .LBB207_92
.LBB207_57:
	v_mov_b32_e32 v37, 0
	v_lshlrev_b64 v[2:3], 3, v[36:37]
	v_mov_b32_e32 v4, s47
	v_add_co_u32_e32 v2, vcc, s45, v2
	v_addc_co_u32_e32 v3, vcc, v4, v3, vcc
	global_load_dwordx2 v[2:3], v[2:3], off
	v_mov_b32_e32 v4, v37
	v_mov_b32_e32 v5, v37
	;; [unrolled: 1-line block ×14, first 2 shown]
	s_or_b64 exec, exec, s[16:17]
	s_and_saveexec_b64 s[16:17], s[2:3]
	s_cbranch_execz .LBB207_22
.LBB207_58:
	v_mul_lo_u32 v4, v30, s48
	v_mov_b32_e32 v5, 0
	v_lshlrev_b64 v[4:5], 3, v[4:5]
	v_mov_b32_e32 v30, s47
	v_add_co_u32_e32 v4, vcc, s45, v4
	v_addc_co_u32_e32 v5, vcc, v30, v5, vcc
	global_load_dwordx2 v[4:5], v[4:5], off
	s_or_b64 exec, exec, s[16:17]
	s_and_saveexec_b64 s[16:17], s[4:5]
	s_cbranch_execz .LBB207_23
.LBB207_59:
	v_mul_lo_u32 v6, v28, s48
	v_mov_b32_e32 v7, 0
	v_lshlrev_b64 v[6:7], 3, v[6:7]
	v_mov_b32_e32 v28, s47
	v_add_co_u32_e32 v6, vcc, s45, v6
	v_addc_co_u32_e32 v7, vcc, v28, v7, vcc
	global_load_dwordx2 v[6:7], v[6:7], off
	s_or_b64 exec, exec, s[16:17]
	s_and_saveexec_b64 s[16:17], s[6:7]
	s_cbranch_execz .LBB207_24
.LBB207_60:
	v_mul_lo_u32 v8, v26, s48
	v_mov_b32_e32 v9, 0
	v_lshlrev_b64 v[8:9], 3, v[8:9]
	v_mov_b32_e32 v26, s47
	v_add_co_u32_e32 v8, vcc, s45, v8
	v_addc_co_u32_e32 v9, vcc, v26, v9, vcc
	global_load_dwordx2 v[8:9], v[8:9], off
	s_or_b64 exec, exec, s[16:17]
	s_and_saveexec_b64 s[16:17], s[8:9]
	s_cbranch_execz .LBB207_25
.LBB207_61:
	v_mul_lo_u32 v10, v24, s48
	v_mov_b32_e32 v11, 0
	v_lshlrev_b64 v[10:11], 3, v[10:11]
	v_mov_b32_e32 v24, s47
	v_add_co_u32_e32 v10, vcc, s45, v10
	v_addc_co_u32_e32 v11, vcc, v24, v11, vcc
	global_load_dwordx2 v[10:11], v[10:11], off
	s_or_b64 exec, exec, s[16:17]
	s_and_saveexec_b64 s[16:17], s[10:11]
	s_cbranch_execz .LBB207_26
.LBB207_62:
	v_mul_lo_u32 v12, v21, s48
	v_mov_b32_e32 v13, 0
	v_lshlrev_b64 v[12:13], 3, v[12:13]
	v_mov_b32_e32 v21, s47
	v_add_co_u32_e32 v12, vcc, s45, v12
	v_addc_co_u32_e32 v13, vcc, v21, v13, vcc
	global_load_dwordx2 v[12:13], v[12:13], off
	s_or_b64 exec, exec, s[16:17]
	s_and_saveexec_b64 s[16:17], s[12:13]
	s_cbranch_execz .LBB207_27
.LBB207_63:
	v_mul_lo_u32 v14, v19, s48
	v_mov_b32_e32 v15, 0
	v_lshlrev_b64 v[14:15], 3, v[14:15]
	v_mov_b32_e32 v19, s47
	v_add_co_u32_e32 v14, vcc, s45, v14
	v_addc_co_u32_e32 v15, vcc, v19, v15, vcc
	global_load_dwordx2 v[14:15], v[14:15], off
	s_or_b64 exec, exec, s[16:17]
	s_xor_b64 s[16:17], s[34:35], -1
	s_and_saveexec_b64 s[18:19], s[14:15]
	s_cbranch_execnz .LBB207_28
	s_branch .LBB207_29
.LBB207_64:
                                        ; implicit-def: $vgpr1
                                        ; implicit-def: $vgpr0
                                        ; implicit-def: $vgpr67
                                        ; implicit-def: $vgpr66
                                        ; implicit-def: $vgpr65
                                        ; implicit-def: $vgpr64
                                        ; implicit-def: $vgpr63
                                        ; implicit-def: $vgpr62
                                        ; implicit-def: $vgpr32_vgpr33
                                        ; implicit-def: $vgpr28_vgpr29
                                        ; implicit-def: $vgpr24_vgpr25
                                        ; implicit-def: $vgpr20_vgpr21
	s_cbranch_execz .LBB207_92
; %bb.65:
	v_bfrev_b32_e32 v48, -2
	v_cmp_gt_i32_e32 vcc, 0, v46
	s_waitcnt lgkmcnt(3)
	v_mbcnt_hi_u32_b32 v18, -1, v93
	v_and_b32_e32 v19, 0x3c0, v38
	v_cndmask_b32_e64 v20, v48, 0, vcc
	v_cmp_gt_i32_e32 vcc, 0, v47
	v_add_u32_e32 v0, v18, v19
	v_cndmask_b32_e64 v21, v48, 0, vcc
	v_lshlrev_b32_e32 v1, 5, v0
	v_xor_b32_e32 v21, v21, v47
	v_xor_b32_e32 v20, v20, v46
	v_cmp_gt_i32_e32 vcc, 0, v44
	ds_write2_b32 v1, v20, v21 offset1:1
	v_cndmask_b32_e64 v20, v48, 0, vcc
	v_cmp_gt_i32_e32 vcc, 0, v45
	v_cndmask_b32_e64 v21, v48, 0, vcc
	v_xor_b32_e32 v21, v21, v45
	v_xor_b32_e32 v20, v20, v44
	v_cmp_gt_i32_e32 vcc, 0, v42
	ds_write2_b32 v1, v20, v21 offset0:2 offset1:3
	v_cndmask_b32_e64 v20, v48, 0, vcc
	v_cmp_gt_i32_e32 vcc, 0, v43
	v_cndmask_b32_e64 v21, v48, 0, vcc
	v_xor_b32_e32 v21, v21, v43
	v_xor_b32_e32 v20, v20, v42
	v_cmp_gt_i32_e32 vcc, 0, v40
	ds_write2_b32 v1, v20, v21 offset0:4 offset1:5
	v_cndmask_b32_e64 v20, v48, 0, vcc
	v_cmp_gt_i32_e32 vcc, 0, v41
	v_cndmask_b32_e64 v21, v48, 0, vcc
	v_xor_b32_e32 v21, v21, v41
	v_xor_b32_e32 v20, v20, v40
	ds_write2_b32 v1, v20, v21 offset0:6 offset1:7
	v_and_b32_e32 v20, 0x1e00, v87
	v_or_b32_e32 v1, v18, v20
	v_lshlrev_b32_e32 v21, 2, v1
	v_lshlrev_b32_e32 v0, 6, v0
	; wave barrier
	ds_read2st64_b32 v[40:41], v21 offset1:1
	ds_read2st64_b32 v[42:43], v21 offset0:2 offset1:3
	ds_read2st64_b32 v[44:45], v21 offset0:4 offset1:5
	;; [unrolled: 1-line block ×3, first 2 shown]
	s_waitcnt lgkmcnt(0)
	s_barrier
	ds_write2_b64 v0, v[14:15], v[16:17] offset1:1
	ds_write2_b64 v0, v[10:11], v[12:13] offset0:2 offset1:3
	ds_write2_b64 v0, v[6:7], v[8:9] offset0:4 offset1:5
	;; [unrolled: 1-line block ×3, first 2 shown]
	v_lshlrev_b32_e32 v12, 3, v1
	; wave barrier
	ds_read2st64_b64 v[0:3], v12 offset1:1
	ds_read2st64_b64 v[4:7], v12 offset0:2 offset1:3
	ds_read2st64_b64 v[8:11], v12 offset0:4 offset1:5
	;; [unrolled: 1-line block ×3, first 2 shown]
	s_waitcnt lgkmcnt(0)
	s_barrier
	s_load_dword s18, s[50:51], 0xc
	s_getpc_b64 s[16:17]
	s_add_u32 s16, s16, _ZN7rocprim17ROCPRIM_400000_NS16block_radix_sortIfLj128ELj8ElLj1ELj1ELj0ELNS0_26block_radix_rank_algorithmE1ELNS0_18block_padding_hintE2ELNS0_4arch9wavefront6targetE1EE19radix_bits_per_passE@rel32@lo+4
	s_addc_u32 s17, s17, _ZN7rocprim17ROCPRIM_400000_NS16block_radix_sortIfLj128ELj8ElLj1ELj1ELj0ELNS0_26block_radix_rank_algorithmE1ELNS0_18block_padding_hintE2ELNS0_4arch9wavefront6targetE1EE19radix_bits_per_passE@rel32@hi+12
	s_load_dword s49, s[16:17], 0x0
	v_cmp_gt_u32_e64 s[30:31], 2, v38
	v_cmp_lt_u32_e64 s[34:35], 63, v38
	s_waitcnt lgkmcnt(0)
	s_lshr_b32 s16, s18, 16
	s_and_b32 s17, s18, 0xffff
	v_mad_u32_u24 v16, v92, s16, v91
	v_mad_u64_u32 v[16:17], s[16:17], v16, s17, v[38:39]
	v_lshrrev_b32_e32 v50, 6, v16
	v_and_b32_e32 v16, 15, v18
	v_cmp_eq_u32_e64 s[16:17], 0, v16
	v_cmp_lt_u32_e64 s[18:19], 1, v16
	v_cmp_lt_u32_e64 s[20:21], 3, v16
	v_cmp_lt_u32_e64 s[22:23], 7, v16
	v_and_b32_e32 v16, 16, v18
	v_cmp_eq_u32_e64 s[24:25], 0, v16
	v_min_u32_e32 v16, 64, v19
	v_or_b32_e32 v16, 63, v16
	v_cmp_eq_u32_e64 s[28:29], v16, v38
	v_add_u32_e32 v16, -1, v18
	v_and_b32_e32 v17, 64, v18
	v_cmp_lt_i32_e32 vcc, v16, v17
	v_cndmask_b32_e32 v16, v16, v18, vcc
	v_lshlrev_b32_e32 v51, 2, v16
	v_and_b32_e32 v16, 1, v18
	v_cmp_eq_u32_e64 s[38:39], 0, v38
	v_and_b32_e32 v38, 60, v90
	v_cmp_eq_u32_e64 s[40:41], 0, v16
	v_and_or_b32 v16, v18, 63, v20
	s_mov_b32 s50, 0
	v_or_b32_e32 v49, 8, v89
	v_cmp_lt_u32_e64 s[26:27], 31, v18
	v_cmp_eq_u32_e64 s[36:37], 0, v18
	v_add_u32_e32 v52, -4, v38
	v_lshlrev_b32_e32 v53, 2, v16
	v_lshlrev_b32_e32 v54, 3, v16
	s_mov_b32 s52, 32
	s_brev_b32 s51, 1
	v_mov_b32_e32 v32, 0
	s_branch .LBB207_67
.LBB207_66:                             ;   in Loop: Header=BB207_67 Depth=1
	v_lshlrev_b32_e32 v0, 2, v33
	s_barrier
	ds_write_b32 v0, v62
	v_lshlrev_b32_e32 v0, 2, v64
	ds_write_b32 v0, v61
	v_lshlrev_b32_e32 v0, 2, v65
	;; [unrolled: 2-line block ×8, first 2 shown]
	s_waitcnt lgkmcnt(0)
	s_barrier
	ds_read2st64_b32 v[40:41], v53 offset1:1
	ds_read2st64_b32 v[42:43], v53 offset0:2 offset1:3
	ds_read2st64_b32 v[44:45], v53 offset0:4 offset1:5
	;; [unrolled: 1-line block ×3, first 2 shown]
	s_waitcnt lgkmcnt(0)
	s_barrier
	ds_write_b64 v0, v[30:31]
	v_lshlrev_b32_e32 v0, 3, v64
	ds_write_b64 v0, v[28:29]
	v_lshlrev_b32_e32 v0, 3, v65
	ds_write_b64 v0, v[26:27]
	v_lshlrev_b32_e32 v0, 3, v66
	ds_write_b64 v0, v[24:25]
	v_lshlrev_b32_e32 v0, 3, v67
	ds_write_b64 v0, v[22:23]
	v_lshlrev_b32_e32 v0, 3, v68
	ds_write_b64 v0, v[20:21]
	v_lshlrev_b32_e32 v0, 3, v69
	ds_write_b64 v0, v[18:19]
	v_lshlrev_b32_e32 v0, 3, v63
	ds_write_b64 v0, v[16:17]
	s_waitcnt lgkmcnt(0)
	s_barrier
	ds_read2st64_b64 v[0:3], v54 offset1:1
	ds_read2st64_b64 v[4:7], v54 offset0:2 offset1:3
	ds_read2st64_b64 v[8:11], v54 offset0:4 offset1:5
	;; [unrolled: 1-line block ×3, first 2 shown]
	s_add_i32 s50, s50, 8
	s_add_i32 s52, s52, -8
	s_waitcnt lgkmcnt(0)
	s_barrier
	s_cbranch_execz .LBB207_91
.LBB207_67:                             ; =>This Inner Loop Header: Depth=1
	v_mov_b32_e32 v62, v40
	s_min_u32 s42, s49, s52
	v_cmp_ne_u32_e32 vcc, s51, v62
	v_pk_mov_b32 v[30:31], v[0:1], v[0:1] op_sel:[0,1]
	s_lshl_b32 s42, -1, s42
	v_cndmask_b32_e32 v0, v48, v62, vcc
	s_not_b32 s53, s42
	v_lshrrev_b32_e32 v0, s50, v0
	v_and_b32_e32 v0, s53, v0
	v_lshl_add_u32 v1, v0, 1, v50
	v_pk_mov_b32 v[26:27], v[4:5], v[4:5] op_sel:[0,1]
	v_lshl_add_u32 v4, v1, 2, 8
	v_and_b32_e32 v1, 1, v0
	v_pk_mov_b32 v[28:29], v[2:3], v[2:3] op_sel:[0,1]
	v_add_co_u32_e32 v2, vcc, -1, v1
	v_addc_co_u32_e64 v3, s[42:43], 0, -1, vcc
	v_cmp_ne_u32_e32 vcc, 0, v1
	v_lshlrev_b32_e32 v33, 30, v0
	v_xor_b32_e32 v1, vcc_hi, v3
	v_not_b32_e32 v3, v33
	v_xor_b32_e32 v2, vcc_lo, v2
	v_cmp_gt_i64_e32 vcc, 0, v[32:33]
	v_ashrrev_i32_e32 v3, 31, v3
	v_and_b32_e32 v2, exec_lo, v2
	v_xor_b32_e32 v5, vcc_hi, v3
	v_xor_b32_e32 v3, vcc_lo, v3
	v_lshlrev_b32_e32 v33, 29, v0
	v_and_b32_e32 v2, v2, v3
	v_not_b32_e32 v3, v33
	v_and_b32_e32 v1, exec_hi, v1
	v_cmp_gt_i64_e32 vcc, 0, v[32:33]
	v_ashrrev_i32_e32 v3, 31, v3
	v_and_b32_e32 v1, v1, v5
	v_xor_b32_e32 v5, vcc_hi, v3
	v_xor_b32_e32 v3, vcc_lo, v3
	v_lshlrev_b32_e32 v33, 28, v0
	v_and_b32_e32 v2, v2, v3
	v_not_b32_e32 v3, v33
	v_cmp_gt_i64_e32 vcc, 0, v[32:33]
	v_ashrrev_i32_e32 v3, 31, v3
	v_and_b32_e32 v1, v1, v5
	v_xor_b32_e32 v5, vcc_hi, v3
	v_xor_b32_e32 v3, vcc_lo, v3
	v_lshlrev_b32_e32 v33, 27, v0
	v_and_b32_e32 v2, v2, v3
	v_not_b32_e32 v3, v33
	;; [unrolled: 8-line block ×3, first 2 shown]
	v_cmp_gt_i64_e32 vcc, 0, v[32:33]
	v_ashrrev_i32_e32 v3, 31, v3
	v_and_b32_e32 v1, v1, v5
	v_xor_b32_e32 v5, vcc_hi, v3
	v_xor_b32_e32 v3, vcc_lo, v3
	v_lshlrev_b32_e32 v33, 25, v0
	v_and_b32_e32 v2, v2, v3
	v_cmp_gt_i64_e32 vcc, 0, v[32:33]
	v_not_b32_e32 v3, v33
	v_lshlrev_b32_e32 v33, 24, v0
	v_ashrrev_i32_e32 v3, 31, v3
	v_not_b32_e32 v0, v33
	v_and_b32_e32 v1, v1, v5
	v_xor_b32_e32 v5, vcc_hi, v3
	v_xor_b32_e32 v3, vcc_lo, v3
	v_cmp_gt_i64_e32 vcc, 0, v[32:33]
	v_ashrrev_i32_e32 v0, 31, v0
	v_and_b32_e32 v2, v2, v3
	v_xor_b32_e32 v3, vcc_hi, v0
	v_xor_b32_e32 v0, vcc_lo, v0
	v_and_b32_e32 v1, v1, v5
	v_and_b32_e32 v0, v2, v0
	;; [unrolled: 1-line block ×3, first 2 shown]
	v_mbcnt_lo_u32_b32 v2, v0, 0
	v_mbcnt_hi_u32_b32 v5, v1, v2
	v_cmp_eq_u32_e32 vcc, 0, v5
	v_cmp_ne_u64_e64 s[42:43], 0, v[0:1]
	v_mov_b32_e32 v55, v47
	v_mov_b32_e32 v56, v46
	;; [unrolled: 1-line block ×7, first 2 shown]
	v_pk_mov_b32 v[16:17], v[14:15], v[14:15] op_sel:[0,1]
	v_pk_mov_b32 v[18:19], v[12:13], v[12:13] op_sel:[0,1]
	;; [unrolled: 1-line block ×5, first 2 shown]
	s_and_b64 s[54:55], s[42:43], vcc
	ds_write2_b32 v89, v32, v32 offset0:2 offset1:3
	ds_write2_b32 v49, v32, v32 offset0:2 offset1:3
	s_waitcnt lgkmcnt(0)
	s_barrier
	s_waitcnt lgkmcnt(0)
	; wave barrier
	s_and_saveexec_b64 s[42:43], s[54:55]
	s_cbranch_execz .LBB207_69
; %bb.68:                               ;   in Loop: Header=BB207_67 Depth=1
	v_bcnt_u32_b32 v0, v0, 0
	v_bcnt_u32_b32 v0, v1, v0
	ds_write_b32 v4, v0
.LBB207_69:                             ;   in Loop: Header=BB207_67 Depth=1
	s_or_b64 exec, exec, s[42:43]
	v_cmp_ne_u32_e32 vcc, s51, v61
	v_cndmask_b32_e32 v0, v48, v61, vcc
	v_lshrrev_b32_e32 v0, s50, v0
	v_and_b32_e32 v0, s53, v0
	v_lshlrev_b32_e32 v1, 1, v0
	v_add_lshl_u32 v1, v1, v50, 2
	; wave barrier
	v_add_u32_e32 v7, 8, v1
	ds_read_b32 v6, v1 offset:8
	v_and_b32_e32 v1, 1, v0
	v_add_co_u32_e32 v2, vcc, -1, v1
	v_addc_co_u32_e64 v3, s[42:43], 0, -1, vcc
	v_cmp_ne_u32_e32 vcc, 0, v1
	v_lshlrev_b32_e32 v33, 30, v0
	v_xor_b32_e32 v1, vcc_hi, v3
	v_not_b32_e32 v3, v33
	v_xor_b32_e32 v2, vcc_lo, v2
	v_cmp_gt_i64_e32 vcc, 0, v[32:33]
	v_ashrrev_i32_e32 v3, 31, v3
	v_and_b32_e32 v2, exec_lo, v2
	v_xor_b32_e32 v8, vcc_hi, v3
	v_xor_b32_e32 v3, vcc_lo, v3
	v_lshlrev_b32_e32 v33, 29, v0
	v_and_b32_e32 v2, v2, v3
	v_not_b32_e32 v3, v33
	v_and_b32_e32 v1, exec_hi, v1
	v_cmp_gt_i64_e32 vcc, 0, v[32:33]
	v_ashrrev_i32_e32 v3, 31, v3
	v_and_b32_e32 v1, v1, v8
	v_xor_b32_e32 v8, vcc_hi, v3
	v_xor_b32_e32 v3, vcc_lo, v3
	v_lshlrev_b32_e32 v33, 28, v0
	v_and_b32_e32 v2, v2, v3
	v_not_b32_e32 v3, v33
	v_cmp_gt_i64_e32 vcc, 0, v[32:33]
	v_ashrrev_i32_e32 v3, 31, v3
	v_and_b32_e32 v1, v1, v8
	v_xor_b32_e32 v8, vcc_hi, v3
	v_xor_b32_e32 v3, vcc_lo, v3
	v_lshlrev_b32_e32 v33, 27, v0
	v_and_b32_e32 v2, v2, v3
	v_not_b32_e32 v3, v33
	;; [unrolled: 8-line block ×3, first 2 shown]
	v_cmp_gt_i64_e32 vcc, 0, v[32:33]
	v_ashrrev_i32_e32 v3, 31, v3
	v_and_b32_e32 v1, v1, v8
	v_xor_b32_e32 v8, vcc_hi, v3
	v_xor_b32_e32 v3, vcc_lo, v3
	v_lshlrev_b32_e32 v33, 25, v0
	v_and_b32_e32 v2, v2, v3
	v_cmp_gt_i64_e32 vcc, 0, v[32:33]
	v_not_b32_e32 v3, v33
	v_lshlrev_b32_e32 v33, 24, v0
	v_ashrrev_i32_e32 v3, 31, v3
	v_not_b32_e32 v0, v33
	v_and_b32_e32 v1, v1, v8
	v_xor_b32_e32 v8, vcc_hi, v3
	v_xor_b32_e32 v3, vcc_lo, v3
	v_cmp_gt_i64_e32 vcc, 0, v[32:33]
	v_ashrrev_i32_e32 v0, 31, v0
	v_and_b32_e32 v2, v2, v3
	v_xor_b32_e32 v3, vcc_hi, v0
	v_xor_b32_e32 v0, vcc_lo, v0
	v_and_b32_e32 v1, v1, v8
	v_and_b32_e32 v0, v2, v0
	;; [unrolled: 1-line block ×3, first 2 shown]
	v_mbcnt_lo_u32_b32 v2, v0, 0
	v_mbcnt_hi_u32_b32 v8, v1, v2
	v_cmp_eq_u32_e32 vcc, 0, v8
	v_cmp_ne_u64_e64 s[42:43], 0, v[0:1]
	s_and_b64 s[54:55], s[42:43], vcc
	; wave barrier
	s_and_saveexec_b64 s[42:43], s[54:55]
	s_cbranch_execz .LBB207_71
; %bb.70:                               ;   in Loop: Header=BB207_67 Depth=1
	v_bcnt_u32_b32 v0, v0, 0
	v_bcnt_u32_b32 v0, v1, v0
	s_waitcnt lgkmcnt(0)
	v_add_u32_e32 v0, v6, v0
	ds_write_b32 v7, v0
.LBB207_71:                             ;   in Loop: Header=BB207_67 Depth=1
	s_or_b64 exec, exec, s[42:43]
	v_cmp_ne_u32_e32 vcc, s51, v60
	v_cndmask_b32_e32 v0, v48, v60, vcc
	v_lshrrev_b32_e32 v0, s50, v0
	v_and_b32_e32 v0, s53, v0
	v_lshlrev_b32_e32 v1, 1, v0
	v_add_lshl_u32 v1, v1, v50, 2
	; wave barrier
	v_add_u32_e32 v10, 8, v1
	ds_read_b32 v9, v1 offset:8
	v_and_b32_e32 v1, 1, v0
	v_add_co_u32_e32 v2, vcc, -1, v1
	v_addc_co_u32_e64 v3, s[42:43], 0, -1, vcc
	v_cmp_ne_u32_e32 vcc, 0, v1
	v_lshlrev_b32_e32 v33, 30, v0
	v_xor_b32_e32 v1, vcc_hi, v3
	v_not_b32_e32 v3, v33
	v_xor_b32_e32 v2, vcc_lo, v2
	v_cmp_gt_i64_e32 vcc, 0, v[32:33]
	v_ashrrev_i32_e32 v3, 31, v3
	v_and_b32_e32 v2, exec_lo, v2
	v_xor_b32_e32 v11, vcc_hi, v3
	v_xor_b32_e32 v3, vcc_lo, v3
	v_lshlrev_b32_e32 v33, 29, v0
	v_and_b32_e32 v2, v2, v3
	v_not_b32_e32 v3, v33
	v_and_b32_e32 v1, exec_hi, v1
	v_cmp_gt_i64_e32 vcc, 0, v[32:33]
	v_ashrrev_i32_e32 v3, 31, v3
	v_and_b32_e32 v1, v1, v11
	v_xor_b32_e32 v11, vcc_hi, v3
	v_xor_b32_e32 v3, vcc_lo, v3
	v_lshlrev_b32_e32 v33, 28, v0
	v_and_b32_e32 v2, v2, v3
	v_not_b32_e32 v3, v33
	v_cmp_gt_i64_e32 vcc, 0, v[32:33]
	v_ashrrev_i32_e32 v3, 31, v3
	v_and_b32_e32 v1, v1, v11
	v_xor_b32_e32 v11, vcc_hi, v3
	v_xor_b32_e32 v3, vcc_lo, v3
	v_lshlrev_b32_e32 v33, 27, v0
	v_and_b32_e32 v2, v2, v3
	v_not_b32_e32 v3, v33
	v_cmp_gt_i64_e32 vcc, 0, v[32:33]
	v_ashrrev_i32_e32 v3, 31, v3
	v_and_b32_e32 v1, v1, v11
	v_xor_b32_e32 v11, vcc_hi, v3
	v_xor_b32_e32 v3, vcc_lo, v3
	v_lshlrev_b32_e32 v33, 26, v0
	v_and_b32_e32 v2, v2, v3
	v_not_b32_e32 v3, v33
	v_cmp_gt_i64_e32 vcc, 0, v[32:33]
	v_ashrrev_i32_e32 v3, 31, v3
	v_and_b32_e32 v1, v1, v11
	v_xor_b32_e32 v11, vcc_hi, v3
	v_xor_b32_e32 v3, vcc_lo, v3
	v_lshlrev_b32_e32 v33, 25, v0
	v_and_b32_e32 v2, v2, v3
	v_cmp_gt_i64_e32 vcc, 0, v[32:33]
	v_not_b32_e32 v3, v33
	v_lshlrev_b32_e32 v33, 24, v0
	v_ashrrev_i32_e32 v3, 31, v3
	v_not_b32_e32 v0, v33
	v_and_b32_e32 v1, v1, v11
	v_xor_b32_e32 v11, vcc_hi, v3
	v_xor_b32_e32 v3, vcc_lo, v3
	v_cmp_gt_i64_e32 vcc, 0, v[32:33]
	v_ashrrev_i32_e32 v0, 31, v0
	v_and_b32_e32 v2, v2, v3
	v_xor_b32_e32 v3, vcc_hi, v0
	v_xor_b32_e32 v0, vcc_lo, v0
	v_and_b32_e32 v1, v1, v11
	v_and_b32_e32 v0, v2, v0
	;; [unrolled: 1-line block ×3, first 2 shown]
	v_mbcnt_lo_u32_b32 v2, v0, 0
	v_mbcnt_hi_u32_b32 v11, v1, v2
	v_cmp_eq_u32_e32 vcc, 0, v11
	v_cmp_ne_u64_e64 s[42:43], 0, v[0:1]
	s_and_b64 s[54:55], s[42:43], vcc
	; wave barrier
	s_and_saveexec_b64 s[42:43], s[54:55]
	s_cbranch_execz .LBB207_73
; %bb.72:                               ;   in Loop: Header=BB207_67 Depth=1
	v_bcnt_u32_b32 v0, v0, 0
	v_bcnt_u32_b32 v0, v1, v0
	s_waitcnt lgkmcnt(0)
	v_add_u32_e32 v0, v9, v0
	ds_write_b32 v10, v0
.LBB207_73:                             ;   in Loop: Header=BB207_67 Depth=1
	s_or_b64 exec, exec, s[42:43]
	v_cmp_ne_u32_e32 vcc, s51, v59
	v_cndmask_b32_e32 v0, v48, v59, vcc
	v_lshrrev_b32_e32 v0, s50, v0
	v_and_b32_e32 v0, s53, v0
	v_lshlrev_b32_e32 v1, 1, v0
	v_add_lshl_u32 v1, v1, v50, 2
	; wave barrier
	v_add_u32_e32 v13, 8, v1
	ds_read_b32 v12, v1 offset:8
	v_and_b32_e32 v1, 1, v0
	v_add_co_u32_e32 v2, vcc, -1, v1
	v_addc_co_u32_e64 v3, s[42:43], 0, -1, vcc
	v_cmp_ne_u32_e32 vcc, 0, v1
	v_lshlrev_b32_e32 v33, 30, v0
	v_xor_b32_e32 v1, vcc_hi, v3
	v_not_b32_e32 v3, v33
	v_xor_b32_e32 v2, vcc_lo, v2
	v_cmp_gt_i64_e32 vcc, 0, v[32:33]
	v_ashrrev_i32_e32 v3, 31, v3
	v_and_b32_e32 v2, exec_lo, v2
	v_xor_b32_e32 v14, vcc_hi, v3
	v_xor_b32_e32 v3, vcc_lo, v3
	v_lshlrev_b32_e32 v33, 29, v0
	v_and_b32_e32 v2, v2, v3
	v_not_b32_e32 v3, v33
	v_and_b32_e32 v1, exec_hi, v1
	v_cmp_gt_i64_e32 vcc, 0, v[32:33]
	v_ashrrev_i32_e32 v3, 31, v3
	v_and_b32_e32 v1, v1, v14
	v_xor_b32_e32 v14, vcc_hi, v3
	v_xor_b32_e32 v3, vcc_lo, v3
	v_lshlrev_b32_e32 v33, 28, v0
	v_and_b32_e32 v2, v2, v3
	v_not_b32_e32 v3, v33
	v_cmp_gt_i64_e32 vcc, 0, v[32:33]
	v_ashrrev_i32_e32 v3, 31, v3
	v_and_b32_e32 v1, v1, v14
	v_xor_b32_e32 v14, vcc_hi, v3
	v_xor_b32_e32 v3, vcc_lo, v3
	v_lshlrev_b32_e32 v33, 27, v0
	v_and_b32_e32 v2, v2, v3
	v_not_b32_e32 v3, v33
	;; [unrolled: 8-line block ×3, first 2 shown]
	v_cmp_gt_i64_e32 vcc, 0, v[32:33]
	v_ashrrev_i32_e32 v3, 31, v3
	v_and_b32_e32 v1, v1, v14
	v_xor_b32_e32 v14, vcc_hi, v3
	v_xor_b32_e32 v3, vcc_lo, v3
	v_lshlrev_b32_e32 v33, 25, v0
	v_and_b32_e32 v2, v2, v3
	v_cmp_gt_i64_e32 vcc, 0, v[32:33]
	v_not_b32_e32 v3, v33
	v_lshlrev_b32_e32 v33, 24, v0
	v_ashrrev_i32_e32 v3, 31, v3
	v_not_b32_e32 v0, v33
	v_and_b32_e32 v1, v1, v14
	v_xor_b32_e32 v14, vcc_hi, v3
	v_xor_b32_e32 v3, vcc_lo, v3
	v_cmp_gt_i64_e32 vcc, 0, v[32:33]
	v_ashrrev_i32_e32 v0, 31, v0
	v_and_b32_e32 v2, v2, v3
	v_xor_b32_e32 v3, vcc_hi, v0
	v_xor_b32_e32 v0, vcc_lo, v0
	v_and_b32_e32 v1, v1, v14
	v_and_b32_e32 v0, v2, v0
	;; [unrolled: 1-line block ×3, first 2 shown]
	v_mbcnt_lo_u32_b32 v2, v0, 0
	v_mbcnt_hi_u32_b32 v14, v1, v2
	v_cmp_eq_u32_e32 vcc, 0, v14
	v_cmp_ne_u64_e64 s[42:43], 0, v[0:1]
	s_and_b64 s[54:55], s[42:43], vcc
	; wave barrier
	s_and_saveexec_b64 s[42:43], s[54:55]
	s_cbranch_execz .LBB207_75
; %bb.74:                               ;   in Loop: Header=BB207_67 Depth=1
	v_bcnt_u32_b32 v0, v0, 0
	v_bcnt_u32_b32 v0, v1, v0
	s_waitcnt lgkmcnt(0)
	v_add_u32_e32 v0, v12, v0
	ds_write_b32 v13, v0
.LBB207_75:                             ;   in Loop: Header=BB207_67 Depth=1
	s_or_b64 exec, exec, s[42:43]
	v_cmp_ne_u32_e32 vcc, s51, v58
	v_cndmask_b32_e32 v0, v48, v58, vcc
	v_lshrrev_b32_e32 v0, s50, v0
	v_and_b32_e32 v0, s53, v0
	v_lshlrev_b32_e32 v1, 1, v0
	v_add_lshl_u32 v1, v1, v50, 2
	; wave barrier
	v_add_u32_e32 v40, 8, v1
	ds_read_b32 v15, v1 offset:8
	v_and_b32_e32 v1, 1, v0
	v_add_co_u32_e32 v2, vcc, -1, v1
	v_addc_co_u32_e64 v3, s[42:43], 0, -1, vcc
	v_cmp_ne_u32_e32 vcc, 0, v1
	v_lshlrev_b32_e32 v33, 30, v0
	v_xor_b32_e32 v1, vcc_hi, v3
	v_not_b32_e32 v3, v33
	v_xor_b32_e32 v2, vcc_lo, v2
	v_cmp_gt_i64_e32 vcc, 0, v[32:33]
	v_ashrrev_i32_e32 v3, 31, v3
	v_and_b32_e32 v1, exec_hi, v1
	v_xor_b32_e32 v33, vcc_hi, v3
	v_and_b32_e32 v2, exec_lo, v2
	v_xor_b32_e32 v3, vcc_lo, v3
	v_and_b32_e32 v1, v1, v33
	v_lshlrev_b32_e32 v33, 29, v0
	v_and_b32_e32 v2, v2, v3
	v_not_b32_e32 v3, v33
	v_cmp_gt_i64_e32 vcc, 0, v[32:33]
	v_ashrrev_i32_e32 v3, 31, v3
	v_xor_b32_e32 v33, vcc_hi, v3
	v_xor_b32_e32 v3, vcc_lo, v3
	v_and_b32_e32 v1, v1, v33
	v_lshlrev_b32_e32 v33, 28, v0
	v_and_b32_e32 v2, v2, v3
	v_not_b32_e32 v3, v33
	v_cmp_gt_i64_e32 vcc, 0, v[32:33]
	v_ashrrev_i32_e32 v3, 31, v3
	v_xor_b32_e32 v33, vcc_hi, v3
	;; [unrolled: 8-line block ×5, first 2 shown]
	v_and_b32_e32 v1, v1, v33
	v_lshlrev_b32_e32 v33, 24, v0
	v_not_b32_e32 v0, v33
	v_xor_b32_e32 v3, vcc_lo, v3
	v_cmp_gt_i64_e32 vcc, 0, v[32:33]
	v_ashrrev_i32_e32 v0, 31, v0
	v_and_b32_e32 v2, v2, v3
	v_xor_b32_e32 v3, vcc_hi, v0
	v_xor_b32_e32 v0, vcc_lo, v0
	v_and_b32_e32 v0, v2, v0
	v_and_b32_e32 v1, v1, v3
	v_mbcnt_lo_u32_b32 v2, v0, 0
	v_mbcnt_hi_u32_b32 v41, v1, v2
	v_cmp_eq_u32_e32 vcc, 0, v41
	v_cmp_ne_u64_e64 s[42:43], 0, v[0:1]
	s_and_b64 s[54:55], s[42:43], vcc
	; wave barrier
	s_and_saveexec_b64 s[42:43], s[54:55]
	s_cbranch_execz .LBB207_77
; %bb.76:                               ;   in Loop: Header=BB207_67 Depth=1
	v_bcnt_u32_b32 v0, v0, 0
	v_bcnt_u32_b32 v0, v1, v0
	s_waitcnt lgkmcnt(0)
	v_add_u32_e32 v0, v15, v0
	ds_write_b32 v40, v0
.LBB207_77:                             ;   in Loop: Header=BB207_67 Depth=1
	s_or_b64 exec, exec, s[42:43]
	v_cmp_ne_u32_e32 vcc, s51, v57
	v_cndmask_b32_e32 v0, v48, v57, vcc
	v_lshrrev_b32_e32 v0, s50, v0
	v_and_b32_e32 v0, s53, v0
	v_lshlrev_b32_e32 v1, 1, v0
	v_add_lshl_u32 v1, v1, v50, 2
	; wave barrier
	v_add_u32_e32 v43, 8, v1
	ds_read_b32 v42, v1 offset:8
	v_and_b32_e32 v1, 1, v0
	v_add_co_u32_e32 v2, vcc, -1, v1
	v_addc_co_u32_e64 v3, s[42:43], 0, -1, vcc
	v_cmp_ne_u32_e32 vcc, 0, v1
	v_lshlrev_b32_e32 v33, 30, v0
	v_xor_b32_e32 v1, vcc_hi, v3
	v_not_b32_e32 v3, v33
	v_xor_b32_e32 v2, vcc_lo, v2
	v_cmp_gt_i64_e32 vcc, 0, v[32:33]
	v_ashrrev_i32_e32 v3, 31, v3
	v_and_b32_e32 v1, exec_hi, v1
	v_xor_b32_e32 v33, vcc_hi, v3
	v_and_b32_e32 v2, exec_lo, v2
	v_xor_b32_e32 v3, vcc_lo, v3
	v_and_b32_e32 v1, v1, v33
	v_lshlrev_b32_e32 v33, 29, v0
	v_and_b32_e32 v2, v2, v3
	v_not_b32_e32 v3, v33
	v_cmp_gt_i64_e32 vcc, 0, v[32:33]
	v_ashrrev_i32_e32 v3, 31, v3
	v_xor_b32_e32 v33, vcc_hi, v3
	v_xor_b32_e32 v3, vcc_lo, v3
	v_and_b32_e32 v1, v1, v33
	v_lshlrev_b32_e32 v33, 28, v0
	v_and_b32_e32 v2, v2, v3
	v_not_b32_e32 v3, v33
	v_cmp_gt_i64_e32 vcc, 0, v[32:33]
	v_ashrrev_i32_e32 v3, 31, v3
	v_xor_b32_e32 v33, vcc_hi, v3
	;; [unrolled: 8-line block ×5, first 2 shown]
	v_and_b32_e32 v1, v1, v33
	v_lshlrev_b32_e32 v33, 24, v0
	v_not_b32_e32 v0, v33
	v_xor_b32_e32 v3, vcc_lo, v3
	v_cmp_gt_i64_e32 vcc, 0, v[32:33]
	v_ashrrev_i32_e32 v0, 31, v0
	v_and_b32_e32 v2, v2, v3
	v_xor_b32_e32 v3, vcc_hi, v0
	v_xor_b32_e32 v0, vcc_lo, v0
	v_and_b32_e32 v0, v2, v0
	v_and_b32_e32 v1, v1, v3
	v_mbcnt_lo_u32_b32 v2, v0, 0
	v_mbcnt_hi_u32_b32 v44, v1, v2
	v_cmp_eq_u32_e32 vcc, 0, v44
	v_cmp_ne_u64_e64 s[42:43], 0, v[0:1]
	s_and_b64 s[54:55], s[42:43], vcc
	; wave barrier
	s_and_saveexec_b64 s[42:43], s[54:55]
	s_cbranch_execz .LBB207_79
; %bb.78:                               ;   in Loop: Header=BB207_67 Depth=1
	v_bcnt_u32_b32 v0, v0, 0
	v_bcnt_u32_b32 v0, v1, v0
	s_waitcnt lgkmcnt(0)
	v_add_u32_e32 v0, v42, v0
	ds_write_b32 v43, v0
.LBB207_79:                             ;   in Loop: Header=BB207_67 Depth=1
	s_or_b64 exec, exec, s[42:43]
	v_cmp_ne_u32_e32 vcc, s51, v56
	v_cndmask_b32_e32 v0, v48, v56, vcc
	v_lshrrev_b32_e32 v0, s50, v0
	v_and_b32_e32 v0, s53, v0
	v_lshlrev_b32_e32 v1, 1, v0
	v_add_lshl_u32 v1, v1, v50, 2
	; wave barrier
	v_add_u32_e32 v46, 8, v1
	ds_read_b32 v45, v1 offset:8
	v_and_b32_e32 v1, 1, v0
	v_add_co_u32_e32 v2, vcc, -1, v1
	v_addc_co_u32_e64 v3, s[42:43], 0, -1, vcc
	v_cmp_ne_u32_e32 vcc, 0, v1
	v_lshlrev_b32_e32 v33, 30, v0
	v_xor_b32_e32 v1, vcc_hi, v3
	v_not_b32_e32 v3, v33
	v_xor_b32_e32 v2, vcc_lo, v2
	v_cmp_gt_i64_e32 vcc, 0, v[32:33]
	v_ashrrev_i32_e32 v3, 31, v3
	v_and_b32_e32 v1, exec_hi, v1
	v_xor_b32_e32 v33, vcc_hi, v3
	v_and_b32_e32 v2, exec_lo, v2
	v_xor_b32_e32 v3, vcc_lo, v3
	v_and_b32_e32 v1, v1, v33
	v_lshlrev_b32_e32 v33, 29, v0
	v_and_b32_e32 v2, v2, v3
	v_not_b32_e32 v3, v33
	v_cmp_gt_i64_e32 vcc, 0, v[32:33]
	v_ashrrev_i32_e32 v3, 31, v3
	v_xor_b32_e32 v33, vcc_hi, v3
	v_xor_b32_e32 v3, vcc_lo, v3
	v_and_b32_e32 v1, v1, v33
	v_lshlrev_b32_e32 v33, 28, v0
	v_and_b32_e32 v2, v2, v3
	v_not_b32_e32 v3, v33
	v_cmp_gt_i64_e32 vcc, 0, v[32:33]
	v_ashrrev_i32_e32 v3, 31, v3
	v_xor_b32_e32 v33, vcc_hi, v3
	;; [unrolled: 8-line block ×5, first 2 shown]
	v_and_b32_e32 v1, v1, v33
	v_lshlrev_b32_e32 v33, 24, v0
	v_not_b32_e32 v0, v33
	v_xor_b32_e32 v3, vcc_lo, v3
	v_cmp_gt_i64_e32 vcc, 0, v[32:33]
	v_ashrrev_i32_e32 v0, 31, v0
	v_and_b32_e32 v2, v2, v3
	v_xor_b32_e32 v3, vcc_hi, v0
	v_xor_b32_e32 v0, vcc_lo, v0
	v_and_b32_e32 v0, v2, v0
	v_and_b32_e32 v1, v1, v3
	v_mbcnt_lo_u32_b32 v2, v0, 0
	v_mbcnt_hi_u32_b32 v47, v1, v2
	v_cmp_eq_u32_e32 vcc, 0, v47
	v_cmp_ne_u64_e64 s[42:43], 0, v[0:1]
	s_and_b64 s[54:55], s[42:43], vcc
	; wave barrier
	s_and_saveexec_b64 s[42:43], s[54:55]
	s_cbranch_execz .LBB207_81
; %bb.80:                               ;   in Loop: Header=BB207_67 Depth=1
	v_bcnt_u32_b32 v0, v0, 0
	v_bcnt_u32_b32 v0, v1, v0
	s_waitcnt lgkmcnt(0)
	v_add_u32_e32 v0, v45, v0
	ds_write_b32 v46, v0
.LBB207_81:                             ;   in Loop: Header=BB207_67 Depth=1
	s_or_b64 exec, exec, s[42:43]
	v_cmp_ne_u32_e32 vcc, s51, v55
	v_cndmask_b32_e32 v0, v48, v55, vcc
	v_lshrrev_b32_e32 v0, s50, v0
	v_and_b32_e32 v0, s53, v0
	v_lshlrev_b32_e32 v1, 1, v0
	v_add_lshl_u32 v1, v1, v50, 2
	; wave barrier
	v_add_u32_e32 v64, 8, v1
	ds_read_b32 v63, v1 offset:8
	v_and_b32_e32 v1, 1, v0
	v_add_co_u32_e32 v2, vcc, -1, v1
	v_addc_co_u32_e64 v3, s[42:43], 0, -1, vcc
	v_cmp_ne_u32_e32 vcc, 0, v1
	v_lshlrev_b32_e32 v33, 30, v0
	v_xor_b32_e32 v1, vcc_hi, v3
	v_not_b32_e32 v3, v33
	v_xor_b32_e32 v2, vcc_lo, v2
	v_cmp_gt_i64_e32 vcc, 0, v[32:33]
	v_ashrrev_i32_e32 v3, 31, v3
	v_and_b32_e32 v1, exec_hi, v1
	v_xor_b32_e32 v33, vcc_hi, v3
	v_and_b32_e32 v2, exec_lo, v2
	v_xor_b32_e32 v3, vcc_lo, v3
	v_and_b32_e32 v1, v1, v33
	v_lshlrev_b32_e32 v33, 29, v0
	v_and_b32_e32 v2, v2, v3
	v_not_b32_e32 v3, v33
	v_cmp_gt_i64_e32 vcc, 0, v[32:33]
	v_ashrrev_i32_e32 v3, 31, v3
	v_xor_b32_e32 v33, vcc_hi, v3
	v_xor_b32_e32 v3, vcc_lo, v3
	v_and_b32_e32 v1, v1, v33
	v_lshlrev_b32_e32 v33, 28, v0
	v_and_b32_e32 v2, v2, v3
	v_not_b32_e32 v3, v33
	v_cmp_gt_i64_e32 vcc, 0, v[32:33]
	v_ashrrev_i32_e32 v3, 31, v3
	v_xor_b32_e32 v33, vcc_hi, v3
	v_xor_b32_e32 v3, vcc_lo, v3
	v_and_b32_e32 v1, v1, v33
	v_lshlrev_b32_e32 v33, 27, v0
	v_and_b32_e32 v2, v2, v3
	v_not_b32_e32 v3, v33
	v_cmp_gt_i64_e32 vcc, 0, v[32:33]
	v_ashrrev_i32_e32 v3, 31, v3
	v_xor_b32_e32 v33, vcc_hi, v3
	v_xor_b32_e32 v3, vcc_lo, v3
	v_and_b32_e32 v1, v1, v33
	v_lshlrev_b32_e32 v33, 26, v0
	v_and_b32_e32 v2, v2, v3
	v_not_b32_e32 v3, v33
	v_cmp_gt_i64_e32 vcc, 0, v[32:33]
	v_ashrrev_i32_e32 v3, 31, v3
	v_xor_b32_e32 v33, vcc_hi, v3
	v_xor_b32_e32 v3, vcc_lo, v3
	v_and_b32_e32 v1, v1, v33
	v_lshlrev_b32_e32 v33, 25, v0
	v_and_b32_e32 v2, v2, v3
	v_not_b32_e32 v3, v33
	v_cmp_gt_i64_e32 vcc, 0, v[32:33]
	v_ashrrev_i32_e32 v3, 31, v3
	v_xor_b32_e32 v33, vcc_hi, v3
	v_and_b32_e32 v1, v1, v33
	v_lshlrev_b32_e32 v33, 24, v0
	v_not_b32_e32 v0, v33
	v_xor_b32_e32 v3, vcc_lo, v3
	v_cmp_gt_i64_e32 vcc, 0, v[32:33]
	v_ashrrev_i32_e32 v0, 31, v0
	v_and_b32_e32 v2, v2, v3
	v_xor_b32_e32 v3, vcc_hi, v0
	v_xor_b32_e32 v0, vcc_lo, v0
	v_and_b32_e32 v0, v2, v0
	v_and_b32_e32 v1, v1, v3
	v_mbcnt_lo_u32_b32 v2, v0, 0
	v_mbcnt_hi_u32_b32 v70, v1, v2
	v_cmp_eq_u32_e32 vcc, 0, v70
	v_cmp_ne_u64_e64 s[42:43], 0, v[0:1]
	s_and_b64 s[54:55], s[42:43], vcc
	; wave barrier
	s_and_saveexec_b64 s[42:43], s[54:55]
	s_cbranch_execz .LBB207_83
; %bb.82:                               ;   in Loop: Header=BB207_67 Depth=1
	v_bcnt_u32_b32 v0, v0, 0
	v_bcnt_u32_b32 v0, v1, v0
	s_waitcnt lgkmcnt(0)
	v_add_u32_e32 v0, v63, v0
	ds_write_b32 v64, v0
.LBB207_83:                             ;   in Loop: Header=BB207_67 Depth=1
	s_or_b64 exec, exec, s[42:43]
	; wave barrier
	s_waitcnt lgkmcnt(0)
	s_barrier
	ds_read2_b32 v[2:3], v89 offset0:2 offset1:3
	ds_read2_b32 v[0:1], v49 offset0:2 offset1:3
	s_waitcnt lgkmcnt(1)
	v_add_u32_e32 v33, v3, v2
	s_waitcnt lgkmcnt(0)
	v_add3_u32 v1, v33, v0, v1
	s_nop 1
	v_mov_b32_dpp v33, v1 row_shr:1 row_mask:0xf bank_mask:0xf
	v_cndmask_b32_e64 v33, v33, 0, s[16:17]
	v_add_u32_e32 v1, v33, v1
	s_nop 1
	v_mov_b32_dpp v33, v1 row_shr:2 row_mask:0xf bank_mask:0xf
	v_cndmask_b32_e64 v33, 0, v33, s[18:19]
	v_add_u32_e32 v1, v1, v33
	;; [unrolled: 4-line block ×4, first 2 shown]
	s_nop 1
	v_mov_b32_dpp v33, v1 row_bcast:15 row_mask:0xf bank_mask:0xf
	v_cndmask_b32_e64 v33, v33, 0, s[24:25]
	v_add_u32_e32 v1, v1, v33
	s_nop 1
	v_mov_b32_dpp v33, v1 row_bcast:31 row_mask:0xf bank_mask:0xf
	v_cndmask_b32_e64 v33, 0, v33, s[26:27]
	v_add_u32_e32 v1, v1, v33
	s_and_saveexec_b64 s[42:43], s[28:29]
	s_cbranch_execz .LBB207_85
; %bb.84:                               ;   in Loop: Header=BB207_67 Depth=1
	ds_write_b32 v38, v1
.LBB207_85:                             ;   in Loop: Header=BB207_67 Depth=1
	s_or_b64 exec, exec, s[42:43]
	s_waitcnt lgkmcnt(0)
	s_barrier
	s_and_saveexec_b64 s[42:43], s[30:31]
	s_cbranch_execz .LBB207_87
; %bb.86:                               ;   in Loop: Header=BB207_67 Depth=1
	ds_read_b32 v33, v88
	s_waitcnt lgkmcnt(0)
	s_nop 0
	v_mov_b32_dpp v65, v33 row_shr:1 row_mask:0xf bank_mask:0xf
	v_cndmask_b32_e64 v65, v65, 0, s[40:41]
	v_add_u32_e32 v33, v65, v33
	ds_write_b32 v88, v33
.LBB207_87:                             ;   in Loop: Header=BB207_67 Depth=1
	s_or_b64 exec, exec, s[42:43]
	v_mov_b32_e32 v33, 0
	s_waitcnt lgkmcnt(0)
	s_barrier
	s_and_saveexec_b64 s[42:43], s[34:35]
	s_cbranch_execz .LBB207_89
; %bb.88:                               ;   in Loop: Header=BB207_67 Depth=1
	ds_read_b32 v33, v52
.LBB207_89:                             ;   in Loop: Header=BB207_67 Depth=1
	s_or_b64 exec, exec, s[42:43]
	s_waitcnt lgkmcnt(0)
	v_add_u32_e32 v1, v33, v1
	ds_bpermute_b32 v1, v51, v1
	s_cmp_gt_u32 s50, 23
	s_waitcnt lgkmcnt(0)
	v_cndmask_b32_e64 v1, v1, v33, s[36:37]
	v_cndmask_b32_e64 v1, v1, 0, s[38:39]
	v_add_u32_e32 v2, v1, v2
	v_add_u32_e32 v3, v2, v3
	v_add_u32_e32 v0, v3, v0
	ds_write2_b32 v89, v1, v2 offset0:2 offset1:3
	ds_write2_b32 v49, v3, v0 offset0:2 offset1:3
	s_waitcnt lgkmcnt(0)
	s_barrier
	ds_read_b32 v0, v4
	ds_read_b32 v1, v7
	;; [unrolled: 1-line block ×8, first 2 shown]
	s_waitcnt lgkmcnt(7)
	v_add_u32_e32 v33, v0, v5
	s_waitcnt lgkmcnt(6)
	v_add3_u32 v64, v8, v6, v1
	s_waitcnt lgkmcnt(5)
	v_add3_u32 v65, v11, v9, v2
	;; [unrolled: 2-line block ×7, first 2 shown]
	s_cbranch_scc0 .LBB207_66
; %bb.90:
                                        ; implicit-def: $vgpr47
                                        ; implicit-def: $vgpr45
                                        ; implicit-def: $vgpr43
                                        ; implicit-def: $vgpr41
                                        ; implicit-def: $vgpr14_vgpr15
                                        ; implicit-def: $vgpr10_vgpr11
                                        ; implicit-def: $vgpr6_vgpr7
                                        ; implicit-def: $vgpr2_vgpr3
                                        ; implicit-def: $sgpr50
                                        ; implicit-def: $sgpr52
.LBB207_91:
	v_lshlrev_b32_e32 v0, 2, v33
	s_barrier
	ds_write_b32 v0, v62
	v_lshlrev_b32_e32 v0, 2, v64
	ds_write_b32 v0, v61
	v_lshlrev_b32_e32 v0, 2, v65
	;; [unrolled: 2-line block ×7, first 2 shown]
	v_lshlrev_b32_e32 v6, 2, v87
	ds_write_b32 v0, v55
	s_waitcnt lgkmcnt(0)
	s_barrier
	ds_read2_b32 v[0:1], v6 offset1:1
	ds_read2_b32 v[2:3], v6 offset0:2 offset1:3
	ds_read2_b32 v[4:5], v6 offset0:4 offset1:5
	ds_read2_b32 v[6:7], v6 offset0:6 offset1:7
	v_bfrev_b32_e32 v38, -2
	v_lshlrev_b32_e32 v8, 3, v33
	v_lshlrev_b32_e32 v32, 3, v87
	s_waitcnt lgkmcnt(3)
	v_cmp_gt_i32_e32 vcc, 0, v1
	v_cndmask_b32_e64 v33, v38, 0, vcc
	v_cmp_gt_i32_e32 vcc, 0, v0
	v_lshlrev_b32_e32 v9, 3, v64
	v_lshlrev_b32_e32 v10, 3, v65
	;; [unrolled: 1-line block ×7, first 2 shown]
	v_cndmask_b32_e64 v40, v38, 0, vcc
	v_xor_b32_e32 v63, v33, v1
	s_waitcnt lgkmcnt(2)
	v_cmp_gt_i32_e32 vcc, 0, v3
	s_waitcnt lgkmcnt(0)
	s_barrier
	ds_write_b64 v8, v[30:31]
	ds_write_b64 v9, v[28:29]
	ds_write_b64 v10, v[26:27]
	ds_write_b64 v11, v[24:25]
	ds_write_b64 v12, v[22:23]
	ds_write_b64 v13, v[20:21]
	ds_write_b64 v14, v[18:19]
	ds_write_b64 v15, v[16:17]
	s_waitcnt lgkmcnt(0)
	s_barrier
	ds_read2_b64 v[18:21], v32 offset1:1
	ds_read2_b64 v[22:25], v32 offset0:2 offset1:3
	ds_read2_b64 v[26:29], v32 offset0:4 offset1:5
	;; [unrolled: 1-line block ×3, first 2 shown]
	v_xor_b32_e32 v62, v40, v0
	v_cndmask_b32_e64 v0, v38, 0, vcc
	v_cmp_gt_i32_e32 vcc, 0, v2
	v_cndmask_b32_e64 v1, v38, 0, vcc
	v_cmp_gt_i32_e32 vcc, 0, v5
	v_xor_b32_e32 v65, v0, v3
	v_cndmask_b32_e64 v0, v38, 0, vcc
	v_cmp_gt_i32_e32 vcc, 0, v4
	v_xor_b32_e32 v64, v1, v2
	;; [unrolled: 3-line block ×4, first 2 shown]
	v_cndmask_b32_e64 v0, v38, 0, vcc
	v_xor_b32_e32 v0, v0, v6
	v_xor_b32_e32 v1, v1, v7
.LBB207_92:
	s_waitcnt lgkmcnt(0)
	s_barrier
	ds_write2_b32 v78, v62, v63 offset1:1
	ds_write2_b32 v78, v64, v65 offset0:2 offset1:3
	ds_write2_b32 v78, v66, v67 offset0:4 offset1:5
	;; [unrolled: 1-line block ×3, first 2 shown]
	s_waitcnt lgkmcnt(0)
	s_barrier
	ds_read_b32 v8, v35 offset:512
	ds_read_b32 v7, v72 offset:1024
	ds_read_b32 v6, v73 offset:1536
	ds_read_b32 v5, v74 offset:2048
	ds_read_b32 v4, v75 offset:2560
	ds_read_b32 v3, v76 offset:3072
	ds_read_b32 v2, v77 offset:3584
	v_mov_b32_e32 v35, 0
	v_lshlrev_b64 v[0:1], 2, v[34:35]
	v_mov_b32_e32 v9, s44
	v_add_co_u32_e32 v0, vcc, s33, v0
	v_addc_co_u32_e32 v1, vcc, v9, v1, vcc
	s_and_saveexec_b64 s[16:17], s[0:1]
	s_cbranch_execnz .LBB207_111
; %bb.93:
	s_or_b64 exec, exec, s[16:17]
	s_and_saveexec_b64 s[16:17], s[2:3]
	s_cbranch_execnz .LBB207_112
.LBB207_94:
	s_or_b64 exec, exec, s[16:17]
	s_and_saveexec_b64 s[16:17], s[4:5]
	s_cbranch_execnz .LBB207_113
.LBB207_95:
	s_or_b64 exec, exec, s[16:17]
	s_and_saveexec_b64 s[16:17], s[6:7]
	s_cbranch_execnz .LBB207_114
.LBB207_96:
	s_or_b64 exec, exec, s[16:17]
	s_and_saveexec_b64 s[16:17], s[8:9]
	s_cbranch_execnz .LBB207_115
.LBB207_97:
	s_or_b64 exec, exec, s[16:17]
	s_and_saveexec_b64 s[16:17], s[10:11]
	s_cbranch_execnz .LBB207_116
.LBB207_98:
	s_or_b64 exec, exec, s[16:17]
	s_and_saveexec_b64 s[16:17], s[12:13]
	s_cbranch_execnz .LBB207_117
.LBB207_99:
	s_or_b64 exec, exec, s[16:17]
	s_and_saveexec_b64 s[16:17], s[14:15]
	s_cbranch_execz .LBB207_101
.LBB207_100:
	s_mul_i32 s18, s46, 0x380
	s_mov_b32 s19, 0
	s_lshl_b64 s[18:19], s[18:19], 2
	s_waitcnt lgkmcnt(1)
	v_mov_b32_e32 v3, s19
	v_add_co_u32_e32 v0, vcc, s18, v0
	v_addc_co_u32_e32 v1, vcc, v1, v3, vcc
	s_waitcnt lgkmcnt(0)
	global_store_dword v[0:1], v2, off
.LBB207_101:
	s_or_b64 exec, exec, s[16:17]
	s_waitcnt lgkmcnt(0)
	s_barrier
	ds_write2_b64 v86, v[18:19], v[20:21] offset1:1
	ds_write2_b64 v86, v[22:23], v[24:25] offset0:2 offset1:3
	ds_write2_b64 v86, v[26:27], v[28:29] offset0:4 offset1:5
	;; [unrolled: 1-line block ×3, first 2 shown]
	s_waitcnt lgkmcnt(0)
	s_barrier
	ds_read_b64 v[14:15], v37 offset:1024
	ds_read_b64 v[12:13], v80 offset:2048
	;; [unrolled: 1-line block ×7, first 2 shown]
	v_mov_b32_e32 v37, 0
	v_lshlrev_b64 v[2:3], 3, v[36:37]
	v_mov_b32_e32 v16, s47
	v_add_co_u32_e32 v2, vcc, s45, v2
	v_addc_co_u32_e32 v3, vcc, v16, v3, vcc
	s_and_saveexec_b64 s[16:17], s[0:1]
	s_cbranch_execnz .LBB207_118
; %bb.102:
	s_or_b64 exec, exec, s[16:17]
	s_and_saveexec_b64 s[0:1], s[2:3]
	s_cbranch_execnz .LBB207_119
.LBB207_103:
	s_or_b64 exec, exec, s[0:1]
	s_and_saveexec_b64 s[0:1], s[4:5]
	s_cbranch_execnz .LBB207_120
.LBB207_104:
	s_or_b64 exec, exec, s[0:1]
	s_and_saveexec_b64 s[0:1], s[6:7]
	s_cbranch_execnz .LBB207_121
.LBB207_105:
	s_or_b64 exec, exec, s[0:1]
	s_and_saveexec_b64 s[0:1], s[8:9]
	s_cbranch_execnz .LBB207_122
.LBB207_106:
	s_or_b64 exec, exec, s[0:1]
	s_and_saveexec_b64 s[0:1], s[10:11]
	s_cbranch_execnz .LBB207_123
.LBB207_107:
	s_or_b64 exec, exec, s[0:1]
	s_and_saveexec_b64 s[0:1], s[12:13]
	s_cbranch_execnz .LBB207_124
.LBB207_108:
	s_or_b64 exec, exec, s[0:1]
	s_and_saveexec_b64 s[0:1], s[14:15]
	s_cbranch_execz .LBB207_110
.LBB207_109:
	s_mul_i32 s0, s48, 0x380
	s_mov_b32 s1, 0
	s_lshl_b64 s[0:1], s[0:1], 3
	s_waitcnt lgkmcnt(1)
	v_mov_b32_e32 v4, s1
	v_add_co_u32_e32 v2, vcc, s0, v2
	v_addc_co_u32_e32 v3, vcc, v3, v4, vcc
	s_waitcnt lgkmcnt(0)
	global_store_dwordx2 v[2:3], v[0:1], off
.LBB207_110:
	s_endpgm
.LBB207_111:
	ds_read_b32 v9, v39
	s_waitcnt lgkmcnt(0)
	global_store_dword v[0:1], v9, off
	s_or_b64 exec, exec, s[16:17]
	s_and_saveexec_b64 s[16:17], s[2:3]
	s_cbranch_execz .LBB207_94
.LBB207_112:
	s_lshl_b32 s18, s46, 7
	s_mov_b32 s19, 0
	s_lshl_b64 s[18:19], s[18:19], 2
	v_mov_b32_e32 v9, s19
	v_add_co_u32_e32 v10, vcc, s18, v0
	v_addc_co_u32_e32 v11, vcc, v1, v9, vcc
	s_waitcnt lgkmcnt(6)
	global_store_dword v[10:11], v8, off
	s_or_b64 exec, exec, s[16:17]
	s_and_saveexec_b64 s[16:17], s[4:5]
	s_cbranch_execz .LBB207_95
.LBB207_113:
	s_lshl_b32 s18, s46, 8
	s_mov_b32 s19, 0
	s_lshl_b64 s[18:19], s[18:19], 2
	v_mov_b32_e32 v9, s19
	s_waitcnt lgkmcnt(6)
	v_add_co_u32_e32 v8, vcc, s18, v0
	v_addc_co_u32_e32 v9, vcc, v1, v9, vcc
	s_waitcnt lgkmcnt(5)
	global_store_dword v[8:9], v7, off
	s_or_b64 exec, exec, s[16:17]
	s_and_saveexec_b64 s[16:17], s[6:7]
	s_cbranch_execz .LBB207_96
.LBB207_114:
	s_mul_i32 s18, s46, 0x180
	s_mov_b32 s19, 0
	s_lshl_b64 s[18:19], s[18:19], 2
	s_waitcnt lgkmcnt(5)
	v_mov_b32_e32 v7, s19
	v_add_co_u32_e32 v8, vcc, s18, v0
	v_addc_co_u32_e32 v9, vcc, v1, v7, vcc
	s_waitcnt lgkmcnt(4)
	global_store_dword v[8:9], v6, off
	s_or_b64 exec, exec, s[16:17]
	s_and_saveexec_b64 s[16:17], s[8:9]
	s_cbranch_execz .LBB207_97
.LBB207_115:
	s_lshl_b32 s18, s46, 9
	s_mov_b32 s19, 0
	s_lshl_b64 s[18:19], s[18:19], 2
	s_waitcnt lgkmcnt(5)
	v_mov_b32_e32 v7, s19
	s_waitcnt lgkmcnt(4)
	v_add_co_u32_e32 v6, vcc, s18, v0
	v_addc_co_u32_e32 v7, vcc, v1, v7, vcc
	s_waitcnt lgkmcnt(3)
	global_store_dword v[6:7], v5, off
	s_or_b64 exec, exec, s[16:17]
	s_and_saveexec_b64 s[16:17], s[10:11]
	s_cbranch_execz .LBB207_98
.LBB207_116:
	s_mul_i32 s18, s46, 0x280
	s_mov_b32 s19, 0
	s_lshl_b64 s[18:19], s[18:19], 2
	s_waitcnt lgkmcnt(3)
	v_mov_b32_e32 v5, s19
	v_add_co_u32_e32 v6, vcc, s18, v0
	v_addc_co_u32_e32 v7, vcc, v1, v5, vcc
	s_waitcnt lgkmcnt(2)
	global_store_dword v[6:7], v4, off
	s_or_b64 exec, exec, s[16:17]
	s_and_saveexec_b64 s[16:17], s[12:13]
	s_cbranch_execz .LBB207_99
.LBB207_117:
	s_mul_i32 s18, s46, 0x300
	s_mov_b32 s19, 0
	s_lshl_b64 s[18:19], s[18:19], 2
	s_waitcnt lgkmcnt(3)
	v_mov_b32_e32 v5, s19
	s_waitcnt lgkmcnt(2)
	v_add_co_u32_e32 v4, vcc, s18, v0
	v_addc_co_u32_e32 v5, vcc, v1, v5, vcc
	s_waitcnt lgkmcnt(1)
	global_store_dword v[4:5], v3, off
	s_or_b64 exec, exec, s[16:17]
	s_and_saveexec_b64 s[16:17], s[14:15]
	s_cbranch_execnz .LBB207_100
	s_branch .LBB207_101
.LBB207_118:
	ds_read_b64 v[16:17], v79
	s_waitcnt lgkmcnt(0)
	global_store_dwordx2 v[2:3], v[16:17], off
	s_or_b64 exec, exec, s[16:17]
	s_and_saveexec_b64 s[0:1], s[2:3]
	s_cbranch_execz .LBB207_103
.LBB207_119:
	s_lshl_b32 s2, s48, 7
	s_mov_b32 s3, 0
	s_lshl_b64 s[2:3], s[2:3], 3
	v_mov_b32_e32 v17, s3
	v_add_co_u32_e32 v16, vcc, s2, v2
	v_addc_co_u32_e32 v17, vcc, v3, v17, vcc
	s_waitcnt lgkmcnt(6)
	global_store_dwordx2 v[16:17], v[14:15], off
	s_or_b64 exec, exec, s[0:1]
	s_and_saveexec_b64 s[0:1], s[4:5]
	s_cbranch_execz .LBB207_104
.LBB207_120:
	s_lshl_b32 s2, s48, 8
	s_mov_b32 s3, 0
	s_lshl_b64 s[2:3], s[2:3], 3
	s_waitcnt lgkmcnt(6)
	v_mov_b32_e32 v15, s3
	v_add_co_u32_e32 v14, vcc, s2, v2
	v_addc_co_u32_e32 v15, vcc, v3, v15, vcc
	s_waitcnt lgkmcnt(5)
	global_store_dwordx2 v[14:15], v[12:13], off
	s_or_b64 exec, exec, s[0:1]
	s_and_saveexec_b64 s[0:1], s[6:7]
	s_cbranch_execz .LBB207_105
.LBB207_121:
	s_mul_i32 s2, s48, 0x180
	s_mov_b32 s3, 0
	s_lshl_b64 s[2:3], s[2:3], 3
	s_waitcnt lgkmcnt(5)
	v_mov_b32_e32 v13, s3
	v_add_co_u32_e32 v12, vcc, s2, v2
	v_addc_co_u32_e32 v13, vcc, v3, v13, vcc
	s_waitcnt lgkmcnt(4)
	global_store_dwordx2 v[12:13], v[10:11], off
	s_or_b64 exec, exec, s[0:1]
	s_and_saveexec_b64 s[0:1], s[8:9]
	s_cbranch_execz .LBB207_106
.LBB207_122:
	s_lshl_b32 s2, s48, 9
	s_mov_b32 s3, 0
	s_lshl_b64 s[2:3], s[2:3], 3
	s_waitcnt lgkmcnt(4)
	v_mov_b32_e32 v11, s3
	v_add_co_u32_e32 v10, vcc, s2, v2
	v_addc_co_u32_e32 v11, vcc, v3, v11, vcc
	s_waitcnt lgkmcnt(3)
	global_store_dwordx2 v[10:11], v[8:9], off
	s_or_b64 exec, exec, s[0:1]
	s_and_saveexec_b64 s[0:1], s[10:11]
	s_cbranch_execz .LBB207_107
.LBB207_123:
	s_mul_i32 s2, s48, 0x280
	s_mov_b32 s3, 0
	s_lshl_b64 s[2:3], s[2:3], 3
	s_waitcnt lgkmcnt(3)
	v_mov_b32_e32 v9, s3
	v_add_co_u32_e32 v8, vcc, s2, v2
	v_addc_co_u32_e32 v9, vcc, v3, v9, vcc
	s_waitcnt lgkmcnt(2)
	global_store_dwordx2 v[8:9], v[6:7], off
	s_or_b64 exec, exec, s[0:1]
	s_and_saveexec_b64 s[0:1], s[12:13]
	s_cbranch_execz .LBB207_108
.LBB207_124:
	s_mul_i32 s2, s48, 0x300
	s_mov_b32 s3, 0
	s_lshl_b64 s[2:3], s[2:3], 3
	s_waitcnt lgkmcnt(2)
	v_mov_b32_e32 v7, s3
	v_add_co_u32_e32 v6, vcc, s2, v2
	v_addc_co_u32_e32 v7, vcc, v3, v7, vcc
	s_waitcnt lgkmcnt(1)
	global_store_dwordx2 v[6:7], v[4:5], off
	s_or_b64 exec, exec, s[0:1]
	s_and_saveexec_b64 s[0:1], s[14:15]
	s_cbranch_execnz .LBB207_109
	s_branch .LBB207_110
	.section	.rodata,"a",@progbits
	.p2align	6, 0x0
	.amdhsa_kernel _ZN2at6native18radixSortKVInPlaceILi2ELin1ELi128ELi8EfljEEvNS_4cuda6detail10TensorInfoIT3_T5_EES6_S6_S6_NS4_IT4_S6_EES6_b
		.amdhsa_group_segment_fixed_size 8448
		.amdhsa_private_segment_fixed_size 0
		.amdhsa_kernarg_size 712
		.amdhsa_user_sgpr_count 6
		.amdhsa_user_sgpr_private_segment_buffer 1
		.amdhsa_user_sgpr_dispatch_ptr 0
		.amdhsa_user_sgpr_queue_ptr 0
		.amdhsa_user_sgpr_kernarg_segment_ptr 1
		.amdhsa_user_sgpr_dispatch_id 0
		.amdhsa_user_sgpr_flat_scratch_init 0
		.amdhsa_user_sgpr_kernarg_preload_length 0
		.amdhsa_user_sgpr_kernarg_preload_offset 0
		.amdhsa_user_sgpr_private_segment_size 0
		.amdhsa_uses_dynamic_stack 0
		.amdhsa_system_sgpr_private_segment_wavefront_offset 0
		.amdhsa_system_sgpr_workgroup_id_x 1
		.amdhsa_system_sgpr_workgroup_id_y 1
		.amdhsa_system_sgpr_workgroup_id_z 1
		.amdhsa_system_sgpr_workgroup_info 0
		.amdhsa_system_vgpr_workitem_id 2
		.amdhsa_next_free_vgpr 118
		.amdhsa_next_free_sgpr 58
		.amdhsa_accum_offset 120
		.amdhsa_reserve_vcc 1
		.amdhsa_reserve_flat_scratch 0
		.amdhsa_float_round_mode_32 0
		.amdhsa_float_round_mode_16_64 0
		.amdhsa_float_denorm_mode_32 3
		.amdhsa_float_denorm_mode_16_64 3
		.amdhsa_dx10_clamp 1
		.amdhsa_ieee_mode 1
		.amdhsa_fp16_overflow 0
		.amdhsa_tg_split 0
		.amdhsa_exception_fp_ieee_invalid_op 0
		.amdhsa_exception_fp_denorm_src 0
		.amdhsa_exception_fp_ieee_div_zero 0
		.amdhsa_exception_fp_ieee_overflow 0
		.amdhsa_exception_fp_ieee_underflow 0
		.amdhsa_exception_fp_ieee_inexact 0
		.amdhsa_exception_int_div_zero 0
	.end_amdhsa_kernel
	.section	.text._ZN2at6native18radixSortKVInPlaceILi2ELin1ELi128ELi8EfljEEvNS_4cuda6detail10TensorInfoIT3_T5_EES6_S6_S6_NS4_IT4_S6_EES6_b,"axG",@progbits,_ZN2at6native18radixSortKVInPlaceILi2ELin1ELi128ELi8EfljEEvNS_4cuda6detail10TensorInfoIT3_T5_EES6_S6_S6_NS4_IT4_S6_EES6_b,comdat
.Lfunc_end207:
	.size	_ZN2at6native18radixSortKVInPlaceILi2ELin1ELi128ELi8EfljEEvNS_4cuda6detail10TensorInfoIT3_T5_EES6_S6_S6_NS4_IT4_S6_EES6_b, .Lfunc_end207-_ZN2at6native18radixSortKVInPlaceILi2ELin1ELi128ELi8EfljEEvNS_4cuda6detail10TensorInfoIT3_T5_EES6_S6_S6_NS4_IT4_S6_EES6_b
                                        ; -- End function
	.section	.AMDGPU.csdata,"",@progbits
; Kernel info:
; codeLenInByte = 13392
; NumSgprs: 62
; NumVgprs: 118
; NumAgprs: 0
; TotalNumVgprs: 118
; ScratchSize: 0
; MemoryBound: 0
; FloatMode: 240
; IeeeMode: 1
; LDSByteSize: 8448 bytes/workgroup (compile time only)
; SGPRBlocks: 7
; VGPRBlocks: 14
; NumSGPRsForWavesPerEU: 62
; NumVGPRsForWavesPerEU: 118
; AccumOffset: 120
; Occupancy: 4
; WaveLimiterHint : 1
; COMPUTE_PGM_RSRC2:SCRATCH_EN: 0
; COMPUTE_PGM_RSRC2:USER_SGPR: 6
; COMPUTE_PGM_RSRC2:TRAP_HANDLER: 0
; COMPUTE_PGM_RSRC2:TGID_X_EN: 1
; COMPUTE_PGM_RSRC2:TGID_Y_EN: 1
; COMPUTE_PGM_RSRC2:TGID_Z_EN: 1
; COMPUTE_PGM_RSRC2:TIDIG_COMP_CNT: 2
; COMPUTE_PGM_RSRC3_GFX90A:ACCUM_OFFSET: 29
; COMPUTE_PGM_RSRC3_GFX90A:TG_SPLIT: 0
	.section	.text._ZN2at6native18radixSortKVInPlaceILi2ELin1ELi32ELi4EfljEEvNS_4cuda6detail10TensorInfoIT3_T5_EES6_S6_S6_NS4_IT4_S6_EES6_b,"axG",@progbits,_ZN2at6native18radixSortKVInPlaceILi2ELin1ELi32ELi4EfljEEvNS_4cuda6detail10TensorInfoIT3_T5_EES6_S6_S6_NS4_IT4_S6_EES6_b,comdat
	.protected	_ZN2at6native18radixSortKVInPlaceILi2ELin1ELi32ELi4EfljEEvNS_4cuda6detail10TensorInfoIT3_T5_EES6_S6_S6_NS4_IT4_S6_EES6_b ; -- Begin function _ZN2at6native18radixSortKVInPlaceILi2ELin1ELi32ELi4EfljEEvNS_4cuda6detail10TensorInfoIT3_T5_EES6_S6_S6_NS4_IT4_S6_EES6_b
	.globl	_ZN2at6native18radixSortKVInPlaceILi2ELin1ELi32ELi4EfljEEvNS_4cuda6detail10TensorInfoIT3_T5_EES6_S6_S6_NS4_IT4_S6_EES6_b
	.p2align	8
	.type	_ZN2at6native18radixSortKVInPlaceILi2ELin1ELi32ELi4EfljEEvNS_4cuda6detail10TensorInfoIT3_T5_EES6_S6_S6_NS4_IT4_S6_EES6_b,@function
_ZN2at6native18radixSortKVInPlaceILi2ELin1ELi32ELi4EfljEEvNS_4cuda6detail10TensorInfoIT3_T5_EES6_S6_S6_NS4_IT4_S6_EES6_b: ; @_ZN2at6native18radixSortKVInPlaceILi2ELin1ELi32ELi4EfljEEvNS_4cuda6detail10TensorInfoIT3_T5_EES6_S6_S6_NS4_IT4_S6_EES6_b
; %bb.0:
	s_load_dwordx2 s[0:1], s[4:5], 0x1c8
	s_load_dwordx4 s[24:27], s[4:5], 0xd8
	s_waitcnt lgkmcnt(0)
	s_mul_i32 s1, s1, s8
	s_add_i32 s1, s1, s7
	s_mul_i32 s12, s1, s0
	s_add_i32 s12, s12, s6
	s_cmp_ge_u32 s12, s24
	s_cbranch_scc1 .LBB208_60
; %bb.1:
	s_load_dword s13, s[4:5], 0xc
	s_load_dwordx2 s[0:1], s[4:5], 0x6c
	s_load_dword s10, s[4:5], 0x1b8
	s_add_u32 s6, s4, 0xe8
	s_load_dwordx2 s[2:3], s[4:5], 0x0
	s_waitcnt lgkmcnt(0)
	v_cvt_f32_u32_e32 v1, s13
	s_addc_u32 s7, s5, 0
	s_sub_i32 s8, 0, s13
	s_mov_b32 s9, 0
	v_rcp_iflag_f32_e32 v1, v1
	v_mul_f32_e32 v1, 0x4f7ffffe, v1
	v_cvt_u32_f32_e32 v1, v1
	v_readfirstlane_b32 s11, v1
	s_mul_i32 s8, s8, s11
	s_mul_hi_u32 s8, s11, s8
	s_add_i32 s11, s11, s8
	s_mul_hi_u32 s14, s12, s11
	s_cmp_lt_i32 s10, 2
	s_mov_b32 s8, s12
	s_cbranch_scc1 .LBB208_4
; %bb.2:
	s_add_i32 s8, s10, -1
	s_add_i32 s15, s10, 1
	s_lshl_b64 s[10:11], s[8:9], 2
	s_add_u32 s8, s10, s6
	s_addc_u32 s11, s11, s7
	s_add_u32 s10, s8, 8
	s_addc_u32 s11, s11, 0
	s_mov_b32 s8, s12
.LBB208_3:                              ; =>This Inner Loop Header: Depth=1
	s_load_dword s16, s[10:11], 0x0
	s_load_dword s18, s[10:11], 0x64
	s_mov_b32 s17, s8
	s_waitcnt lgkmcnt(0)
	v_cvt_f32_u32_e32 v1, s16
	s_sub_i32 s8, 0, s16
	v_rcp_iflag_f32_e32 v1, v1
	v_mul_f32_e32 v1, 0x4f7ffffe, v1
	v_cvt_u32_f32_e32 v1, v1
	v_readfirstlane_b32 s19, v1
	s_mul_i32 s8, s8, s19
	s_mul_hi_u32 s8, s19, s8
	s_add_i32 s19, s19, s8
	s_mul_hi_u32 s8, s17, s19
	s_mul_i32 s19, s8, s16
	s_sub_i32 s19, s17, s19
	s_add_i32 s20, s8, 1
	s_sub_i32 s21, s19, s16
	s_cmp_ge_u32 s19, s16
	s_cselect_b32 s8, s20, s8
	s_cselect_b32 s19, s21, s19
	s_add_i32 s20, s8, 1
	s_cmp_ge_u32 s19, s16
	s_cselect_b32 s8, s20, s8
	s_mul_i32 s16, s8, s16
	s_sub_i32 s16, s17, s16
	s_mul_i32 s16, s18, s16
	s_add_i32 s15, s15, -1
	s_add_i32 s9, s16, s9
	s_add_u32 s10, s10, -4
	s_addc_u32 s11, s11, -1
	s_cmp_gt_u32 s15, 2
	s_cbranch_scc1 .LBB208_3
.LBB208_4:
	s_mul_i32 s10, s14, s13
	s_sub_i32 s10, s12, s10
	s_add_i32 s11, s14, 1
	s_sub_i32 s15, s10, s13
	s_cmp_ge_u32 s10, s13
	s_cselect_b32 s11, s11, s14
	s_cselect_b32 s10, s15, s10
	s_add_i32 s14, s11, 1
	s_cmp_ge_u32 s10, s13
	s_cselect_b32 s10, s14, s11
	s_load_dwordx2 s[28:29], s[4:5], 0x1c0
	s_mul_i32 s11, s10, s13
	s_sub_i32 s4, s12, s11
	s_mul_i32 s4, s4, s1
	s_mul_i32 s0, s10, s0
	s_add_i32 s0, s0, s4
	s_waitcnt lgkmcnt(0)
	s_bitcmp1_b32 s29, 0
	s_mov_b32 s1, 0
	v_bfrev_b32_e32 v1, -2
	s_cselect_b64 s[10:11], -1, 0
	s_lshl_b64 s[0:1], s[0:1], 2
	s_add_u32 s27, s2, s0
	v_cndmask_b32_e64 v5, v1, -1, s[10:11]
	s_addc_u32 s29, s3, s1
	v_mov_b32_e32 v2, v5
	v_mov_b32_e32 v3, v5
	v_cmp_gt_u32_e64 s[0:1], s25, v0
	v_mul_lo_u32 v22, v0, s26
	v_mov_b32_e32 v4, v5
	s_and_saveexec_b64 s[2:3], s[0:1]
	s_cbranch_execz .LBB208_6
; %bb.5:
	v_mov_b32_e32 v23, 0
	v_lshlrev_b64 v[6:7], 2, v[22:23]
	v_mov_b32_e32 v1, s29
	v_add_co_u32_e32 v6, vcc, s27, v6
	v_addc_co_u32_e32 v7, vcc, v1, v7, vcc
	global_load_dword v4, v[6:7], off
.LBB208_6:
	s_or_b64 exec, exec, s[2:3]
	v_or_b32_e32 v1, 32, v0
	v_cmp_gt_u32_e64 s[2:3], s25, v1
	s_and_saveexec_b64 s[4:5], s[2:3]
	s_cbranch_execz .LBB208_8
; %bb.7:
	v_mul_lo_u32 v6, v1, s26
	v_mov_b32_e32 v7, 0
	v_lshlrev_b64 v[6:7], 2, v[6:7]
	v_mov_b32_e32 v5, s29
	v_add_co_u32_e32 v6, vcc, s27, v6
	v_addc_co_u32_e32 v7, vcc, v5, v7, vcc
	global_load_dword v5, v[6:7], off
.LBB208_8:
	s_or_b64 exec, exec, s[4:5]
	s_load_dwordx2 s[12:13], s[6:7], 0x0
	v_or_b32_e32 v11, 64, v0
	v_cmp_gt_u32_e64 s[4:5], s25, v11
	s_and_saveexec_b64 s[14:15], s[4:5]
	s_cbranch_execz .LBB208_10
; %bb.9:
	v_mul_lo_u32 v6, v11, s26
	v_mov_b32_e32 v7, 0
	v_lshlrev_b64 v[6:7], 2, v[6:7]
	v_mov_b32_e32 v2, s29
	v_add_co_u32_e32 v6, vcc, s27, v6
	v_addc_co_u32_e32 v7, vcc, v2, v7, vcc
	global_load_dword v2, v[6:7], off
.LBB208_10:
	s_or_b64 exec, exec, s[14:15]
	s_load_dword s16, s[6:7], 0x6c
	v_or_b32_e32 v10, 0x60, v0
	v_cmp_gt_u32_e64 s[6:7], s25, v10
	s_and_saveexec_b64 s[14:15], s[6:7]
	s_cbranch_execz .LBB208_12
; %bb.11:
	v_mul_lo_u32 v6, v10, s26
	v_mov_b32_e32 v7, 0
	v_lshlrev_b64 v[6:7], 2, v[6:7]
	v_mov_b32_e32 v3, s29
	v_add_co_u32_e32 v6, vcc, s27, v6
	v_addc_co_u32_e32 v7, vcc, v3, v7, vcc
	global_load_dword v3, v[6:7], off
.LBB208_12:
	s_or_b64 exec, exec, s[14:15]
	v_lshlrev_b32_e32 v38, 2, v0
	s_waitcnt vmcnt(0)
	ds_write_b32 v38, v4
	v_lshrrev_b32_e32 v4, 5, v1
	v_add_u32_e32 v15, v4, v0
	v_lshrrev_b32_e32 v4, 5, v11
	v_add_u32_e32 v13, v4, v0
	v_lshlrev_b32_e32 v23, 2, v15
	v_lshlrev_b32_e32 v39, 2, v13
	ds_write_b32 v23, v5 offset:128
	ds_write_b32 v39, v2 offset:256
	v_lshrrev_b32_e32 v2, 5, v10
	v_add_u32_e32 v12, v2, v0
	v_lshrrev_b32_e32 v2, 3, v0
	v_or_b32_e32 v14, v2, v38
	v_lshlrev_b32_e32 v40, 2, v12
	v_lshlrev_b32_e32 v41, 2, v14
	s_waitcnt lgkmcnt(0)
	s_mul_i32 s8, s16, s8
	ds_write_b32 v40, v3 offset:384
	s_waitcnt lgkmcnt(0)
	; wave barrier
	s_waitcnt lgkmcnt(0)
	ds_read2_b32 v[28:29], v41 offset1:1
	ds_read2_b32 v[26:27], v41 offset0:2 offset1:3
	s_add_i32 s16, s8, s9
	s_mov_b32 s17, 0
	s_lshl_b64 s[8:9], s[16:17], 3
	s_mov_b32 s16, s17
	s_add_u32 s33, s12, s8
	s_mov_b32 s18, s17
	s_mov_b32 s19, s17
	;; [unrolled: 1-line block ×6, first 2 shown]
	v_pk_mov_b32 v[2:3], s[16:17], s[16:17] op_sel:[0,1]
	s_addc_u32 s38, s13, s9
	v_pk_mov_b32 v[4:5], s[18:19], s[18:19] op_sel:[0,1]
	v_pk_mov_b32 v[6:7], s[20:21], s[20:21] op_sel:[0,1]
	;; [unrolled: 1-line block ×3, first 2 shown]
	v_pk_mov_b32 v[2:3], 0, 0
	v_mul_lo_u32 v24, v0, s28
	s_waitcnt lgkmcnt(0)
	; wave barrier
	s_waitcnt lgkmcnt(0)
	s_and_saveexec_b64 s[8:9], s[0:1]
	s_cbranch_execnz .LBB208_32
; %bb.13:
	s_or_b64 exec, exec, s[8:9]
	s_and_saveexec_b64 s[8:9], s[2:3]
	s_cbranch_execnz .LBB208_33
.LBB208_14:
	s_or_b64 exec, exec, s[8:9]
	s_and_saveexec_b64 s[8:9], s[4:5]
	s_cbranch_execnz .LBB208_34
.LBB208_15:
	s_or_b64 exec, exec, s[8:9]
	s_xor_b64 s[24:25], s[10:11], -1
	s_and_saveexec_b64 s[8:9], s[6:7]
	s_cbranch_execz .LBB208_17
.LBB208_16:
	v_mul_lo_u32 v8, v10, s28
	v_mov_b32_e32 v9, 0
	v_lshlrev_b64 v[8:9], 3, v[8:9]
	v_mov_b32_e32 v10, s38
	v_add_co_u32_e32 v8, vcc, s33, v8
	v_addc_co_u32_e32 v9, vcc, v10, v9, vcc
	global_load_dwordx2 v[8:9], v[8:9], off
.LBB208_17:
	s_or_b64 exec, exec, s[8:9]
	v_mbcnt_lo_u32_b32 v10, -1, 0
	v_mbcnt_hi_u32_b32 v10, -1, v10
	v_lshlrev_b32_e32 v42, 3, v0
	v_lshlrev_b32_e32 v25, 3, v15
	;; [unrolled: 1-line block ×5, first 2 shown]
	s_getpc_b64 s[8:9]
	s_add_u32 s8, s8, _ZN7rocprim17ROCPRIM_400000_NS16block_radix_sortIfLj32ELj4ElLj1ELj1ELj0ELNS0_26block_radix_rank_algorithmE1ELNS0_18block_padding_hintE2ELNS0_4arch9wavefront6targetE1EE19radix_bits_per_passE@rel32@lo+4
	s_addc_u32 s9, s9, _ZN7rocprim17ROCPRIM_400000_NS16block_radix_sortIfLj32ELj4ElLj1ELj1ELj0ELNS0_26block_radix_rank_algorithmE1ELNS0_18block_padding_hintE2ELNS0_4arch9wavefront6targetE1EE19radix_bits_per_passE@rel32@hi+12
	v_and_b32_e32 v11, 15, v10
	s_waitcnt vmcnt(0)
	ds_write_b64 v42, v[2:3]
	ds_write_b64 v25, v[4:5] offset:256
	ds_write_b64 v43, v[6:7] offset:512
	ds_write_b64 v44, v[8:9] offset:768
	s_waitcnt lgkmcnt(0)
	; wave barrier
	s_waitcnt lgkmcnt(0)
	ds_read2_b64 v[2:5], v45 offset1:1
	ds_read2_b64 v[6:9], v45 offset0:2 offset1:3
	s_load_dword s39, s[8:9], 0x0
	v_cmp_eq_u32_e64 s[10:11], 0, v11
	v_cmp_lt_u32_e64 s[12:13], 1, v11
	v_cmp_lt_u32_e64 s[14:15], 3, v11
	;; [unrolled: 1-line block ×3, first 2 shown]
	v_and_b32_e32 v11, 16, v10
	v_cmp_eq_u32_e64 s[18:19], 0, v11
	v_add_u32_e32 v11, -1, v10
	v_and_b32_e32 v12, 0x60, v10
	v_cmp_lt_i32_e32 vcc, v11, v12
	s_movk_i32 s8, 0x100
	v_cndmask_b32_e32 v11, v11, v10, vcc
	v_cmp_gt_u32_e64 s[8:9], s8, v0
	v_lshlrev_b32_e32 v48, 5, v0
	s_mov_b32 s40, 0
	v_cmp_eq_u32_e64 s[20:21], 31, v0
	v_lshlrev_b32_e32 v49, 2, v11
	v_cmp_eq_u32_e64 s[22:23], 0, v10
	v_lshlrev_b32_e32 v47, 2, v38
	v_lshlrev_b32_e32 v46, 3, v38
	s_and_b64 vcc, exec, s[24:25]
	v_add_u32_e64 v50, 7, 2
	s_waitcnt lgkmcnt(0)
	; wave barrier
	s_waitcnt lgkmcnt(0)
	s_cbranch_vccz .LBB208_35
; %bb.18:
	v_bfrev_b32_e32 v51, 1
	v_cmp_lt_i32_e32 vcc, -1, v28
	v_cndmask_b32_e32 v10, -1, v51, vcc
	v_cmp_lt_i32_e32 vcc, -1, v29
	v_xor_b32_e32 v34, v10, v28
	v_cndmask_b32_e32 v10, -1, v51, vcc
	v_cmp_lt_i32_e32 vcc, -1, v26
	v_xor_b32_e32 v35, v10, v29
	;; [unrolled: 3-line block ×3, first 2 shown]
	v_cndmask_b32_e32 v10, -1, v51, vcc
	v_xor_b32_e32 v37, v10, v27
	v_and_b32_e32 v52, 14, v50
	v_mov_b32_e32 v53, 0
	s_brev_b32 s41, -2
	s_movk_i32 s42, 0xe0
	v_pk_mov_b32 v[10:11], v[2:3], v[2:3] op_sel:[0,1]
	v_pk_mov_b32 v[12:13], v[4:5], v[4:5] op_sel:[0,1]
	;; [unrolled: 1-line block ×4, first 2 shown]
	s_branch .LBB208_20
.LBB208_19:                             ;   in Loop: Header=BB208_20 Depth=1
	v_lshlrev_b32_e32 v10, 2, v58
	s_waitcnt lgkmcnt(0)
	; wave barrier
	ds_write_b32 v10, v57
	v_lshlrev_b32_e32 v10, 2, v59
	ds_write_b32 v10, v56
	v_lshlrev_b32_e32 v10, 2, v60
	;; [unrolled: 2-line block ×4, first 2 shown]
	s_waitcnt lgkmcnt(0)
	; wave barrier
	s_waitcnt lgkmcnt(0)
	ds_read2_b32 v[34:35], v47 offset1:1
	ds_read2_b32 v[36:37], v47 offset0:2 offset1:3
	s_waitcnt lgkmcnt(0)
	; wave barrier
	s_waitcnt lgkmcnt(0)
	ds_write_b64 v10, v[32:33]
	v_lshlrev_b32_e32 v10, 3, v59
	ds_write_b64 v10, v[30:31]
	v_lshlrev_b32_e32 v10, 3, v60
	;; [unrolled: 2-line block ×3, first 2 shown]
	ds_write_b64 v10, v[18:19]
	s_waitcnt lgkmcnt(0)
	; wave barrier
	s_waitcnt lgkmcnt(0)
	ds_read2_b64 v[10:13], v46 offset1:1
	ds_read2_b64 v[14:17], v46 offset0:2 offset1:3
	s_add_i32 s40, s40, 4
	s_waitcnt lgkmcnt(0)
	; wave barrier
	s_waitcnt lgkmcnt(0)
	s_cbranch_execz .LBB208_31
.LBB208_20:                             ; =>This Loop Header: Depth=1
                                        ;     Child Loop BB208_23 Depth 2
	v_mov_b32_e32 v54, v37
	v_mov_b32_e32 v55, v36
	;; [unrolled: 1-line block ×4, first 2 shown]
	v_pk_mov_b32 v[18:19], v[16:17], v[16:17] op_sel:[0,1]
	v_pk_mov_b32 v[20:21], v[14:15], v[14:15] op_sel:[0,1]
	;; [unrolled: 1-line block ×4, first 2 shown]
	s_and_saveexec_b64 s[24:25], s[8:9]
	s_cbranch_execz .LBB208_27
; %bb.21:                               ;   in Loop: Header=BB208_20 Depth=1
	s_mov_b32 s43, 0
	s_mov_b64 s[30:31], 0
	v_pk_mov_b32 v[10:11], v[0:1], v[0:1] op_sel:[0,1]
	s_branch .LBB208_23
.LBB208_22:                             ;   in Loop: Header=BB208_23 Depth=2
	s_or_b64 exec, exec, s[36:37]
	s_add_i32 s43, s43, 2
	v_cmp_eq_u32_e32 vcc, s43, v52
	v_add_u32_e32 v11, 64, v11
	s_or_b64 s[30:31], vcc, s[30:31]
	v_add_u32_e32 v10, 64, v10
	s_andn2_b64 exec, exec, s[30:31]
	s_cbranch_execz .LBB208_27
.LBB208_23:                             ;   Parent Loop BB208_20 Depth=1
                                        ; =>  This Inner Loop Header: Depth=2
	s_or_b32 s34, s43, 1
	v_cmp_le_u32_e64 s[34:35], s34, 7
	v_cmp_le_u32_e64 s[44:45], s43, 7
	s_and_saveexec_b64 s[36:37], s[44:45]
	s_cbranch_execz .LBB208_25
; %bb.24:                               ;   in Loop: Header=BB208_23 Depth=2
	v_lshlrev_b32_e32 v12, 2, v10
	ds_write_b32 v12, v53
.LBB208_25:                             ;   in Loop: Header=BB208_23 Depth=2
	s_or_b64 exec, exec, s[36:37]
	s_and_saveexec_b64 s[36:37], s[34:35]
	s_cbranch_execz .LBB208_22
; %bb.26:                               ;   in Loop: Header=BB208_23 Depth=2
	v_lshlrev_b32_e32 v12, 2, v11
	ds_write_b32 v12, v53
	s_branch .LBB208_22
.LBB208_27:                             ;   in Loop: Header=BB208_20 Depth=1
	s_or_b64 exec, exec, s[24:25]
	s_sub_i32 s24, 32, s40
	s_min_u32 s24, s39, s24
	v_cmp_ne_u32_e32 vcc, s41, v57
	s_lshl_b32 s24, -1, s24
	v_cndmask_b32_e32 v10, v51, v57, vcc
	s_not_b32 s24, s24
	v_lshrrev_b32_e32 v10, s40, v10
	v_and_b32_e32 v10, s24, v10
	v_lshrrev_b32_e32 v11, 3, v10
	v_lshlrev_b32_e32 v10, 5, v10
	v_and_or_b32 v10, v10, s42, v0
	v_lshlrev_b32_e32 v10, 1, v10
	v_add_lshl_u32 v35, v10, v11, 1
	ds_read_u16 v34, v35
	v_cmp_ne_u32_e32 vcc, s41, v56
	s_waitcnt lgkmcnt(0)
	v_add_u16_e32 v10, 1, v34
	ds_write_b16 v35, v10
	v_cndmask_b32_e32 v10, v51, v56, vcc
	v_lshrrev_b32_e32 v10, s40, v10
	v_and_b32_e32 v10, s24, v10
	v_lshrrev_b32_e32 v11, 3, v10
	v_lshlrev_b32_e32 v10, 5, v10
	v_and_or_b32 v10, v10, s42, v0
	v_lshlrev_b32_e32 v10, 1, v10
	v_add_lshl_u32 v37, v10, v11, 1
	ds_read_u16 v36, v37
	v_cmp_ne_u32_e32 vcc, s41, v55
	s_waitcnt lgkmcnt(0)
	v_add_u16_e32 v10, 1, v36
	ds_write_b16 v37, v10
	v_cndmask_b32_e32 v10, v51, v55, vcc
	;; [unrolled: 13-line block ×3, first 2 shown]
	v_lshrrev_b32_e32 v10, s40, v10
	v_and_b32_e32 v10, s24, v10
	v_lshrrev_b32_e32 v11, 3, v10
	v_lshlrev_b32_e32 v10, 5, v10
	v_and_or_b32 v10, v10, s42, v0
	v_lshlrev_b32_e32 v10, 1, v10
	v_add_lshl_u32 v59, v10, v11, 1
	ds_read_u16 v61, v59
	s_waitcnt lgkmcnt(0)
	v_add_u16_e32 v10, 1, v61
	ds_write_b16 v59, v10
	s_waitcnt lgkmcnt(0)
	; wave barrier
	s_waitcnt lgkmcnt(0)
	ds_read2_b32 v[16:17], v48 offset1:1
	ds_read2_b32 v[14:15], v48 offset0:2 offset1:3
	ds_read2_b32 v[10:11], v48 offset0:4 offset1:5
	;; [unrolled: 1-line block ×3, first 2 shown]
	s_waitcnt lgkmcnt(3)
	v_add_u32_e32 v62, v17, v16
	s_waitcnt lgkmcnt(2)
	v_add3_u32 v62, v62, v14, v15
	s_waitcnt lgkmcnt(1)
	v_add3_u32 v62, v62, v10, v11
	;; [unrolled: 2-line block ×3, first 2 shown]
	s_nop 1
	v_mov_b32_dpp v62, v13 row_shr:1 row_mask:0xf bank_mask:0xf
	v_cndmask_b32_e64 v62, v62, 0, s[10:11]
	v_add_u32_e32 v13, v62, v13
	s_nop 1
	v_mov_b32_dpp v62, v13 row_shr:2 row_mask:0xf bank_mask:0xf
	v_cndmask_b32_e64 v62, 0, v62, s[12:13]
	v_add_u32_e32 v13, v13, v62
	;; [unrolled: 4-line block ×4, first 2 shown]
	s_nop 1
	v_mov_b32_dpp v62, v13 row_bcast:15 row_mask:0xf bank_mask:0xf
	v_cndmask_b32_e64 v62, v62, 0, s[18:19]
	v_add_u32_e32 v13, v13, v62
	s_and_saveexec_b64 s[24:25], s[20:21]
	s_cbranch_execz .LBB208_29
; %bb.28:                               ;   in Loop: Header=BB208_20 Depth=1
	ds_write_b32 v53, v13 offset:1024
.LBB208_29:                             ;   in Loop: Header=BB208_20 Depth=1
	s_or_b64 exec, exec, s[24:25]
	ds_bpermute_b32 v13, v49, v13
	s_waitcnt lgkmcnt(0)
	; wave barrier
	s_waitcnt lgkmcnt(0)
	ds_read_b32 v62, v53 offset:1024
	s_cmp_gt_u32 s40, 27
	v_cndmask_b32_e64 v13, v13, 0, s[22:23]
	s_waitcnt lgkmcnt(0)
	v_lshl_add_u32 v13, v62, 16, v13
	v_add_u32_e32 v16, v13, v16
	v_add_u32_e32 v17, v16, v17
	ds_write2_b32 v48, v13, v16 offset1:1
	v_add_u32_e32 v13, v17, v14
	v_add_u32_e32 v14, v13, v15
	;; [unrolled: 1-line block ×5, first 2 shown]
	ds_write2_b32 v48, v17, v13 offset0:2 offset1:3
	ds_write2_b32 v48, v14, v10 offset0:4 offset1:5
	;; [unrolled: 1-line block ×3, first 2 shown]
	s_waitcnt lgkmcnt(0)
	; wave barrier
	s_waitcnt lgkmcnt(0)
	ds_read_u16 v10, v35
	ds_read_u16 v11, v37
	;; [unrolled: 1-line block ×4, first 2 shown]
	s_waitcnt lgkmcnt(3)
	v_add_u32_sdwa v58, v10, v34 dst_sel:DWORD dst_unused:UNUSED_PAD src0_sel:DWORD src1_sel:WORD_0
	s_waitcnt lgkmcnt(2)
	v_add_u32_sdwa v59, v11, v36 dst_sel:DWORD dst_unused:UNUSED_PAD src0_sel:DWORD src1_sel:WORD_0
	;; [unrolled: 2-line block ×4, first 2 shown]
	s_cbranch_scc0 .LBB208_19
; %bb.30:
                                        ; implicit-def: $vgpr37
                                        ; implicit-def: $vgpr35
                                        ; implicit-def: $vgpr16_vgpr17
                                        ; implicit-def: $vgpr12_vgpr13
                                        ; implicit-def: $sgpr40
.LBB208_31:
	v_lshlrev_b32_e32 v10, 2, v58
	s_waitcnt lgkmcnt(0)
	; wave barrier
	ds_write_b32 v10, v57
	v_lshlrev_b32_e32 v10, 2, v59
	ds_write_b32 v10, v56
	v_lshlrev_b32_e32 v10, 2, v60
	ds_write_b32 v10, v55
	v_lshlrev_b32_e32 v10, 2, v61
	ds_write_b32 v10, v54
	s_waitcnt lgkmcnt(0)
	; wave barrier
	s_waitcnt lgkmcnt(0)
	ds_read2_b32 v[34:35], v47 offset1:1
	ds_read2_b32 v[36:37], v47 offset0:2 offset1:3
	v_lshlrev_b32_e32 v10, 3, v58
	v_lshlrev_b32_e32 v11, 3, v59
	v_lshlrev_b32_e32 v12, 3, v60
	v_lshlrev_b32_e32 v13, 3, v61
	s_waitcnt lgkmcnt(0)
	; wave barrier
	s_waitcnt lgkmcnt(0)
	ds_write_b64 v10, v[32:33]
	ds_write_b64 v11, v[30:31]
	;; [unrolled: 1-line block ×4, first 2 shown]
	s_waitcnt lgkmcnt(0)
	; wave barrier
	s_waitcnt lgkmcnt(0)
	ds_read2_b64 v[10:13], v46 offset1:1
	ds_read2_b64 v[14:17], v46 offset0:2 offset1:3
	v_bfrev_b32_e32 v18, 1
	v_cmp_lt_i32_e32 vcc, -1, v34
	v_cndmask_b32_e64 v30, v18, -1, vcc
	v_cmp_lt_i32_e32 vcc, -1, v35
	v_cndmask_b32_e64 v19, v18, -1, vcc
	;; [unrolled: 2-line block ×4, first 2 shown]
	v_xor_b32_e32 v21, v18, v37
	v_xor_b32_e32 v20, v20, v36
	v_xor_b32_e32 v19, v19, v35
	v_xor_b32_e32 v18, v30, v34
	s_branch .LBB208_50
.LBB208_32:
	v_mov_b32_e32 v25, 0
	v_lshlrev_b64 v[2:3], 3, v[24:25]
	v_mov_b32_e32 v4, s38
	v_add_co_u32_e32 v2, vcc, s33, v2
	v_addc_co_u32_e32 v3, vcc, v4, v3, vcc
	global_load_dwordx2 v[2:3], v[2:3], off
	v_mov_b32_e32 v4, v25
	v_mov_b32_e32 v5, v25
	;; [unrolled: 1-line block ×6, first 2 shown]
	s_or_b64 exec, exec, s[8:9]
	s_and_saveexec_b64 s[8:9], s[2:3]
	s_cbranch_execz .LBB208_14
.LBB208_33:
	v_mul_lo_u32 v4, v1, s28
	v_mov_b32_e32 v5, 0
	v_lshlrev_b64 v[4:5], 3, v[4:5]
	v_mov_b32_e32 v16, s38
	v_add_co_u32_e32 v4, vcc, s33, v4
	v_addc_co_u32_e32 v5, vcc, v16, v5, vcc
	global_load_dwordx2 v[4:5], v[4:5], off
	s_or_b64 exec, exec, s[8:9]
	s_and_saveexec_b64 s[8:9], s[4:5]
	s_cbranch_execz .LBB208_15
.LBB208_34:
	v_mul_lo_u32 v6, v11, s28
	v_mov_b32_e32 v7, 0
	v_lshlrev_b64 v[6:7], 3, v[6:7]
	v_mov_b32_e32 v11, s38
	v_add_co_u32_e32 v6, vcc, s33, v6
	v_addc_co_u32_e32 v7, vcc, v11, v7, vcc
	global_load_dwordx2 v[6:7], v[6:7], off
	s_or_b64 exec, exec, s[8:9]
	s_xor_b64 s[24:25], s[10:11], -1
	s_and_saveexec_b64 s[8:9], s[6:7]
	s_cbranch_execnz .LBB208_16
	s_branch .LBB208_17
.LBB208_35:
                                        ; implicit-def: $vgpr16_vgpr17
                                        ; implicit-def: $vgpr12_vgpr13
                                        ; implicit-def: $vgpr18_vgpr19_vgpr20_vgpr21
	s_cbranch_execz .LBB208_50
; %bb.36:
	v_bfrev_b32_e32 v30, -2
	v_cmp_gt_i32_e32 vcc, 0, v28
	s_waitcnt lgkmcnt(1)
	v_cndmask_b32_e64 v10, v30, 0, vcc
	v_cmp_gt_i32_e32 vcc, 0, v29
	v_xor_b32_e32 v18, v10, v28
	v_cndmask_b32_e64 v10, v30, 0, vcc
	v_cmp_gt_i32_e32 vcc, 0, v26
	v_xor_b32_e32 v19, v10, v29
	;; [unrolled: 3-line block ×3, first 2 shown]
	v_cndmask_b32_e64 v10, v30, 0, vcc
	s_mov_b32 s40, 0
	v_xor_b32_e32 v21, v10, v27
	v_and_b32_e32 v26, 14, v50
	v_mov_b32_e32 v27, 0
	s_brev_b32 s41, 1
	s_movk_i32 s42, 0xe0
	s_branch .LBB208_38
.LBB208_37:                             ;   in Loop: Header=BB208_38 Depth=1
	v_lshlrev_b32_e32 v2, 2, v33
	s_waitcnt lgkmcnt(0)
	; wave barrier
	ds_write_b32 v2, v32
	v_lshlrev_b32_e32 v2, 2, v34
	ds_write_b32 v2, v31
	v_lshlrev_b32_e32 v2, 2, v35
	;; [unrolled: 2-line block ×4, first 2 shown]
	s_waitcnt lgkmcnt(0)
	; wave barrier
	s_waitcnt lgkmcnt(0)
	ds_read2_b32 v[18:19], v47 offset1:1
	ds_read2_b32 v[20:21], v47 offset0:2 offset1:3
	s_waitcnt lgkmcnt(0)
	; wave barrier
	s_waitcnt lgkmcnt(0)
	ds_write_b64 v2, v[16:17]
	v_lshlrev_b32_e32 v2, 3, v34
	ds_write_b64 v2, v[14:15]
	v_lshlrev_b32_e32 v2, 3, v35
	;; [unrolled: 2-line block ×3, first 2 shown]
	ds_write_b64 v2, v[10:11]
	s_waitcnt lgkmcnt(0)
	; wave barrier
	s_waitcnt lgkmcnt(0)
	ds_read2_b64 v[2:5], v46 offset1:1
	ds_read2_b64 v[6:9], v46 offset0:2 offset1:3
	s_add_i32 s40, s40, 4
	s_waitcnt lgkmcnt(0)
	; wave barrier
	s_waitcnt lgkmcnt(0)
	s_cbranch_execz .LBB208_49
.LBB208_38:                             ; =>This Loop Header: Depth=1
                                        ;     Child Loop BB208_41 Depth 2
	v_mov_b32_e32 v28, v21
	v_mov_b32_e32 v29, v20
	;; [unrolled: 1-line block ×4, first 2 shown]
	v_pk_mov_b32 v[10:11], v[8:9], v[8:9] op_sel:[0,1]
	v_pk_mov_b32 v[12:13], v[6:7], v[6:7] op_sel:[0,1]
	s_waitcnt lgkmcnt(0)
	v_pk_mov_b32 v[14:15], v[4:5], v[4:5] op_sel:[0,1]
	v_pk_mov_b32 v[16:17], v[2:3], v[2:3] op_sel:[0,1]
	s_and_saveexec_b64 s[24:25], s[8:9]
	s_cbranch_execz .LBB208_45
; %bb.39:                               ;   in Loop: Header=BB208_38 Depth=1
	s_mov_b32 s43, 0
	s_mov_b64 s[30:31], 0
	v_pk_mov_b32 v[2:3], v[0:1], v[0:1] op_sel:[0,1]
	s_branch .LBB208_41
.LBB208_40:                             ;   in Loop: Header=BB208_41 Depth=2
	s_or_b64 exec, exec, s[36:37]
	s_add_i32 s43, s43, 2
	v_cmp_eq_u32_e32 vcc, s43, v26
	v_add_u32_e32 v3, 64, v3
	s_or_b64 s[30:31], vcc, s[30:31]
	v_add_u32_e32 v2, 64, v2
	s_andn2_b64 exec, exec, s[30:31]
	s_cbranch_execz .LBB208_45
.LBB208_41:                             ;   Parent Loop BB208_38 Depth=1
                                        ; =>  This Inner Loop Header: Depth=2
	s_or_b32 s34, s43, 1
	v_cmp_le_u32_e64 s[34:35], s34, 7
	v_cmp_le_u32_e64 s[44:45], s43, 7
	s_and_saveexec_b64 s[36:37], s[44:45]
	s_cbranch_execz .LBB208_43
; %bb.42:                               ;   in Loop: Header=BB208_41 Depth=2
	v_lshlrev_b32_e32 v4, 2, v2
	ds_write_b32 v4, v27
.LBB208_43:                             ;   in Loop: Header=BB208_41 Depth=2
	s_or_b64 exec, exec, s[36:37]
	s_and_saveexec_b64 s[36:37], s[34:35]
	s_cbranch_execz .LBB208_40
; %bb.44:                               ;   in Loop: Header=BB208_41 Depth=2
	v_lshlrev_b32_e32 v4, 2, v3
	ds_write_b32 v4, v27
	s_branch .LBB208_40
.LBB208_45:                             ;   in Loop: Header=BB208_38 Depth=1
	s_or_b64 exec, exec, s[24:25]
	s_sub_i32 s24, 32, s40
	s_min_u32 s24, s39, s24
	v_cmp_ne_u32_e32 vcc, s41, v32
	s_lshl_b32 s24, -1, s24
	v_cndmask_b32_e32 v2, v30, v32, vcc
	s_not_b32 s24, s24
	v_lshrrev_b32_e32 v2, s40, v2
	v_and_b32_e32 v2, s24, v2
	v_lshrrev_b32_e32 v3, 3, v2
	v_lshlrev_b32_e32 v2, 5, v2
	v_and_or_b32 v2, v2, s42, v0
	v_lshlrev_b32_e32 v2, 1, v2
	v_add_lshl_u32 v19, v2, v3, 1
	ds_read_u16 v18, v19
	v_cmp_ne_u32_e32 vcc, s41, v31
	s_waitcnt lgkmcnt(0)
	v_add_u16_e32 v2, 1, v18
	ds_write_b16 v19, v2
	v_cndmask_b32_e32 v2, v30, v31, vcc
	v_lshrrev_b32_e32 v2, s40, v2
	v_and_b32_e32 v2, s24, v2
	v_lshrrev_b32_e32 v3, 3, v2
	v_lshlrev_b32_e32 v2, 5, v2
	v_and_or_b32 v2, v2, s42, v0
	v_lshlrev_b32_e32 v2, 1, v2
	v_add_lshl_u32 v21, v2, v3, 1
	ds_read_u16 v20, v21
	v_cmp_ne_u32_e32 vcc, s41, v29
	s_waitcnt lgkmcnt(0)
	v_add_u16_e32 v2, 1, v20
	ds_write_b16 v21, v2
	v_cndmask_b32_e32 v2, v30, v29, vcc
	;; [unrolled: 13-line block ×3, first 2 shown]
	v_lshrrev_b32_e32 v2, s40, v2
	v_and_b32_e32 v2, s24, v2
	v_lshrrev_b32_e32 v3, 3, v2
	v_lshlrev_b32_e32 v2, 5, v2
	v_and_or_b32 v2, v2, s42, v0
	v_lshlrev_b32_e32 v2, 1, v2
	v_add_lshl_u32 v34, v2, v3, 1
	ds_read_u16 v36, v34
	s_waitcnt lgkmcnt(0)
	v_add_u16_e32 v2, 1, v36
	ds_write_b16 v34, v2
	s_waitcnt lgkmcnt(0)
	; wave barrier
	s_waitcnt lgkmcnt(0)
	ds_read2_b32 v[8:9], v48 offset1:1
	ds_read2_b32 v[6:7], v48 offset0:2 offset1:3
	ds_read2_b32 v[2:3], v48 offset0:4 offset1:5
	;; [unrolled: 1-line block ×3, first 2 shown]
	s_waitcnt lgkmcnt(3)
	v_add_u32_e32 v37, v9, v8
	s_waitcnt lgkmcnt(2)
	v_add3_u32 v37, v37, v6, v7
	s_waitcnt lgkmcnt(1)
	v_add3_u32 v37, v37, v2, v3
	;; [unrolled: 2-line block ×3, first 2 shown]
	s_nop 1
	v_mov_b32_dpp v37, v5 row_shr:1 row_mask:0xf bank_mask:0xf
	v_cndmask_b32_e64 v37, v37, 0, s[10:11]
	v_add_u32_e32 v5, v37, v5
	s_nop 1
	v_mov_b32_dpp v37, v5 row_shr:2 row_mask:0xf bank_mask:0xf
	v_cndmask_b32_e64 v37, 0, v37, s[12:13]
	v_add_u32_e32 v5, v5, v37
	;; [unrolled: 4-line block ×4, first 2 shown]
	s_nop 1
	v_mov_b32_dpp v37, v5 row_bcast:15 row_mask:0xf bank_mask:0xf
	v_cndmask_b32_e64 v37, v37, 0, s[18:19]
	v_add_u32_e32 v5, v5, v37
	s_and_saveexec_b64 s[24:25], s[20:21]
	s_cbranch_execz .LBB208_47
; %bb.46:                               ;   in Loop: Header=BB208_38 Depth=1
	ds_write_b32 v27, v5 offset:1024
.LBB208_47:                             ;   in Loop: Header=BB208_38 Depth=1
	s_or_b64 exec, exec, s[24:25]
	ds_bpermute_b32 v5, v49, v5
	s_waitcnt lgkmcnt(0)
	; wave barrier
	s_waitcnt lgkmcnt(0)
	ds_read_b32 v37, v27 offset:1024
	s_cmp_gt_u32 s40, 27
	v_cndmask_b32_e64 v5, v5, 0, s[22:23]
	s_waitcnt lgkmcnt(0)
	v_lshl_add_u32 v5, v37, 16, v5
	v_add_u32_e32 v8, v5, v8
	v_add_u32_e32 v9, v8, v9
	ds_write2_b32 v48, v5, v8 offset1:1
	v_add_u32_e32 v5, v9, v6
	v_add_u32_e32 v6, v5, v7
	;; [unrolled: 1-line block ×5, first 2 shown]
	ds_write2_b32 v48, v9, v5 offset0:2 offset1:3
	ds_write2_b32 v48, v6, v2 offset0:4 offset1:5
	;; [unrolled: 1-line block ×3, first 2 shown]
	s_waitcnt lgkmcnt(0)
	; wave barrier
	s_waitcnt lgkmcnt(0)
	ds_read_u16 v2, v19
	ds_read_u16 v3, v21
	;; [unrolled: 1-line block ×4, first 2 shown]
	s_waitcnt lgkmcnt(3)
	v_add_u32_sdwa v33, v2, v18 dst_sel:DWORD dst_unused:UNUSED_PAD src0_sel:DWORD src1_sel:WORD_0
	s_waitcnt lgkmcnt(2)
	v_add_u32_sdwa v34, v3, v20 dst_sel:DWORD dst_unused:UNUSED_PAD src0_sel:DWORD src1_sel:WORD_0
	;; [unrolled: 2-line block ×4, first 2 shown]
	s_cbranch_scc0 .LBB208_37
; %bb.48:
                                        ; implicit-def: $vgpr21
                                        ; implicit-def: $vgpr19
                                        ; implicit-def: $vgpr8_vgpr9
                                        ; implicit-def: $vgpr4_vgpr5
                                        ; implicit-def: $sgpr40
.LBB208_49:
	v_lshlrev_b32_e32 v0, 2, v33
	s_waitcnt lgkmcnt(0)
	; wave barrier
	ds_write_b32 v0, v32
	v_lshlrev_b32_e32 v0, 2, v34
	ds_write_b32 v0, v31
	v_lshlrev_b32_e32 v0, 2, v35
	;; [unrolled: 2-line block ×3, first 2 shown]
	ds_write_b32 v0, v28
	s_waitcnt lgkmcnt(0)
	; wave barrier
	s_waitcnt lgkmcnt(0)
	ds_read2_b32 v[0:1], v47 offset1:1
	ds_read2_b32 v[2:3], v47 offset0:2 offset1:3
	v_lshlrev_b32_e32 v4, 3, v33
	v_lshlrev_b32_e32 v5, 3, v34
	;; [unrolled: 1-line block ×4, first 2 shown]
	s_waitcnt lgkmcnt(0)
	; wave barrier
	s_waitcnt lgkmcnt(0)
	ds_write_b64 v4, v[16:17]
	ds_write_b64 v5, v[14:15]
	;; [unrolled: 1-line block ×4, first 2 shown]
	s_waitcnt lgkmcnt(0)
	; wave barrier
	s_waitcnt lgkmcnt(0)
	ds_read2_b64 v[10:13], v46 offset1:1
	ds_read2_b64 v[14:17], v46 offset0:2 offset1:3
	v_bfrev_b32_e32 v4, -2
	v_cmp_gt_i32_e32 vcc, 0, v0
	v_cndmask_b32_e64 v5, v4, 0, vcc
	v_cmp_gt_i32_e32 vcc, 0, v1
	v_cndmask_b32_e64 v6, v4, 0, vcc
	;; [unrolled: 2-line block ×4, first 2 shown]
	v_xor_b32_e32 v21, v4, v3
	v_xor_b32_e32 v20, v7, v2
	;; [unrolled: 1-line block ×4, first 2 shown]
.LBB208_50:
	s_waitcnt lgkmcnt(0)
	; wave barrier
	s_waitcnt lgkmcnt(0)
	ds_write2_b32 v41, v18, v19 offset1:1
	ds_write2_b32 v41, v20, v21 offset0:2 offset1:3
	s_waitcnt lgkmcnt(0)
	; wave barrier
	s_waitcnt lgkmcnt(0)
	ds_read_b32 v4, v23 offset:128
	ds_read_b32 v3, v39 offset:256
	;; [unrolled: 1-line block ×3, first 2 shown]
	v_mov_b32_e32 v23, 0
	v_lshlrev_b64 v[0:1], 2, v[22:23]
	v_mov_b32_e32 v5, s29
	v_add_co_u32_e32 v0, vcc, s27, v0
	v_addc_co_u32_e32 v1, vcc, v5, v1, vcc
	s_and_saveexec_b64 s[8:9], s[0:1]
	s_cbranch_execnz .LBB208_61
; %bb.51:
	s_or_b64 exec, exec, s[8:9]
	s_and_saveexec_b64 s[8:9], s[2:3]
	s_cbranch_execnz .LBB208_62
.LBB208_52:
	s_or_b64 exec, exec, s[8:9]
	s_and_saveexec_b64 s[8:9], s[4:5]
	s_cbranch_execnz .LBB208_63
.LBB208_53:
	s_or_b64 exec, exec, s[8:9]
	s_and_saveexec_b64 s[8:9], s[6:7]
	s_cbranch_execz .LBB208_55
.LBB208_54:
	s_mul_i32 s10, s26, 0x60
	s_mov_b32 s11, 0
	s_lshl_b64 s[10:11], s[10:11], 2
	s_waitcnt lgkmcnt(1)
	v_mov_b32_e32 v3, s11
	v_add_co_u32_e32 v0, vcc, s10, v0
	v_addc_co_u32_e32 v1, vcc, v1, v3, vcc
	s_waitcnt lgkmcnt(0)
	global_store_dword v[0:1], v2, off
.LBB208_55:
	s_or_b64 exec, exec, s[8:9]
	s_waitcnt lgkmcnt(0)
	; wave barrier
	s_waitcnt lgkmcnt(0)
	ds_write2_b64 v45, v[10:11], v[12:13] offset1:1
	ds_write2_b64 v45, v[14:15], v[16:17] offset0:2 offset1:3
	s_waitcnt lgkmcnt(0)
	; wave barrier
	s_waitcnt lgkmcnt(0)
	ds_read_b64 v[6:7], v25 offset:256
	ds_read_b64 v[4:5], v43 offset:512
	ds_read_b64 v[0:1], v44 offset:768
	v_mov_b32_e32 v25, 0
	v_lshlrev_b64 v[2:3], 3, v[24:25]
	v_mov_b32_e32 v8, s38
	v_add_co_u32_e32 v2, vcc, s33, v2
	v_addc_co_u32_e32 v3, vcc, v8, v3, vcc
	s_and_saveexec_b64 s[8:9], s[0:1]
	s_cbranch_execnz .LBB208_64
; %bb.56:
	s_or_b64 exec, exec, s[8:9]
	s_and_saveexec_b64 s[0:1], s[2:3]
	s_cbranch_execnz .LBB208_65
.LBB208_57:
	s_or_b64 exec, exec, s[0:1]
	s_and_saveexec_b64 s[0:1], s[4:5]
	s_cbranch_execnz .LBB208_66
.LBB208_58:
	s_or_b64 exec, exec, s[0:1]
	s_and_saveexec_b64 s[0:1], s[6:7]
	s_cbranch_execz .LBB208_60
.LBB208_59:
	s_mul_i32 s0, s28, 0x60
	s_mov_b32 s1, 0
	s_lshl_b64 s[0:1], s[0:1], 3
	s_waitcnt lgkmcnt(1)
	v_mov_b32_e32 v4, s1
	v_add_co_u32_e32 v2, vcc, s0, v2
	v_addc_co_u32_e32 v3, vcc, v3, v4, vcc
	s_waitcnt lgkmcnt(0)
	global_store_dwordx2 v[2:3], v[0:1], off
.LBB208_60:
	s_endpgm
.LBB208_61:
	ds_read_b32 v5, v38
	s_waitcnt lgkmcnt(0)
	global_store_dword v[0:1], v5, off
	s_or_b64 exec, exec, s[8:9]
	s_and_saveexec_b64 s[8:9], s[2:3]
	s_cbranch_execz .LBB208_52
.LBB208_62:
	s_lshl_b32 s10, s26, 5
	s_mov_b32 s11, 0
	s_lshl_b64 s[10:11], s[10:11], 2
	v_mov_b32_e32 v5, s11
	v_add_co_u32_e32 v6, vcc, s10, v0
	v_addc_co_u32_e32 v7, vcc, v1, v5, vcc
	s_waitcnt lgkmcnt(2)
	global_store_dword v[6:7], v4, off
	s_or_b64 exec, exec, s[8:9]
	s_and_saveexec_b64 s[8:9], s[4:5]
	s_cbranch_execz .LBB208_53
.LBB208_63:
	s_lshl_b32 s10, s26, 6
	s_mov_b32 s11, 0
	s_lshl_b64 s[10:11], s[10:11], 2
	v_mov_b32_e32 v5, s11
	s_waitcnt lgkmcnt(2)
	v_add_co_u32_e32 v4, vcc, s10, v0
	v_addc_co_u32_e32 v5, vcc, v1, v5, vcc
	s_waitcnt lgkmcnt(1)
	global_store_dword v[4:5], v3, off
	s_or_b64 exec, exec, s[8:9]
	s_and_saveexec_b64 s[8:9], s[6:7]
	s_cbranch_execnz .LBB208_54
	s_branch .LBB208_55
.LBB208_64:
	ds_read_b64 v[8:9], v42
	s_waitcnt lgkmcnt(0)
	global_store_dwordx2 v[2:3], v[8:9], off
	s_or_b64 exec, exec, s[8:9]
	s_and_saveexec_b64 s[0:1], s[2:3]
	s_cbranch_execz .LBB208_57
.LBB208_65:
	s_lshl_b32 s2, s28, 5
	s_mov_b32 s3, 0
	s_lshl_b64 s[2:3], s[2:3], 3
	v_mov_b32_e32 v9, s3
	v_add_co_u32_e32 v8, vcc, s2, v2
	v_addc_co_u32_e32 v9, vcc, v3, v9, vcc
	s_waitcnt lgkmcnt(2)
	global_store_dwordx2 v[8:9], v[6:7], off
	s_or_b64 exec, exec, s[0:1]
	s_and_saveexec_b64 s[0:1], s[4:5]
	s_cbranch_execz .LBB208_58
.LBB208_66:
	s_lshl_b32 s2, s28, 6
	s_mov_b32 s3, 0
	s_lshl_b64 s[2:3], s[2:3], 3
	s_waitcnt lgkmcnt(2)
	v_mov_b32_e32 v7, s3
	v_add_co_u32_e32 v6, vcc, s2, v2
	v_addc_co_u32_e32 v7, vcc, v3, v7, vcc
	s_waitcnt lgkmcnt(1)
	global_store_dwordx2 v[6:7], v[4:5], off
	s_or_b64 exec, exec, s[0:1]
	s_and_saveexec_b64 s[0:1], s[6:7]
	s_cbranch_execnz .LBB208_59
	s_branch .LBB208_60
	.section	.rodata,"a",@progbits
	.p2align	6, 0x0
	.amdhsa_kernel _ZN2at6native18radixSortKVInPlaceILi2ELin1ELi32ELi4EfljEEvNS_4cuda6detail10TensorInfoIT3_T5_EES6_S6_S6_NS4_IT4_S6_EES6_b
		.amdhsa_group_segment_fixed_size 1056
		.amdhsa_private_segment_fixed_size 0
		.amdhsa_kernarg_size 712
		.amdhsa_user_sgpr_count 6
		.amdhsa_user_sgpr_private_segment_buffer 1
		.amdhsa_user_sgpr_dispatch_ptr 0
		.amdhsa_user_sgpr_queue_ptr 0
		.amdhsa_user_sgpr_kernarg_segment_ptr 1
		.amdhsa_user_sgpr_dispatch_id 0
		.amdhsa_user_sgpr_flat_scratch_init 0
		.amdhsa_user_sgpr_kernarg_preload_length 0
		.amdhsa_user_sgpr_kernarg_preload_offset 0
		.amdhsa_user_sgpr_private_segment_size 0
		.amdhsa_uses_dynamic_stack 0
		.amdhsa_system_sgpr_private_segment_wavefront_offset 0
		.amdhsa_system_sgpr_workgroup_id_x 1
		.amdhsa_system_sgpr_workgroup_id_y 1
		.amdhsa_system_sgpr_workgroup_id_z 1
		.amdhsa_system_sgpr_workgroup_info 0
		.amdhsa_system_vgpr_workitem_id 0
		.amdhsa_next_free_vgpr 63
		.amdhsa_next_free_sgpr 46
		.amdhsa_accum_offset 64
		.amdhsa_reserve_vcc 1
		.amdhsa_reserve_flat_scratch 0
		.amdhsa_float_round_mode_32 0
		.amdhsa_float_round_mode_16_64 0
		.amdhsa_float_denorm_mode_32 3
		.amdhsa_float_denorm_mode_16_64 3
		.amdhsa_dx10_clamp 1
		.amdhsa_ieee_mode 1
		.amdhsa_fp16_overflow 0
		.amdhsa_tg_split 0
		.amdhsa_exception_fp_ieee_invalid_op 0
		.amdhsa_exception_fp_denorm_src 0
		.amdhsa_exception_fp_ieee_div_zero 0
		.amdhsa_exception_fp_ieee_overflow 0
		.amdhsa_exception_fp_ieee_underflow 0
		.amdhsa_exception_fp_ieee_inexact 0
		.amdhsa_exception_int_div_zero 0
	.end_amdhsa_kernel
	.section	.text._ZN2at6native18radixSortKVInPlaceILi2ELin1ELi32ELi4EfljEEvNS_4cuda6detail10TensorInfoIT3_T5_EES6_S6_S6_NS4_IT4_S6_EES6_b,"axG",@progbits,_ZN2at6native18radixSortKVInPlaceILi2ELin1ELi32ELi4EfljEEvNS_4cuda6detail10TensorInfoIT3_T5_EES6_S6_S6_NS4_IT4_S6_EES6_b,comdat
.Lfunc_end208:
	.size	_ZN2at6native18radixSortKVInPlaceILi2ELin1ELi32ELi4EfljEEvNS_4cuda6detail10TensorInfoIT3_T5_EES6_S6_S6_NS4_IT4_S6_EES6_b, .Lfunc_end208-_ZN2at6native18radixSortKVInPlaceILi2ELin1ELi32ELi4EfljEEvNS_4cuda6detail10TensorInfoIT3_T5_EES6_S6_S6_NS4_IT4_S6_EES6_b
                                        ; -- End function
	.section	.AMDGPU.csdata,"",@progbits
; Kernel info:
; codeLenInByte = 4884
; NumSgprs: 50
; NumVgprs: 63
; NumAgprs: 0
; TotalNumVgprs: 63
; ScratchSize: 0
; MemoryBound: 0
; FloatMode: 240
; IeeeMode: 1
; LDSByteSize: 1056 bytes/workgroup (compile time only)
; SGPRBlocks: 6
; VGPRBlocks: 7
; NumSGPRsForWavesPerEU: 50
; NumVGPRsForWavesPerEU: 63
; AccumOffset: 64
; Occupancy: 8
; WaveLimiterHint : 1
; COMPUTE_PGM_RSRC2:SCRATCH_EN: 0
; COMPUTE_PGM_RSRC2:USER_SGPR: 6
; COMPUTE_PGM_RSRC2:TRAP_HANDLER: 0
; COMPUTE_PGM_RSRC2:TGID_X_EN: 1
; COMPUTE_PGM_RSRC2:TGID_Y_EN: 1
; COMPUTE_PGM_RSRC2:TGID_Z_EN: 1
; COMPUTE_PGM_RSRC2:TIDIG_COMP_CNT: 0
; COMPUTE_PGM_RSRC3_GFX90A:ACCUM_OFFSET: 15
; COMPUTE_PGM_RSRC3_GFX90A:TG_SPLIT: 0
	.section	.text._ZN2at6native18radixSortKVInPlaceILi2ELin1ELi16ELi2EfljEEvNS_4cuda6detail10TensorInfoIT3_T5_EES6_S6_S6_NS4_IT4_S6_EES6_b,"axG",@progbits,_ZN2at6native18radixSortKVInPlaceILi2ELin1ELi16ELi2EfljEEvNS_4cuda6detail10TensorInfoIT3_T5_EES6_S6_S6_NS4_IT4_S6_EES6_b,comdat
	.protected	_ZN2at6native18radixSortKVInPlaceILi2ELin1ELi16ELi2EfljEEvNS_4cuda6detail10TensorInfoIT3_T5_EES6_S6_S6_NS4_IT4_S6_EES6_b ; -- Begin function _ZN2at6native18radixSortKVInPlaceILi2ELin1ELi16ELi2EfljEEvNS_4cuda6detail10TensorInfoIT3_T5_EES6_S6_S6_NS4_IT4_S6_EES6_b
	.globl	_ZN2at6native18radixSortKVInPlaceILi2ELin1ELi16ELi2EfljEEvNS_4cuda6detail10TensorInfoIT3_T5_EES6_S6_S6_NS4_IT4_S6_EES6_b
	.p2align	8
	.type	_ZN2at6native18radixSortKVInPlaceILi2ELin1ELi16ELi2EfljEEvNS_4cuda6detail10TensorInfoIT3_T5_EES6_S6_S6_NS4_IT4_S6_EES6_b,@function
_ZN2at6native18radixSortKVInPlaceILi2ELin1ELi16ELi2EfljEEvNS_4cuda6detail10TensorInfoIT3_T5_EES6_S6_S6_NS4_IT4_S6_EES6_b: ; @_ZN2at6native18radixSortKVInPlaceILi2ELin1ELi16ELi2EfljEEvNS_4cuda6detail10TensorInfoIT3_T5_EES6_S6_S6_NS4_IT4_S6_EES6_b
; %bb.0:
	s_load_dwordx2 s[0:1], s[4:5], 0x1c8
	s_load_dwordx4 s[16:19], s[4:5], 0xd8
	s_waitcnt lgkmcnt(0)
	s_mul_i32 s1, s1, s8
	s_add_i32 s1, s1, s7
	s_mul_i32 s12, s1, s0
	s_add_i32 s12, s12, s6
	s_cmp_ge_u32 s12, s16
	s_cbranch_scc1 .LBB209_50
; %bb.1:
	s_load_dword s13, s[4:5], 0xc
	s_load_dwordx2 s[8:9], s[4:5], 0x6c
	s_load_dword s10, s[4:5], 0x1b8
	s_add_u32 s2, s4, 0xe8
	s_load_dwordx2 s[0:1], s[4:5], 0x0
	s_waitcnt lgkmcnt(0)
	v_cvt_f32_u32_e32 v1, s13
	s_addc_u32 s3, s5, 0
	s_sub_i32 s6, 0, s13
	s_mov_b32 s7, 0
	v_rcp_iflag_f32_e32 v1, v1
	v_mul_f32_e32 v1, 0x4f7ffffe, v1
	v_cvt_u32_f32_e32 v1, v1
	v_readfirstlane_b32 s11, v1
	s_mul_i32 s6, s6, s11
	s_mul_hi_u32 s6, s11, s6
	s_add_i32 s11, s11, s6
	s_mul_hi_u32 s14, s12, s11
	s_cmp_lt_i32 s10, 2
	s_mov_b32 s6, s12
	s_cbranch_scc1 .LBB209_4
; %bb.2:
	s_add_i32 s6, s10, -1
	s_add_i32 s15, s10, 1
	s_lshl_b64 s[10:11], s[6:7], 2
	s_add_u32 s6, s10, s2
	s_addc_u32 s11, s11, s3
	s_add_u32 s10, s6, 8
	s_addc_u32 s11, s11, 0
	s_mov_b32 s6, s12
.LBB209_3:                              ; =>This Inner Loop Header: Depth=1
	s_load_dword s16, s[10:11], 0x0
	s_load_dword s20, s[10:11], 0x64
	s_mov_b32 s19, s6
	s_waitcnt lgkmcnt(0)
	v_cvt_f32_u32_e32 v1, s16
	s_sub_i32 s6, 0, s16
	v_rcp_iflag_f32_e32 v1, v1
	v_mul_f32_e32 v1, 0x4f7ffffe, v1
	v_cvt_u32_f32_e32 v1, v1
	v_readfirstlane_b32 s21, v1
	s_mul_i32 s6, s6, s21
	s_mul_hi_u32 s6, s21, s6
	s_add_i32 s21, s21, s6
	s_mul_hi_u32 s6, s19, s21
	s_mul_i32 s21, s6, s16
	s_sub_i32 s21, s19, s21
	s_add_i32 s22, s6, 1
	s_sub_i32 s23, s21, s16
	s_cmp_ge_u32 s21, s16
	s_cselect_b32 s6, s22, s6
	s_cselect_b32 s21, s23, s21
	s_add_i32 s22, s6, 1
	s_cmp_ge_u32 s21, s16
	s_cselect_b32 s6, s22, s6
	s_mul_i32 s16, s6, s16
	s_sub_i32 s16, s19, s16
	s_mul_i32 s16, s20, s16
	s_add_i32 s15, s15, -1
	s_add_i32 s7, s16, s7
	s_add_u32 s10, s10, -4
	s_addc_u32 s11, s11, -1
	s_cmp_gt_u32 s15, 2
	s_cbranch_scc1 .LBB209_3
.LBB209_4:
	s_mul_i32 s10, s14, s13
	s_sub_i32 s10, s12, s10
	s_add_i32 s11, s14, 1
	s_sub_i32 s15, s10, s13
	s_cmp_ge_u32 s10, s13
	s_cselect_b32 s11, s11, s14
	s_cselect_b32 s10, s15, s10
	s_add_i32 s14, s11, 1
	s_cmp_ge_u32 s10, s13
	s_cselect_b32 s10, s14, s11
	s_load_dwordx2 s[20:21], s[4:5], 0x1c0
	s_mul_i32 s11, s10, s13
	s_sub_i32 s11, s12, s11
	s_mul_i32 s11, s11, s9
	s_mul_i32 s4, s10, s8
	s_add_i32 s10, s4, s11
	s_load_dwordx2 s[8:9], s[2:3], 0x0
	s_waitcnt lgkmcnt(0)
	s_bitcmp1_b32 s21, 0
	s_mov_b32 s11, 0
	v_bfrev_b32_e32 v1, -2
	s_cselect_b64 s[4:5], -1, 0
	s_lshl_b64 s[10:11], s[10:11], 2
	s_add_u32 s19, s0, s10
	v_cndmask_b32_e64 v3, v1, -1, s[4:5]
	s_addc_u32 s21, s1, s11
	v_cmp_gt_u32_e64 s[0:1], s17, v0
	v_mul_lo_u32 v10, v0, s18
	v_pk_mov_b32 v[4:5], v[2:3], v[2:3] op_sel:[0,1]
	s_and_saveexec_b64 s[10:11], s[0:1]
	s_cbranch_execz .LBB209_6
; %bb.5:
	v_mov_b32_e32 v11, 0
	v_lshlrev_b64 v[4:5], 2, v[10:11]
	v_mov_b32_e32 v1, s21
	v_add_co_u32_e32 v4, vcc, s19, v4
	v_addc_co_u32_e32 v5, vcc, v1, v5, vcc
	global_load_dword v1, v[4:5], off
	v_pk_mov_b32 v[4:5], v[2:3], v[2:3] op_sel:[0,1]
	s_waitcnt vmcnt(0)
	v_mov_b32_e32 v3, v1
.LBB209_6:
	s_or_b64 exec, exec, s[10:11]
	s_load_dword s12, s[2:3], 0x6c
	v_or_b32_e32 v1, 16, v0
	v_cmp_gt_u32_e64 s[2:3], s17, v1
	s_and_saveexec_b64 s[10:11], s[2:3]
	s_cbranch_execz .LBB209_8
; %bb.7:
	v_mul_lo_u32 v4, v1, s18
	v_mov_b32_e32 v5, 0
	v_lshlrev_b64 v[4:5], 2, v[4:5]
	v_mov_b32_e32 v2, s21
	v_add_co_u32_e32 v4, vcc, s19, v4
	v_addc_co_u32_e32 v5, vcc, v2, v5, vcc
	global_load_dword v5, v[4:5], off
.LBB209_8:
	s_or_b64 exec, exec, s[10:11]
	v_lshlrev_b32_e32 v27, 2, v0
	v_lshlrev_b32_e32 v26, 3, v0
	s_waitcnt lgkmcnt(0)
	s_mul_i32 s6, s12, s6
	s_waitcnt vmcnt(0)
	ds_write2_b32 v27, v3, v5 offset1:16
	s_waitcnt lgkmcnt(0)
	; wave barrier
	s_waitcnt lgkmcnt(0)
	ds_read2_b32 v[14:15], v26 offset1:1
	s_add_i32 s12, s6, s7
	s_mov_b32 s13, 0
	s_lshl_b64 s[6:7], s[12:13], 3
	s_mov_b32 s12, s13
	s_add_u32 s30, s8, s6
	s_mov_b32 s14, s13
	s_mov_b32 s15, s13
	v_pk_mov_b32 v[2:3], s[12:13], s[12:13] op_sel:[0,1]
	s_addc_u32 s31, s9, s7
	v_pk_mov_b32 v[4:5], s[14:15], s[14:15] op_sel:[0,1]
	v_pk_mov_b32 v[2:3], 0, 0
	v_mul_lo_u32 v12, v0, s20
	s_waitcnt lgkmcnt(0)
	; wave barrier
	s_waitcnt lgkmcnt(0)
	s_and_saveexec_b64 s[6:7], s[0:1]
	s_cbranch_execz .LBB209_10
; %bb.9:
	v_mov_b32_e32 v13, 0
	v_lshlrev_b64 v[2:3], 3, v[12:13]
	v_mov_b32_e32 v4, s31
	v_add_co_u32_e32 v2, vcc, s30, v2
	v_addc_co_u32_e32 v3, vcc, v4, v3, vcc
	global_load_dwordx2 v[2:3], v[2:3], off
	v_mov_b32_e32 v4, v13
	v_mov_b32_e32 v5, v13
.LBB209_10:
	s_or_b64 exec, exec, s[6:7]
	s_xor_b64 s[22:23], s[4:5], -1
	v_lshlrev_b32_e32 v6, 1, v0
	s_and_saveexec_b64 s[4:5], s[2:3]
	s_cbranch_execz .LBB209_12
; %bb.11:
	v_mul_lo_u32 v4, v1, s20
	v_mov_b32_e32 v5, 0
	v_lshlrev_b64 v[4:5], 3, v[4:5]
	v_mov_b32_e32 v7, s31
	v_add_co_u32_e32 v4, vcc, s30, v4
	v_addc_co_u32_e32 v5, vcc, v7, v5, vcc
	global_load_dwordx2 v[4:5], v[4:5], off
.LBB209_12:
	s_or_b64 exec, exec, s[4:5]
	v_mbcnt_lo_u32_b32 v7, -1, 0
	v_lshlrev_b32_e32 v13, 3, v6
	s_getpc_b64 s[4:5]
	s_add_u32 s4, s4, _ZN7rocprim17ROCPRIM_400000_NS16block_radix_sortIfLj16ELj2ElLj1ELj1ELj0ELNS0_26block_radix_rank_algorithmE1ELNS0_18block_padding_hintE2ELNS0_4arch9wavefront6targetE1EE19radix_bits_per_passE@rel32@lo+4
	s_addc_u32 s5, s5, _ZN7rocprim17ROCPRIM_400000_NS16block_radix_sortIfLj16ELj2ElLj1ELj1ELj0ELNS0_26block_radix_rank_algorithmE1ELNS0_18block_padding_hintE2ELNS0_4arch9wavefront6targetE1EE19radix_bits_per_passE@rel32@hi+12
	v_mbcnt_hi_u32_b32 v7, -1, v7
	s_waitcnt vmcnt(0)
	ds_write2_b64 v26, v[2:3], v[4:5] offset1:16
	s_waitcnt lgkmcnt(0)
	; wave barrier
	s_waitcnt lgkmcnt(0)
	ds_read2_b64 v[2:5], v13 offset1:1
	s_load_dword s33, s[4:5], 0x0
	v_and_b32_e32 v8, 15, v7
	v_cmp_eq_u32_e64 s[6:7], 0, v8
	v_cmp_lt_u32_e64 s[8:9], 1, v8
	v_cmp_lt_u32_e64 s[10:11], 3, v8
	;; [unrolled: 1-line block ×3, first 2 shown]
	v_add_u32_e32 v8, -1, v7
	v_and_b32_e32 v9, 0x70, v7
	v_cmp_lt_i32_e32 vcc, v8, v9
	s_movk_i32 s4, 0x80
	v_cndmask_b32_e32 v8, v8, v7, vcc
	v_cmp_gt_u32_e64 s[4:5], s4, v0
	v_lshlrev_b32_e32 v11, 5, v0
	s_mov_b32 s34, 0
	v_cmp_eq_u32_e64 s[14:15], 15, v0
	s_movk_i32 s35, 0x70
	v_lshlrev_b32_e32 v29, 2, v8
	v_cmp_eq_u32_e64 s[16:17], 0, v7
	v_lshlrev_b32_e32 v28, 2, v6
	s_and_b64 vcc, exec, s[22:23]
	v_add_u32_e64 v30, 7, 2
	s_waitcnt lgkmcnt(0)
	; wave barrier
	s_waitcnt lgkmcnt(0)
	s_cbranch_vccz .LBB209_27
; %bb.13:
	v_bfrev_b32_e32 v31, 1
	v_cmp_lt_i32_e32 vcc, -1, v14
	v_cndmask_b32_e32 v6, -1, v31, vcc
	v_cmp_lt_i32_e32 vcc, -1, v15
	v_xor_b32_e32 v22, v6, v14
	v_cndmask_b32_e32 v6, -1, v31, vcc
	v_xor_b32_e32 v23, v6, v15
	v_and_b32_e32 v32, 14, v30
	v_mov_b32_e32 v33, 0
	s_brev_b32 s36, -2
	v_pk_mov_b32 v[6:7], v[2:3], v[2:3] op_sel:[0,1]
	v_pk_mov_b32 v[8:9], v[4:5], v[4:5] op_sel:[0,1]
	s_branch .LBB209_15
.LBB209_14:                             ;   in Loop: Header=BB209_15 Depth=1
	v_lshlrev_b32_e32 v6, 2, v24
	s_waitcnt lgkmcnt(0)
	; wave barrier
	ds_write_b32 v6, v20
	v_lshlrev_b32_e32 v6, 2, v25
	ds_write_b32 v6, v21
	v_lshlrev_b32_e32 v6, 3, v24
	s_waitcnt lgkmcnt(0)
	; wave barrier
	s_waitcnt lgkmcnt(0)
	ds_read2_b32 v[22:23], v28 offset1:1
	s_waitcnt lgkmcnt(0)
	; wave barrier
	s_waitcnt lgkmcnt(0)
	ds_write_b64 v6, v[18:19]
	v_lshlrev_b32_e32 v6, 3, v25
	ds_write_b64 v6, v[16:17]
	s_waitcnt lgkmcnt(0)
	; wave barrier
	s_waitcnt lgkmcnt(0)
	ds_read2_b64 v[6:9], v13 offset1:1
	s_add_i32 s34, s34, 4
	s_waitcnt lgkmcnt(0)
	; wave barrier
	s_waitcnt lgkmcnt(0)
	s_cbranch_execz .LBB209_26
.LBB209_15:                             ; =>This Loop Header: Depth=1
                                        ;     Child Loop BB209_18 Depth 2
	v_pk_mov_b32 v[16:17], v[8:9], v[8:9] op_sel:[0,1]
	v_pk_mov_b32 v[18:19], v[6:7], v[6:7] op_sel:[0,1]
	;; [unrolled: 1-line block ×3, first 2 shown]
	s_and_saveexec_b64 s[22:23], s[4:5]
	s_cbranch_execz .LBB209_22
; %bb.16:                               ;   in Loop: Header=BB209_15 Depth=1
	s_mov_b32 s37, 0
	s_mov_b64 s[24:25], 0
	v_pk_mov_b32 v[6:7], v[0:1], v[0:1] op_sel:[0,1]
	s_branch .LBB209_18
.LBB209_17:                             ;   in Loop: Header=BB209_18 Depth=2
	s_or_b64 exec, exec, s[28:29]
	s_add_i32 s37, s37, 2
	v_cmp_eq_u32_e32 vcc, s37, v32
	v_add_u32_e32 v7, 32, v7
	s_or_b64 s[24:25], vcc, s[24:25]
	v_add_u32_e32 v6, 32, v6
	s_andn2_b64 exec, exec, s[24:25]
	s_cbranch_execz .LBB209_22
.LBB209_18:                             ;   Parent Loop BB209_15 Depth=1
                                        ; =>  This Inner Loop Header: Depth=2
	s_or_b32 s26, s37, 1
	v_cmp_le_u32_e64 s[26:27], s26, 7
	v_cmp_le_u32_e64 s[38:39], s37, 7
	s_and_saveexec_b64 s[28:29], s[38:39]
	s_cbranch_execz .LBB209_20
; %bb.19:                               ;   in Loop: Header=BB209_18 Depth=2
	v_lshlrev_b32_e32 v8, 2, v6
	ds_write_b32 v8, v33
.LBB209_20:                             ;   in Loop: Header=BB209_18 Depth=2
	s_or_b64 exec, exec, s[28:29]
	s_and_saveexec_b64 s[28:29], s[26:27]
	s_cbranch_execz .LBB209_17
; %bb.21:                               ;   in Loop: Header=BB209_18 Depth=2
	v_lshlrev_b32_e32 v8, 2, v7
	ds_write_b32 v8, v33
	s_branch .LBB209_17
.LBB209_22:                             ;   in Loop: Header=BB209_15 Depth=1
	s_or_b64 exec, exec, s[22:23]
	s_sub_i32 s22, 32, s34
	s_min_u32 s22, s33, s22
	v_cmp_ne_u32_e32 vcc, s36, v20
	s_lshl_b32 s22, -1, s22
	v_cndmask_b32_e32 v6, v31, v20, vcc
	s_not_b32 s22, s22
	v_lshrrev_b32_e32 v6, s34, v6
	v_and_b32_e32 v6, s22, v6
	v_lshrrev_b32_e32 v7, 3, v6
	v_lshlrev_b32_e32 v6, 4, v6
	v_and_or_b32 v6, v6, s35, v0
	v_lshlrev_b32_e32 v6, 1, v6
	v_add_lshl_u32 v35, v6, v7, 1
	ds_read_u16 v34, v35
	v_cmp_ne_u32_e32 vcc, s36, v21
	s_waitcnt lgkmcnt(0)
	v_add_u16_e32 v6, 1, v34
	ds_write_b16 v35, v6
	v_cndmask_b32_e32 v6, v31, v21, vcc
	v_lshrrev_b32_e32 v6, s34, v6
	v_and_b32_e32 v6, s22, v6
	v_lshrrev_b32_e32 v7, 3, v6
	v_lshlrev_b32_e32 v6, 4, v6
	v_and_or_b32 v6, v6, s35, v0
	v_lshlrev_b32_e32 v6, 1, v6
	v_add_lshl_u32 v37, v6, v7, 1
	ds_read_u16 v36, v37
	s_waitcnt lgkmcnt(0)
	v_add_u16_e32 v6, 1, v36
	ds_write_b16 v37, v6
	s_waitcnt lgkmcnt(0)
	; wave barrier
	s_waitcnt lgkmcnt(0)
	ds_read2_b32 v[24:25], v11 offset1:1
	ds_read2_b32 v[22:23], v11 offset0:2 offset1:3
	ds_read2_b32 v[6:7], v11 offset0:4 offset1:5
	;; [unrolled: 1-line block ×3, first 2 shown]
	s_waitcnt lgkmcnt(3)
	v_add_u32_e32 v38, v25, v24
	s_waitcnt lgkmcnt(2)
	v_add3_u32 v38, v38, v22, v23
	s_waitcnt lgkmcnt(1)
	v_add3_u32 v38, v38, v6, v7
	;; [unrolled: 2-line block ×3, first 2 shown]
	s_nop 1
	v_mov_b32_dpp v38, v9 row_shr:1 row_mask:0xf bank_mask:0xf
	v_cndmask_b32_e64 v38, v38, 0, s[6:7]
	v_add_u32_e32 v9, v38, v9
	s_nop 1
	v_mov_b32_dpp v38, v9 row_shr:2 row_mask:0xf bank_mask:0xf
	v_cndmask_b32_e64 v38, 0, v38, s[8:9]
	v_add_u32_e32 v9, v9, v38
	;; [unrolled: 4-line block ×4, first 2 shown]
	s_and_saveexec_b64 s[22:23], s[14:15]
	s_cbranch_execz .LBB209_24
; %bb.23:                               ;   in Loop: Header=BB209_15 Depth=1
	ds_write_b32 v33, v9 offset:512
.LBB209_24:                             ;   in Loop: Header=BB209_15 Depth=1
	s_or_b64 exec, exec, s[22:23]
	ds_bpermute_b32 v9, v29, v9
	s_waitcnt lgkmcnt(0)
	; wave barrier
	s_waitcnt lgkmcnt(0)
	ds_read_b32 v38, v33 offset:512
	s_cmp_gt_u32 s34, 27
	v_cndmask_b32_e64 v9, v9, 0, s[16:17]
	s_waitcnt lgkmcnt(0)
	v_lshl_add_u32 v9, v38, 16, v9
	v_add_u32_e32 v24, v9, v24
	v_add_u32_e32 v25, v24, v25
	ds_write2_b32 v11, v9, v24 offset1:1
	v_add_u32_e32 v9, v25, v22
	v_add_u32_e32 v22, v9, v23
	;; [unrolled: 1-line block ×5, first 2 shown]
	ds_write2_b32 v11, v25, v9 offset0:2 offset1:3
	ds_write2_b32 v11, v22, v6 offset0:4 offset1:5
	;; [unrolled: 1-line block ×3, first 2 shown]
	s_waitcnt lgkmcnt(0)
	; wave barrier
	s_waitcnt lgkmcnt(0)
	ds_read_u16 v6, v35
	ds_read_u16 v7, v37
	s_waitcnt lgkmcnt(1)
	v_add_u32_sdwa v24, v6, v34 dst_sel:DWORD dst_unused:UNUSED_PAD src0_sel:DWORD src1_sel:WORD_0
	s_waitcnt lgkmcnt(0)
	v_add_u32_sdwa v25, v7, v36 dst_sel:DWORD dst_unused:UNUSED_PAD src0_sel:DWORD src1_sel:WORD_0
	s_cbranch_scc0 .LBB209_14
; %bb.25:
                                        ; implicit-def: $vgpr8_vgpr9
                                        ; implicit-def: $sgpr34
                                        ; implicit-def: $vgpr22_vgpr23
.LBB209_26:
	v_lshlrev_b32_e32 v6, 2, v24
	s_waitcnt lgkmcnt(0)
	; wave barrier
	ds_write_b32 v6, v20
	v_lshlrev_b32_e32 v6, 2, v25
	ds_write_b32 v6, v21
	s_waitcnt lgkmcnt(0)
	; wave barrier
	s_waitcnt lgkmcnt(0)
	ds_read2_b32 v[20:21], v28 offset1:1
	v_lshlrev_b32_e32 v6, 3, v24
	v_lshlrev_b32_e32 v7, 3, v25
	s_waitcnt lgkmcnt(0)
	; wave barrier
	s_waitcnt lgkmcnt(0)
	ds_write_b64 v6, v[18:19]
	ds_write_b64 v7, v[16:17]
	s_waitcnt lgkmcnt(0)
	; wave barrier
	s_waitcnt lgkmcnt(0)
	ds_read2_b64 v[6:9], v13 offset1:1
	v_bfrev_b32_e32 v16, 1
	v_cmp_lt_i32_e32 vcc, -1, v20
	v_cndmask_b32_e64 v18, v16, -1, vcc
	v_cmp_lt_i32_e32 vcc, -1, v21
	v_cndmask_b32_e64 v16, v16, -1, vcc
	v_xor_b32_e32 v17, v16, v21
	v_xor_b32_e32 v16, v18, v20
	s_branch .LBB209_42
.LBB209_27:
                                        ; implicit-def: $vgpr8_vgpr9
                                        ; implicit-def: $vgpr16_vgpr17
	s_cbranch_execz .LBB209_42
; %bb.28:
	v_bfrev_b32_e32 v20, -2
	v_cmp_gt_i32_e32 vcc, 0, v14
	s_waitcnt lgkmcnt(0)
	v_cndmask_b32_e64 v6, v20, 0, vcc
	v_cmp_gt_i32_e32 vcc, 0, v15
	v_xor_b32_e32 v16, v6, v14
	v_cndmask_b32_e64 v6, v20, 0, vcc
	s_mov_b32 s34, 0
	v_xor_b32_e32 v17, v6, v15
	v_and_b32_e32 v21, 14, v30
	v_mov_b32_e32 v22, 0
	s_brev_b32 s35, 1
	s_movk_i32 s36, 0x70
	s_branch .LBB209_30
.LBB209_29:                             ;   in Loop: Header=BB209_30 Depth=1
	v_lshlrev_b32_e32 v2, 2, v18
	s_waitcnt lgkmcnt(0)
	; wave barrier
	ds_write_b32 v2, v14
	v_lshlrev_b32_e32 v2, 2, v19
	ds_write_b32 v2, v15
	v_lshlrev_b32_e32 v2, 3, v18
	s_waitcnt lgkmcnt(0)
	; wave barrier
	s_waitcnt lgkmcnt(0)
	ds_read2_b32 v[16:17], v28 offset1:1
	s_waitcnt lgkmcnt(0)
	; wave barrier
	s_waitcnt lgkmcnt(0)
	ds_write_b64 v2, v[8:9]
	v_lshlrev_b32_e32 v2, 3, v19
	ds_write_b64 v2, v[6:7]
	s_waitcnt lgkmcnt(0)
	; wave barrier
	s_waitcnt lgkmcnt(0)
	ds_read2_b64 v[2:5], v13 offset1:1
	s_add_i32 s34, s34, 4
	s_waitcnt lgkmcnt(0)
	; wave barrier
	s_waitcnt lgkmcnt(0)
	s_cbranch_execz .LBB209_41
.LBB209_30:                             ; =>This Loop Header: Depth=1
                                        ;     Child Loop BB209_33 Depth 2
	v_pk_mov_b32 v[6:7], v[4:5], v[4:5] op_sel:[0,1]
	v_pk_mov_b32 v[8:9], v[2:3], v[2:3] op_sel:[0,1]
	;; [unrolled: 1-line block ×3, first 2 shown]
	s_and_saveexec_b64 s[22:23], s[4:5]
	s_cbranch_execz .LBB209_37
; %bb.31:                               ;   in Loop: Header=BB209_30 Depth=1
	s_mov_b32 s37, 0
	s_mov_b64 s[24:25], 0
	v_pk_mov_b32 v[2:3], v[0:1], v[0:1] op_sel:[0,1]
	s_branch .LBB209_33
.LBB209_32:                             ;   in Loop: Header=BB209_33 Depth=2
	s_or_b64 exec, exec, s[28:29]
	s_add_i32 s37, s37, 2
	v_cmp_eq_u32_e32 vcc, s37, v21
	v_add_u32_e32 v3, 32, v3
	s_or_b64 s[24:25], vcc, s[24:25]
	v_add_u32_e32 v2, 32, v2
	s_andn2_b64 exec, exec, s[24:25]
	s_cbranch_execz .LBB209_37
.LBB209_33:                             ;   Parent Loop BB209_30 Depth=1
                                        ; =>  This Inner Loop Header: Depth=2
	s_or_b32 s26, s37, 1
	v_cmp_le_u32_e64 s[26:27], s26, 7
	v_cmp_le_u32_e64 s[38:39], s37, 7
	s_and_saveexec_b64 s[28:29], s[38:39]
	s_cbranch_execz .LBB209_35
; %bb.34:                               ;   in Loop: Header=BB209_33 Depth=2
	v_lshlrev_b32_e32 v4, 2, v2
	ds_write_b32 v4, v22
.LBB209_35:                             ;   in Loop: Header=BB209_33 Depth=2
	s_or_b64 exec, exec, s[28:29]
	s_and_saveexec_b64 s[28:29], s[26:27]
	s_cbranch_execz .LBB209_32
; %bb.36:                               ;   in Loop: Header=BB209_33 Depth=2
	v_lshlrev_b32_e32 v4, 2, v3
	ds_write_b32 v4, v22
	s_branch .LBB209_32
.LBB209_37:                             ;   in Loop: Header=BB209_30 Depth=1
	s_or_b64 exec, exec, s[22:23]
	s_sub_i32 s22, 32, s34
	s_min_u32 s22, s33, s22
	v_cmp_ne_u32_e32 vcc, s35, v14
	s_lshl_b32 s22, -1, s22
	v_cndmask_b32_e32 v2, v20, v14, vcc
	s_not_b32 s22, s22
	v_lshrrev_b32_e32 v2, s34, v2
	v_and_b32_e32 v2, s22, v2
	v_lshrrev_b32_e32 v3, 3, v2
	v_lshlrev_b32_e32 v2, 4, v2
	v_and_or_b32 v2, v2, s36, v0
	v_lshlrev_b32_e32 v2, 1, v2
	v_add_lshl_u32 v24, v2, v3, 1
	ds_read_u16 v23, v24
	v_cmp_ne_u32_e32 vcc, s35, v15
	s_waitcnt lgkmcnt(0)
	v_add_u16_e32 v2, 1, v23
	ds_write_b16 v24, v2
	v_cndmask_b32_e32 v2, v20, v15, vcc
	v_lshrrev_b32_e32 v2, s34, v2
	v_and_b32_e32 v2, s22, v2
	v_lshrrev_b32_e32 v3, 3, v2
	v_lshlrev_b32_e32 v2, 4, v2
	v_and_or_b32 v2, v2, s36, v0
	v_lshlrev_b32_e32 v2, 1, v2
	v_add_lshl_u32 v30, v2, v3, 1
	ds_read_u16 v25, v30
	s_waitcnt lgkmcnt(0)
	v_add_u16_e32 v2, 1, v25
	ds_write_b16 v30, v2
	s_waitcnt lgkmcnt(0)
	; wave barrier
	s_waitcnt lgkmcnt(0)
	ds_read2_b32 v[18:19], v11 offset1:1
	ds_read2_b32 v[16:17], v11 offset0:2 offset1:3
	ds_read2_b32 v[2:3], v11 offset0:4 offset1:5
	;; [unrolled: 1-line block ×3, first 2 shown]
	s_waitcnt lgkmcnt(3)
	v_add_u32_e32 v31, v19, v18
	s_waitcnt lgkmcnt(2)
	v_add3_u32 v31, v31, v16, v17
	s_waitcnt lgkmcnt(1)
	v_add3_u32 v31, v31, v2, v3
	;; [unrolled: 2-line block ×3, first 2 shown]
	s_nop 1
	v_mov_b32_dpp v31, v5 row_shr:1 row_mask:0xf bank_mask:0xf
	v_cndmask_b32_e64 v31, v31, 0, s[6:7]
	v_add_u32_e32 v5, v31, v5
	s_nop 1
	v_mov_b32_dpp v31, v5 row_shr:2 row_mask:0xf bank_mask:0xf
	v_cndmask_b32_e64 v31, 0, v31, s[8:9]
	v_add_u32_e32 v5, v5, v31
	;; [unrolled: 4-line block ×4, first 2 shown]
	s_and_saveexec_b64 s[22:23], s[14:15]
	s_cbranch_execz .LBB209_39
; %bb.38:                               ;   in Loop: Header=BB209_30 Depth=1
	ds_write_b32 v22, v5 offset:512
.LBB209_39:                             ;   in Loop: Header=BB209_30 Depth=1
	s_or_b64 exec, exec, s[22:23]
	ds_bpermute_b32 v5, v29, v5
	s_waitcnt lgkmcnt(0)
	; wave barrier
	s_waitcnt lgkmcnt(0)
	ds_read_b32 v31, v22 offset:512
	s_cmp_gt_u32 s34, 27
	v_cndmask_b32_e64 v5, v5, 0, s[16:17]
	s_waitcnt lgkmcnt(0)
	v_lshl_add_u32 v5, v31, 16, v5
	v_add_u32_e32 v18, v5, v18
	v_add_u32_e32 v19, v18, v19
	ds_write2_b32 v11, v5, v18 offset1:1
	v_add_u32_e32 v5, v19, v16
	v_add_u32_e32 v16, v5, v17
	;; [unrolled: 1-line block ×5, first 2 shown]
	ds_write2_b32 v11, v19, v5 offset0:2 offset1:3
	ds_write2_b32 v11, v16, v2 offset0:4 offset1:5
	;; [unrolled: 1-line block ×3, first 2 shown]
	s_waitcnt lgkmcnt(0)
	; wave barrier
	s_waitcnt lgkmcnt(0)
	ds_read_u16 v2, v24
	ds_read_u16 v3, v30
	s_waitcnt lgkmcnt(1)
	v_add_u32_sdwa v18, v2, v23 dst_sel:DWORD dst_unused:UNUSED_PAD src0_sel:DWORD src1_sel:WORD_0
	s_waitcnt lgkmcnt(0)
	v_add_u32_sdwa v19, v3, v25 dst_sel:DWORD dst_unused:UNUSED_PAD src0_sel:DWORD src1_sel:WORD_0
	s_cbranch_scc0 .LBB209_29
; %bb.40:
                                        ; implicit-def: $vgpr4_vgpr5
                                        ; implicit-def: $sgpr34
                                        ; implicit-def: $vgpr16_vgpr17
.LBB209_41:
	v_lshlrev_b32_e32 v0, 2, v18
	s_waitcnt lgkmcnt(0)
	; wave barrier
	ds_write_b32 v0, v14
	v_lshlrev_b32_e32 v0, 2, v19
	ds_write_b32 v0, v15
	s_waitcnt lgkmcnt(0)
	; wave barrier
	s_waitcnt lgkmcnt(0)
	ds_read2_b32 v[0:1], v28 offset1:1
	v_lshlrev_b32_e32 v2, 3, v18
	v_lshlrev_b32_e32 v3, 3, v19
	s_waitcnt lgkmcnt(0)
	; wave barrier
	s_waitcnt lgkmcnt(0)
	ds_write_b64 v2, v[8:9]
	ds_write_b64 v3, v[6:7]
	s_waitcnt lgkmcnt(0)
	; wave barrier
	s_waitcnt lgkmcnt(0)
	ds_read2_b64 v[6:9], v13 offset1:1
	v_bfrev_b32_e32 v2, -2
	v_cmp_gt_i32_e32 vcc, 0, v0
	v_cndmask_b32_e64 v3, v2, 0, vcc
	v_cmp_gt_i32_e32 vcc, 0, v1
	v_cndmask_b32_e64 v2, v2, 0, vcc
	v_xor_b32_e32 v17, v2, v1
	v_xor_b32_e32 v16, v3, v0
.LBB209_42:
	s_waitcnt lgkmcnt(0)
	; wave barrier
	s_waitcnt lgkmcnt(0)
	ds_write2_b32 v26, v16, v17 offset1:1
	s_waitcnt lgkmcnt(0)
	; wave barrier
	s_waitcnt lgkmcnt(0)
	ds_read_b32 v2, v27 offset:64
	v_mov_b32_e32 v11, 0
	v_lshlrev_b64 v[0:1], 2, v[10:11]
	v_mov_b32_e32 v3, s21
	v_add_co_u32_e32 v0, vcc, s19, v0
	v_addc_co_u32_e32 v1, vcc, v3, v1, vcc
	s_and_saveexec_b64 s[4:5], s[0:1]
	s_cbranch_execz .LBB209_44
; %bb.43:
	ds_read_b32 v3, v27
	s_waitcnt lgkmcnt(0)
	global_store_dword v[0:1], v3, off
.LBB209_44:
	s_or_b64 exec, exec, s[4:5]
	s_and_saveexec_b64 s[4:5], s[2:3]
	s_cbranch_execz .LBB209_46
; %bb.45:
	s_lshl_b32 s6, s18, 4
	s_mov_b32 s7, 0
	s_lshl_b64 s[6:7], s[6:7], 2
	v_mov_b32_e32 v3, s7
	v_add_co_u32_e32 v0, vcc, s6, v0
	v_addc_co_u32_e32 v1, vcc, v1, v3, vcc
	s_waitcnt lgkmcnt(0)
	global_store_dword v[0:1], v2, off
.LBB209_46:
	s_or_b64 exec, exec, s[4:5]
	s_waitcnt lgkmcnt(0)
	; wave barrier
	s_waitcnt lgkmcnt(0)
	ds_write2_b64 v13, v[6:7], v[8:9] offset1:1
	s_waitcnt lgkmcnt(0)
	; wave barrier
	s_waitcnt lgkmcnt(0)
	ds_read_b64 v[0:1], v26 offset:128
	v_mov_b32_e32 v13, 0
	v_lshlrev_b64 v[2:3], 3, v[12:13]
	v_mov_b32_e32 v4, s31
	v_add_co_u32_e32 v2, vcc, s30, v2
	v_addc_co_u32_e32 v3, vcc, v4, v3, vcc
	s_and_saveexec_b64 s[4:5], s[0:1]
	s_cbranch_execz .LBB209_48
; %bb.47:
	ds_read_b64 v[4:5], v26
	s_waitcnt lgkmcnt(0)
	global_store_dwordx2 v[2:3], v[4:5], off
.LBB209_48:
	s_or_b64 exec, exec, s[4:5]
	s_and_saveexec_b64 s[0:1], s[2:3]
	s_cbranch_execz .LBB209_50
; %bb.49:
	s_lshl_b32 s0, s20, 4
	s_mov_b32 s1, 0
	s_lshl_b64 s[0:1], s[0:1], 3
	v_mov_b32_e32 v4, s1
	v_add_co_u32_e32 v2, vcc, s0, v2
	v_addc_co_u32_e32 v3, vcc, v3, v4, vcc
	s_waitcnt lgkmcnt(0)
	global_store_dwordx2 v[2:3], v[0:1], off
.LBB209_50:
	s_endpgm
	.section	.rodata,"a",@progbits
	.p2align	6, 0x0
	.amdhsa_kernel _ZN2at6native18radixSortKVInPlaceILi2ELin1ELi16ELi2EfljEEvNS_4cuda6detail10TensorInfoIT3_T5_EES6_S6_S6_NS4_IT4_S6_EES6_b
		.amdhsa_group_segment_fixed_size 528
		.amdhsa_private_segment_fixed_size 0
		.amdhsa_kernarg_size 712
		.amdhsa_user_sgpr_count 6
		.amdhsa_user_sgpr_private_segment_buffer 1
		.amdhsa_user_sgpr_dispatch_ptr 0
		.amdhsa_user_sgpr_queue_ptr 0
		.amdhsa_user_sgpr_kernarg_segment_ptr 1
		.amdhsa_user_sgpr_dispatch_id 0
		.amdhsa_user_sgpr_flat_scratch_init 0
		.amdhsa_user_sgpr_kernarg_preload_length 0
		.amdhsa_user_sgpr_kernarg_preload_offset 0
		.amdhsa_user_sgpr_private_segment_size 0
		.amdhsa_uses_dynamic_stack 0
		.amdhsa_system_sgpr_private_segment_wavefront_offset 0
		.amdhsa_system_sgpr_workgroup_id_x 1
		.amdhsa_system_sgpr_workgroup_id_y 1
		.amdhsa_system_sgpr_workgroup_id_z 1
		.amdhsa_system_sgpr_workgroup_info 0
		.amdhsa_system_vgpr_workitem_id 0
		.amdhsa_next_free_vgpr 39
		.amdhsa_next_free_sgpr 40
		.amdhsa_accum_offset 40
		.amdhsa_reserve_vcc 1
		.amdhsa_reserve_flat_scratch 0
		.amdhsa_float_round_mode_32 0
		.amdhsa_float_round_mode_16_64 0
		.amdhsa_float_denorm_mode_32 3
		.amdhsa_float_denorm_mode_16_64 3
		.amdhsa_dx10_clamp 1
		.amdhsa_ieee_mode 1
		.amdhsa_fp16_overflow 0
		.amdhsa_tg_split 0
		.amdhsa_exception_fp_ieee_invalid_op 0
		.amdhsa_exception_fp_denorm_src 0
		.amdhsa_exception_fp_ieee_div_zero 0
		.amdhsa_exception_fp_ieee_overflow 0
		.amdhsa_exception_fp_ieee_underflow 0
		.amdhsa_exception_fp_ieee_inexact 0
		.amdhsa_exception_int_div_zero 0
	.end_amdhsa_kernel
	.section	.text._ZN2at6native18radixSortKVInPlaceILi2ELin1ELi16ELi2EfljEEvNS_4cuda6detail10TensorInfoIT3_T5_EES6_S6_S6_NS4_IT4_S6_EES6_b,"axG",@progbits,_ZN2at6native18radixSortKVInPlaceILi2ELin1ELi16ELi2EfljEEvNS_4cuda6detail10TensorInfoIT3_T5_EES6_S6_S6_NS4_IT4_S6_EES6_b,comdat
.Lfunc_end209:
	.size	_ZN2at6native18radixSortKVInPlaceILi2ELin1ELi16ELi2EfljEEvNS_4cuda6detail10TensorInfoIT3_T5_EES6_S6_S6_NS4_IT4_S6_EES6_b, .Lfunc_end209-_ZN2at6native18radixSortKVInPlaceILi2ELin1ELi16ELi2EfljEEvNS_4cuda6detail10TensorInfoIT3_T5_EES6_S6_S6_NS4_IT4_S6_EES6_b
                                        ; -- End function
	.section	.AMDGPU.csdata,"",@progbits
; Kernel info:
; codeLenInByte = 3244
; NumSgprs: 44
; NumVgprs: 39
; NumAgprs: 0
; TotalNumVgprs: 39
; ScratchSize: 0
; MemoryBound: 0
; FloatMode: 240
; IeeeMode: 1
; LDSByteSize: 528 bytes/workgroup (compile time only)
; SGPRBlocks: 5
; VGPRBlocks: 4
; NumSGPRsForWavesPerEU: 44
; NumVGPRsForWavesPerEU: 39
; AccumOffset: 40
; Occupancy: 8
; WaveLimiterHint : 1
; COMPUTE_PGM_RSRC2:SCRATCH_EN: 0
; COMPUTE_PGM_RSRC2:USER_SGPR: 6
; COMPUTE_PGM_RSRC2:TRAP_HANDLER: 0
; COMPUTE_PGM_RSRC2:TGID_X_EN: 1
; COMPUTE_PGM_RSRC2:TGID_Y_EN: 1
; COMPUTE_PGM_RSRC2:TGID_Z_EN: 1
; COMPUTE_PGM_RSRC2:TIDIG_COMP_CNT: 0
; COMPUTE_PGM_RSRC3_GFX90A:ACCUM_OFFSET: 9
; COMPUTE_PGM_RSRC3_GFX90A:TG_SPLIT: 0
	.section	.text._ZN2at6native18radixSortKVInPlaceILin1ELin1ELi512ELi8EfljEEvNS_4cuda6detail10TensorInfoIT3_T5_EES6_S6_S6_NS4_IT4_S6_EES6_b,"axG",@progbits,_ZN2at6native18radixSortKVInPlaceILin1ELin1ELi512ELi8EfljEEvNS_4cuda6detail10TensorInfoIT3_T5_EES6_S6_S6_NS4_IT4_S6_EES6_b,comdat
	.protected	_ZN2at6native18radixSortKVInPlaceILin1ELin1ELi512ELi8EfljEEvNS_4cuda6detail10TensorInfoIT3_T5_EES6_S6_S6_NS4_IT4_S6_EES6_b ; -- Begin function _ZN2at6native18radixSortKVInPlaceILin1ELin1ELi512ELi8EfljEEvNS_4cuda6detail10TensorInfoIT3_T5_EES6_S6_S6_NS4_IT4_S6_EES6_b
	.globl	_ZN2at6native18radixSortKVInPlaceILin1ELin1ELi512ELi8EfljEEvNS_4cuda6detail10TensorInfoIT3_T5_EES6_S6_S6_NS4_IT4_S6_EES6_b
	.p2align	8
	.type	_ZN2at6native18radixSortKVInPlaceILin1ELin1ELi512ELi8EfljEEvNS_4cuda6detail10TensorInfoIT3_T5_EES6_S6_S6_NS4_IT4_S6_EES6_b,@function
_ZN2at6native18radixSortKVInPlaceILin1ELin1ELi512ELi8EfljEEvNS_4cuda6detail10TensorInfoIT3_T5_EES6_S6_S6_NS4_IT4_S6_EES6_b: ; @_ZN2at6native18radixSortKVInPlaceILin1ELin1ELi512ELi8EfljEEvNS_4cuda6detail10TensorInfoIT3_T5_EES6_S6_S6_NS4_IT4_S6_EES6_b
; %bb.0:
	s_load_dwordx2 s[0:1], s[4:5], 0x1c8
	s_load_dwordx4 s[48:51], s[4:5], 0xd8
	s_add_u32 s54, s4, 0x1c8
	s_addc_u32 s55, s5, 0
	s_waitcnt lgkmcnt(0)
	s_mul_i32 s1, s1, s8
	s_add_i32 s1, s1, s7
	s_mul_i32 s0, s1, s0
	s_add_i32 s20, s0, s6
	s_cmp_ge_u32 s20, s48
	s_cbranch_scc1 .LBB210_113
; %bb.1:
	s_load_dword s2, s[4:5], 0xd0
	s_mov_b32 s1, 0
	s_mov_b32 s0, s20
	s_waitcnt lgkmcnt(0)
	s_cmp_lt_i32 s2, 2
	s_cbranch_scc1 .LBB210_4
; %bb.2:
	s_add_i32 s0, s2, -1
	s_add_i32 s6, s2, 1
	s_lshl_b64 s[2:3], s[0:1], 2
	s_add_u32 s0, s2, s4
	s_addc_u32 s3, s3, s5
	s_add_u32 s2, s0, 8
	s_addc_u32 s3, s3, 0
	s_mov_b32 s0, s20
.LBB210_3:                              ; =>This Inner Loop Header: Depth=1
	s_load_dword s7, s[2:3], 0x0
	s_load_dword s9, s[2:3], 0x64
	s_mov_b32 s8, s0
	s_waitcnt lgkmcnt(0)
	v_cvt_f32_u32_e32 v1, s7
	s_sub_i32 s0, 0, s7
	v_rcp_iflag_f32_e32 v1, v1
	v_mul_f32_e32 v1, 0x4f7ffffe, v1
	v_cvt_u32_f32_e32 v1, v1
	v_readfirstlane_b32 s10, v1
	s_mul_i32 s0, s0, s10
	s_mul_hi_u32 s0, s10, s0
	s_add_i32 s10, s10, s0
	s_mul_hi_u32 s0, s8, s10
	s_mul_i32 s10, s0, s7
	s_sub_i32 s10, s8, s10
	s_add_i32 s11, s0, 1
	s_sub_i32 s12, s10, s7
	s_cmp_ge_u32 s10, s7
	s_cselect_b32 s0, s11, s0
	s_cselect_b32 s10, s12, s10
	s_add_i32 s11, s0, 1
	s_cmp_ge_u32 s10, s7
	s_cselect_b32 s0, s11, s0
	s_mul_i32 s7, s0, s7
	s_sub_i32 s7, s8, s7
	s_mul_i32 s7, s9, s7
	s_add_i32 s6, s6, -1
	s_add_i32 s1, s7, s1
	s_add_u32 s2, s2, -4
	s_addc_u32 s3, s3, -1
	s_cmp_gt_u32 s6, 2
	s_cbranch_scc1 .LBB210_3
.LBB210_4:
	s_load_dword s2, s[4:5], 0x1b8
	s_mov_b32 s17, 0
	s_waitcnt lgkmcnt(0)
	s_cmp_lt_i32 s2, 2
	s_cbranch_scc1 .LBB210_7
; %bb.5:
	s_add_i32 s16, s2, -1
	s_add_i32 s6, s2, 1
	s_lshl_b64 s[2:3], s[16:17], 2
	s_add_u32 s2, s2, s4
	s_addc_u32 s3, s3, s5
	s_add_u32 s2, s2, 0xf0
	s_addc_u32 s3, s3, 0
.LBB210_6:                              ; =>This Inner Loop Header: Depth=1
	s_load_dword s7, s[2:3], 0x0
	s_load_dword s9, s[2:3], 0x64
	s_mov_b32 s8, s20
	s_waitcnt lgkmcnt(0)
	v_cvt_f32_u32_e32 v1, s7
	s_sub_i32 s10, 0, s7
	v_rcp_iflag_f32_e32 v1, v1
	v_mul_f32_e32 v1, 0x4f7ffffe, v1
	v_cvt_u32_f32_e32 v1, v1
	v_readfirstlane_b32 s11, v1
	s_mul_i32 s10, s10, s11
	s_mul_hi_u32 s10, s11, s10
	s_add_i32 s11, s11, s10
	s_mul_hi_u32 s10, s20, s11
	s_mul_i32 s11, s10, s7
	s_sub_i32 s11, s20, s11
	s_add_i32 s12, s10, 1
	s_sub_i32 s13, s11, s7
	s_cmp_ge_u32 s11, s7
	s_cselect_b32 s10, s12, s10
	s_cselect_b32 s11, s13, s11
	s_add_i32 s12, s10, 1
	s_cmp_ge_u32 s11, s7
	s_cselect_b32 s20, s12, s10
	s_mul_i32 s7, s20, s7
	s_sub_i32 s7, s8, s7
	s_mul_i32 s7, s9, s7
	s_add_i32 s6, s6, -1
	s_add_i32 s17, s7, s17
	s_add_u32 s2, s2, -4
	s_addc_u32 s3, s3, -1
	s_cmp_gt_u32 s6, 2
	s_cbranch_scc1 .LBB210_6
.LBB210_7:
	s_load_dword s2, s[4:5], 0x6c
	s_load_dwordx2 s[52:53], s[4:5], 0x1c0
	s_mov_b32 s7, 0
	v_bfrev_b32_e32 v1, -2
	v_and_b32_e32 v38, 0x3ff, v0
	s_waitcnt lgkmcnt(0)
	s_mul_i32 s0, s2, s0
	s_load_dwordx2 s[2:3], s[4:5], 0x0
	s_add_i32 s6, s0, s1
	s_bitcmp1_b32 s53, 0
	s_cselect_b64 s[34:35], -1, 0
	s_lshl_b64 s[0:1], s[6:7], 2
	s_waitcnt lgkmcnt(0)
	s_add_u32 s33, s2, s0
	v_cndmask_b32_e64 v1, v1, -1, s[34:35]
	s_addc_u32 s48, s3, s1
	v_mov_b32_e32 v2, v1
	v_mov_b32_e32 v3, v1
	;; [unrolled: 1-line block ×6, first 2 shown]
	v_cmp_gt_u32_e64 s[0:1], s49, v38
	v_mul_lo_u32 v34, v38, s50
	v_mov_b32_e32 v8, v1
	s_and_saveexec_b64 s[2:3], s[0:1]
	s_cbranch_execz .LBB210_9
; %bb.8:
	v_mov_b32_e32 v35, 0
	v_lshlrev_b64 v[8:9], 2, v[34:35]
	v_mov_b32_e32 v10, s48
	v_add_co_u32_e32 v8, vcc, s33, v8
	v_addc_co_u32_e32 v9, vcc, v10, v9, vcc
	global_load_dword v8, v[8:9], off
.LBB210_9:
	s_or_b64 exec, exec, s[2:3]
	v_add_u32_e32 v30, 0x200, v38
	v_cmp_gt_u32_e64 s[2:3], s49, v30
	s_and_saveexec_b64 s[6:7], s[2:3]
	s_cbranch_execz .LBB210_11
; %bb.10:
	v_mul_lo_u32 v10, v30, s50
	v_mov_b32_e32 v11, 0
	v_lshlrev_b64 v[10:11], 2, v[10:11]
	v_mov_b32_e32 v1, s48
	v_add_co_u32_e32 v10, vcc, s33, v10
	v_addc_co_u32_e32 v11, vcc, v1, v11, vcc
	global_load_dword v1, v[10:11], off
.LBB210_11:
	s_or_b64 exec, exec, s[6:7]
	v_or_b32_e32 v28, 0x400, v38
	v_cmp_gt_u32_e64 s[46:47], s49, v28
	s_and_saveexec_b64 s[6:7], s[46:47]
	s_cbranch_execz .LBB210_13
; %bb.12:
	v_mul_lo_u32 v10, v28, s50
	v_mov_b32_e32 v11, 0
	v_lshlrev_b64 v[10:11], 2, v[10:11]
	v_mov_b32_e32 v2, s48
	v_add_co_u32_e32 v10, vcc, s33, v10
	v_addc_co_u32_e32 v11, vcc, v2, v11, vcc
	global_load_dword v2, v[10:11], off
.LBB210_13:
	s_or_b64 exec, exec, s[6:7]
	v_add_u32_e32 v26, 0x600, v38
	v_cmp_gt_u32_e64 s[6:7], s49, v26
	s_and_saveexec_b64 s[8:9], s[6:7]
	s_cbranch_execz .LBB210_15
; %bb.14:
	v_mul_lo_u32 v10, v26, s50
	v_mov_b32_e32 v11, 0
	v_lshlrev_b64 v[10:11], 2, v[10:11]
	v_mov_b32_e32 v3, s48
	v_add_co_u32_e32 v10, vcc, s33, v10
	v_addc_co_u32_e32 v11, vcc, v3, v11, vcc
	global_load_dword v3, v[10:11], off
.LBB210_15:
	s_or_b64 exec, exec, s[8:9]
	v_or_b32_e32 v24, 0x800, v38
	v_cmp_gt_u32_e64 s[8:9], s49, v24
	s_and_saveexec_b64 s[10:11], s[8:9]
	s_cbranch_execz .LBB210_17
; %bb.16:
	v_mul_lo_u32 v10, v24, s50
	v_mov_b32_e32 v11, 0
	v_lshlrev_b64 v[10:11], 2, v[10:11]
	v_mov_b32_e32 v4, s48
	v_add_co_u32_e32 v10, vcc, s33, v10
	v_addc_co_u32_e32 v11, vcc, v4, v11, vcc
	global_load_dword v4, v[10:11], off
.LBB210_17:
	s_or_b64 exec, exec, s[10:11]
	v_add_u32_e32 v21, 0xa00, v38
	v_cmp_gt_u32_e64 s[10:11], s49, v21
	s_and_saveexec_b64 s[12:13], s[10:11]
	s_cbranch_execz .LBB210_19
; %bb.18:
	v_mul_lo_u32 v10, v21, s50
	v_mov_b32_e32 v11, 0
	v_lshlrev_b64 v[10:11], 2, v[10:11]
	v_mov_b32_e32 v5, s48
	v_add_co_u32_e32 v10, vcc, s33, v10
	v_addc_co_u32_e32 v11, vcc, v5, v11, vcc
	global_load_dword v5, v[10:11], off
.LBB210_19:
	s_or_b64 exec, exec, s[12:13]
	s_load_dwordx2 s[18:19], s[4:5], 0xe8
	v_or_b32_e32 v19, 0xc00, v38
	v_cmp_gt_u32_e64 s[12:13], s49, v19
	s_and_saveexec_b64 s[14:15], s[12:13]
	s_cbranch_execz .LBB210_21
; %bb.20:
	v_mul_lo_u32 v10, v19, s50
	v_mov_b32_e32 v11, 0
	v_lshlrev_b64 v[10:11], 2, v[10:11]
	v_mov_b32_e32 v6, s48
	v_add_co_u32_e32 v10, vcc, s33, v10
	v_addc_co_u32_e32 v11, vcc, v6, v11, vcc
	global_load_dword v6, v[10:11], off
.LBB210_21:
	s_or_b64 exec, exec, s[14:15]
	s_load_dword s16, s[4:5], 0x154
	v_add_u32_e32 v18, 0xe00, v38
	v_cmp_gt_u32_e64 s[14:15], s49, v18
	s_and_saveexec_b64 s[4:5], s[14:15]
	s_cbranch_execz .LBB210_23
; %bb.22:
	v_mul_lo_u32 v10, v18, s50
	v_mov_b32_e32 v11, 0
	v_lshlrev_b64 v[10:11], 2, v[10:11]
	v_mov_b32_e32 v7, s48
	v_add_co_u32_e32 v10, vcc, s33, v10
	v_addc_co_u32_e32 v11, vcc, v7, v11, vcc
	global_load_dword v7, v[10:11], off
.LBB210_23:
	s_or_b64 exec, exec, s[4:5]
	v_lshrrev_b32_e32 v9, 5, v38
	v_add_u32_e32 v32, v9, v38
	v_lshlrev_b32_e32 v39, 2, v32
	s_waitcnt vmcnt(0)
	ds_write_b32 v39, v8
	v_lshrrev_b32_e32 v8, 5, v30
	v_add_u32_e32 v31, v8, v38
	v_lshlrev_b32_e32 v35, 2, v31
	ds_write_b32 v35, v1 offset:2048
	v_lshrrev_b32_e32 v1, 5, v28
	v_add_u32_e32 v29, v1, v38
	v_lshrrev_b32_e32 v1, 5, v26
	v_add_u32_e32 v27, v1, v38
	;; [unrolled: 2-line block ×3, first 2 shown]
	v_lshrrev_b32_e32 v1, 5, v21
	v_lshlrev_b32_e32 v72, 2, v29
	v_add_u32_e32 v23, v1, v38
	v_lshrrev_b32_e32 v1, 5, v19
	ds_write_b32 v72, v2 offset:4096
	v_add_u32_e32 v20, v1, v38
	v_lshrrev_b32_e32 v1, 5, v18
	v_lshlrev_b32_e32 v87, 3, v38
	v_lshrrev_b32_e32 v2, 2, v38
	v_add_u32_e32 v1, v1, v38
	v_add_u32_e32 v22, v2, v87
	v_lshlrev_b32_e32 v73, 2, v27
	v_lshlrev_b32_e32 v74, 2, v25
	;; [unrolled: 1-line block ×6, first 2 shown]
	ds_write_b32 v73, v3 offset:6144
	ds_write_b32 v74, v4 offset:8192
	;; [unrolled: 1-line block ×5, first 2 shown]
	s_waitcnt lgkmcnt(0)
	s_barrier
	ds_read2_b32 v[46:47], v78 offset1:1
	ds_read2_b32 v[44:45], v78 offset0:2 offset1:3
	ds_read2_b32 v[42:43], v78 offset0:4 offset1:5
	;; [unrolled: 1-line block ×3, first 2 shown]
	s_mul_i32 s4, s16, s20
	s_add_i32 s16, s4, s17
	s_mov_b32 s17, 0
	s_lshl_b64 s[4:5], s[16:17], 3
	s_add_u32 s49, s18, s4
	s_mov_b32 s16, s17
	s_addc_u32 s51, s19, s5
	s_mov_b32 s18, s17
	s_mov_b32 s19, s17
	;; [unrolled: 1-line block ×14, first 2 shown]
	v_pk_mov_b32 v[2:3], s[16:17], s[16:17] op_sel:[0,1]
	v_pk_mov_b32 v[4:5], s[18:19], s[18:19] op_sel:[0,1]
	;; [unrolled: 1-line block ×8, first 2 shown]
	v_pk_mov_b32 v[2:3], 0, 0
	v_mul_lo_u32 v36, v38, s52
	s_waitcnt lgkmcnt(0)
	s_barrier
	s_and_saveexec_b64 s[4:5], s[0:1]
	s_cbranch_execnz .LBB210_60
; %bb.24:
	s_or_b64 exec, exec, s[4:5]
	s_and_saveexec_b64 s[4:5], s[2:3]
	s_cbranch_execnz .LBB210_61
.LBB210_25:
	s_or_b64 exec, exec, s[4:5]
	s_and_saveexec_b64 s[4:5], s[46:47]
	s_cbranch_execnz .LBB210_62
.LBB210_26:
	s_or_b64 exec, exec, s[4:5]
	s_and_saveexec_b64 s[4:5], s[6:7]
	s_cbranch_execnz .LBB210_63
.LBB210_27:
	s_or_b64 exec, exec, s[4:5]
	s_and_saveexec_b64 s[4:5], s[8:9]
	s_cbranch_execnz .LBB210_64
.LBB210_28:
	s_or_b64 exec, exec, s[4:5]
	s_and_saveexec_b64 s[4:5], s[10:11]
	s_cbranch_execnz .LBB210_65
.LBB210_29:
	s_or_b64 exec, exec, s[4:5]
	s_and_saveexec_b64 s[4:5], s[12:13]
	s_cbranch_execnz .LBB210_66
.LBB210_30:
	s_or_b64 exec, exec, s[4:5]
	s_xor_b64 s[4:5], s[34:35], -1
	s_and_saveexec_b64 s[16:17], s[14:15]
	s_cbranch_execz .LBB210_32
.LBB210_31:
	v_mul_lo_u32 v16, v18, s52
	v_mov_b32_e32 v17, 0
	v_lshlrev_b64 v[16:17], 3, v[16:17]
	v_mov_b32_e32 v18, s51
	v_add_co_u32_e32 v16, vcc, s49, v16
	v_addc_co_u32_e32 v17, vcc, v18, v17, vcc
	global_load_dwordx2 v[16:17], v[16:17], off
.LBB210_32:
	s_or_b64 exec, exec, s[16:17]
	v_lshlrev_b32_e32 v79, 3, v32
	v_lshlrev_b32_e32 v37, 3, v31
	;; [unrolled: 1-line block ×9, first 2 shown]
	s_waitcnt vmcnt(0)
	ds_write_b64 v79, v[2:3]
	ds_write_b64 v37, v[4:5] offset:4096
	ds_write_b64 v80, v[6:7] offset:8192
	;; [unrolled: 1-line block ×7, first 2 shown]
	s_waitcnt lgkmcnt(0)
	s_barrier
	ds_read2_b64 v[14:17], v86 offset1:1
	ds_read2_b64 v[10:13], v86 offset0:2 offset1:3
	ds_read2_b64 v[6:9], v86 offset0:4 offset1:5
	;; [unrolled: 1-line block ×3, first 2 shown]
	s_and_b64 vcc, exec, s[4:5]
	v_bfe_u32 v91, v0, 10, 10
	v_bfe_u32 v92, v0, 20, 10
	v_mbcnt_lo_u32_b32 v93, -1, 0
	v_lshlrev_b32_e32 v88, 2, v38
	v_lshlrev_b32_e32 v89, 4, v38
	v_cmp_gt_u32_e64 s[16:17], 8, v38
	v_cmp_lt_u32_e64 s[18:19], 63, v38
	v_cmp_eq_u32_e64 s[20:21], 0, v38
	v_lshrrev_b32_e32 v90, 4, v38
	s_waitcnt lgkmcnt(0)
	s_barrier
	s_cbranch_vccz .LBB210_67
; %bb.33:
	v_bfrev_b32_e32 v94, 1
	v_cmp_lt_i32_e32 vcc, -1, v46
	v_mbcnt_hi_u32_b32 v48, -1, v93
	v_and_b32_e32 v49, 0x3c0, v38
	v_cndmask_b32_e32 v18, -1, v94, vcc
	v_cmp_lt_i32_e32 vcc, -1, v47
	v_add_u32_e32 v0, v48, v49
	v_cndmask_b32_e32 v19, -1, v94, vcc
	v_lshlrev_b32_e32 v1, 5, v0
	v_xor_b32_e32 v19, v19, v47
	v_xor_b32_e32 v18, v18, v46
	v_cmp_lt_i32_e32 vcc, -1, v44
	ds_write2_b32 v1, v18, v19 offset1:1
	v_cndmask_b32_e32 v18, -1, v94, vcc
	v_cmp_lt_i32_e32 vcc, -1, v45
	v_cndmask_b32_e32 v19, -1, v94, vcc
	v_xor_b32_e32 v19, v19, v45
	v_xor_b32_e32 v18, v18, v44
	v_cmp_lt_i32_e32 vcc, -1, v42
	ds_write2_b32 v1, v18, v19 offset0:2 offset1:3
	v_cndmask_b32_e32 v18, -1, v94, vcc
	v_cmp_lt_i32_e32 vcc, -1, v43
	v_cndmask_b32_e32 v19, -1, v94, vcc
	v_xor_b32_e32 v19, v19, v43
	v_xor_b32_e32 v18, v18, v42
	v_cmp_lt_i32_e32 vcc, -1, v40
	ds_write2_b32 v1, v18, v19 offset0:4 offset1:5
	v_cndmask_b32_e32 v18, -1, v94, vcc
	v_cmp_lt_i32_e32 vcc, -1, v41
	v_cndmask_b32_e32 v19, -1, v94, vcc
	v_xor_b32_e32 v19, v19, v41
	v_xor_b32_e32 v18, v18, v40
	v_and_b32_e32 v50, 0x1e00, v87
	ds_write2_b32 v1, v18, v19 offset0:6 offset1:7
	v_or_b32_e32 v1, v48, v50
	v_lshlrev_b32_e32 v18, 2, v1
	v_lshlrev_b32_e32 v0, 6, v0
	; wave barrier
	ds_read2st64_b32 v[64:65], v18 offset1:1
	ds_read2st64_b32 v[66:67], v18 offset0:2 offset1:3
	ds_read2st64_b32 v[68:69], v18 offset0:4 offset1:5
	;; [unrolled: 1-line block ×3, first 2 shown]
	s_waitcnt lgkmcnt(0)
	s_barrier
	ds_write2_b64 v0, v[14:15], v[16:17] offset1:1
	ds_write2_b64 v0, v[10:11], v[12:13] offset0:2 offset1:3
	ds_write2_b64 v0, v[6:7], v[8:9] offset0:4 offset1:5
	;; [unrolled: 1-line block ×3, first 2 shown]
	v_lshlrev_b32_e32 v0, 3, v1
	; wave barrier
	ds_read2st64_b64 v[18:21], v0 offset1:1
	ds_read2st64_b64 v[22:25], v0 offset0:2 offset1:3
	ds_read2st64_b64 v[26:29], v0 offset0:4 offset1:5
	;; [unrolled: 1-line block ×3, first 2 shown]
	s_waitcnt lgkmcnt(0)
	s_barrier
	s_load_dword s22, s[54:55], 0xc
	s_getpc_b64 s[4:5]
	s_add_u32 s4, s4, _ZN7rocprim17ROCPRIM_400000_NS16block_radix_sortIfLj512ELj8ElLj1ELj1ELj0ELNS0_26block_radix_rank_algorithmE1ELNS0_18block_padding_hintE2ELNS0_4arch9wavefront6targetE1EE19radix_bits_per_passE@rel32@lo+4
	s_addc_u32 s5, s5, _ZN7rocprim17ROCPRIM_400000_NS16block_radix_sortIfLj512ELj8ElLj1ELj1ELj0ELNS0_26block_radix_rank_algorithmE1ELNS0_18block_padding_hintE2ELNS0_4arch9wavefront6targetE1EE19radix_bits_per_passE@rel32@hi+12
	s_load_dword s53, s[4:5], 0x0
	v_and_b32_e32 v98, 60, v90
	s_mov_b32 s56, 0
	s_waitcnt lgkmcnt(0)
	s_lshr_b32 s4, s22, 16
	s_and_b32 s5, s22, 0xffff
	v_mad_u32_u24 v0, v92, s4, v91
	v_mad_u64_u32 v[0:1], s[4:5], v0, s5, v[38:39]
	v_lshrrev_b32_e32 v96, 6, v0
	v_and_b32_e32 v0, 15, v48
	v_cmp_eq_u32_e64 s[22:23], 0, v0
	v_cmp_lt_u32_e64 s[24:25], 1, v0
	v_cmp_lt_u32_e64 s[26:27], 3, v0
	;; [unrolled: 1-line block ×3, first 2 shown]
	v_and_b32_e32 v0, 16, v48
	v_cmp_eq_u32_e64 s[30:31], 0, v0
	v_min_u32_e32 v0, 0x1c0, v49
	v_or_b32_e32 v0, 63, v0
	v_cmp_eq_u32_e64 s[36:37], v0, v38
	v_add_u32_e32 v0, -1, v48
	v_and_b32_e32 v1, 64, v48
	v_cmp_lt_i32_e32 vcc, v0, v1
	v_cndmask_b32_e32 v0, v0, v48, vcc
	v_lshlrev_b32_e32 v97, 2, v0
	v_and_b32_e32 v0, 7, v48
	v_cmp_eq_u32_e64 s[40:41], 0, v0
	v_cmp_lt_u32_e64 s[42:43], 1, v0
	v_cmp_lt_u32_e64 s[44:45], 3, v0
	v_and_or_b32 v0, v48, 63, v50
	s_mov_b32 s57, 32
	v_add_u32_e32 v95, 32, v89
	v_cmp_lt_u32_e64 s[34:35], 31, v48
	v_cmp_eq_u32_e64 s[38:39], 0, v48
	v_add_u32_e32 v99, -4, v98
	v_lshlrev_b32_e32 v100, 2, v0
	v_lshlrev_b32_e32 v101, 3, v0
	v_mov_b32_e32 v62, 0
	s_brev_b32 s58, -2
	s_branch .LBB210_35
.LBB210_34:                             ;   in Loop: Header=BB210_35 Depth=1
	v_lshlrev_b32_e32 v18, 2, v63
	s_barrier
	ds_write_b32 v18, v109
	v_lshlrev_b32_e32 v18, 2, v111
	ds_write_b32 v18, v108
	v_lshlrev_b32_e32 v18, 2, v112
	;; [unrolled: 2-line block ×8, first 2 shown]
	s_waitcnt lgkmcnt(0)
	s_barrier
	ds_read2st64_b32 v[64:65], v100 offset1:1
	ds_read2st64_b32 v[66:67], v100 offset0:2 offset1:3
	ds_read2st64_b32 v[68:69], v100 offset0:4 offset1:5
	;; [unrolled: 1-line block ×3, first 2 shown]
	s_waitcnt lgkmcnt(0)
	s_barrier
	ds_write_b64 v18, v[60:61]
	v_lshlrev_b32_e32 v18, 3, v111
	ds_write_b64 v18, v[58:59]
	v_lshlrev_b32_e32 v18, 3, v112
	;; [unrolled: 2-line block ×7, first 2 shown]
	ds_write_b64 v18, v[0:1]
	s_waitcnt lgkmcnt(0)
	s_barrier
	ds_read2st64_b64 v[18:21], v101 offset1:1
	ds_read2st64_b64 v[22:25], v101 offset0:2 offset1:3
	ds_read2st64_b64 v[26:29], v101 offset0:4 offset1:5
	;; [unrolled: 1-line block ×3, first 2 shown]
	s_add_i32 s56, s56, 8
	s_add_i32 s57, s57, -8
	s_waitcnt lgkmcnt(0)
	s_barrier
	s_cbranch_execz .LBB210_59
.LBB210_35:                             ; =>This Inner Loop Header: Depth=1
	v_mov_b32_e32 v109, v64
	s_min_u32 s4, s53, s57
	v_cmp_ne_u32_e32 vcc, s58, v109
	v_pk_mov_b32 v[60:61], v[18:19], v[18:19] op_sel:[0,1]
	s_lshl_b32 s4, -1, s4
	v_cndmask_b32_e32 v18, v94, v109, vcc
	s_not_b32 s59, s4
	v_lshrrev_b32_e32 v18, s56, v18
	v_and_b32_e32 v18, s59, v18
	v_lshl_add_u32 v19, v18, 3, v96
	v_pk_mov_b32 v[56:57], v[22:23], v[22:23] op_sel:[0,1]
	v_lshl_add_u32 v22, v19, 2, 32
	v_and_b32_e32 v19, 1, v18
	v_pk_mov_b32 v[58:59], v[20:21], v[20:21] op_sel:[0,1]
	v_add_co_u32_e32 v20, vcc, -1, v19
	v_addc_co_u32_e64 v21, s[4:5], 0, -1, vcc
	v_cmp_ne_u32_e32 vcc, 0, v19
	v_lshlrev_b32_e32 v63, 30, v18
	v_xor_b32_e32 v19, vcc_hi, v21
	v_not_b32_e32 v21, v63
	v_xor_b32_e32 v20, vcc_lo, v20
	v_cmp_gt_i64_e32 vcc, 0, v[62:63]
	v_ashrrev_i32_e32 v21, 31, v21
	v_and_b32_e32 v20, exec_lo, v20
	v_xor_b32_e32 v23, vcc_hi, v21
	v_xor_b32_e32 v21, vcc_lo, v21
	v_lshlrev_b32_e32 v63, 29, v18
	v_and_b32_e32 v20, v20, v21
	v_not_b32_e32 v21, v63
	v_and_b32_e32 v19, exec_hi, v19
	v_cmp_gt_i64_e32 vcc, 0, v[62:63]
	v_ashrrev_i32_e32 v21, 31, v21
	v_and_b32_e32 v19, v19, v23
	v_xor_b32_e32 v23, vcc_hi, v21
	v_xor_b32_e32 v21, vcc_lo, v21
	v_lshlrev_b32_e32 v63, 28, v18
	v_and_b32_e32 v20, v20, v21
	v_not_b32_e32 v21, v63
	v_cmp_gt_i64_e32 vcc, 0, v[62:63]
	v_ashrrev_i32_e32 v21, 31, v21
	v_and_b32_e32 v19, v19, v23
	v_xor_b32_e32 v23, vcc_hi, v21
	v_xor_b32_e32 v21, vcc_lo, v21
	v_lshlrev_b32_e32 v63, 27, v18
	v_and_b32_e32 v20, v20, v21
	v_not_b32_e32 v21, v63
	;; [unrolled: 8-line block ×3, first 2 shown]
	v_cmp_gt_i64_e32 vcc, 0, v[62:63]
	v_ashrrev_i32_e32 v21, 31, v21
	v_and_b32_e32 v19, v19, v23
	v_xor_b32_e32 v23, vcc_hi, v21
	v_xor_b32_e32 v21, vcc_lo, v21
	v_lshlrev_b32_e32 v63, 25, v18
	v_and_b32_e32 v20, v20, v21
	v_cmp_gt_i64_e32 vcc, 0, v[62:63]
	v_not_b32_e32 v21, v63
	v_lshlrev_b32_e32 v63, 24, v18
	v_ashrrev_i32_e32 v21, 31, v21
	v_not_b32_e32 v18, v63
	v_and_b32_e32 v19, v19, v23
	v_xor_b32_e32 v23, vcc_hi, v21
	v_xor_b32_e32 v21, vcc_lo, v21
	v_cmp_gt_i64_e32 vcc, 0, v[62:63]
	v_ashrrev_i32_e32 v18, 31, v18
	v_and_b32_e32 v20, v20, v21
	v_xor_b32_e32 v21, vcc_hi, v18
	v_xor_b32_e32 v18, vcc_lo, v18
	v_and_b32_e32 v19, v19, v23
	v_and_b32_e32 v18, v20, v18
	v_and_b32_e32 v19, v19, v21
	v_mbcnt_lo_u32_b32 v20, v18, 0
	v_mbcnt_hi_u32_b32 v23, v19, v20
	v_cmp_eq_u32_e32 vcc, 0, v23
	v_cmp_ne_u64_e64 s[4:5], 0, v[18:19]
	v_mov_b32_e32 v102, v71
	v_mov_b32_e32 v103, v70
	;; [unrolled: 1-line block ×7, first 2 shown]
	v_pk_mov_b32 v[0:1], v[32:33], v[32:33] op_sel:[0,1]
	v_pk_mov_b32 v[48:49], v[30:31], v[30:31] op_sel:[0,1]
	;; [unrolled: 1-line block ×5, first 2 shown]
	s_and_b64 s[60:61], s[4:5], vcc
	ds_write2_b32 v89, v62, v62 offset0:8 offset1:9
	ds_write2_b32 v95, v62, v62 offset0:2 offset1:3
	s_waitcnt lgkmcnt(0)
	s_barrier
	s_waitcnt lgkmcnt(0)
	; wave barrier
	s_and_saveexec_b64 s[4:5], s[60:61]
	s_cbranch_execz .LBB210_37
; %bb.36:                               ;   in Loop: Header=BB210_35 Depth=1
	v_bcnt_u32_b32 v18, v18, 0
	v_bcnt_u32_b32 v18, v19, v18
	ds_write_b32 v22, v18
.LBB210_37:                             ;   in Loop: Header=BB210_35 Depth=1
	s_or_b64 exec, exec, s[4:5]
	v_cmp_ne_u32_e32 vcc, s58, v108
	v_cndmask_b32_e32 v18, v94, v108, vcc
	v_lshrrev_b32_e32 v18, s56, v18
	v_and_b32_e32 v18, s59, v18
	v_lshlrev_b32_e32 v19, 3, v18
	v_add_lshl_u32 v19, v19, v96, 2
	; wave barrier
	v_add_u32_e32 v25, 32, v19
	ds_read_b32 v24, v19 offset:32
	v_and_b32_e32 v19, 1, v18
	v_add_co_u32_e32 v20, vcc, -1, v19
	v_addc_co_u32_e64 v21, s[4:5], 0, -1, vcc
	v_cmp_ne_u32_e32 vcc, 0, v19
	v_lshlrev_b32_e32 v63, 30, v18
	v_xor_b32_e32 v19, vcc_hi, v21
	v_not_b32_e32 v21, v63
	v_xor_b32_e32 v20, vcc_lo, v20
	v_cmp_gt_i64_e32 vcc, 0, v[62:63]
	v_ashrrev_i32_e32 v21, 31, v21
	v_and_b32_e32 v20, exec_lo, v20
	v_xor_b32_e32 v26, vcc_hi, v21
	v_xor_b32_e32 v21, vcc_lo, v21
	v_lshlrev_b32_e32 v63, 29, v18
	v_and_b32_e32 v20, v20, v21
	v_not_b32_e32 v21, v63
	v_and_b32_e32 v19, exec_hi, v19
	v_cmp_gt_i64_e32 vcc, 0, v[62:63]
	v_ashrrev_i32_e32 v21, 31, v21
	v_and_b32_e32 v19, v19, v26
	v_xor_b32_e32 v26, vcc_hi, v21
	v_xor_b32_e32 v21, vcc_lo, v21
	v_lshlrev_b32_e32 v63, 28, v18
	v_and_b32_e32 v20, v20, v21
	v_not_b32_e32 v21, v63
	v_cmp_gt_i64_e32 vcc, 0, v[62:63]
	v_ashrrev_i32_e32 v21, 31, v21
	v_and_b32_e32 v19, v19, v26
	v_xor_b32_e32 v26, vcc_hi, v21
	v_xor_b32_e32 v21, vcc_lo, v21
	v_lshlrev_b32_e32 v63, 27, v18
	v_and_b32_e32 v20, v20, v21
	v_not_b32_e32 v21, v63
	;; [unrolled: 8-line block ×3, first 2 shown]
	v_cmp_gt_i64_e32 vcc, 0, v[62:63]
	v_ashrrev_i32_e32 v21, 31, v21
	v_and_b32_e32 v19, v19, v26
	v_xor_b32_e32 v26, vcc_hi, v21
	v_xor_b32_e32 v21, vcc_lo, v21
	v_lshlrev_b32_e32 v63, 25, v18
	v_and_b32_e32 v20, v20, v21
	v_cmp_gt_i64_e32 vcc, 0, v[62:63]
	v_not_b32_e32 v21, v63
	v_lshlrev_b32_e32 v63, 24, v18
	v_ashrrev_i32_e32 v21, 31, v21
	v_not_b32_e32 v18, v63
	v_and_b32_e32 v19, v19, v26
	v_xor_b32_e32 v26, vcc_hi, v21
	v_xor_b32_e32 v21, vcc_lo, v21
	v_cmp_gt_i64_e32 vcc, 0, v[62:63]
	v_ashrrev_i32_e32 v18, 31, v18
	v_and_b32_e32 v20, v20, v21
	v_xor_b32_e32 v21, vcc_hi, v18
	v_xor_b32_e32 v18, vcc_lo, v18
	v_and_b32_e32 v19, v19, v26
	v_and_b32_e32 v18, v20, v18
	;; [unrolled: 1-line block ×3, first 2 shown]
	v_mbcnt_lo_u32_b32 v20, v18, 0
	v_mbcnt_hi_u32_b32 v26, v19, v20
	v_cmp_eq_u32_e32 vcc, 0, v26
	v_cmp_ne_u64_e64 s[4:5], 0, v[18:19]
	s_and_b64 s[60:61], s[4:5], vcc
	; wave barrier
	s_and_saveexec_b64 s[4:5], s[60:61]
	s_cbranch_execz .LBB210_39
; %bb.38:                               ;   in Loop: Header=BB210_35 Depth=1
	v_bcnt_u32_b32 v18, v18, 0
	v_bcnt_u32_b32 v18, v19, v18
	s_waitcnt lgkmcnt(0)
	v_add_u32_e32 v18, v24, v18
	ds_write_b32 v25, v18
.LBB210_39:                             ;   in Loop: Header=BB210_35 Depth=1
	s_or_b64 exec, exec, s[4:5]
	v_cmp_ne_u32_e32 vcc, s58, v107
	v_cndmask_b32_e32 v18, v94, v107, vcc
	v_lshrrev_b32_e32 v18, s56, v18
	v_and_b32_e32 v18, s59, v18
	v_lshlrev_b32_e32 v19, 3, v18
	v_add_lshl_u32 v19, v19, v96, 2
	; wave barrier
	v_add_u32_e32 v28, 32, v19
	ds_read_b32 v27, v19 offset:32
	v_and_b32_e32 v19, 1, v18
	v_add_co_u32_e32 v20, vcc, -1, v19
	v_addc_co_u32_e64 v21, s[4:5], 0, -1, vcc
	v_cmp_ne_u32_e32 vcc, 0, v19
	v_lshlrev_b32_e32 v63, 30, v18
	v_xor_b32_e32 v19, vcc_hi, v21
	v_not_b32_e32 v21, v63
	v_xor_b32_e32 v20, vcc_lo, v20
	v_cmp_gt_i64_e32 vcc, 0, v[62:63]
	v_ashrrev_i32_e32 v21, 31, v21
	v_and_b32_e32 v20, exec_lo, v20
	v_xor_b32_e32 v29, vcc_hi, v21
	v_xor_b32_e32 v21, vcc_lo, v21
	v_lshlrev_b32_e32 v63, 29, v18
	v_and_b32_e32 v20, v20, v21
	v_not_b32_e32 v21, v63
	v_and_b32_e32 v19, exec_hi, v19
	v_cmp_gt_i64_e32 vcc, 0, v[62:63]
	v_ashrrev_i32_e32 v21, 31, v21
	v_and_b32_e32 v19, v19, v29
	v_xor_b32_e32 v29, vcc_hi, v21
	v_xor_b32_e32 v21, vcc_lo, v21
	v_lshlrev_b32_e32 v63, 28, v18
	v_and_b32_e32 v20, v20, v21
	v_not_b32_e32 v21, v63
	v_cmp_gt_i64_e32 vcc, 0, v[62:63]
	v_ashrrev_i32_e32 v21, 31, v21
	v_and_b32_e32 v19, v19, v29
	v_xor_b32_e32 v29, vcc_hi, v21
	v_xor_b32_e32 v21, vcc_lo, v21
	v_lshlrev_b32_e32 v63, 27, v18
	v_and_b32_e32 v20, v20, v21
	v_not_b32_e32 v21, v63
	;; [unrolled: 8-line block ×3, first 2 shown]
	v_cmp_gt_i64_e32 vcc, 0, v[62:63]
	v_ashrrev_i32_e32 v21, 31, v21
	v_and_b32_e32 v19, v19, v29
	v_xor_b32_e32 v29, vcc_hi, v21
	v_xor_b32_e32 v21, vcc_lo, v21
	v_lshlrev_b32_e32 v63, 25, v18
	v_and_b32_e32 v20, v20, v21
	v_cmp_gt_i64_e32 vcc, 0, v[62:63]
	v_not_b32_e32 v21, v63
	v_lshlrev_b32_e32 v63, 24, v18
	v_ashrrev_i32_e32 v21, 31, v21
	v_not_b32_e32 v18, v63
	v_and_b32_e32 v19, v19, v29
	v_xor_b32_e32 v29, vcc_hi, v21
	v_xor_b32_e32 v21, vcc_lo, v21
	v_cmp_gt_i64_e32 vcc, 0, v[62:63]
	v_ashrrev_i32_e32 v18, 31, v18
	v_and_b32_e32 v20, v20, v21
	v_xor_b32_e32 v21, vcc_hi, v18
	v_xor_b32_e32 v18, vcc_lo, v18
	v_and_b32_e32 v19, v19, v29
	v_and_b32_e32 v18, v20, v18
	;; [unrolled: 1-line block ×3, first 2 shown]
	v_mbcnt_lo_u32_b32 v20, v18, 0
	v_mbcnt_hi_u32_b32 v29, v19, v20
	v_cmp_eq_u32_e32 vcc, 0, v29
	v_cmp_ne_u64_e64 s[4:5], 0, v[18:19]
	s_and_b64 s[60:61], s[4:5], vcc
	; wave barrier
	s_and_saveexec_b64 s[4:5], s[60:61]
	s_cbranch_execz .LBB210_41
; %bb.40:                               ;   in Loop: Header=BB210_35 Depth=1
	v_bcnt_u32_b32 v18, v18, 0
	v_bcnt_u32_b32 v18, v19, v18
	s_waitcnt lgkmcnt(0)
	v_add_u32_e32 v18, v27, v18
	ds_write_b32 v28, v18
.LBB210_41:                             ;   in Loop: Header=BB210_35 Depth=1
	s_or_b64 exec, exec, s[4:5]
	v_cmp_ne_u32_e32 vcc, s58, v106
	v_cndmask_b32_e32 v18, v94, v106, vcc
	v_lshrrev_b32_e32 v18, s56, v18
	v_and_b32_e32 v18, s59, v18
	v_lshlrev_b32_e32 v19, 3, v18
	v_add_lshl_u32 v19, v19, v96, 2
	; wave barrier
	v_add_u32_e32 v31, 32, v19
	ds_read_b32 v30, v19 offset:32
	v_and_b32_e32 v19, 1, v18
	v_add_co_u32_e32 v20, vcc, -1, v19
	v_addc_co_u32_e64 v21, s[4:5], 0, -1, vcc
	v_cmp_ne_u32_e32 vcc, 0, v19
	v_lshlrev_b32_e32 v63, 30, v18
	v_xor_b32_e32 v19, vcc_hi, v21
	v_not_b32_e32 v21, v63
	v_xor_b32_e32 v20, vcc_lo, v20
	v_cmp_gt_i64_e32 vcc, 0, v[62:63]
	v_ashrrev_i32_e32 v21, 31, v21
	v_and_b32_e32 v20, exec_lo, v20
	v_xor_b32_e32 v32, vcc_hi, v21
	v_xor_b32_e32 v21, vcc_lo, v21
	v_lshlrev_b32_e32 v63, 29, v18
	v_and_b32_e32 v20, v20, v21
	v_not_b32_e32 v21, v63
	v_and_b32_e32 v19, exec_hi, v19
	v_cmp_gt_i64_e32 vcc, 0, v[62:63]
	v_ashrrev_i32_e32 v21, 31, v21
	v_and_b32_e32 v19, v19, v32
	v_xor_b32_e32 v32, vcc_hi, v21
	v_xor_b32_e32 v21, vcc_lo, v21
	v_lshlrev_b32_e32 v63, 28, v18
	v_and_b32_e32 v20, v20, v21
	v_not_b32_e32 v21, v63
	v_cmp_gt_i64_e32 vcc, 0, v[62:63]
	v_ashrrev_i32_e32 v21, 31, v21
	v_and_b32_e32 v19, v19, v32
	v_xor_b32_e32 v32, vcc_hi, v21
	v_xor_b32_e32 v21, vcc_lo, v21
	v_lshlrev_b32_e32 v63, 27, v18
	v_and_b32_e32 v20, v20, v21
	v_not_b32_e32 v21, v63
	;; [unrolled: 8-line block ×3, first 2 shown]
	v_cmp_gt_i64_e32 vcc, 0, v[62:63]
	v_ashrrev_i32_e32 v21, 31, v21
	v_and_b32_e32 v19, v19, v32
	v_xor_b32_e32 v32, vcc_hi, v21
	v_xor_b32_e32 v21, vcc_lo, v21
	v_lshlrev_b32_e32 v63, 25, v18
	v_and_b32_e32 v20, v20, v21
	v_cmp_gt_i64_e32 vcc, 0, v[62:63]
	v_not_b32_e32 v21, v63
	v_lshlrev_b32_e32 v63, 24, v18
	v_ashrrev_i32_e32 v21, 31, v21
	v_not_b32_e32 v18, v63
	v_and_b32_e32 v19, v19, v32
	v_xor_b32_e32 v32, vcc_hi, v21
	v_xor_b32_e32 v21, vcc_lo, v21
	v_cmp_gt_i64_e32 vcc, 0, v[62:63]
	v_ashrrev_i32_e32 v18, 31, v18
	v_and_b32_e32 v20, v20, v21
	v_xor_b32_e32 v21, vcc_hi, v18
	v_xor_b32_e32 v18, vcc_lo, v18
	v_and_b32_e32 v19, v19, v32
	v_and_b32_e32 v18, v20, v18
	;; [unrolled: 1-line block ×3, first 2 shown]
	v_mbcnt_lo_u32_b32 v20, v18, 0
	v_mbcnt_hi_u32_b32 v32, v19, v20
	v_cmp_eq_u32_e32 vcc, 0, v32
	v_cmp_ne_u64_e64 s[4:5], 0, v[18:19]
	s_and_b64 s[60:61], s[4:5], vcc
	; wave barrier
	s_and_saveexec_b64 s[4:5], s[60:61]
	s_cbranch_execz .LBB210_43
; %bb.42:                               ;   in Loop: Header=BB210_35 Depth=1
	v_bcnt_u32_b32 v18, v18, 0
	v_bcnt_u32_b32 v18, v19, v18
	s_waitcnt lgkmcnt(0)
	v_add_u32_e32 v18, v30, v18
	ds_write_b32 v31, v18
.LBB210_43:                             ;   in Loop: Header=BB210_35 Depth=1
	s_or_b64 exec, exec, s[4:5]
	v_cmp_ne_u32_e32 vcc, s58, v105
	v_cndmask_b32_e32 v18, v94, v105, vcc
	v_lshrrev_b32_e32 v18, s56, v18
	v_and_b32_e32 v18, s59, v18
	v_lshlrev_b32_e32 v19, 3, v18
	v_add_lshl_u32 v19, v19, v96, 2
	; wave barrier
	v_add_u32_e32 v64, 32, v19
	ds_read_b32 v33, v19 offset:32
	v_and_b32_e32 v19, 1, v18
	v_add_co_u32_e32 v20, vcc, -1, v19
	v_addc_co_u32_e64 v21, s[4:5], 0, -1, vcc
	v_cmp_ne_u32_e32 vcc, 0, v19
	v_lshlrev_b32_e32 v63, 30, v18
	v_xor_b32_e32 v19, vcc_hi, v21
	v_not_b32_e32 v21, v63
	v_xor_b32_e32 v20, vcc_lo, v20
	v_cmp_gt_i64_e32 vcc, 0, v[62:63]
	v_ashrrev_i32_e32 v21, 31, v21
	v_and_b32_e32 v19, exec_hi, v19
	v_xor_b32_e32 v63, vcc_hi, v21
	v_and_b32_e32 v20, exec_lo, v20
	v_xor_b32_e32 v21, vcc_lo, v21
	v_and_b32_e32 v19, v19, v63
	v_lshlrev_b32_e32 v63, 29, v18
	v_and_b32_e32 v20, v20, v21
	v_not_b32_e32 v21, v63
	v_cmp_gt_i64_e32 vcc, 0, v[62:63]
	v_ashrrev_i32_e32 v21, 31, v21
	v_xor_b32_e32 v63, vcc_hi, v21
	v_xor_b32_e32 v21, vcc_lo, v21
	v_and_b32_e32 v19, v19, v63
	v_lshlrev_b32_e32 v63, 28, v18
	v_and_b32_e32 v20, v20, v21
	v_not_b32_e32 v21, v63
	v_cmp_gt_i64_e32 vcc, 0, v[62:63]
	v_ashrrev_i32_e32 v21, 31, v21
	v_xor_b32_e32 v63, vcc_hi, v21
	;; [unrolled: 8-line block ×5, first 2 shown]
	v_and_b32_e32 v19, v19, v63
	v_lshlrev_b32_e32 v63, 24, v18
	v_not_b32_e32 v18, v63
	v_xor_b32_e32 v21, vcc_lo, v21
	v_cmp_gt_i64_e32 vcc, 0, v[62:63]
	v_ashrrev_i32_e32 v18, 31, v18
	v_and_b32_e32 v20, v20, v21
	v_xor_b32_e32 v21, vcc_hi, v18
	v_xor_b32_e32 v18, vcc_lo, v18
	v_and_b32_e32 v18, v20, v18
	v_and_b32_e32 v19, v19, v21
	v_mbcnt_lo_u32_b32 v20, v18, 0
	v_mbcnt_hi_u32_b32 v65, v19, v20
	v_cmp_eq_u32_e32 vcc, 0, v65
	v_cmp_ne_u64_e64 s[4:5], 0, v[18:19]
	s_and_b64 s[60:61], s[4:5], vcc
	; wave barrier
	s_and_saveexec_b64 s[4:5], s[60:61]
	s_cbranch_execz .LBB210_45
; %bb.44:                               ;   in Loop: Header=BB210_35 Depth=1
	v_bcnt_u32_b32 v18, v18, 0
	v_bcnt_u32_b32 v18, v19, v18
	s_waitcnt lgkmcnt(0)
	v_add_u32_e32 v18, v33, v18
	ds_write_b32 v64, v18
.LBB210_45:                             ;   in Loop: Header=BB210_35 Depth=1
	s_or_b64 exec, exec, s[4:5]
	v_cmp_ne_u32_e32 vcc, s58, v104
	v_cndmask_b32_e32 v18, v94, v104, vcc
	v_lshrrev_b32_e32 v18, s56, v18
	v_and_b32_e32 v18, s59, v18
	v_lshlrev_b32_e32 v19, 3, v18
	v_add_lshl_u32 v19, v19, v96, 2
	; wave barrier
	v_add_u32_e32 v67, 32, v19
	ds_read_b32 v66, v19 offset:32
	v_and_b32_e32 v19, 1, v18
	v_add_co_u32_e32 v20, vcc, -1, v19
	v_addc_co_u32_e64 v21, s[4:5], 0, -1, vcc
	v_cmp_ne_u32_e32 vcc, 0, v19
	v_lshlrev_b32_e32 v63, 30, v18
	v_xor_b32_e32 v19, vcc_hi, v21
	v_not_b32_e32 v21, v63
	v_xor_b32_e32 v20, vcc_lo, v20
	v_cmp_gt_i64_e32 vcc, 0, v[62:63]
	v_ashrrev_i32_e32 v21, 31, v21
	v_and_b32_e32 v19, exec_hi, v19
	v_xor_b32_e32 v63, vcc_hi, v21
	v_and_b32_e32 v20, exec_lo, v20
	v_xor_b32_e32 v21, vcc_lo, v21
	v_and_b32_e32 v19, v19, v63
	v_lshlrev_b32_e32 v63, 29, v18
	v_and_b32_e32 v20, v20, v21
	v_not_b32_e32 v21, v63
	v_cmp_gt_i64_e32 vcc, 0, v[62:63]
	v_ashrrev_i32_e32 v21, 31, v21
	v_xor_b32_e32 v63, vcc_hi, v21
	v_xor_b32_e32 v21, vcc_lo, v21
	v_and_b32_e32 v19, v19, v63
	v_lshlrev_b32_e32 v63, 28, v18
	v_and_b32_e32 v20, v20, v21
	v_not_b32_e32 v21, v63
	v_cmp_gt_i64_e32 vcc, 0, v[62:63]
	v_ashrrev_i32_e32 v21, 31, v21
	v_xor_b32_e32 v63, vcc_hi, v21
	;; [unrolled: 8-line block ×5, first 2 shown]
	v_and_b32_e32 v19, v19, v63
	v_lshlrev_b32_e32 v63, 24, v18
	v_not_b32_e32 v18, v63
	v_xor_b32_e32 v21, vcc_lo, v21
	v_cmp_gt_i64_e32 vcc, 0, v[62:63]
	v_ashrrev_i32_e32 v18, 31, v18
	v_and_b32_e32 v20, v20, v21
	v_xor_b32_e32 v21, vcc_hi, v18
	v_xor_b32_e32 v18, vcc_lo, v18
	v_and_b32_e32 v18, v20, v18
	v_and_b32_e32 v19, v19, v21
	v_mbcnt_lo_u32_b32 v20, v18, 0
	v_mbcnt_hi_u32_b32 v68, v19, v20
	v_cmp_eq_u32_e32 vcc, 0, v68
	v_cmp_ne_u64_e64 s[4:5], 0, v[18:19]
	s_and_b64 s[60:61], s[4:5], vcc
	; wave barrier
	s_and_saveexec_b64 s[4:5], s[60:61]
	s_cbranch_execz .LBB210_47
; %bb.46:                               ;   in Loop: Header=BB210_35 Depth=1
	v_bcnt_u32_b32 v18, v18, 0
	v_bcnt_u32_b32 v18, v19, v18
	s_waitcnt lgkmcnt(0)
	v_add_u32_e32 v18, v66, v18
	ds_write_b32 v67, v18
.LBB210_47:                             ;   in Loop: Header=BB210_35 Depth=1
	s_or_b64 exec, exec, s[4:5]
	v_cmp_ne_u32_e32 vcc, s58, v103
	v_cndmask_b32_e32 v18, v94, v103, vcc
	v_lshrrev_b32_e32 v18, s56, v18
	v_and_b32_e32 v18, s59, v18
	v_lshlrev_b32_e32 v19, 3, v18
	v_add_lshl_u32 v19, v19, v96, 2
	; wave barrier
	v_add_u32_e32 v70, 32, v19
	ds_read_b32 v69, v19 offset:32
	v_and_b32_e32 v19, 1, v18
	v_add_co_u32_e32 v20, vcc, -1, v19
	v_addc_co_u32_e64 v21, s[4:5], 0, -1, vcc
	v_cmp_ne_u32_e32 vcc, 0, v19
	v_lshlrev_b32_e32 v63, 30, v18
	v_xor_b32_e32 v19, vcc_hi, v21
	v_not_b32_e32 v21, v63
	v_xor_b32_e32 v20, vcc_lo, v20
	v_cmp_gt_i64_e32 vcc, 0, v[62:63]
	v_ashrrev_i32_e32 v21, 31, v21
	v_and_b32_e32 v19, exec_hi, v19
	v_xor_b32_e32 v63, vcc_hi, v21
	v_and_b32_e32 v20, exec_lo, v20
	v_xor_b32_e32 v21, vcc_lo, v21
	v_and_b32_e32 v19, v19, v63
	v_lshlrev_b32_e32 v63, 29, v18
	v_and_b32_e32 v20, v20, v21
	v_not_b32_e32 v21, v63
	v_cmp_gt_i64_e32 vcc, 0, v[62:63]
	v_ashrrev_i32_e32 v21, 31, v21
	v_xor_b32_e32 v63, vcc_hi, v21
	v_xor_b32_e32 v21, vcc_lo, v21
	v_and_b32_e32 v19, v19, v63
	v_lshlrev_b32_e32 v63, 28, v18
	v_and_b32_e32 v20, v20, v21
	v_not_b32_e32 v21, v63
	v_cmp_gt_i64_e32 vcc, 0, v[62:63]
	v_ashrrev_i32_e32 v21, 31, v21
	v_xor_b32_e32 v63, vcc_hi, v21
	;; [unrolled: 8-line block ×5, first 2 shown]
	v_and_b32_e32 v19, v19, v63
	v_lshlrev_b32_e32 v63, 24, v18
	v_not_b32_e32 v18, v63
	v_xor_b32_e32 v21, vcc_lo, v21
	v_cmp_gt_i64_e32 vcc, 0, v[62:63]
	v_ashrrev_i32_e32 v18, 31, v18
	v_and_b32_e32 v20, v20, v21
	v_xor_b32_e32 v21, vcc_hi, v18
	v_xor_b32_e32 v18, vcc_lo, v18
	v_and_b32_e32 v18, v20, v18
	v_and_b32_e32 v19, v19, v21
	v_mbcnt_lo_u32_b32 v20, v18, 0
	v_mbcnt_hi_u32_b32 v71, v19, v20
	v_cmp_eq_u32_e32 vcc, 0, v71
	v_cmp_ne_u64_e64 s[4:5], 0, v[18:19]
	s_and_b64 s[60:61], s[4:5], vcc
	; wave barrier
	s_and_saveexec_b64 s[4:5], s[60:61]
	s_cbranch_execz .LBB210_49
; %bb.48:                               ;   in Loop: Header=BB210_35 Depth=1
	v_bcnt_u32_b32 v18, v18, 0
	v_bcnt_u32_b32 v18, v19, v18
	s_waitcnt lgkmcnt(0)
	v_add_u32_e32 v18, v69, v18
	ds_write_b32 v70, v18
.LBB210_49:                             ;   in Loop: Header=BB210_35 Depth=1
	s_or_b64 exec, exec, s[4:5]
	v_cmp_ne_u32_e32 vcc, s58, v102
	v_cndmask_b32_e32 v18, v94, v102, vcc
	v_lshrrev_b32_e32 v18, s56, v18
	v_and_b32_e32 v18, s59, v18
	v_lshlrev_b32_e32 v19, 3, v18
	v_add_lshl_u32 v19, v19, v96, 2
	; wave barrier
	v_add_u32_e32 v111, 32, v19
	ds_read_b32 v110, v19 offset:32
	v_and_b32_e32 v19, 1, v18
	v_add_co_u32_e32 v20, vcc, -1, v19
	v_addc_co_u32_e64 v21, s[4:5], 0, -1, vcc
	v_cmp_ne_u32_e32 vcc, 0, v19
	v_lshlrev_b32_e32 v63, 30, v18
	v_xor_b32_e32 v19, vcc_hi, v21
	v_not_b32_e32 v21, v63
	v_xor_b32_e32 v20, vcc_lo, v20
	v_cmp_gt_i64_e32 vcc, 0, v[62:63]
	v_ashrrev_i32_e32 v21, 31, v21
	v_and_b32_e32 v19, exec_hi, v19
	v_xor_b32_e32 v63, vcc_hi, v21
	v_and_b32_e32 v20, exec_lo, v20
	v_xor_b32_e32 v21, vcc_lo, v21
	v_and_b32_e32 v19, v19, v63
	v_lshlrev_b32_e32 v63, 29, v18
	v_and_b32_e32 v20, v20, v21
	v_not_b32_e32 v21, v63
	v_cmp_gt_i64_e32 vcc, 0, v[62:63]
	v_ashrrev_i32_e32 v21, 31, v21
	v_xor_b32_e32 v63, vcc_hi, v21
	v_xor_b32_e32 v21, vcc_lo, v21
	v_and_b32_e32 v19, v19, v63
	v_lshlrev_b32_e32 v63, 28, v18
	v_and_b32_e32 v20, v20, v21
	v_not_b32_e32 v21, v63
	v_cmp_gt_i64_e32 vcc, 0, v[62:63]
	v_ashrrev_i32_e32 v21, 31, v21
	v_xor_b32_e32 v63, vcc_hi, v21
	;; [unrolled: 8-line block ×5, first 2 shown]
	v_and_b32_e32 v19, v19, v63
	v_lshlrev_b32_e32 v63, 24, v18
	v_not_b32_e32 v18, v63
	v_xor_b32_e32 v21, vcc_lo, v21
	v_cmp_gt_i64_e32 vcc, 0, v[62:63]
	v_ashrrev_i32_e32 v18, 31, v18
	v_and_b32_e32 v20, v20, v21
	v_xor_b32_e32 v21, vcc_hi, v18
	v_xor_b32_e32 v18, vcc_lo, v18
	v_and_b32_e32 v18, v20, v18
	v_and_b32_e32 v19, v19, v21
	v_mbcnt_lo_u32_b32 v20, v18, 0
	v_mbcnt_hi_u32_b32 v117, v19, v20
	v_cmp_eq_u32_e32 vcc, 0, v117
	v_cmp_ne_u64_e64 s[4:5], 0, v[18:19]
	s_and_b64 s[60:61], s[4:5], vcc
	; wave barrier
	s_and_saveexec_b64 s[4:5], s[60:61]
	s_cbranch_execz .LBB210_51
; %bb.50:                               ;   in Loop: Header=BB210_35 Depth=1
	v_bcnt_u32_b32 v18, v18, 0
	v_bcnt_u32_b32 v18, v19, v18
	s_waitcnt lgkmcnt(0)
	v_add_u32_e32 v18, v110, v18
	ds_write_b32 v111, v18
.LBB210_51:                             ;   in Loop: Header=BB210_35 Depth=1
	s_or_b64 exec, exec, s[4:5]
	; wave barrier
	s_waitcnt lgkmcnt(0)
	s_barrier
	ds_read2_b32 v[20:21], v89 offset0:8 offset1:9
	ds_read2_b32 v[18:19], v95 offset0:2 offset1:3
	s_waitcnt lgkmcnt(1)
	v_add_u32_e32 v63, v21, v20
	s_waitcnt lgkmcnt(0)
	v_add3_u32 v19, v63, v18, v19
	s_nop 1
	v_mov_b32_dpp v63, v19 row_shr:1 row_mask:0xf bank_mask:0xf
	v_cndmask_b32_e64 v63, v63, 0, s[22:23]
	v_add_u32_e32 v19, v63, v19
	s_nop 1
	v_mov_b32_dpp v63, v19 row_shr:2 row_mask:0xf bank_mask:0xf
	v_cndmask_b32_e64 v63, 0, v63, s[24:25]
	v_add_u32_e32 v19, v19, v63
	;; [unrolled: 4-line block ×4, first 2 shown]
	s_nop 1
	v_mov_b32_dpp v63, v19 row_bcast:15 row_mask:0xf bank_mask:0xf
	v_cndmask_b32_e64 v63, v63, 0, s[30:31]
	v_add_u32_e32 v19, v19, v63
	s_nop 1
	v_mov_b32_dpp v63, v19 row_bcast:31 row_mask:0xf bank_mask:0xf
	v_cndmask_b32_e64 v63, 0, v63, s[34:35]
	v_add_u32_e32 v19, v19, v63
	s_and_saveexec_b64 s[4:5], s[36:37]
	s_cbranch_execz .LBB210_53
; %bb.52:                               ;   in Loop: Header=BB210_35 Depth=1
	ds_write_b32 v98, v19
.LBB210_53:                             ;   in Loop: Header=BB210_35 Depth=1
	s_or_b64 exec, exec, s[4:5]
	s_waitcnt lgkmcnt(0)
	s_barrier
	s_and_saveexec_b64 s[4:5], s[16:17]
	s_cbranch_execz .LBB210_55
; %bb.54:                               ;   in Loop: Header=BB210_35 Depth=1
	ds_read_b32 v63, v88
	s_waitcnt lgkmcnt(0)
	s_nop 0
	v_mov_b32_dpp v112, v63 row_shr:1 row_mask:0xf bank_mask:0xf
	v_cndmask_b32_e64 v112, v112, 0, s[40:41]
	v_add_u32_e32 v63, v112, v63
	s_nop 1
	v_mov_b32_dpp v112, v63 row_shr:2 row_mask:0xf bank_mask:0xf
	v_cndmask_b32_e64 v112, 0, v112, s[42:43]
	v_add_u32_e32 v63, v63, v112
	;; [unrolled: 4-line block ×3, first 2 shown]
	ds_write_b32 v88, v63
.LBB210_55:                             ;   in Loop: Header=BB210_35 Depth=1
	s_or_b64 exec, exec, s[4:5]
	v_mov_b32_e32 v63, 0
	s_waitcnt lgkmcnt(0)
	s_barrier
	s_and_saveexec_b64 s[4:5], s[18:19]
	s_cbranch_execz .LBB210_57
; %bb.56:                               ;   in Loop: Header=BB210_35 Depth=1
	ds_read_b32 v63, v99
.LBB210_57:                             ;   in Loop: Header=BB210_35 Depth=1
	s_or_b64 exec, exec, s[4:5]
	s_waitcnt lgkmcnt(0)
	v_add_u32_e32 v19, v63, v19
	ds_bpermute_b32 v19, v97, v19
	s_cmp_gt_u32 s56, 23
	s_waitcnt lgkmcnt(0)
	v_cndmask_b32_e64 v19, v19, v63, s[38:39]
	v_cndmask_b32_e64 v19, v19, 0, s[20:21]
	v_add_u32_e32 v20, v19, v20
	v_add_u32_e32 v21, v20, v21
	v_add_u32_e32 v18, v21, v18
	ds_write2_b32 v89, v19, v20 offset0:8 offset1:9
	ds_write2_b32 v95, v21, v18 offset0:2 offset1:3
	s_waitcnt lgkmcnt(0)
	s_barrier
	ds_read_b32 v18, v22
	ds_read_b32 v19, v25
	;; [unrolled: 1-line block ×8, first 2 shown]
	s_waitcnt lgkmcnt(7)
	v_add_u32_e32 v63, v18, v23
	s_waitcnt lgkmcnt(6)
	v_add3_u32 v111, v26, v24, v19
	s_waitcnt lgkmcnt(5)
	v_add3_u32 v112, v29, v27, v20
	;; [unrolled: 2-line block ×7, first 2 shown]
	s_cbranch_scc0 .LBB210_34
; %bb.58:
                                        ; implicit-def: $vgpr71
                                        ; implicit-def: $vgpr69
                                        ; implicit-def: $vgpr67
                                        ; implicit-def: $vgpr65
                                        ; implicit-def: $vgpr32_vgpr33
                                        ; implicit-def: $vgpr28_vgpr29
                                        ; implicit-def: $vgpr24_vgpr25
                                        ; implicit-def: $vgpr20_vgpr21
                                        ; implicit-def: $sgpr56
                                        ; implicit-def: $sgpr57
.LBB210_59:
	v_lshlrev_b32_e32 v18, 2, v63
	s_barrier
	ds_write_b32 v18, v109
	v_lshlrev_b32_e32 v18, 2, v111
	ds_write_b32 v18, v108
	v_lshlrev_b32_e32 v18, 2, v112
	;; [unrolled: 2-line block ×7, first 2 shown]
	v_lshlrev_b32_e32 v24, 2, v87
	ds_write_b32 v18, v102
	s_waitcnt lgkmcnt(0)
	s_barrier
	ds_read2_b32 v[18:19], v24 offset1:1
	ds_read2_b32 v[20:21], v24 offset0:2 offset1:3
	ds_read2_b32 v[22:23], v24 offset0:4 offset1:5
	;; [unrolled: 1-line block ×3, first 2 shown]
	v_bfrev_b32_e32 v70, 1
	v_lshlrev_b32_e32 v25, 3, v63
	v_lshlrev_b32_e32 v26, 3, v111
	s_waitcnt lgkmcnt(3)
	v_cmp_lt_i32_e32 vcc, -1, v19
	v_cndmask_b32_e64 v24, v70, -1, vcc
	v_cmp_lt_i32_e32 vcc, -1, v18
	v_cndmask_b32_e64 v62, v70, -1, vcc
	s_waitcnt lgkmcnt(2)
	v_cmp_lt_i32_e32 vcc, -1, v21
	v_xor_b32_e32 v62, v62, v18
	v_cndmask_b32_e64 v18, v70, -1, vcc
	v_cmp_lt_i32_e32 vcc, -1, v20
	v_xor_b32_e32 v63, v24, v19
	v_cndmask_b32_e64 v19, v70, -1, vcc
	s_waitcnt lgkmcnt(1)
	v_cmp_lt_i32_e32 vcc, -1, v23
	v_xor_b32_e32 v65, v18, v21
	v_cndmask_b32_e64 v18, v70, -1, vcc
	v_cmp_lt_i32_e32 vcc, -1, v22
	v_lshlrev_b32_e32 v27, 3, v112
	v_lshlrev_b32_e32 v28, 3, v113
	;; [unrolled: 1-line block ×7, first 2 shown]
	v_xor_b32_e32 v64, v19, v20
	v_cndmask_b32_e64 v19, v70, -1, vcc
	v_xor_b32_e32 v66, v19, v22
	v_xor_b32_e32 v67, v18, v23
	s_waitcnt lgkmcnt(0)
	s_barrier
	ds_write_b64 v25, v[60:61]
	ds_write_b64 v26, v[58:59]
	;; [unrolled: 1-line block ×8, first 2 shown]
	s_waitcnt lgkmcnt(0)
	s_barrier
	ds_read2_b64 v[18:21], v33 offset1:1
	ds_read2_b64 v[22:25], v33 offset0:2 offset1:3
	ds_read2_b64 v[26:29], v33 offset0:4 offset1:5
	;; [unrolled: 1-line block ×3, first 2 shown]
	v_cmp_lt_i32_e32 vcc, -1, v69
	v_cndmask_b32_e64 v1, v70, -1, vcc
	v_cmp_lt_i32_e32 vcc, -1, v68
	v_cndmask_b32_e64 v0, v70, -1, vcc
	v_xor_b32_e32 v0, v0, v68
	v_xor_b32_e32 v1, v1, v69
	s_branch .LBB210_95
.LBB210_60:
	v_mov_b32_e32 v37, 0
	v_lshlrev_b64 v[2:3], 3, v[36:37]
	v_mov_b32_e32 v4, s51
	v_add_co_u32_e32 v2, vcc, s49, v2
	v_addc_co_u32_e32 v3, vcc, v4, v3, vcc
	global_load_dwordx2 v[2:3], v[2:3], off
	v_mov_b32_e32 v4, v37
	v_mov_b32_e32 v5, v37
	;; [unrolled: 1-line block ×14, first 2 shown]
	s_or_b64 exec, exec, s[4:5]
	s_and_saveexec_b64 s[4:5], s[2:3]
	s_cbranch_execz .LBB210_25
.LBB210_61:
	v_mul_lo_u32 v4, v30, s52
	v_mov_b32_e32 v5, 0
	v_lshlrev_b64 v[4:5], 3, v[4:5]
	v_mov_b32_e32 v30, s51
	v_add_co_u32_e32 v4, vcc, s49, v4
	v_addc_co_u32_e32 v5, vcc, v30, v5, vcc
	global_load_dwordx2 v[4:5], v[4:5], off
	s_or_b64 exec, exec, s[4:5]
	s_and_saveexec_b64 s[4:5], s[46:47]
	s_cbranch_execz .LBB210_26
.LBB210_62:
	v_mul_lo_u32 v6, v28, s52
	v_mov_b32_e32 v7, 0
	v_lshlrev_b64 v[6:7], 3, v[6:7]
	v_mov_b32_e32 v28, s51
	v_add_co_u32_e32 v6, vcc, s49, v6
	v_addc_co_u32_e32 v7, vcc, v28, v7, vcc
	global_load_dwordx2 v[6:7], v[6:7], off
	s_or_b64 exec, exec, s[4:5]
	s_and_saveexec_b64 s[4:5], s[6:7]
	s_cbranch_execz .LBB210_27
.LBB210_63:
	v_mul_lo_u32 v8, v26, s52
	v_mov_b32_e32 v9, 0
	v_lshlrev_b64 v[8:9], 3, v[8:9]
	v_mov_b32_e32 v26, s51
	v_add_co_u32_e32 v8, vcc, s49, v8
	v_addc_co_u32_e32 v9, vcc, v26, v9, vcc
	global_load_dwordx2 v[8:9], v[8:9], off
	s_or_b64 exec, exec, s[4:5]
	s_and_saveexec_b64 s[4:5], s[8:9]
	s_cbranch_execz .LBB210_28
.LBB210_64:
	v_mul_lo_u32 v10, v24, s52
	v_mov_b32_e32 v11, 0
	v_lshlrev_b64 v[10:11], 3, v[10:11]
	v_mov_b32_e32 v24, s51
	v_add_co_u32_e32 v10, vcc, s49, v10
	v_addc_co_u32_e32 v11, vcc, v24, v11, vcc
	global_load_dwordx2 v[10:11], v[10:11], off
	s_or_b64 exec, exec, s[4:5]
	s_and_saveexec_b64 s[4:5], s[10:11]
	s_cbranch_execz .LBB210_29
.LBB210_65:
	v_mul_lo_u32 v12, v21, s52
	v_mov_b32_e32 v13, 0
	v_lshlrev_b64 v[12:13], 3, v[12:13]
	v_mov_b32_e32 v21, s51
	v_add_co_u32_e32 v12, vcc, s49, v12
	v_addc_co_u32_e32 v13, vcc, v21, v13, vcc
	global_load_dwordx2 v[12:13], v[12:13], off
	s_or_b64 exec, exec, s[4:5]
	s_and_saveexec_b64 s[4:5], s[12:13]
	s_cbranch_execz .LBB210_30
.LBB210_66:
	v_mul_lo_u32 v14, v19, s52
	v_mov_b32_e32 v15, 0
	v_lshlrev_b64 v[14:15], 3, v[14:15]
	v_mov_b32_e32 v19, s51
	v_add_co_u32_e32 v14, vcc, s49, v14
	v_addc_co_u32_e32 v15, vcc, v19, v15, vcc
	global_load_dwordx2 v[14:15], v[14:15], off
	s_or_b64 exec, exec, s[4:5]
	s_xor_b64 s[4:5], s[34:35], -1
	s_and_saveexec_b64 s[16:17], s[14:15]
	s_cbranch_execnz .LBB210_31
	s_branch .LBB210_32
.LBB210_67:
                                        ; implicit-def: $vgpr1
                                        ; implicit-def: $vgpr0
                                        ; implicit-def: $vgpr67
                                        ; implicit-def: $vgpr66
                                        ; implicit-def: $vgpr65
                                        ; implicit-def: $vgpr64
                                        ; implicit-def: $vgpr63
                                        ; implicit-def: $vgpr62
                                        ; implicit-def: $vgpr32_vgpr33
                                        ; implicit-def: $vgpr28_vgpr29
                                        ; implicit-def: $vgpr24_vgpr25
                                        ; implicit-def: $vgpr20_vgpr21
	s_cbranch_execz .LBB210_95
; %bb.68:
	v_bfrev_b32_e32 v48, -2
	v_cmp_gt_i32_e32 vcc, 0, v46
	s_waitcnt lgkmcnt(3)
	v_mbcnt_hi_u32_b32 v18, -1, v93
	v_and_b32_e32 v19, 0x3c0, v38
	v_cndmask_b32_e64 v20, v48, 0, vcc
	v_cmp_gt_i32_e32 vcc, 0, v47
	v_add_u32_e32 v0, v18, v19
	v_cndmask_b32_e64 v21, v48, 0, vcc
	v_lshlrev_b32_e32 v1, 5, v0
	v_xor_b32_e32 v21, v21, v47
	v_xor_b32_e32 v20, v20, v46
	v_cmp_gt_i32_e32 vcc, 0, v44
	ds_write2_b32 v1, v20, v21 offset1:1
	v_cndmask_b32_e64 v20, v48, 0, vcc
	v_cmp_gt_i32_e32 vcc, 0, v45
	v_cndmask_b32_e64 v21, v48, 0, vcc
	v_xor_b32_e32 v21, v21, v45
	v_xor_b32_e32 v20, v20, v44
	v_cmp_gt_i32_e32 vcc, 0, v42
	ds_write2_b32 v1, v20, v21 offset0:2 offset1:3
	v_cndmask_b32_e64 v20, v48, 0, vcc
	v_cmp_gt_i32_e32 vcc, 0, v43
	v_cndmask_b32_e64 v21, v48, 0, vcc
	v_xor_b32_e32 v21, v21, v43
	v_xor_b32_e32 v20, v20, v42
	v_cmp_gt_i32_e32 vcc, 0, v40
	ds_write2_b32 v1, v20, v21 offset0:4 offset1:5
	v_cndmask_b32_e64 v20, v48, 0, vcc
	v_cmp_gt_i32_e32 vcc, 0, v41
	v_cndmask_b32_e64 v21, v48, 0, vcc
	v_xor_b32_e32 v21, v21, v41
	v_xor_b32_e32 v20, v20, v40
	ds_write2_b32 v1, v20, v21 offset0:6 offset1:7
	v_and_b32_e32 v20, 0x1e00, v87
	v_or_b32_e32 v1, v18, v20
	v_lshlrev_b32_e32 v21, 2, v1
	v_lshlrev_b32_e32 v0, 6, v0
	; wave barrier
	ds_read2st64_b32 v[40:41], v21 offset1:1
	ds_read2st64_b32 v[42:43], v21 offset0:2 offset1:3
	ds_read2st64_b32 v[44:45], v21 offset0:4 offset1:5
	;; [unrolled: 1-line block ×3, first 2 shown]
	s_waitcnt lgkmcnt(0)
	s_barrier
	ds_write2_b64 v0, v[14:15], v[16:17] offset1:1
	ds_write2_b64 v0, v[10:11], v[12:13] offset0:2 offset1:3
	ds_write2_b64 v0, v[6:7], v[8:9] offset0:4 offset1:5
	;; [unrolled: 1-line block ×3, first 2 shown]
	v_lshlrev_b32_e32 v12, 3, v1
	; wave barrier
	ds_read2st64_b64 v[0:3], v12 offset1:1
	ds_read2st64_b64 v[4:7], v12 offset0:2 offset1:3
	ds_read2st64_b64 v[8:11], v12 offset0:4 offset1:5
	;; [unrolled: 1-line block ×3, first 2 shown]
	s_waitcnt lgkmcnt(0)
	s_barrier
	s_load_dword s16, s[54:55], 0xc
	s_getpc_b64 s[4:5]
	s_add_u32 s4, s4, _ZN7rocprim17ROCPRIM_400000_NS16block_radix_sortIfLj512ELj8ElLj1ELj1ELj0ELNS0_26block_radix_rank_algorithmE1ELNS0_18block_padding_hintE2ELNS0_4arch9wavefront6targetE1EE19radix_bits_per_passE@rel32@lo+4
	s_addc_u32 s5, s5, _ZN7rocprim17ROCPRIM_400000_NS16block_radix_sortIfLj512ELj8ElLj1ELj1ELj0ELNS0_26block_radix_rank_algorithmE1ELNS0_18block_padding_hintE2ELNS0_4arch9wavefront6targetE1EE19radix_bits_per_passE@rel32@hi+12
	s_load_dword s53, s[4:5], 0x0
	v_cmp_gt_u32_e64 s[30:31], 8, v38
	v_cmp_lt_u32_e64 s[34:35], 63, v38
	s_waitcnt lgkmcnt(0)
	s_lshr_b32 s4, s16, 16
	s_and_b32 s5, s16, 0xffff
	v_mad_u32_u24 v16, v92, s4, v91
	v_mad_u64_u32 v[16:17], s[4:5], v16, s5, v[38:39]
	v_lshrrev_b32_e32 v50, 6, v16
	v_and_b32_e32 v16, 15, v18
	v_cmp_eq_u32_e64 s[16:17], 0, v16
	v_cmp_lt_u32_e64 s[18:19], 1, v16
	v_cmp_lt_u32_e64 s[20:21], 3, v16
	;; [unrolled: 1-line block ×3, first 2 shown]
	v_and_b32_e32 v16, 16, v18
	v_cmp_eq_u32_e64 s[24:25], 0, v16
	v_min_u32_e32 v16, 0x1c0, v19
	v_or_b32_e32 v16, 63, v16
	v_cmp_eq_u32_e64 s[28:29], v16, v38
	v_add_u32_e32 v16, -1, v18
	v_and_b32_e32 v17, 64, v18
	v_cmp_lt_i32_e32 vcc, v16, v17
	v_cndmask_b32_e32 v16, v16, v18, vcc
	v_lshlrev_b32_e32 v51, 2, v16
	v_and_b32_e32 v16, 7, v18
	v_cmp_eq_u32_e64 s[38:39], 0, v38
	v_and_b32_e32 v38, 60, v90
	v_cmp_eq_u32_e64 s[40:41], 0, v16
	v_cmp_lt_u32_e64 s[42:43], 1, v16
	v_cmp_lt_u32_e64 s[44:45], 3, v16
	v_and_or_b32 v16, v18, 63, v20
	s_mov_b32 s54, 0
	s_mov_b32 s55, 32
	v_add_u32_e32 v49, 32, v89
	v_cmp_lt_u32_e64 s[26:27], 31, v18
	v_cmp_eq_u32_e64 s[36:37], 0, v18
	v_add_u32_e32 v52, -4, v38
	v_lshlrev_b32_e32 v53, 2, v16
	v_lshlrev_b32_e32 v54, 3, v16
	v_mov_b32_e32 v32, 0
	s_brev_b32 s56, 1
	s_branch .LBB210_70
.LBB210_69:                             ;   in Loop: Header=BB210_70 Depth=1
	v_lshlrev_b32_e32 v0, 2, v33
	s_barrier
	ds_write_b32 v0, v62
	v_lshlrev_b32_e32 v0, 2, v64
	ds_write_b32 v0, v61
	v_lshlrev_b32_e32 v0, 2, v65
	;; [unrolled: 2-line block ×8, first 2 shown]
	s_waitcnt lgkmcnt(0)
	s_barrier
	ds_read2st64_b32 v[40:41], v53 offset1:1
	ds_read2st64_b32 v[42:43], v53 offset0:2 offset1:3
	ds_read2st64_b32 v[44:45], v53 offset0:4 offset1:5
	;; [unrolled: 1-line block ×3, first 2 shown]
	s_waitcnt lgkmcnt(0)
	s_barrier
	ds_write_b64 v0, v[30:31]
	v_lshlrev_b32_e32 v0, 3, v64
	ds_write_b64 v0, v[28:29]
	v_lshlrev_b32_e32 v0, 3, v65
	;; [unrolled: 2-line block ×7, first 2 shown]
	ds_write_b64 v0, v[16:17]
	s_waitcnt lgkmcnt(0)
	s_barrier
	ds_read2st64_b64 v[0:3], v54 offset1:1
	ds_read2st64_b64 v[4:7], v54 offset0:2 offset1:3
	ds_read2st64_b64 v[8:11], v54 offset0:4 offset1:5
	;; [unrolled: 1-line block ×3, first 2 shown]
	s_add_i32 s54, s54, 8
	s_add_i32 s55, s55, -8
	s_waitcnt lgkmcnt(0)
	s_barrier
	s_cbranch_execz .LBB210_94
.LBB210_70:                             ; =>This Inner Loop Header: Depth=1
	v_mov_b32_e32 v62, v40
	s_min_u32 s4, s53, s55
	v_cmp_ne_u32_e32 vcc, s56, v62
	v_pk_mov_b32 v[30:31], v[0:1], v[0:1] op_sel:[0,1]
	s_lshl_b32 s4, -1, s4
	v_cndmask_b32_e32 v0, v48, v62, vcc
	s_not_b32 s57, s4
	v_lshrrev_b32_e32 v0, s54, v0
	v_and_b32_e32 v0, s57, v0
	v_lshl_add_u32 v1, v0, 3, v50
	v_pk_mov_b32 v[26:27], v[4:5], v[4:5] op_sel:[0,1]
	v_lshl_add_u32 v4, v1, 2, 32
	v_and_b32_e32 v1, 1, v0
	v_pk_mov_b32 v[28:29], v[2:3], v[2:3] op_sel:[0,1]
	v_add_co_u32_e32 v2, vcc, -1, v1
	v_addc_co_u32_e64 v3, s[4:5], 0, -1, vcc
	v_cmp_ne_u32_e32 vcc, 0, v1
	v_lshlrev_b32_e32 v33, 30, v0
	v_xor_b32_e32 v1, vcc_hi, v3
	v_not_b32_e32 v3, v33
	v_xor_b32_e32 v2, vcc_lo, v2
	v_cmp_gt_i64_e32 vcc, 0, v[32:33]
	v_ashrrev_i32_e32 v3, 31, v3
	v_and_b32_e32 v2, exec_lo, v2
	v_xor_b32_e32 v5, vcc_hi, v3
	v_xor_b32_e32 v3, vcc_lo, v3
	v_lshlrev_b32_e32 v33, 29, v0
	v_and_b32_e32 v2, v2, v3
	v_not_b32_e32 v3, v33
	v_and_b32_e32 v1, exec_hi, v1
	v_cmp_gt_i64_e32 vcc, 0, v[32:33]
	v_ashrrev_i32_e32 v3, 31, v3
	v_and_b32_e32 v1, v1, v5
	v_xor_b32_e32 v5, vcc_hi, v3
	v_xor_b32_e32 v3, vcc_lo, v3
	v_lshlrev_b32_e32 v33, 28, v0
	v_and_b32_e32 v2, v2, v3
	v_not_b32_e32 v3, v33
	v_cmp_gt_i64_e32 vcc, 0, v[32:33]
	v_ashrrev_i32_e32 v3, 31, v3
	v_and_b32_e32 v1, v1, v5
	v_xor_b32_e32 v5, vcc_hi, v3
	v_xor_b32_e32 v3, vcc_lo, v3
	v_lshlrev_b32_e32 v33, 27, v0
	v_and_b32_e32 v2, v2, v3
	v_not_b32_e32 v3, v33
	;; [unrolled: 8-line block ×3, first 2 shown]
	v_cmp_gt_i64_e32 vcc, 0, v[32:33]
	v_ashrrev_i32_e32 v3, 31, v3
	v_and_b32_e32 v1, v1, v5
	v_xor_b32_e32 v5, vcc_hi, v3
	v_xor_b32_e32 v3, vcc_lo, v3
	v_lshlrev_b32_e32 v33, 25, v0
	v_and_b32_e32 v2, v2, v3
	v_cmp_gt_i64_e32 vcc, 0, v[32:33]
	v_not_b32_e32 v3, v33
	v_lshlrev_b32_e32 v33, 24, v0
	v_ashrrev_i32_e32 v3, 31, v3
	v_not_b32_e32 v0, v33
	v_and_b32_e32 v1, v1, v5
	v_xor_b32_e32 v5, vcc_hi, v3
	v_xor_b32_e32 v3, vcc_lo, v3
	v_cmp_gt_i64_e32 vcc, 0, v[32:33]
	v_ashrrev_i32_e32 v0, 31, v0
	v_and_b32_e32 v2, v2, v3
	v_xor_b32_e32 v3, vcc_hi, v0
	v_xor_b32_e32 v0, vcc_lo, v0
	v_and_b32_e32 v1, v1, v5
	v_and_b32_e32 v0, v2, v0
	;; [unrolled: 1-line block ×3, first 2 shown]
	v_mbcnt_lo_u32_b32 v2, v0, 0
	v_mbcnt_hi_u32_b32 v5, v1, v2
	v_cmp_eq_u32_e32 vcc, 0, v5
	v_cmp_ne_u64_e64 s[4:5], 0, v[0:1]
	v_mov_b32_e32 v55, v47
	v_mov_b32_e32 v56, v46
	;; [unrolled: 1-line block ×7, first 2 shown]
	v_pk_mov_b32 v[16:17], v[14:15], v[14:15] op_sel:[0,1]
	v_pk_mov_b32 v[18:19], v[12:13], v[12:13] op_sel:[0,1]
	;; [unrolled: 1-line block ×5, first 2 shown]
	s_and_b64 s[58:59], s[4:5], vcc
	ds_write2_b32 v89, v32, v32 offset0:8 offset1:9
	ds_write2_b32 v49, v32, v32 offset0:2 offset1:3
	s_waitcnt lgkmcnt(0)
	s_barrier
	s_waitcnt lgkmcnt(0)
	; wave barrier
	s_and_saveexec_b64 s[4:5], s[58:59]
	s_cbranch_execz .LBB210_72
; %bb.71:                               ;   in Loop: Header=BB210_70 Depth=1
	v_bcnt_u32_b32 v0, v0, 0
	v_bcnt_u32_b32 v0, v1, v0
	ds_write_b32 v4, v0
.LBB210_72:                             ;   in Loop: Header=BB210_70 Depth=1
	s_or_b64 exec, exec, s[4:5]
	v_cmp_ne_u32_e32 vcc, s56, v61
	v_cndmask_b32_e32 v0, v48, v61, vcc
	v_lshrrev_b32_e32 v0, s54, v0
	v_and_b32_e32 v0, s57, v0
	v_lshlrev_b32_e32 v1, 3, v0
	v_add_lshl_u32 v1, v1, v50, 2
	; wave barrier
	v_add_u32_e32 v7, 32, v1
	ds_read_b32 v6, v1 offset:32
	v_and_b32_e32 v1, 1, v0
	v_add_co_u32_e32 v2, vcc, -1, v1
	v_addc_co_u32_e64 v3, s[4:5], 0, -1, vcc
	v_cmp_ne_u32_e32 vcc, 0, v1
	v_lshlrev_b32_e32 v33, 30, v0
	v_xor_b32_e32 v1, vcc_hi, v3
	v_not_b32_e32 v3, v33
	v_xor_b32_e32 v2, vcc_lo, v2
	v_cmp_gt_i64_e32 vcc, 0, v[32:33]
	v_ashrrev_i32_e32 v3, 31, v3
	v_and_b32_e32 v2, exec_lo, v2
	v_xor_b32_e32 v8, vcc_hi, v3
	v_xor_b32_e32 v3, vcc_lo, v3
	v_lshlrev_b32_e32 v33, 29, v0
	v_and_b32_e32 v2, v2, v3
	v_not_b32_e32 v3, v33
	v_and_b32_e32 v1, exec_hi, v1
	v_cmp_gt_i64_e32 vcc, 0, v[32:33]
	v_ashrrev_i32_e32 v3, 31, v3
	v_and_b32_e32 v1, v1, v8
	v_xor_b32_e32 v8, vcc_hi, v3
	v_xor_b32_e32 v3, vcc_lo, v3
	v_lshlrev_b32_e32 v33, 28, v0
	v_and_b32_e32 v2, v2, v3
	v_not_b32_e32 v3, v33
	v_cmp_gt_i64_e32 vcc, 0, v[32:33]
	v_ashrrev_i32_e32 v3, 31, v3
	v_and_b32_e32 v1, v1, v8
	v_xor_b32_e32 v8, vcc_hi, v3
	v_xor_b32_e32 v3, vcc_lo, v3
	v_lshlrev_b32_e32 v33, 27, v0
	v_and_b32_e32 v2, v2, v3
	v_not_b32_e32 v3, v33
	v_cmp_gt_i64_e32 vcc, 0, v[32:33]
	v_ashrrev_i32_e32 v3, 31, v3
	v_and_b32_e32 v1, v1, v8
	v_xor_b32_e32 v8, vcc_hi, v3
	v_xor_b32_e32 v3, vcc_lo, v3
	v_lshlrev_b32_e32 v33, 26, v0
	v_and_b32_e32 v2, v2, v3
	v_not_b32_e32 v3, v33
	v_cmp_gt_i64_e32 vcc, 0, v[32:33]
	v_ashrrev_i32_e32 v3, 31, v3
	v_and_b32_e32 v1, v1, v8
	v_xor_b32_e32 v8, vcc_hi, v3
	v_xor_b32_e32 v3, vcc_lo, v3
	v_lshlrev_b32_e32 v33, 25, v0
	v_and_b32_e32 v2, v2, v3
	v_cmp_gt_i64_e32 vcc, 0, v[32:33]
	v_not_b32_e32 v3, v33
	v_lshlrev_b32_e32 v33, 24, v0
	v_ashrrev_i32_e32 v3, 31, v3
	v_not_b32_e32 v0, v33
	v_and_b32_e32 v1, v1, v8
	v_xor_b32_e32 v8, vcc_hi, v3
	v_xor_b32_e32 v3, vcc_lo, v3
	v_cmp_gt_i64_e32 vcc, 0, v[32:33]
	v_ashrrev_i32_e32 v0, 31, v0
	v_and_b32_e32 v2, v2, v3
	v_xor_b32_e32 v3, vcc_hi, v0
	v_xor_b32_e32 v0, vcc_lo, v0
	v_and_b32_e32 v1, v1, v8
	v_and_b32_e32 v0, v2, v0
	;; [unrolled: 1-line block ×3, first 2 shown]
	v_mbcnt_lo_u32_b32 v2, v0, 0
	v_mbcnt_hi_u32_b32 v8, v1, v2
	v_cmp_eq_u32_e32 vcc, 0, v8
	v_cmp_ne_u64_e64 s[4:5], 0, v[0:1]
	s_and_b64 s[58:59], s[4:5], vcc
	; wave barrier
	s_and_saveexec_b64 s[4:5], s[58:59]
	s_cbranch_execz .LBB210_74
; %bb.73:                               ;   in Loop: Header=BB210_70 Depth=1
	v_bcnt_u32_b32 v0, v0, 0
	v_bcnt_u32_b32 v0, v1, v0
	s_waitcnt lgkmcnt(0)
	v_add_u32_e32 v0, v6, v0
	ds_write_b32 v7, v0
.LBB210_74:                             ;   in Loop: Header=BB210_70 Depth=1
	s_or_b64 exec, exec, s[4:5]
	v_cmp_ne_u32_e32 vcc, s56, v60
	v_cndmask_b32_e32 v0, v48, v60, vcc
	v_lshrrev_b32_e32 v0, s54, v0
	v_and_b32_e32 v0, s57, v0
	v_lshlrev_b32_e32 v1, 3, v0
	v_add_lshl_u32 v1, v1, v50, 2
	; wave barrier
	v_add_u32_e32 v10, 32, v1
	ds_read_b32 v9, v1 offset:32
	v_and_b32_e32 v1, 1, v0
	v_add_co_u32_e32 v2, vcc, -1, v1
	v_addc_co_u32_e64 v3, s[4:5], 0, -1, vcc
	v_cmp_ne_u32_e32 vcc, 0, v1
	v_lshlrev_b32_e32 v33, 30, v0
	v_xor_b32_e32 v1, vcc_hi, v3
	v_not_b32_e32 v3, v33
	v_xor_b32_e32 v2, vcc_lo, v2
	v_cmp_gt_i64_e32 vcc, 0, v[32:33]
	v_ashrrev_i32_e32 v3, 31, v3
	v_and_b32_e32 v2, exec_lo, v2
	v_xor_b32_e32 v11, vcc_hi, v3
	v_xor_b32_e32 v3, vcc_lo, v3
	v_lshlrev_b32_e32 v33, 29, v0
	v_and_b32_e32 v2, v2, v3
	v_not_b32_e32 v3, v33
	v_and_b32_e32 v1, exec_hi, v1
	v_cmp_gt_i64_e32 vcc, 0, v[32:33]
	v_ashrrev_i32_e32 v3, 31, v3
	v_and_b32_e32 v1, v1, v11
	v_xor_b32_e32 v11, vcc_hi, v3
	v_xor_b32_e32 v3, vcc_lo, v3
	v_lshlrev_b32_e32 v33, 28, v0
	v_and_b32_e32 v2, v2, v3
	v_not_b32_e32 v3, v33
	v_cmp_gt_i64_e32 vcc, 0, v[32:33]
	v_ashrrev_i32_e32 v3, 31, v3
	v_and_b32_e32 v1, v1, v11
	v_xor_b32_e32 v11, vcc_hi, v3
	v_xor_b32_e32 v3, vcc_lo, v3
	v_lshlrev_b32_e32 v33, 27, v0
	v_and_b32_e32 v2, v2, v3
	v_not_b32_e32 v3, v33
	;; [unrolled: 8-line block ×3, first 2 shown]
	v_cmp_gt_i64_e32 vcc, 0, v[32:33]
	v_ashrrev_i32_e32 v3, 31, v3
	v_and_b32_e32 v1, v1, v11
	v_xor_b32_e32 v11, vcc_hi, v3
	v_xor_b32_e32 v3, vcc_lo, v3
	v_lshlrev_b32_e32 v33, 25, v0
	v_and_b32_e32 v2, v2, v3
	v_cmp_gt_i64_e32 vcc, 0, v[32:33]
	v_not_b32_e32 v3, v33
	v_lshlrev_b32_e32 v33, 24, v0
	v_ashrrev_i32_e32 v3, 31, v3
	v_not_b32_e32 v0, v33
	v_and_b32_e32 v1, v1, v11
	v_xor_b32_e32 v11, vcc_hi, v3
	v_xor_b32_e32 v3, vcc_lo, v3
	v_cmp_gt_i64_e32 vcc, 0, v[32:33]
	v_ashrrev_i32_e32 v0, 31, v0
	v_and_b32_e32 v2, v2, v3
	v_xor_b32_e32 v3, vcc_hi, v0
	v_xor_b32_e32 v0, vcc_lo, v0
	v_and_b32_e32 v1, v1, v11
	v_and_b32_e32 v0, v2, v0
	;; [unrolled: 1-line block ×3, first 2 shown]
	v_mbcnt_lo_u32_b32 v2, v0, 0
	v_mbcnt_hi_u32_b32 v11, v1, v2
	v_cmp_eq_u32_e32 vcc, 0, v11
	v_cmp_ne_u64_e64 s[4:5], 0, v[0:1]
	s_and_b64 s[58:59], s[4:5], vcc
	; wave barrier
	s_and_saveexec_b64 s[4:5], s[58:59]
	s_cbranch_execz .LBB210_76
; %bb.75:                               ;   in Loop: Header=BB210_70 Depth=1
	v_bcnt_u32_b32 v0, v0, 0
	v_bcnt_u32_b32 v0, v1, v0
	s_waitcnt lgkmcnt(0)
	v_add_u32_e32 v0, v9, v0
	ds_write_b32 v10, v0
.LBB210_76:                             ;   in Loop: Header=BB210_70 Depth=1
	s_or_b64 exec, exec, s[4:5]
	v_cmp_ne_u32_e32 vcc, s56, v59
	v_cndmask_b32_e32 v0, v48, v59, vcc
	v_lshrrev_b32_e32 v0, s54, v0
	v_and_b32_e32 v0, s57, v0
	v_lshlrev_b32_e32 v1, 3, v0
	v_add_lshl_u32 v1, v1, v50, 2
	; wave barrier
	v_add_u32_e32 v13, 32, v1
	ds_read_b32 v12, v1 offset:32
	v_and_b32_e32 v1, 1, v0
	v_add_co_u32_e32 v2, vcc, -1, v1
	v_addc_co_u32_e64 v3, s[4:5], 0, -1, vcc
	v_cmp_ne_u32_e32 vcc, 0, v1
	v_lshlrev_b32_e32 v33, 30, v0
	v_xor_b32_e32 v1, vcc_hi, v3
	v_not_b32_e32 v3, v33
	v_xor_b32_e32 v2, vcc_lo, v2
	v_cmp_gt_i64_e32 vcc, 0, v[32:33]
	v_ashrrev_i32_e32 v3, 31, v3
	v_and_b32_e32 v2, exec_lo, v2
	v_xor_b32_e32 v14, vcc_hi, v3
	v_xor_b32_e32 v3, vcc_lo, v3
	v_lshlrev_b32_e32 v33, 29, v0
	v_and_b32_e32 v2, v2, v3
	v_not_b32_e32 v3, v33
	v_and_b32_e32 v1, exec_hi, v1
	v_cmp_gt_i64_e32 vcc, 0, v[32:33]
	v_ashrrev_i32_e32 v3, 31, v3
	v_and_b32_e32 v1, v1, v14
	v_xor_b32_e32 v14, vcc_hi, v3
	v_xor_b32_e32 v3, vcc_lo, v3
	v_lshlrev_b32_e32 v33, 28, v0
	v_and_b32_e32 v2, v2, v3
	v_not_b32_e32 v3, v33
	v_cmp_gt_i64_e32 vcc, 0, v[32:33]
	v_ashrrev_i32_e32 v3, 31, v3
	v_and_b32_e32 v1, v1, v14
	v_xor_b32_e32 v14, vcc_hi, v3
	v_xor_b32_e32 v3, vcc_lo, v3
	v_lshlrev_b32_e32 v33, 27, v0
	v_and_b32_e32 v2, v2, v3
	v_not_b32_e32 v3, v33
	;; [unrolled: 8-line block ×3, first 2 shown]
	v_cmp_gt_i64_e32 vcc, 0, v[32:33]
	v_ashrrev_i32_e32 v3, 31, v3
	v_and_b32_e32 v1, v1, v14
	v_xor_b32_e32 v14, vcc_hi, v3
	v_xor_b32_e32 v3, vcc_lo, v3
	v_lshlrev_b32_e32 v33, 25, v0
	v_and_b32_e32 v2, v2, v3
	v_cmp_gt_i64_e32 vcc, 0, v[32:33]
	v_not_b32_e32 v3, v33
	v_lshlrev_b32_e32 v33, 24, v0
	v_ashrrev_i32_e32 v3, 31, v3
	v_not_b32_e32 v0, v33
	v_and_b32_e32 v1, v1, v14
	v_xor_b32_e32 v14, vcc_hi, v3
	v_xor_b32_e32 v3, vcc_lo, v3
	v_cmp_gt_i64_e32 vcc, 0, v[32:33]
	v_ashrrev_i32_e32 v0, 31, v0
	v_and_b32_e32 v2, v2, v3
	v_xor_b32_e32 v3, vcc_hi, v0
	v_xor_b32_e32 v0, vcc_lo, v0
	v_and_b32_e32 v1, v1, v14
	v_and_b32_e32 v0, v2, v0
	;; [unrolled: 1-line block ×3, first 2 shown]
	v_mbcnt_lo_u32_b32 v2, v0, 0
	v_mbcnt_hi_u32_b32 v14, v1, v2
	v_cmp_eq_u32_e32 vcc, 0, v14
	v_cmp_ne_u64_e64 s[4:5], 0, v[0:1]
	s_and_b64 s[58:59], s[4:5], vcc
	; wave barrier
	s_and_saveexec_b64 s[4:5], s[58:59]
	s_cbranch_execz .LBB210_78
; %bb.77:                               ;   in Loop: Header=BB210_70 Depth=1
	v_bcnt_u32_b32 v0, v0, 0
	v_bcnt_u32_b32 v0, v1, v0
	s_waitcnt lgkmcnt(0)
	v_add_u32_e32 v0, v12, v0
	ds_write_b32 v13, v0
.LBB210_78:                             ;   in Loop: Header=BB210_70 Depth=1
	s_or_b64 exec, exec, s[4:5]
	v_cmp_ne_u32_e32 vcc, s56, v58
	v_cndmask_b32_e32 v0, v48, v58, vcc
	v_lshrrev_b32_e32 v0, s54, v0
	v_and_b32_e32 v0, s57, v0
	v_lshlrev_b32_e32 v1, 3, v0
	v_add_lshl_u32 v1, v1, v50, 2
	; wave barrier
	v_add_u32_e32 v40, 32, v1
	ds_read_b32 v15, v1 offset:32
	v_and_b32_e32 v1, 1, v0
	v_add_co_u32_e32 v2, vcc, -1, v1
	v_addc_co_u32_e64 v3, s[4:5], 0, -1, vcc
	v_cmp_ne_u32_e32 vcc, 0, v1
	v_lshlrev_b32_e32 v33, 30, v0
	v_xor_b32_e32 v1, vcc_hi, v3
	v_not_b32_e32 v3, v33
	v_xor_b32_e32 v2, vcc_lo, v2
	v_cmp_gt_i64_e32 vcc, 0, v[32:33]
	v_ashrrev_i32_e32 v3, 31, v3
	v_and_b32_e32 v1, exec_hi, v1
	v_xor_b32_e32 v33, vcc_hi, v3
	v_and_b32_e32 v2, exec_lo, v2
	v_xor_b32_e32 v3, vcc_lo, v3
	v_and_b32_e32 v1, v1, v33
	v_lshlrev_b32_e32 v33, 29, v0
	v_and_b32_e32 v2, v2, v3
	v_not_b32_e32 v3, v33
	v_cmp_gt_i64_e32 vcc, 0, v[32:33]
	v_ashrrev_i32_e32 v3, 31, v3
	v_xor_b32_e32 v33, vcc_hi, v3
	v_xor_b32_e32 v3, vcc_lo, v3
	v_and_b32_e32 v1, v1, v33
	v_lshlrev_b32_e32 v33, 28, v0
	v_and_b32_e32 v2, v2, v3
	v_not_b32_e32 v3, v33
	v_cmp_gt_i64_e32 vcc, 0, v[32:33]
	v_ashrrev_i32_e32 v3, 31, v3
	v_xor_b32_e32 v33, vcc_hi, v3
	;; [unrolled: 8-line block ×5, first 2 shown]
	v_and_b32_e32 v1, v1, v33
	v_lshlrev_b32_e32 v33, 24, v0
	v_not_b32_e32 v0, v33
	v_xor_b32_e32 v3, vcc_lo, v3
	v_cmp_gt_i64_e32 vcc, 0, v[32:33]
	v_ashrrev_i32_e32 v0, 31, v0
	v_and_b32_e32 v2, v2, v3
	v_xor_b32_e32 v3, vcc_hi, v0
	v_xor_b32_e32 v0, vcc_lo, v0
	v_and_b32_e32 v0, v2, v0
	v_and_b32_e32 v1, v1, v3
	v_mbcnt_lo_u32_b32 v2, v0, 0
	v_mbcnt_hi_u32_b32 v41, v1, v2
	v_cmp_eq_u32_e32 vcc, 0, v41
	v_cmp_ne_u64_e64 s[4:5], 0, v[0:1]
	s_and_b64 s[58:59], s[4:5], vcc
	; wave barrier
	s_and_saveexec_b64 s[4:5], s[58:59]
	s_cbranch_execz .LBB210_80
; %bb.79:                               ;   in Loop: Header=BB210_70 Depth=1
	v_bcnt_u32_b32 v0, v0, 0
	v_bcnt_u32_b32 v0, v1, v0
	s_waitcnt lgkmcnt(0)
	v_add_u32_e32 v0, v15, v0
	ds_write_b32 v40, v0
.LBB210_80:                             ;   in Loop: Header=BB210_70 Depth=1
	s_or_b64 exec, exec, s[4:5]
	v_cmp_ne_u32_e32 vcc, s56, v57
	v_cndmask_b32_e32 v0, v48, v57, vcc
	v_lshrrev_b32_e32 v0, s54, v0
	v_and_b32_e32 v0, s57, v0
	v_lshlrev_b32_e32 v1, 3, v0
	v_add_lshl_u32 v1, v1, v50, 2
	; wave barrier
	v_add_u32_e32 v43, 32, v1
	ds_read_b32 v42, v1 offset:32
	v_and_b32_e32 v1, 1, v0
	v_add_co_u32_e32 v2, vcc, -1, v1
	v_addc_co_u32_e64 v3, s[4:5], 0, -1, vcc
	v_cmp_ne_u32_e32 vcc, 0, v1
	v_lshlrev_b32_e32 v33, 30, v0
	v_xor_b32_e32 v1, vcc_hi, v3
	v_not_b32_e32 v3, v33
	v_xor_b32_e32 v2, vcc_lo, v2
	v_cmp_gt_i64_e32 vcc, 0, v[32:33]
	v_ashrrev_i32_e32 v3, 31, v3
	v_and_b32_e32 v1, exec_hi, v1
	v_xor_b32_e32 v33, vcc_hi, v3
	v_and_b32_e32 v2, exec_lo, v2
	v_xor_b32_e32 v3, vcc_lo, v3
	v_and_b32_e32 v1, v1, v33
	v_lshlrev_b32_e32 v33, 29, v0
	v_and_b32_e32 v2, v2, v3
	v_not_b32_e32 v3, v33
	v_cmp_gt_i64_e32 vcc, 0, v[32:33]
	v_ashrrev_i32_e32 v3, 31, v3
	v_xor_b32_e32 v33, vcc_hi, v3
	v_xor_b32_e32 v3, vcc_lo, v3
	v_and_b32_e32 v1, v1, v33
	v_lshlrev_b32_e32 v33, 28, v0
	v_and_b32_e32 v2, v2, v3
	v_not_b32_e32 v3, v33
	v_cmp_gt_i64_e32 vcc, 0, v[32:33]
	v_ashrrev_i32_e32 v3, 31, v3
	v_xor_b32_e32 v33, vcc_hi, v3
	;; [unrolled: 8-line block ×5, first 2 shown]
	v_and_b32_e32 v1, v1, v33
	v_lshlrev_b32_e32 v33, 24, v0
	v_not_b32_e32 v0, v33
	v_xor_b32_e32 v3, vcc_lo, v3
	v_cmp_gt_i64_e32 vcc, 0, v[32:33]
	v_ashrrev_i32_e32 v0, 31, v0
	v_and_b32_e32 v2, v2, v3
	v_xor_b32_e32 v3, vcc_hi, v0
	v_xor_b32_e32 v0, vcc_lo, v0
	v_and_b32_e32 v0, v2, v0
	v_and_b32_e32 v1, v1, v3
	v_mbcnt_lo_u32_b32 v2, v0, 0
	v_mbcnt_hi_u32_b32 v44, v1, v2
	v_cmp_eq_u32_e32 vcc, 0, v44
	v_cmp_ne_u64_e64 s[4:5], 0, v[0:1]
	s_and_b64 s[58:59], s[4:5], vcc
	; wave barrier
	s_and_saveexec_b64 s[4:5], s[58:59]
	s_cbranch_execz .LBB210_82
; %bb.81:                               ;   in Loop: Header=BB210_70 Depth=1
	v_bcnt_u32_b32 v0, v0, 0
	v_bcnt_u32_b32 v0, v1, v0
	s_waitcnt lgkmcnt(0)
	v_add_u32_e32 v0, v42, v0
	ds_write_b32 v43, v0
.LBB210_82:                             ;   in Loop: Header=BB210_70 Depth=1
	s_or_b64 exec, exec, s[4:5]
	v_cmp_ne_u32_e32 vcc, s56, v56
	v_cndmask_b32_e32 v0, v48, v56, vcc
	v_lshrrev_b32_e32 v0, s54, v0
	v_and_b32_e32 v0, s57, v0
	v_lshlrev_b32_e32 v1, 3, v0
	v_add_lshl_u32 v1, v1, v50, 2
	; wave barrier
	v_add_u32_e32 v46, 32, v1
	ds_read_b32 v45, v1 offset:32
	v_and_b32_e32 v1, 1, v0
	v_add_co_u32_e32 v2, vcc, -1, v1
	v_addc_co_u32_e64 v3, s[4:5], 0, -1, vcc
	v_cmp_ne_u32_e32 vcc, 0, v1
	v_lshlrev_b32_e32 v33, 30, v0
	v_xor_b32_e32 v1, vcc_hi, v3
	v_not_b32_e32 v3, v33
	v_xor_b32_e32 v2, vcc_lo, v2
	v_cmp_gt_i64_e32 vcc, 0, v[32:33]
	v_ashrrev_i32_e32 v3, 31, v3
	v_and_b32_e32 v1, exec_hi, v1
	v_xor_b32_e32 v33, vcc_hi, v3
	v_and_b32_e32 v2, exec_lo, v2
	v_xor_b32_e32 v3, vcc_lo, v3
	v_and_b32_e32 v1, v1, v33
	v_lshlrev_b32_e32 v33, 29, v0
	v_and_b32_e32 v2, v2, v3
	v_not_b32_e32 v3, v33
	v_cmp_gt_i64_e32 vcc, 0, v[32:33]
	v_ashrrev_i32_e32 v3, 31, v3
	v_xor_b32_e32 v33, vcc_hi, v3
	v_xor_b32_e32 v3, vcc_lo, v3
	v_and_b32_e32 v1, v1, v33
	v_lshlrev_b32_e32 v33, 28, v0
	v_and_b32_e32 v2, v2, v3
	v_not_b32_e32 v3, v33
	v_cmp_gt_i64_e32 vcc, 0, v[32:33]
	v_ashrrev_i32_e32 v3, 31, v3
	v_xor_b32_e32 v33, vcc_hi, v3
	;; [unrolled: 8-line block ×5, first 2 shown]
	v_and_b32_e32 v1, v1, v33
	v_lshlrev_b32_e32 v33, 24, v0
	v_not_b32_e32 v0, v33
	v_xor_b32_e32 v3, vcc_lo, v3
	v_cmp_gt_i64_e32 vcc, 0, v[32:33]
	v_ashrrev_i32_e32 v0, 31, v0
	v_and_b32_e32 v2, v2, v3
	v_xor_b32_e32 v3, vcc_hi, v0
	v_xor_b32_e32 v0, vcc_lo, v0
	v_and_b32_e32 v0, v2, v0
	v_and_b32_e32 v1, v1, v3
	v_mbcnt_lo_u32_b32 v2, v0, 0
	v_mbcnt_hi_u32_b32 v47, v1, v2
	v_cmp_eq_u32_e32 vcc, 0, v47
	v_cmp_ne_u64_e64 s[4:5], 0, v[0:1]
	s_and_b64 s[58:59], s[4:5], vcc
	; wave barrier
	s_and_saveexec_b64 s[4:5], s[58:59]
	s_cbranch_execz .LBB210_84
; %bb.83:                               ;   in Loop: Header=BB210_70 Depth=1
	v_bcnt_u32_b32 v0, v0, 0
	v_bcnt_u32_b32 v0, v1, v0
	s_waitcnt lgkmcnt(0)
	v_add_u32_e32 v0, v45, v0
	ds_write_b32 v46, v0
.LBB210_84:                             ;   in Loop: Header=BB210_70 Depth=1
	s_or_b64 exec, exec, s[4:5]
	v_cmp_ne_u32_e32 vcc, s56, v55
	v_cndmask_b32_e32 v0, v48, v55, vcc
	v_lshrrev_b32_e32 v0, s54, v0
	v_and_b32_e32 v0, s57, v0
	v_lshlrev_b32_e32 v1, 3, v0
	v_add_lshl_u32 v1, v1, v50, 2
	; wave barrier
	v_add_u32_e32 v64, 32, v1
	ds_read_b32 v63, v1 offset:32
	v_and_b32_e32 v1, 1, v0
	v_add_co_u32_e32 v2, vcc, -1, v1
	v_addc_co_u32_e64 v3, s[4:5], 0, -1, vcc
	v_cmp_ne_u32_e32 vcc, 0, v1
	v_lshlrev_b32_e32 v33, 30, v0
	v_xor_b32_e32 v1, vcc_hi, v3
	v_not_b32_e32 v3, v33
	v_xor_b32_e32 v2, vcc_lo, v2
	v_cmp_gt_i64_e32 vcc, 0, v[32:33]
	v_ashrrev_i32_e32 v3, 31, v3
	v_and_b32_e32 v1, exec_hi, v1
	v_xor_b32_e32 v33, vcc_hi, v3
	v_and_b32_e32 v2, exec_lo, v2
	v_xor_b32_e32 v3, vcc_lo, v3
	v_and_b32_e32 v1, v1, v33
	v_lshlrev_b32_e32 v33, 29, v0
	v_and_b32_e32 v2, v2, v3
	v_not_b32_e32 v3, v33
	v_cmp_gt_i64_e32 vcc, 0, v[32:33]
	v_ashrrev_i32_e32 v3, 31, v3
	v_xor_b32_e32 v33, vcc_hi, v3
	v_xor_b32_e32 v3, vcc_lo, v3
	v_and_b32_e32 v1, v1, v33
	v_lshlrev_b32_e32 v33, 28, v0
	v_and_b32_e32 v2, v2, v3
	v_not_b32_e32 v3, v33
	v_cmp_gt_i64_e32 vcc, 0, v[32:33]
	v_ashrrev_i32_e32 v3, 31, v3
	v_xor_b32_e32 v33, vcc_hi, v3
	;; [unrolled: 8-line block ×5, first 2 shown]
	v_and_b32_e32 v1, v1, v33
	v_lshlrev_b32_e32 v33, 24, v0
	v_not_b32_e32 v0, v33
	v_xor_b32_e32 v3, vcc_lo, v3
	v_cmp_gt_i64_e32 vcc, 0, v[32:33]
	v_ashrrev_i32_e32 v0, 31, v0
	v_and_b32_e32 v2, v2, v3
	v_xor_b32_e32 v3, vcc_hi, v0
	v_xor_b32_e32 v0, vcc_lo, v0
	v_and_b32_e32 v0, v2, v0
	v_and_b32_e32 v1, v1, v3
	v_mbcnt_lo_u32_b32 v2, v0, 0
	v_mbcnt_hi_u32_b32 v70, v1, v2
	v_cmp_eq_u32_e32 vcc, 0, v70
	v_cmp_ne_u64_e64 s[4:5], 0, v[0:1]
	s_and_b64 s[58:59], s[4:5], vcc
	; wave barrier
	s_and_saveexec_b64 s[4:5], s[58:59]
	s_cbranch_execz .LBB210_86
; %bb.85:                               ;   in Loop: Header=BB210_70 Depth=1
	v_bcnt_u32_b32 v0, v0, 0
	v_bcnt_u32_b32 v0, v1, v0
	s_waitcnt lgkmcnt(0)
	v_add_u32_e32 v0, v63, v0
	ds_write_b32 v64, v0
.LBB210_86:                             ;   in Loop: Header=BB210_70 Depth=1
	s_or_b64 exec, exec, s[4:5]
	; wave barrier
	s_waitcnt lgkmcnt(0)
	s_barrier
	ds_read2_b32 v[2:3], v89 offset0:8 offset1:9
	ds_read2_b32 v[0:1], v49 offset0:2 offset1:3
	s_waitcnt lgkmcnt(1)
	v_add_u32_e32 v33, v3, v2
	s_waitcnt lgkmcnt(0)
	v_add3_u32 v1, v33, v0, v1
	s_nop 1
	v_mov_b32_dpp v33, v1 row_shr:1 row_mask:0xf bank_mask:0xf
	v_cndmask_b32_e64 v33, v33, 0, s[16:17]
	v_add_u32_e32 v1, v33, v1
	s_nop 1
	v_mov_b32_dpp v33, v1 row_shr:2 row_mask:0xf bank_mask:0xf
	v_cndmask_b32_e64 v33, 0, v33, s[18:19]
	v_add_u32_e32 v1, v1, v33
	;; [unrolled: 4-line block ×4, first 2 shown]
	s_nop 1
	v_mov_b32_dpp v33, v1 row_bcast:15 row_mask:0xf bank_mask:0xf
	v_cndmask_b32_e64 v33, v33, 0, s[24:25]
	v_add_u32_e32 v1, v1, v33
	s_nop 1
	v_mov_b32_dpp v33, v1 row_bcast:31 row_mask:0xf bank_mask:0xf
	v_cndmask_b32_e64 v33, 0, v33, s[26:27]
	v_add_u32_e32 v1, v1, v33
	s_and_saveexec_b64 s[4:5], s[28:29]
	s_cbranch_execz .LBB210_88
; %bb.87:                               ;   in Loop: Header=BB210_70 Depth=1
	ds_write_b32 v38, v1
.LBB210_88:                             ;   in Loop: Header=BB210_70 Depth=1
	s_or_b64 exec, exec, s[4:5]
	s_waitcnt lgkmcnt(0)
	s_barrier
	s_and_saveexec_b64 s[4:5], s[30:31]
	s_cbranch_execz .LBB210_90
; %bb.89:                               ;   in Loop: Header=BB210_70 Depth=1
	ds_read_b32 v33, v88
	s_waitcnt lgkmcnt(0)
	s_nop 0
	v_mov_b32_dpp v65, v33 row_shr:1 row_mask:0xf bank_mask:0xf
	v_cndmask_b32_e64 v65, v65, 0, s[40:41]
	v_add_u32_e32 v33, v65, v33
	s_nop 1
	v_mov_b32_dpp v65, v33 row_shr:2 row_mask:0xf bank_mask:0xf
	v_cndmask_b32_e64 v65, 0, v65, s[42:43]
	v_add_u32_e32 v33, v33, v65
	;; [unrolled: 4-line block ×3, first 2 shown]
	ds_write_b32 v88, v33
.LBB210_90:                             ;   in Loop: Header=BB210_70 Depth=1
	s_or_b64 exec, exec, s[4:5]
	v_mov_b32_e32 v33, 0
	s_waitcnt lgkmcnt(0)
	s_barrier
	s_and_saveexec_b64 s[4:5], s[34:35]
	s_cbranch_execz .LBB210_92
; %bb.91:                               ;   in Loop: Header=BB210_70 Depth=1
	ds_read_b32 v33, v52
.LBB210_92:                             ;   in Loop: Header=BB210_70 Depth=1
	s_or_b64 exec, exec, s[4:5]
	s_waitcnt lgkmcnt(0)
	v_add_u32_e32 v1, v33, v1
	ds_bpermute_b32 v1, v51, v1
	s_cmp_gt_u32 s54, 23
	s_waitcnt lgkmcnt(0)
	v_cndmask_b32_e64 v1, v1, v33, s[36:37]
	v_cndmask_b32_e64 v1, v1, 0, s[38:39]
	v_add_u32_e32 v2, v1, v2
	v_add_u32_e32 v3, v2, v3
	;; [unrolled: 1-line block ×3, first 2 shown]
	ds_write2_b32 v89, v1, v2 offset0:8 offset1:9
	ds_write2_b32 v49, v3, v0 offset0:2 offset1:3
	s_waitcnt lgkmcnt(0)
	s_barrier
	ds_read_b32 v0, v4
	ds_read_b32 v1, v7
	;; [unrolled: 1-line block ×8, first 2 shown]
	s_waitcnt lgkmcnt(7)
	v_add_u32_e32 v33, v0, v5
	s_waitcnt lgkmcnt(6)
	v_add3_u32 v64, v8, v6, v1
	s_waitcnt lgkmcnt(5)
	v_add3_u32 v65, v11, v9, v2
	;; [unrolled: 2-line block ×7, first 2 shown]
	s_cbranch_scc0 .LBB210_69
; %bb.93:
                                        ; implicit-def: $vgpr47
                                        ; implicit-def: $vgpr45
                                        ; implicit-def: $vgpr43
                                        ; implicit-def: $vgpr41
                                        ; implicit-def: $vgpr14_vgpr15
                                        ; implicit-def: $vgpr10_vgpr11
                                        ; implicit-def: $vgpr6_vgpr7
                                        ; implicit-def: $vgpr2_vgpr3
                                        ; implicit-def: $sgpr54
                                        ; implicit-def: $sgpr55
.LBB210_94:
	v_lshlrev_b32_e32 v0, 2, v33
	s_barrier
	ds_write_b32 v0, v62
	v_lshlrev_b32_e32 v0, 2, v64
	ds_write_b32 v0, v61
	v_lshlrev_b32_e32 v0, 2, v65
	;; [unrolled: 2-line block ×7, first 2 shown]
	v_lshlrev_b32_e32 v6, 2, v87
	ds_write_b32 v0, v55
	s_waitcnt lgkmcnt(0)
	s_barrier
	ds_read2_b32 v[0:1], v6 offset1:1
	ds_read2_b32 v[2:3], v6 offset0:2 offset1:3
	ds_read2_b32 v[4:5], v6 offset0:4 offset1:5
	;; [unrolled: 1-line block ×3, first 2 shown]
	v_bfrev_b32_e32 v38, -2
	v_lshlrev_b32_e32 v8, 3, v33
	v_lshlrev_b32_e32 v32, 3, v87
	s_waitcnt lgkmcnt(3)
	v_cmp_gt_i32_e32 vcc, 0, v1
	v_cndmask_b32_e64 v33, v38, 0, vcc
	v_cmp_gt_i32_e32 vcc, 0, v0
	v_lshlrev_b32_e32 v9, 3, v64
	v_lshlrev_b32_e32 v10, 3, v65
	v_lshlrev_b32_e32 v11, 3, v66
	v_lshlrev_b32_e32 v12, 3, v67
	v_lshlrev_b32_e32 v13, 3, v68
	v_lshlrev_b32_e32 v14, 3, v69
	v_lshlrev_b32_e32 v15, 3, v63
	v_cndmask_b32_e64 v40, v38, 0, vcc
	v_xor_b32_e32 v63, v33, v1
	s_waitcnt lgkmcnt(2)
	v_cmp_gt_i32_e32 vcc, 0, v3
	s_waitcnt lgkmcnt(0)
	s_barrier
	ds_write_b64 v8, v[30:31]
	ds_write_b64 v9, v[28:29]
	;; [unrolled: 1-line block ×8, first 2 shown]
	s_waitcnt lgkmcnt(0)
	s_barrier
	ds_read2_b64 v[18:21], v32 offset1:1
	ds_read2_b64 v[22:25], v32 offset0:2 offset1:3
	ds_read2_b64 v[26:29], v32 offset0:4 offset1:5
	;; [unrolled: 1-line block ×3, first 2 shown]
	v_xor_b32_e32 v62, v40, v0
	v_cndmask_b32_e64 v0, v38, 0, vcc
	v_cmp_gt_i32_e32 vcc, 0, v2
	v_cndmask_b32_e64 v1, v38, 0, vcc
	v_cmp_gt_i32_e32 vcc, 0, v5
	v_xor_b32_e32 v65, v0, v3
	v_cndmask_b32_e64 v0, v38, 0, vcc
	v_cmp_gt_i32_e32 vcc, 0, v4
	v_xor_b32_e32 v64, v1, v2
	;; [unrolled: 3-line block ×4, first 2 shown]
	v_cndmask_b32_e64 v0, v38, 0, vcc
	v_xor_b32_e32 v0, v0, v6
	v_xor_b32_e32 v1, v1, v7
.LBB210_95:
	s_waitcnt lgkmcnt(0)
	s_barrier
	ds_write2_b32 v78, v62, v63 offset1:1
	ds_write2_b32 v78, v64, v65 offset0:2 offset1:3
	ds_write2_b32 v78, v66, v67 offset0:4 offset1:5
	ds_write2_b32 v78, v0, v1 offset0:6 offset1:7
	s_waitcnt lgkmcnt(0)
	s_barrier
	ds_read_b32 v8, v35 offset:2048
	ds_read_b32 v7, v72 offset:4096
	;; [unrolled: 1-line block ×7, first 2 shown]
	v_mov_b32_e32 v35, 0
	v_lshlrev_b64 v[0:1], 2, v[34:35]
	v_mov_b32_e32 v9, s48
	v_add_co_u32_e32 v0, vcc, s33, v0
	v_addc_co_u32_e32 v1, vcc, v9, v1, vcc
	s_and_saveexec_b64 s[4:5], s[0:1]
	s_cbranch_execnz .LBB210_114
; %bb.96:
	s_or_b64 exec, exec, s[4:5]
	s_and_saveexec_b64 s[4:5], s[2:3]
	s_cbranch_execnz .LBB210_115
.LBB210_97:
	s_or_b64 exec, exec, s[4:5]
	s_and_saveexec_b64 s[4:5], s[46:47]
	s_cbranch_execnz .LBB210_116
.LBB210_98:
	s_or_b64 exec, exec, s[4:5]
	s_and_saveexec_b64 s[4:5], s[6:7]
	s_cbranch_execnz .LBB210_117
.LBB210_99:
	s_or_b64 exec, exec, s[4:5]
	s_and_saveexec_b64 s[4:5], s[8:9]
	s_cbranch_execnz .LBB210_118
.LBB210_100:
	s_or_b64 exec, exec, s[4:5]
	s_and_saveexec_b64 s[4:5], s[10:11]
	s_cbranch_execnz .LBB210_119
.LBB210_101:
	s_or_b64 exec, exec, s[4:5]
	s_and_saveexec_b64 s[4:5], s[12:13]
	s_cbranch_execnz .LBB210_120
.LBB210_102:
	s_or_b64 exec, exec, s[4:5]
	s_and_saveexec_b64 s[4:5], s[14:15]
	s_cbranch_execz .LBB210_104
.LBB210_103:
	s_mul_i32 s16, s50, 0xe00
	s_mov_b32 s17, 0
	s_lshl_b64 s[16:17], s[16:17], 2
	s_waitcnt lgkmcnt(1)
	v_mov_b32_e32 v3, s17
	v_add_co_u32_e32 v0, vcc, s16, v0
	v_addc_co_u32_e32 v1, vcc, v1, v3, vcc
	s_waitcnt lgkmcnt(0)
	global_store_dword v[0:1], v2, off
.LBB210_104:
	s_or_b64 exec, exec, s[4:5]
	s_waitcnt lgkmcnt(0)
	s_barrier
	ds_write2_b64 v86, v[18:19], v[20:21] offset1:1
	ds_write2_b64 v86, v[22:23], v[24:25] offset0:2 offset1:3
	ds_write2_b64 v86, v[26:27], v[28:29] offset0:4 offset1:5
	;; [unrolled: 1-line block ×3, first 2 shown]
	s_waitcnt lgkmcnt(0)
	s_barrier
	ds_read_b64 v[14:15], v37 offset:4096
	ds_read_b64 v[12:13], v80 offset:8192
	;; [unrolled: 1-line block ×7, first 2 shown]
	v_mov_b32_e32 v37, 0
	v_lshlrev_b64 v[2:3], 3, v[36:37]
	v_mov_b32_e32 v16, s51
	v_add_co_u32_e32 v2, vcc, s49, v2
	v_addc_co_u32_e32 v3, vcc, v16, v3, vcc
	s_and_saveexec_b64 s[4:5], s[0:1]
	s_cbranch_execnz .LBB210_121
; %bb.105:
	s_or_b64 exec, exec, s[4:5]
	s_and_saveexec_b64 s[0:1], s[2:3]
	s_cbranch_execnz .LBB210_122
.LBB210_106:
	s_or_b64 exec, exec, s[0:1]
	s_and_saveexec_b64 s[0:1], s[46:47]
	s_cbranch_execnz .LBB210_123
.LBB210_107:
	s_or_b64 exec, exec, s[0:1]
	s_and_saveexec_b64 s[0:1], s[6:7]
	s_cbranch_execnz .LBB210_124
.LBB210_108:
	s_or_b64 exec, exec, s[0:1]
	s_and_saveexec_b64 s[0:1], s[8:9]
	s_cbranch_execnz .LBB210_125
.LBB210_109:
	s_or_b64 exec, exec, s[0:1]
	s_and_saveexec_b64 s[0:1], s[10:11]
	s_cbranch_execnz .LBB210_126
.LBB210_110:
	s_or_b64 exec, exec, s[0:1]
	s_and_saveexec_b64 s[0:1], s[12:13]
	s_cbranch_execnz .LBB210_127
.LBB210_111:
	s_or_b64 exec, exec, s[0:1]
	s_and_saveexec_b64 s[0:1], s[14:15]
	s_cbranch_execz .LBB210_113
.LBB210_112:
	s_mul_i32 s0, s52, 0xe00
	s_mov_b32 s1, 0
	s_lshl_b64 s[0:1], s[0:1], 3
	s_waitcnt lgkmcnt(1)
	v_mov_b32_e32 v4, s1
	v_add_co_u32_e32 v2, vcc, s0, v2
	v_addc_co_u32_e32 v3, vcc, v3, v4, vcc
	s_waitcnt lgkmcnt(0)
	global_store_dwordx2 v[2:3], v[0:1], off
.LBB210_113:
	s_endpgm
.LBB210_114:
	ds_read_b32 v9, v39
	s_waitcnt lgkmcnt(0)
	global_store_dword v[0:1], v9, off
	s_or_b64 exec, exec, s[4:5]
	s_and_saveexec_b64 s[4:5], s[2:3]
	s_cbranch_execz .LBB210_97
.LBB210_115:
	s_lshl_b32 s16, s50, 9
	s_mov_b32 s17, 0
	s_lshl_b64 s[16:17], s[16:17], 2
	v_mov_b32_e32 v9, s17
	v_add_co_u32_e32 v10, vcc, s16, v0
	v_addc_co_u32_e32 v11, vcc, v1, v9, vcc
	s_waitcnt lgkmcnt(6)
	global_store_dword v[10:11], v8, off
	s_or_b64 exec, exec, s[4:5]
	s_and_saveexec_b64 s[4:5], s[46:47]
	s_cbranch_execz .LBB210_98
.LBB210_116:
	s_lshl_b32 s16, s50, 10
	s_mov_b32 s17, 0
	s_lshl_b64 s[16:17], s[16:17], 2
	v_mov_b32_e32 v9, s17
	s_waitcnt lgkmcnt(6)
	v_add_co_u32_e32 v8, vcc, s16, v0
	v_addc_co_u32_e32 v9, vcc, v1, v9, vcc
	s_waitcnt lgkmcnt(5)
	global_store_dword v[8:9], v7, off
	s_or_b64 exec, exec, s[4:5]
	s_and_saveexec_b64 s[4:5], s[6:7]
	s_cbranch_execz .LBB210_99
.LBB210_117:
	s_mul_i32 s16, s50, 0x600
	s_mov_b32 s17, 0
	s_lshl_b64 s[16:17], s[16:17], 2
	s_waitcnt lgkmcnt(5)
	v_mov_b32_e32 v7, s17
	v_add_co_u32_e32 v8, vcc, s16, v0
	v_addc_co_u32_e32 v9, vcc, v1, v7, vcc
	s_waitcnt lgkmcnt(4)
	global_store_dword v[8:9], v6, off
	s_or_b64 exec, exec, s[4:5]
	s_and_saveexec_b64 s[4:5], s[8:9]
	s_cbranch_execz .LBB210_100
.LBB210_118:
	s_lshl_b32 s16, s50, 11
	s_mov_b32 s17, 0
	s_lshl_b64 s[16:17], s[16:17], 2
	s_waitcnt lgkmcnt(5)
	v_mov_b32_e32 v7, s17
	s_waitcnt lgkmcnt(4)
	v_add_co_u32_e32 v6, vcc, s16, v0
	v_addc_co_u32_e32 v7, vcc, v1, v7, vcc
	s_waitcnt lgkmcnt(3)
	global_store_dword v[6:7], v5, off
	s_or_b64 exec, exec, s[4:5]
	s_and_saveexec_b64 s[4:5], s[10:11]
	s_cbranch_execz .LBB210_101
.LBB210_119:
	s_mul_i32 s16, s50, 0xa00
	s_mov_b32 s17, 0
	s_lshl_b64 s[16:17], s[16:17], 2
	s_waitcnt lgkmcnt(3)
	v_mov_b32_e32 v5, s17
	v_add_co_u32_e32 v6, vcc, s16, v0
	v_addc_co_u32_e32 v7, vcc, v1, v5, vcc
	s_waitcnt lgkmcnt(2)
	global_store_dword v[6:7], v4, off
	s_or_b64 exec, exec, s[4:5]
	s_and_saveexec_b64 s[4:5], s[12:13]
	s_cbranch_execz .LBB210_102
.LBB210_120:
	s_mul_i32 s16, s50, 0xc00
	s_mov_b32 s17, 0
	s_lshl_b64 s[16:17], s[16:17], 2
	s_waitcnt lgkmcnt(3)
	v_mov_b32_e32 v5, s17
	s_waitcnt lgkmcnt(2)
	v_add_co_u32_e32 v4, vcc, s16, v0
	v_addc_co_u32_e32 v5, vcc, v1, v5, vcc
	s_waitcnt lgkmcnt(1)
	global_store_dword v[4:5], v3, off
	s_or_b64 exec, exec, s[4:5]
	s_and_saveexec_b64 s[4:5], s[14:15]
	s_cbranch_execnz .LBB210_103
	s_branch .LBB210_104
.LBB210_121:
	ds_read_b64 v[16:17], v79
	s_waitcnt lgkmcnt(0)
	global_store_dwordx2 v[2:3], v[16:17], off
	s_or_b64 exec, exec, s[4:5]
	s_and_saveexec_b64 s[0:1], s[2:3]
	s_cbranch_execz .LBB210_106
.LBB210_122:
	s_lshl_b32 s2, s52, 9
	s_mov_b32 s3, 0
	s_lshl_b64 s[2:3], s[2:3], 3
	v_mov_b32_e32 v17, s3
	v_add_co_u32_e32 v16, vcc, s2, v2
	v_addc_co_u32_e32 v17, vcc, v3, v17, vcc
	s_waitcnt lgkmcnt(6)
	global_store_dwordx2 v[16:17], v[14:15], off
	s_or_b64 exec, exec, s[0:1]
	s_and_saveexec_b64 s[0:1], s[46:47]
	s_cbranch_execz .LBB210_107
.LBB210_123:
	s_lshl_b32 s2, s52, 10
	s_mov_b32 s3, 0
	s_lshl_b64 s[2:3], s[2:3], 3
	s_waitcnt lgkmcnt(6)
	v_mov_b32_e32 v15, s3
	v_add_co_u32_e32 v14, vcc, s2, v2
	v_addc_co_u32_e32 v15, vcc, v3, v15, vcc
	s_waitcnt lgkmcnt(5)
	global_store_dwordx2 v[14:15], v[12:13], off
	s_or_b64 exec, exec, s[0:1]
	s_and_saveexec_b64 s[0:1], s[6:7]
	s_cbranch_execz .LBB210_108
.LBB210_124:
	s_mul_i32 s2, s52, 0x600
	s_mov_b32 s3, 0
	s_lshl_b64 s[2:3], s[2:3], 3
	s_waitcnt lgkmcnt(5)
	v_mov_b32_e32 v13, s3
	v_add_co_u32_e32 v12, vcc, s2, v2
	v_addc_co_u32_e32 v13, vcc, v3, v13, vcc
	s_waitcnt lgkmcnt(4)
	global_store_dwordx2 v[12:13], v[10:11], off
	s_or_b64 exec, exec, s[0:1]
	s_and_saveexec_b64 s[0:1], s[8:9]
	s_cbranch_execz .LBB210_109
.LBB210_125:
	s_lshl_b32 s2, s52, 11
	s_mov_b32 s3, 0
	s_lshl_b64 s[2:3], s[2:3], 3
	s_waitcnt lgkmcnt(4)
	v_mov_b32_e32 v11, s3
	v_add_co_u32_e32 v10, vcc, s2, v2
	v_addc_co_u32_e32 v11, vcc, v3, v11, vcc
	s_waitcnt lgkmcnt(3)
	global_store_dwordx2 v[10:11], v[8:9], off
	s_or_b64 exec, exec, s[0:1]
	s_and_saveexec_b64 s[0:1], s[10:11]
	s_cbranch_execz .LBB210_110
.LBB210_126:
	s_mul_i32 s2, s52, 0xa00
	s_mov_b32 s3, 0
	s_lshl_b64 s[2:3], s[2:3], 3
	s_waitcnt lgkmcnt(3)
	v_mov_b32_e32 v9, s3
	v_add_co_u32_e32 v8, vcc, s2, v2
	v_addc_co_u32_e32 v9, vcc, v3, v9, vcc
	s_waitcnt lgkmcnt(2)
	global_store_dwordx2 v[8:9], v[6:7], off
	s_or_b64 exec, exec, s[0:1]
	s_and_saveexec_b64 s[0:1], s[12:13]
	s_cbranch_execz .LBB210_111
.LBB210_127:
	s_mul_i32 s2, s52, 0xc00
	s_mov_b32 s3, 0
	s_lshl_b64 s[2:3], s[2:3], 3
	s_waitcnt lgkmcnt(2)
	v_mov_b32_e32 v7, s3
	v_add_co_u32_e32 v6, vcc, s2, v2
	v_addc_co_u32_e32 v7, vcc, v3, v7, vcc
	s_waitcnt lgkmcnt(1)
	global_store_dwordx2 v[6:7], v[4:5], off
	s_or_b64 exec, exec, s[0:1]
	s_and_saveexec_b64 s[0:1], s[14:15]
	s_cbranch_execnz .LBB210_112
	s_branch .LBB210_113
	.section	.rodata,"a",@progbits
	.p2align	6, 0x0
	.amdhsa_kernel _ZN2at6native18radixSortKVInPlaceILin1ELin1ELi512ELi8EfljEEvNS_4cuda6detail10TensorInfoIT3_T5_EES6_S6_S6_NS4_IT4_S6_EES6_b
		.amdhsa_group_segment_fixed_size 33792
		.amdhsa_private_segment_fixed_size 0
		.amdhsa_kernarg_size 712
		.amdhsa_user_sgpr_count 6
		.amdhsa_user_sgpr_private_segment_buffer 1
		.amdhsa_user_sgpr_dispatch_ptr 0
		.amdhsa_user_sgpr_queue_ptr 0
		.amdhsa_user_sgpr_kernarg_segment_ptr 1
		.amdhsa_user_sgpr_dispatch_id 0
		.amdhsa_user_sgpr_flat_scratch_init 0
		.amdhsa_user_sgpr_kernarg_preload_length 0
		.amdhsa_user_sgpr_kernarg_preload_offset 0
		.amdhsa_user_sgpr_private_segment_size 0
		.amdhsa_uses_dynamic_stack 0
		.amdhsa_system_sgpr_private_segment_wavefront_offset 0
		.amdhsa_system_sgpr_workgroup_id_x 1
		.amdhsa_system_sgpr_workgroup_id_y 1
		.amdhsa_system_sgpr_workgroup_id_z 1
		.amdhsa_system_sgpr_workgroup_info 0
		.amdhsa_system_vgpr_workitem_id 2
		.amdhsa_next_free_vgpr 118
		.amdhsa_next_free_sgpr 62
		.amdhsa_accum_offset 120
		.amdhsa_reserve_vcc 1
		.amdhsa_reserve_flat_scratch 0
		.amdhsa_float_round_mode_32 0
		.amdhsa_float_round_mode_16_64 0
		.amdhsa_float_denorm_mode_32 3
		.amdhsa_float_denorm_mode_16_64 3
		.amdhsa_dx10_clamp 1
		.amdhsa_ieee_mode 1
		.amdhsa_fp16_overflow 0
		.amdhsa_tg_split 0
		.amdhsa_exception_fp_ieee_invalid_op 0
		.amdhsa_exception_fp_denorm_src 0
		.amdhsa_exception_fp_ieee_div_zero 0
		.amdhsa_exception_fp_ieee_overflow 0
		.amdhsa_exception_fp_ieee_underflow 0
		.amdhsa_exception_fp_ieee_inexact 0
		.amdhsa_exception_int_div_zero 0
	.end_amdhsa_kernel
	.section	.text._ZN2at6native18radixSortKVInPlaceILin1ELin1ELi512ELi8EfljEEvNS_4cuda6detail10TensorInfoIT3_T5_EES6_S6_S6_NS4_IT4_S6_EES6_b,"axG",@progbits,_ZN2at6native18radixSortKVInPlaceILin1ELin1ELi512ELi8EfljEEvNS_4cuda6detail10TensorInfoIT3_T5_EES6_S6_S6_NS4_IT4_S6_EES6_b,comdat
.Lfunc_end210:
	.size	_ZN2at6native18radixSortKVInPlaceILin1ELin1ELi512ELi8EfljEEvNS_4cuda6detail10TensorInfoIT3_T5_EES6_S6_S6_NS4_IT4_S6_EES6_b, .Lfunc_end210-_ZN2at6native18radixSortKVInPlaceILin1ELin1ELi512ELi8EfljEEvNS_4cuda6detail10TensorInfoIT3_T5_EES6_S6_S6_NS4_IT4_S6_EES6_b
                                        ; -- End function
	.section	.AMDGPU.csdata,"",@progbits
; Kernel info:
; codeLenInByte = 13616
; NumSgprs: 66
; NumVgprs: 118
; NumAgprs: 0
; TotalNumVgprs: 118
; ScratchSize: 0
; MemoryBound: 0
; FloatMode: 240
; IeeeMode: 1
; LDSByteSize: 33792 bytes/workgroup (compile time only)
; SGPRBlocks: 8
; VGPRBlocks: 14
; NumSGPRsForWavesPerEU: 66
; NumVGPRsForWavesPerEU: 118
; AccumOffset: 120
; Occupancy: 2
; WaveLimiterHint : 1
; COMPUTE_PGM_RSRC2:SCRATCH_EN: 0
; COMPUTE_PGM_RSRC2:USER_SGPR: 6
; COMPUTE_PGM_RSRC2:TRAP_HANDLER: 0
; COMPUTE_PGM_RSRC2:TGID_X_EN: 1
; COMPUTE_PGM_RSRC2:TGID_Y_EN: 1
; COMPUTE_PGM_RSRC2:TGID_Z_EN: 1
; COMPUTE_PGM_RSRC2:TIDIG_COMP_CNT: 2
; COMPUTE_PGM_RSRC3_GFX90A:ACCUM_OFFSET: 29
; COMPUTE_PGM_RSRC3_GFX90A:TG_SPLIT: 0
	.section	.text._ZN2at6native18radixSortKVInPlaceILin1ELin1ELi256ELi8EfljEEvNS_4cuda6detail10TensorInfoIT3_T5_EES6_S6_S6_NS4_IT4_S6_EES6_b,"axG",@progbits,_ZN2at6native18radixSortKVInPlaceILin1ELin1ELi256ELi8EfljEEvNS_4cuda6detail10TensorInfoIT3_T5_EES6_S6_S6_NS4_IT4_S6_EES6_b,comdat
	.protected	_ZN2at6native18radixSortKVInPlaceILin1ELin1ELi256ELi8EfljEEvNS_4cuda6detail10TensorInfoIT3_T5_EES6_S6_S6_NS4_IT4_S6_EES6_b ; -- Begin function _ZN2at6native18radixSortKVInPlaceILin1ELin1ELi256ELi8EfljEEvNS_4cuda6detail10TensorInfoIT3_T5_EES6_S6_S6_NS4_IT4_S6_EES6_b
	.globl	_ZN2at6native18radixSortKVInPlaceILin1ELin1ELi256ELi8EfljEEvNS_4cuda6detail10TensorInfoIT3_T5_EES6_S6_S6_NS4_IT4_S6_EES6_b
	.p2align	8
	.type	_ZN2at6native18radixSortKVInPlaceILin1ELin1ELi256ELi8EfljEEvNS_4cuda6detail10TensorInfoIT3_T5_EES6_S6_S6_NS4_IT4_S6_EES6_b,@function
_ZN2at6native18radixSortKVInPlaceILin1ELin1ELi256ELi8EfljEEvNS_4cuda6detail10TensorInfoIT3_T5_EES6_S6_S6_NS4_IT4_S6_EES6_b: ; @_ZN2at6native18radixSortKVInPlaceILin1ELin1ELi256ELi8EfljEEvNS_4cuda6detail10TensorInfoIT3_T5_EES6_S6_S6_NS4_IT4_S6_EES6_b
; %bb.0:
	s_load_dwordx2 s[0:1], s[4:5], 0x1c8
	s_load_dwordx4 s[48:51], s[4:5], 0xd8
	s_add_u32 s52, s4, 0x1c8
	s_addc_u32 s53, s5, 0
	s_waitcnt lgkmcnt(0)
	s_mul_i32 s1, s1, s8
	s_add_i32 s1, s1, s7
	s_mul_i32 s0, s1, s0
	s_add_i32 s20, s0, s6
	s_cmp_ge_u32 s20, s48
	s_cbranch_scc1 .LBB211_113
; %bb.1:
	s_load_dword s2, s[4:5], 0xd0
	s_mov_b32 s1, 0
	s_mov_b32 s0, s20
	s_waitcnt lgkmcnt(0)
	s_cmp_lt_i32 s2, 2
	s_cbranch_scc1 .LBB211_4
; %bb.2:
	s_add_i32 s0, s2, -1
	s_add_i32 s6, s2, 1
	s_lshl_b64 s[2:3], s[0:1], 2
	s_add_u32 s0, s2, s4
	s_addc_u32 s3, s3, s5
	s_add_u32 s2, s0, 8
	s_addc_u32 s3, s3, 0
	s_mov_b32 s0, s20
.LBB211_3:                              ; =>This Inner Loop Header: Depth=1
	s_load_dword s7, s[2:3], 0x0
	s_load_dword s9, s[2:3], 0x64
	s_mov_b32 s8, s0
	s_waitcnt lgkmcnt(0)
	v_cvt_f32_u32_e32 v1, s7
	s_sub_i32 s0, 0, s7
	v_rcp_iflag_f32_e32 v1, v1
	v_mul_f32_e32 v1, 0x4f7ffffe, v1
	v_cvt_u32_f32_e32 v1, v1
	v_readfirstlane_b32 s10, v1
	s_mul_i32 s0, s0, s10
	s_mul_hi_u32 s0, s10, s0
	s_add_i32 s10, s10, s0
	s_mul_hi_u32 s0, s8, s10
	s_mul_i32 s10, s0, s7
	s_sub_i32 s10, s8, s10
	s_add_i32 s11, s0, 1
	s_sub_i32 s12, s10, s7
	s_cmp_ge_u32 s10, s7
	s_cselect_b32 s0, s11, s0
	s_cselect_b32 s10, s12, s10
	s_add_i32 s11, s0, 1
	s_cmp_ge_u32 s10, s7
	s_cselect_b32 s0, s11, s0
	s_mul_i32 s7, s0, s7
	s_sub_i32 s7, s8, s7
	s_mul_i32 s7, s9, s7
	s_add_i32 s6, s6, -1
	s_add_i32 s1, s7, s1
	s_add_u32 s2, s2, -4
	s_addc_u32 s3, s3, -1
	s_cmp_gt_u32 s6, 2
	s_cbranch_scc1 .LBB211_3
.LBB211_4:
	s_load_dword s2, s[4:5], 0x1b8
	s_mov_b32 s17, 0
	s_waitcnt lgkmcnt(0)
	s_cmp_lt_i32 s2, 2
	s_cbranch_scc1 .LBB211_7
; %bb.5:
	s_add_i32 s16, s2, -1
	s_add_i32 s6, s2, 1
	s_lshl_b64 s[2:3], s[16:17], 2
	s_add_u32 s2, s2, s4
	s_addc_u32 s3, s3, s5
	s_add_u32 s2, s2, 0xf0
	s_addc_u32 s3, s3, 0
.LBB211_6:                              ; =>This Inner Loop Header: Depth=1
	s_load_dword s7, s[2:3], 0x0
	s_load_dword s9, s[2:3], 0x64
	s_mov_b32 s8, s20
	s_waitcnt lgkmcnt(0)
	v_cvt_f32_u32_e32 v1, s7
	s_sub_i32 s10, 0, s7
	v_rcp_iflag_f32_e32 v1, v1
	v_mul_f32_e32 v1, 0x4f7ffffe, v1
	v_cvt_u32_f32_e32 v1, v1
	v_readfirstlane_b32 s11, v1
	s_mul_i32 s10, s10, s11
	s_mul_hi_u32 s10, s11, s10
	s_add_i32 s11, s11, s10
	s_mul_hi_u32 s10, s20, s11
	s_mul_i32 s11, s10, s7
	s_sub_i32 s11, s20, s11
	s_add_i32 s12, s10, 1
	s_sub_i32 s13, s11, s7
	s_cmp_ge_u32 s11, s7
	s_cselect_b32 s10, s12, s10
	s_cselect_b32 s11, s13, s11
	s_add_i32 s12, s10, 1
	s_cmp_ge_u32 s11, s7
	s_cselect_b32 s20, s12, s10
	s_mul_i32 s7, s20, s7
	s_sub_i32 s7, s8, s7
	s_mul_i32 s7, s9, s7
	s_add_i32 s6, s6, -1
	s_add_i32 s17, s7, s17
	s_add_u32 s2, s2, -4
	s_addc_u32 s3, s3, -1
	s_cmp_gt_u32 s6, 2
	s_cbranch_scc1 .LBB211_6
.LBB211_7:
	s_load_dword s2, s[4:5], 0x6c
	s_load_dwordx2 s[46:47], s[4:5], 0x1c0
	s_mov_b32 s7, 0
	v_bfrev_b32_e32 v1, -2
	v_and_b32_e32 v38, 0x3ff, v0
	s_waitcnt lgkmcnt(0)
	s_mul_i32 s0, s2, s0
	s_load_dwordx2 s[2:3], s[4:5], 0x0
	s_add_i32 s6, s0, s1
	s_bitcmp1_b32 s47, 0
	s_cselect_b64 s[34:35], -1, 0
	s_lshl_b64 s[0:1], s[6:7], 2
	s_waitcnt lgkmcnt(0)
	s_add_u32 s33, s2, s0
	v_cndmask_b32_e64 v1, v1, -1, s[34:35]
	s_addc_u32 s47, s3, s1
	v_mov_b32_e32 v2, v1
	v_mov_b32_e32 v3, v1
	;; [unrolled: 1-line block ×6, first 2 shown]
	v_cmp_gt_u32_e64 s[0:1], s49, v38
	v_mul_lo_u32 v34, v38, s50
	v_mov_b32_e32 v8, v1
	s_and_saveexec_b64 s[2:3], s[0:1]
	s_cbranch_execz .LBB211_9
; %bb.8:
	v_mov_b32_e32 v35, 0
	v_lshlrev_b64 v[8:9], 2, v[34:35]
	v_mov_b32_e32 v10, s47
	v_add_co_u32_e32 v8, vcc, s33, v8
	v_addc_co_u32_e32 v9, vcc, v10, v9, vcc
	global_load_dword v8, v[8:9], off
.LBB211_9:
	s_or_b64 exec, exec, s[2:3]
	v_add_u32_e32 v30, 0x100, v38
	v_cmp_gt_u32_e64 s[2:3], s49, v30
	s_and_saveexec_b64 s[6:7], s[2:3]
	s_cbranch_execz .LBB211_11
; %bb.10:
	v_mul_lo_u32 v10, v30, s50
	v_mov_b32_e32 v11, 0
	v_lshlrev_b64 v[10:11], 2, v[10:11]
	v_mov_b32_e32 v1, s47
	v_add_co_u32_e32 v10, vcc, s33, v10
	v_addc_co_u32_e32 v11, vcc, v1, v11, vcc
	global_load_dword v1, v[10:11], off
.LBB211_11:
	s_or_b64 exec, exec, s[6:7]
	v_add_u32_e32 v28, 0x200, v38
	v_cmp_gt_u32_e64 s[44:45], s49, v28
	s_and_saveexec_b64 s[6:7], s[44:45]
	s_cbranch_execz .LBB211_13
; %bb.12:
	v_mul_lo_u32 v10, v28, s50
	v_mov_b32_e32 v11, 0
	v_lshlrev_b64 v[10:11], 2, v[10:11]
	v_mov_b32_e32 v2, s47
	v_add_co_u32_e32 v10, vcc, s33, v10
	v_addc_co_u32_e32 v11, vcc, v2, v11, vcc
	global_load_dword v2, v[10:11], off
.LBB211_13:
	;; [unrolled: 14-line block ×3, first 2 shown]
	s_or_b64 exec, exec, s[8:9]
	v_or_b32_e32 v24, 0x400, v38
	v_cmp_gt_u32_e64 s[8:9], s49, v24
	s_and_saveexec_b64 s[10:11], s[8:9]
	s_cbranch_execz .LBB211_17
; %bb.16:
	v_mul_lo_u32 v10, v24, s50
	v_mov_b32_e32 v11, 0
	v_lshlrev_b64 v[10:11], 2, v[10:11]
	v_mov_b32_e32 v4, s47
	v_add_co_u32_e32 v10, vcc, s33, v10
	v_addc_co_u32_e32 v11, vcc, v4, v11, vcc
	global_load_dword v4, v[10:11], off
.LBB211_17:
	s_or_b64 exec, exec, s[10:11]
	v_add_u32_e32 v21, 0x500, v38
	v_cmp_gt_u32_e64 s[10:11], s49, v21
	s_and_saveexec_b64 s[12:13], s[10:11]
	s_cbranch_execz .LBB211_19
; %bb.18:
	v_mul_lo_u32 v10, v21, s50
	v_mov_b32_e32 v11, 0
	v_lshlrev_b64 v[10:11], 2, v[10:11]
	v_mov_b32_e32 v5, s47
	v_add_co_u32_e32 v10, vcc, s33, v10
	v_addc_co_u32_e32 v11, vcc, v5, v11, vcc
	global_load_dword v5, v[10:11], off
.LBB211_19:
	s_or_b64 exec, exec, s[12:13]
	s_load_dwordx2 s[18:19], s[4:5], 0xe8
	v_add_u32_e32 v19, 0x600, v38
	v_cmp_gt_u32_e64 s[12:13], s49, v19
	s_and_saveexec_b64 s[14:15], s[12:13]
	s_cbranch_execz .LBB211_21
; %bb.20:
	v_mul_lo_u32 v10, v19, s50
	v_mov_b32_e32 v11, 0
	v_lshlrev_b64 v[10:11], 2, v[10:11]
	v_mov_b32_e32 v6, s47
	v_add_co_u32_e32 v10, vcc, s33, v10
	v_addc_co_u32_e32 v11, vcc, v6, v11, vcc
	global_load_dword v6, v[10:11], off
.LBB211_21:
	s_or_b64 exec, exec, s[14:15]
	s_load_dword s16, s[4:5], 0x154
	v_add_u32_e32 v18, 0x700, v38
	v_cmp_gt_u32_e64 s[14:15], s49, v18
	s_and_saveexec_b64 s[4:5], s[14:15]
	s_cbranch_execz .LBB211_23
; %bb.22:
	v_mul_lo_u32 v10, v18, s50
	v_mov_b32_e32 v11, 0
	v_lshlrev_b64 v[10:11], 2, v[10:11]
	v_mov_b32_e32 v7, s47
	v_add_co_u32_e32 v10, vcc, s33, v10
	v_addc_co_u32_e32 v11, vcc, v7, v11, vcc
	global_load_dword v7, v[10:11], off
.LBB211_23:
	s_or_b64 exec, exec, s[4:5]
	v_lshrrev_b32_e32 v9, 5, v38
	v_add_u32_e32 v32, v9, v38
	v_lshlrev_b32_e32 v39, 2, v32
	s_waitcnt vmcnt(0)
	ds_write_b32 v39, v8
	v_lshrrev_b32_e32 v8, 5, v30
	v_add_u32_e32 v31, v8, v38
	v_lshlrev_b32_e32 v35, 2, v31
	ds_write_b32 v35, v1 offset:1024
	v_lshrrev_b32_e32 v1, 5, v28
	v_add_u32_e32 v29, v1, v38
	v_lshrrev_b32_e32 v1, 5, v26
	v_add_u32_e32 v27, v1, v38
	;; [unrolled: 2-line block ×3, first 2 shown]
	v_lshrrev_b32_e32 v1, 5, v21
	v_lshlrev_b32_e32 v72, 2, v29
	v_add_u32_e32 v23, v1, v38
	v_lshrrev_b32_e32 v1, 5, v19
	ds_write_b32 v72, v2 offset:2048
	v_add_u32_e32 v20, v1, v38
	v_lshrrev_b32_e32 v1, 5, v18
	v_lshlrev_b32_e32 v87, 3, v38
	v_lshrrev_b32_e32 v2, 2, v38
	v_add_u32_e32 v1, v1, v38
	v_add_u32_e32 v22, v2, v87
	v_lshlrev_b32_e32 v73, 2, v27
	v_lshlrev_b32_e32 v74, 2, v25
	;; [unrolled: 1-line block ×6, first 2 shown]
	ds_write_b32 v73, v3 offset:3072
	ds_write_b32 v74, v4 offset:4096
	;; [unrolled: 1-line block ×5, first 2 shown]
	s_waitcnt lgkmcnt(0)
	s_barrier
	ds_read2_b32 v[46:47], v78 offset1:1
	ds_read2_b32 v[44:45], v78 offset0:2 offset1:3
	ds_read2_b32 v[42:43], v78 offset0:4 offset1:5
	ds_read2_b32 v[40:41], v78 offset0:6 offset1:7
	s_mul_i32 s4, s16, s20
	s_add_i32 s16, s4, s17
	s_mov_b32 s17, 0
	s_lshl_b64 s[4:5], s[16:17], 3
	s_add_u32 s48, s18, s4
	s_mov_b32 s16, s17
	s_addc_u32 s49, s19, s5
	s_mov_b32 s18, s17
	s_mov_b32 s19, s17
	;; [unrolled: 1-line block ×14, first 2 shown]
	v_pk_mov_b32 v[2:3], s[16:17], s[16:17] op_sel:[0,1]
	v_pk_mov_b32 v[4:5], s[18:19], s[18:19] op_sel:[0,1]
	;; [unrolled: 1-line block ×8, first 2 shown]
	v_pk_mov_b32 v[2:3], 0, 0
	v_mul_lo_u32 v36, v38, s46
	s_waitcnt lgkmcnt(0)
	s_barrier
	s_and_saveexec_b64 s[4:5], s[0:1]
	s_cbranch_execnz .LBB211_60
; %bb.24:
	s_or_b64 exec, exec, s[4:5]
	s_and_saveexec_b64 s[4:5], s[2:3]
	s_cbranch_execnz .LBB211_61
.LBB211_25:
	s_or_b64 exec, exec, s[4:5]
	s_and_saveexec_b64 s[4:5], s[44:45]
	s_cbranch_execnz .LBB211_62
.LBB211_26:
	s_or_b64 exec, exec, s[4:5]
	s_and_saveexec_b64 s[4:5], s[6:7]
	s_cbranch_execnz .LBB211_63
.LBB211_27:
	s_or_b64 exec, exec, s[4:5]
	s_and_saveexec_b64 s[4:5], s[8:9]
	s_cbranch_execnz .LBB211_64
.LBB211_28:
	s_or_b64 exec, exec, s[4:5]
	s_and_saveexec_b64 s[4:5], s[10:11]
	s_cbranch_execnz .LBB211_65
.LBB211_29:
	s_or_b64 exec, exec, s[4:5]
	s_and_saveexec_b64 s[4:5], s[12:13]
	s_cbranch_execnz .LBB211_66
.LBB211_30:
	s_or_b64 exec, exec, s[4:5]
	s_xor_b64 s[4:5], s[34:35], -1
	s_and_saveexec_b64 s[16:17], s[14:15]
	s_cbranch_execz .LBB211_32
.LBB211_31:
	v_mul_lo_u32 v16, v18, s46
	v_mov_b32_e32 v17, 0
	v_lshlrev_b64 v[16:17], 3, v[16:17]
	v_mov_b32_e32 v18, s49
	v_add_co_u32_e32 v16, vcc, s48, v16
	v_addc_co_u32_e32 v17, vcc, v18, v17, vcc
	global_load_dwordx2 v[16:17], v[16:17], off
.LBB211_32:
	s_or_b64 exec, exec, s[16:17]
	v_lshlrev_b32_e32 v79, 3, v32
	v_lshlrev_b32_e32 v37, 3, v31
	;; [unrolled: 1-line block ×9, first 2 shown]
	s_waitcnt vmcnt(0)
	ds_write_b64 v79, v[2:3]
	ds_write_b64 v37, v[4:5] offset:2048
	ds_write_b64 v80, v[6:7] offset:4096
	ds_write_b64 v81, v[8:9] offset:6144
	ds_write_b64 v82, v[10:11] offset:8192
	ds_write_b64 v83, v[12:13] offset:10240
	ds_write_b64 v84, v[14:15] offset:12288
	ds_write_b64 v85, v[16:17] offset:14336
	s_waitcnt lgkmcnt(0)
	s_barrier
	ds_read2_b64 v[14:17], v86 offset1:1
	ds_read2_b64 v[10:13], v86 offset0:2 offset1:3
	ds_read2_b64 v[6:9], v86 offset0:4 offset1:5
	;; [unrolled: 1-line block ×3, first 2 shown]
	s_and_b64 vcc, exec, s[4:5]
	v_bfe_u32 v91, v0, 10, 10
	v_bfe_u32 v92, v0, 20, 10
	v_mbcnt_lo_u32_b32 v93, -1, 0
	v_lshlrev_b32_e32 v88, 2, v38
	v_lshlrev_b32_e32 v89, 4, v38
	v_cmp_gt_u32_e64 s[16:17], 4, v38
	v_cmp_lt_u32_e64 s[18:19], 63, v38
	v_cmp_eq_u32_e64 s[20:21], 0, v38
	v_lshrrev_b32_e32 v90, 4, v38
	s_waitcnt lgkmcnt(0)
	s_barrier
	s_cbranch_vccz .LBB211_67
; %bb.33:
	v_bfrev_b32_e32 v94, 1
	v_cmp_lt_i32_e32 vcc, -1, v46
	v_mbcnt_hi_u32_b32 v48, -1, v93
	v_and_b32_e32 v49, 0x3c0, v38
	v_cndmask_b32_e32 v18, -1, v94, vcc
	v_cmp_lt_i32_e32 vcc, -1, v47
	v_add_u32_e32 v0, v48, v49
	v_cndmask_b32_e32 v19, -1, v94, vcc
	v_lshlrev_b32_e32 v1, 5, v0
	v_xor_b32_e32 v19, v19, v47
	v_xor_b32_e32 v18, v18, v46
	v_cmp_lt_i32_e32 vcc, -1, v44
	ds_write2_b32 v1, v18, v19 offset1:1
	v_cndmask_b32_e32 v18, -1, v94, vcc
	v_cmp_lt_i32_e32 vcc, -1, v45
	v_cndmask_b32_e32 v19, -1, v94, vcc
	v_xor_b32_e32 v19, v19, v45
	v_xor_b32_e32 v18, v18, v44
	v_cmp_lt_i32_e32 vcc, -1, v42
	ds_write2_b32 v1, v18, v19 offset0:2 offset1:3
	v_cndmask_b32_e32 v18, -1, v94, vcc
	v_cmp_lt_i32_e32 vcc, -1, v43
	v_cndmask_b32_e32 v19, -1, v94, vcc
	v_xor_b32_e32 v19, v19, v43
	v_xor_b32_e32 v18, v18, v42
	v_cmp_lt_i32_e32 vcc, -1, v40
	ds_write2_b32 v1, v18, v19 offset0:4 offset1:5
	v_cndmask_b32_e32 v18, -1, v94, vcc
	v_cmp_lt_i32_e32 vcc, -1, v41
	v_cndmask_b32_e32 v19, -1, v94, vcc
	v_xor_b32_e32 v19, v19, v41
	v_xor_b32_e32 v18, v18, v40
	v_and_b32_e32 v50, 0x1e00, v87
	ds_write2_b32 v1, v18, v19 offset0:6 offset1:7
	v_or_b32_e32 v1, v48, v50
	v_lshlrev_b32_e32 v18, 2, v1
	v_lshlrev_b32_e32 v0, 6, v0
	; wave barrier
	ds_read2st64_b32 v[64:65], v18 offset1:1
	ds_read2st64_b32 v[66:67], v18 offset0:2 offset1:3
	ds_read2st64_b32 v[68:69], v18 offset0:4 offset1:5
	;; [unrolled: 1-line block ×3, first 2 shown]
	s_waitcnt lgkmcnt(0)
	s_barrier
	ds_write2_b64 v0, v[14:15], v[16:17] offset1:1
	ds_write2_b64 v0, v[10:11], v[12:13] offset0:2 offset1:3
	ds_write2_b64 v0, v[6:7], v[8:9] offset0:4 offset1:5
	;; [unrolled: 1-line block ×3, first 2 shown]
	v_lshlrev_b32_e32 v0, 3, v1
	; wave barrier
	ds_read2st64_b64 v[18:21], v0 offset1:1
	ds_read2st64_b64 v[22:25], v0 offset0:2 offset1:3
	ds_read2st64_b64 v[26:29], v0 offset0:4 offset1:5
	;; [unrolled: 1-line block ×3, first 2 shown]
	s_waitcnt lgkmcnt(0)
	s_barrier
	s_load_dword s22, s[52:53], 0xc
	s_getpc_b64 s[4:5]
	s_add_u32 s4, s4, _ZN7rocprim17ROCPRIM_400000_NS16block_radix_sortIfLj256ELj8ElLj1ELj1ELj0ELNS0_26block_radix_rank_algorithmE1ELNS0_18block_padding_hintE2ELNS0_4arch9wavefront6targetE1EE19radix_bits_per_passE@rel32@lo+4
	s_addc_u32 s5, s5, _ZN7rocprim17ROCPRIM_400000_NS16block_radix_sortIfLj256ELj8ElLj1ELj1ELj0ELNS0_26block_radix_rank_algorithmE1ELNS0_18block_padding_hintE2ELNS0_4arch9wavefront6targetE1EE19radix_bits_per_passE@rel32@hi+12
	s_load_dword s51, s[4:5], 0x0
	v_and_b32_e32 v98, 60, v90
	s_mov_b32 s54, 0
	s_waitcnt lgkmcnt(0)
	s_lshr_b32 s4, s22, 16
	s_and_b32 s5, s22, 0xffff
	v_mad_u32_u24 v0, v92, s4, v91
	v_mad_u64_u32 v[0:1], s[4:5], v0, s5, v[38:39]
	v_lshrrev_b32_e32 v96, 6, v0
	v_and_b32_e32 v0, 15, v48
	v_cmp_eq_u32_e64 s[22:23], 0, v0
	v_cmp_lt_u32_e64 s[24:25], 1, v0
	v_cmp_lt_u32_e64 s[26:27], 3, v0
	;; [unrolled: 1-line block ×3, first 2 shown]
	v_and_b32_e32 v0, 16, v48
	v_cmp_eq_u32_e64 s[30:31], 0, v0
	v_min_u32_e32 v0, 0xc0, v49
	v_or_b32_e32 v0, 63, v0
	v_cmp_eq_u32_e64 s[36:37], v0, v38
	v_add_u32_e32 v0, -1, v48
	v_and_b32_e32 v1, 64, v48
	v_cmp_lt_i32_e32 vcc, v0, v1
	v_cndmask_b32_e32 v0, v0, v48, vcc
	v_lshlrev_b32_e32 v97, 2, v0
	v_and_b32_e32 v0, 3, v48
	v_cmp_eq_u32_e64 s[40:41], 0, v0
	v_cmp_lt_u32_e64 s[42:43], 1, v0
	v_and_or_b32 v0, v48, 63, v50
	v_add_u32_e32 v95, 16, v89
	v_cmp_lt_u32_e64 s[34:35], 31, v48
	v_cmp_eq_u32_e64 s[38:39], 0, v48
	v_add_u32_e32 v99, -4, v98
	v_lshlrev_b32_e32 v100, 2, v0
	v_lshlrev_b32_e32 v101, 3, v0
	s_mov_b32 s56, 32
	s_brev_b32 s55, -2
	v_mov_b32_e32 v62, 0
	s_branch .LBB211_35
.LBB211_34:                             ;   in Loop: Header=BB211_35 Depth=1
	v_lshlrev_b32_e32 v18, 2, v63
	s_barrier
	ds_write_b32 v18, v109
	v_lshlrev_b32_e32 v18, 2, v111
	ds_write_b32 v18, v108
	v_lshlrev_b32_e32 v18, 2, v112
	;; [unrolled: 2-line block ×8, first 2 shown]
	s_waitcnt lgkmcnt(0)
	s_barrier
	ds_read2st64_b32 v[64:65], v100 offset1:1
	ds_read2st64_b32 v[66:67], v100 offset0:2 offset1:3
	ds_read2st64_b32 v[68:69], v100 offset0:4 offset1:5
	;; [unrolled: 1-line block ×3, first 2 shown]
	s_waitcnt lgkmcnt(0)
	s_barrier
	ds_write_b64 v18, v[60:61]
	v_lshlrev_b32_e32 v18, 3, v111
	ds_write_b64 v18, v[58:59]
	v_lshlrev_b32_e32 v18, 3, v112
	;; [unrolled: 2-line block ×7, first 2 shown]
	ds_write_b64 v18, v[0:1]
	s_waitcnt lgkmcnt(0)
	s_barrier
	ds_read2st64_b64 v[18:21], v101 offset1:1
	ds_read2st64_b64 v[22:25], v101 offset0:2 offset1:3
	ds_read2st64_b64 v[26:29], v101 offset0:4 offset1:5
	;; [unrolled: 1-line block ×3, first 2 shown]
	s_add_i32 s54, s54, 8
	s_add_i32 s56, s56, -8
	s_waitcnt lgkmcnt(0)
	s_barrier
	s_cbranch_execz .LBB211_59
.LBB211_35:                             ; =>This Inner Loop Header: Depth=1
	v_mov_b32_e32 v109, v64
	s_min_u32 s4, s51, s56
	v_cmp_ne_u32_e32 vcc, s55, v109
	v_pk_mov_b32 v[60:61], v[18:19], v[18:19] op_sel:[0,1]
	s_lshl_b32 s4, -1, s4
	v_cndmask_b32_e32 v18, v94, v109, vcc
	s_not_b32 s57, s4
	v_lshrrev_b32_e32 v18, s54, v18
	v_and_b32_e32 v18, s57, v18
	v_lshl_add_u32 v19, v18, 2, v96
	v_pk_mov_b32 v[56:57], v[22:23], v[22:23] op_sel:[0,1]
	v_lshl_add_u32 v22, v19, 2, 16
	v_and_b32_e32 v19, 1, v18
	v_pk_mov_b32 v[58:59], v[20:21], v[20:21] op_sel:[0,1]
	v_add_co_u32_e32 v20, vcc, -1, v19
	v_addc_co_u32_e64 v21, s[4:5], 0, -1, vcc
	v_cmp_ne_u32_e32 vcc, 0, v19
	v_lshlrev_b32_e32 v63, 30, v18
	v_xor_b32_e32 v19, vcc_hi, v21
	v_not_b32_e32 v21, v63
	v_xor_b32_e32 v20, vcc_lo, v20
	v_cmp_gt_i64_e32 vcc, 0, v[62:63]
	v_ashrrev_i32_e32 v21, 31, v21
	v_and_b32_e32 v20, exec_lo, v20
	v_xor_b32_e32 v23, vcc_hi, v21
	v_xor_b32_e32 v21, vcc_lo, v21
	v_lshlrev_b32_e32 v63, 29, v18
	v_and_b32_e32 v20, v20, v21
	v_not_b32_e32 v21, v63
	v_and_b32_e32 v19, exec_hi, v19
	v_cmp_gt_i64_e32 vcc, 0, v[62:63]
	v_ashrrev_i32_e32 v21, 31, v21
	v_and_b32_e32 v19, v19, v23
	v_xor_b32_e32 v23, vcc_hi, v21
	v_xor_b32_e32 v21, vcc_lo, v21
	v_lshlrev_b32_e32 v63, 28, v18
	v_and_b32_e32 v20, v20, v21
	v_not_b32_e32 v21, v63
	v_cmp_gt_i64_e32 vcc, 0, v[62:63]
	v_ashrrev_i32_e32 v21, 31, v21
	v_and_b32_e32 v19, v19, v23
	v_xor_b32_e32 v23, vcc_hi, v21
	v_xor_b32_e32 v21, vcc_lo, v21
	v_lshlrev_b32_e32 v63, 27, v18
	v_and_b32_e32 v20, v20, v21
	v_not_b32_e32 v21, v63
	;; [unrolled: 8-line block ×3, first 2 shown]
	v_cmp_gt_i64_e32 vcc, 0, v[62:63]
	v_ashrrev_i32_e32 v21, 31, v21
	v_and_b32_e32 v19, v19, v23
	v_xor_b32_e32 v23, vcc_hi, v21
	v_xor_b32_e32 v21, vcc_lo, v21
	v_lshlrev_b32_e32 v63, 25, v18
	v_and_b32_e32 v20, v20, v21
	v_cmp_gt_i64_e32 vcc, 0, v[62:63]
	v_not_b32_e32 v21, v63
	v_lshlrev_b32_e32 v63, 24, v18
	v_ashrrev_i32_e32 v21, 31, v21
	v_not_b32_e32 v18, v63
	v_and_b32_e32 v19, v19, v23
	v_xor_b32_e32 v23, vcc_hi, v21
	v_xor_b32_e32 v21, vcc_lo, v21
	v_cmp_gt_i64_e32 vcc, 0, v[62:63]
	v_ashrrev_i32_e32 v18, 31, v18
	v_and_b32_e32 v20, v20, v21
	v_xor_b32_e32 v21, vcc_hi, v18
	v_xor_b32_e32 v18, vcc_lo, v18
	v_and_b32_e32 v19, v19, v23
	v_and_b32_e32 v18, v20, v18
	;; [unrolled: 1-line block ×3, first 2 shown]
	v_mbcnt_lo_u32_b32 v20, v18, 0
	v_mbcnt_hi_u32_b32 v23, v19, v20
	v_cmp_eq_u32_e32 vcc, 0, v23
	v_cmp_ne_u64_e64 s[4:5], 0, v[18:19]
	v_mov_b32_e32 v102, v71
	v_mov_b32_e32 v103, v70
	;; [unrolled: 1-line block ×7, first 2 shown]
	v_pk_mov_b32 v[0:1], v[32:33], v[32:33] op_sel:[0,1]
	v_pk_mov_b32 v[48:49], v[30:31], v[30:31] op_sel:[0,1]
	;; [unrolled: 1-line block ×5, first 2 shown]
	s_and_b64 s[58:59], s[4:5], vcc
	ds_write2_b32 v89, v62, v62 offset0:4 offset1:5
	ds_write2_b32 v95, v62, v62 offset0:2 offset1:3
	s_waitcnt lgkmcnt(0)
	s_barrier
	s_waitcnt lgkmcnt(0)
	; wave barrier
	s_and_saveexec_b64 s[4:5], s[58:59]
	s_cbranch_execz .LBB211_37
; %bb.36:                               ;   in Loop: Header=BB211_35 Depth=1
	v_bcnt_u32_b32 v18, v18, 0
	v_bcnt_u32_b32 v18, v19, v18
	ds_write_b32 v22, v18
.LBB211_37:                             ;   in Loop: Header=BB211_35 Depth=1
	s_or_b64 exec, exec, s[4:5]
	v_cmp_ne_u32_e32 vcc, s55, v108
	v_cndmask_b32_e32 v18, v94, v108, vcc
	v_lshrrev_b32_e32 v18, s54, v18
	v_and_b32_e32 v18, s57, v18
	v_lshlrev_b32_e32 v19, 2, v18
	v_add_lshl_u32 v19, v19, v96, 2
	; wave barrier
	v_add_u32_e32 v25, 16, v19
	ds_read_b32 v24, v19 offset:16
	v_and_b32_e32 v19, 1, v18
	v_add_co_u32_e32 v20, vcc, -1, v19
	v_addc_co_u32_e64 v21, s[4:5], 0, -1, vcc
	v_cmp_ne_u32_e32 vcc, 0, v19
	v_lshlrev_b32_e32 v63, 30, v18
	v_xor_b32_e32 v19, vcc_hi, v21
	v_not_b32_e32 v21, v63
	v_xor_b32_e32 v20, vcc_lo, v20
	v_cmp_gt_i64_e32 vcc, 0, v[62:63]
	v_ashrrev_i32_e32 v21, 31, v21
	v_and_b32_e32 v20, exec_lo, v20
	v_xor_b32_e32 v26, vcc_hi, v21
	v_xor_b32_e32 v21, vcc_lo, v21
	v_lshlrev_b32_e32 v63, 29, v18
	v_and_b32_e32 v20, v20, v21
	v_not_b32_e32 v21, v63
	v_and_b32_e32 v19, exec_hi, v19
	v_cmp_gt_i64_e32 vcc, 0, v[62:63]
	v_ashrrev_i32_e32 v21, 31, v21
	v_and_b32_e32 v19, v19, v26
	v_xor_b32_e32 v26, vcc_hi, v21
	v_xor_b32_e32 v21, vcc_lo, v21
	v_lshlrev_b32_e32 v63, 28, v18
	v_and_b32_e32 v20, v20, v21
	v_not_b32_e32 v21, v63
	v_cmp_gt_i64_e32 vcc, 0, v[62:63]
	v_ashrrev_i32_e32 v21, 31, v21
	v_and_b32_e32 v19, v19, v26
	v_xor_b32_e32 v26, vcc_hi, v21
	v_xor_b32_e32 v21, vcc_lo, v21
	v_lshlrev_b32_e32 v63, 27, v18
	v_and_b32_e32 v20, v20, v21
	v_not_b32_e32 v21, v63
	;; [unrolled: 8-line block ×3, first 2 shown]
	v_cmp_gt_i64_e32 vcc, 0, v[62:63]
	v_ashrrev_i32_e32 v21, 31, v21
	v_and_b32_e32 v19, v19, v26
	v_xor_b32_e32 v26, vcc_hi, v21
	v_xor_b32_e32 v21, vcc_lo, v21
	v_lshlrev_b32_e32 v63, 25, v18
	v_and_b32_e32 v20, v20, v21
	v_cmp_gt_i64_e32 vcc, 0, v[62:63]
	v_not_b32_e32 v21, v63
	v_lshlrev_b32_e32 v63, 24, v18
	v_ashrrev_i32_e32 v21, 31, v21
	v_not_b32_e32 v18, v63
	v_and_b32_e32 v19, v19, v26
	v_xor_b32_e32 v26, vcc_hi, v21
	v_xor_b32_e32 v21, vcc_lo, v21
	v_cmp_gt_i64_e32 vcc, 0, v[62:63]
	v_ashrrev_i32_e32 v18, 31, v18
	v_and_b32_e32 v20, v20, v21
	v_xor_b32_e32 v21, vcc_hi, v18
	v_xor_b32_e32 v18, vcc_lo, v18
	v_and_b32_e32 v19, v19, v26
	v_and_b32_e32 v18, v20, v18
	;; [unrolled: 1-line block ×3, first 2 shown]
	v_mbcnt_lo_u32_b32 v20, v18, 0
	v_mbcnt_hi_u32_b32 v26, v19, v20
	v_cmp_eq_u32_e32 vcc, 0, v26
	v_cmp_ne_u64_e64 s[4:5], 0, v[18:19]
	s_and_b64 s[58:59], s[4:5], vcc
	; wave barrier
	s_and_saveexec_b64 s[4:5], s[58:59]
	s_cbranch_execz .LBB211_39
; %bb.38:                               ;   in Loop: Header=BB211_35 Depth=1
	v_bcnt_u32_b32 v18, v18, 0
	v_bcnt_u32_b32 v18, v19, v18
	s_waitcnt lgkmcnt(0)
	v_add_u32_e32 v18, v24, v18
	ds_write_b32 v25, v18
.LBB211_39:                             ;   in Loop: Header=BB211_35 Depth=1
	s_or_b64 exec, exec, s[4:5]
	v_cmp_ne_u32_e32 vcc, s55, v107
	v_cndmask_b32_e32 v18, v94, v107, vcc
	v_lshrrev_b32_e32 v18, s54, v18
	v_and_b32_e32 v18, s57, v18
	v_lshlrev_b32_e32 v19, 2, v18
	v_add_lshl_u32 v19, v19, v96, 2
	; wave barrier
	v_add_u32_e32 v28, 16, v19
	ds_read_b32 v27, v19 offset:16
	v_and_b32_e32 v19, 1, v18
	v_add_co_u32_e32 v20, vcc, -1, v19
	v_addc_co_u32_e64 v21, s[4:5], 0, -1, vcc
	v_cmp_ne_u32_e32 vcc, 0, v19
	v_lshlrev_b32_e32 v63, 30, v18
	v_xor_b32_e32 v19, vcc_hi, v21
	v_not_b32_e32 v21, v63
	v_xor_b32_e32 v20, vcc_lo, v20
	v_cmp_gt_i64_e32 vcc, 0, v[62:63]
	v_ashrrev_i32_e32 v21, 31, v21
	v_and_b32_e32 v20, exec_lo, v20
	v_xor_b32_e32 v29, vcc_hi, v21
	v_xor_b32_e32 v21, vcc_lo, v21
	v_lshlrev_b32_e32 v63, 29, v18
	v_and_b32_e32 v20, v20, v21
	v_not_b32_e32 v21, v63
	v_and_b32_e32 v19, exec_hi, v19
	v_cmp_gt_i64_e32 vcc, 0, v[62:63]
	v_ashrrev_i32_e32 v21, 31, v21
	v_and_b32_e32 v19, v19, v29
	v_xor_b32_e32 v29, vcc_hi, v21
	v_xor_b32_e32 v21, vcc_lo, v21
	v_lshlrev_b32_e32 v63, 28, v18
	v_and_b32_e32 v20, v20, v21
	v_not_b32_e32 v21, v63
	v_cmp_gt_i64_e32 vcc, 0, v[62:63]
	v_ashrrev_i32_e32 v21, 31, v21
	v_and_b32_e32 v19, v19, v29
	v_xor_b32_e32 v29, vcc_hi, v21
	v_xor_b32_e32 v21, vcc_lo, v21
	v_lshlrev_b32_e32 v63, 27, v18
	v_and_b32_e32 v20, v20, v21
	v_not_b32_e32 v21, v63
	;; [unrolled: 8-line block ×3, first 2 shown]
	v_cmp_gt_i64_e32 vcc, 0, v[62:63]
	v_ashrrev_i32_e32 v21, 31, v21
	v_and_b32_e32 v19, v19, v29
	v_xor_b32_e32 v29, vcc_hi, v21
	v_xor_b32_e32 v21, vcc_lo, v21
	v_lshlrev_b32_e32 v63, 25, v18
	v_and_b32_e32 v20, v20, v21
	v_cmp_gt_i64_e32 vcc, 0, v[62:63]
	v_not_b32_e32 v21, v63
	v_lshlrev_b32_e32 v63, 24, v18
	v_ashrrev_i32_e32 v21, 31, v21
	v_not_b32_e32 v18, v63
	v_and_b32_e32 v19, v19, v29
	v_xor_b32_e32 v29, vcc_hi, v21
	v_xor_b32_e32 v21, vcc_lo, v21
	v_cmp_gt_i64_e32 vcc, 0, v[62:63]
	v_ashrrev_i32_e32 v18, 31, v18
	v_and_b32_e32 v20, v20, v21
	v_xor_b32_e32 v21, vcc_hi, v18
	v_xor_b32_e32 v18, vcc_lo, v18
	v_and_b32_e32 v19, v19, v29
	v_and_b32_e32 v18, v20, v18
	;; [unrolled: 1-line block ×3, first 2 shown]
	v_mbcnt_lo_u32_b32 v20, v18, 0
	v_mbcnt_hi_u32_b32 v29, v19, v20
	v_cmp_eq_u32_e32 vcc, 0, v29
	v_cmp_ne_u64_e64 s[4:5], 0, v[18:19]
	s_and_b64 s[58:59], s[4:5], vcc
	; wave barrier
	s_and_saveexec_b64 s[4:5], s[58:59]
	s_cbranch_execz .LBB211_41
; %bb.40:                               ;   in Loop: Header=BB211_35 Depth=1
	v_bcnt_u32_b32 v18, v18, 0
	v_bcnt_u32_b32 v18, v19, v18
	s_waitcnt lgkmcnt(0)
	v_add_u32_e32 v18, v27, v18
	ds_write_b32 v28, v18
.LBB211_41:                             ;   in Loop: Header=BB211_35 Depth=1
	s_or_b64 exec, exec, s[4:5]
	v_cmp_ne_u32_e32 vcc, s55, v106
	v_cndmask_b32_e32 v18, v94, v106, vcc
	v_lshrrev_b32_e32 v18, s54, v18
	v_and_b32_e32 v18, s57, v18
	v_lshlrev_b32_e32 v19, 2, v18
	v_add_lshl_u32 v19, v19, v96, 2
	; wave barrier
	v_add_u32_e32 v31, 16, v19
	ds_read_b32 v30, v19 offset:16
	v_and_b32_e32 v19, 1, v18
	v_add_co_u32_e32 v20, vcc, -1, v19
	v_addc_co_u32_e64 v21, s[4:5], 0, -1, vcc
	v_cmp_ne_u32_e32 vcc, 0, v19
	v_lshlrev_b32_e32 v63, 30, v18
	v_xor_b32_e32 v19, vcc_hi, v21
	v_not_b32_e32 v21, v63
	v_xor_b32_e32 v20, vcc_lo, v20
	v_cmp_gt_i64_e32 vcc, 0, v[62:63]
	v_ashrrev_i32_e32 v21, 31, v21
	v_and_b32_e32 v20, exec_lo, v20
	v_xor_b32_e32 v32, vcc_hi, v21
	v_xor_b32_e32 v21, vcc_lo, v21
	v_lshlrev_b32_e32 v63, 29, v18
	v_and_b32_e32 v20, v20, v21
	v_not_b32_e32 v21, v63
	v_and_b32_e32 v19, exec_hi, v19
	v_cmp_gt_i64_e32 vcc, 0, v[62:63]
	v_ashrrev_i32_e32 v21, 31, v21
	v_and_b32_e32 v19, v19, v32
	v_xor_b32_e32 v32, vcc_hi, v21
	v_xor_b32_e32 v21, vcc_lo, v21
	v_lshlrev_b32_e32 v63, 28, v18
	v_and_b32_e32 v20, v20, v21
	v_not_b32_e32 v21, v63
	v_cmp_gt_i64_e32 vcc, 0, v[62:63]
	v_ashrrev_i32_e32 v21, 31, v21
	v_and_b32_e32 v19, v19, v32
	v_xor_b32_e32 v32, vcc_hi, v21
	v_xor_b32_e32 v21, vcc_lo, v21
	v_lshlrev_b32_e32 v63, 27, v18
	v_and_b32_e32 v20, v20, v21
	v_not_b32_e32 v21, v63
	;; [unrolled: 8-line block ×3, first 2 shown]
	v_cmp_gt_i64_e32 vcc, 0, v[62:63]
	v_ashrrev_i32_e32 v21, 31, v21
	v_and_b32_e32 v19, v19, v32
	v_xor_b32_e32 v32, vcc_hi, v21
	v_xor_b32_e32 v21, vcc_lo, v21
	v_lshlrev_b32_e32 v63, 25, v18
	v_and_b32_e32 v20, v20, v21
	v_cmp_gt_i64_e32 vcc, 0, v[62:63]
	v_not_b32_e32 v21, v63
	v_lshlrev_b32_e32 v63, 24, v18
	v_ashrrev_i32_e32 v21, 31, v21
	v_not_b32_e32 v18, v63
	v_and_b32_e32 v19, v19, v32
	v_xor_b32_e32 v32, vcc_hi, v21
	v_xor_b32_e32 v21, vcc_lo, v21
	v_cmp_gt_i64_e32 vcc, 0, v[62:63]
	v_ashrrev_i32_e32 v18, 31, v18
	v_and_b32_e32 v20, v20, v21
	v_xor_b32_e32 v21, vcc_hi, v18
	v_xor_b32_e32 v18, vcc_lo, v18
	v_and_b32_e32 v19, v19, v32
	v_and_b32_e32 v18, v20, v18
	;; [unrolled: 1-line block ×3, first 2 shown]
	v_mbcnt_lo_u32_b32 v20, v18, 0
	v_mbcnt_hi_u32_b32 v32, v19, v20
	v_cmp_eq_u32_e32 vcc, 0, v32
	v_cmp_ne_u64_e64 s[4:5], 0, v[18:19]
	s_and_b64 s[58:59], s[4:5], vcc
	; wave barrier
	s_and_saveexec_b64 s[4:5], s[58:59]
	s_cbranch_execz .LBB211_43
; %bb.42:                               ;   in Loop: Header=BB211_35 Depth=1
	v_bcnt_u32_b32 v18, v18, 0
	v_bcnt_u32_b32 v18, v19, v18
	s_waitcnt lgkmcnt(0)
	v_add_u32_e32 v18, v30, v18
	ds_write_b32 v31, v18
.LBB211_43:                             ;   in Loop: Header=BB211_35 Depth=1
	s_or_b64 exec, exec, s[4:5]
	v_cmp_ne_u32_e32 vcc, s55, v105
	v_cndmask_b32_e32 v18, v94, v105, vcc
	v_lshrrev_b32_e32 v18, s54, v18
	v_and_b32_e32 v18, s57, v18
	v_lshlrev_b32_e32 v19, 2, v18
	v_add_lshl_u32 v19, v19, v96, 2
	; wave barrier
	v_add_u32_e32 v64, 16, v19
	ds_read_b32 v33, v19 offset:16
	v_and_b32_e32 v19, 1, v18
	v_add_co_u32_e32 v20, vcc, -1, v19
	v_addc_co_u32_e64 v21, s[4:5], 0, -1, vcc
	v_cmp_ne_u32_e32 vcc, 0, v19
	v_lshlrev_b32_e32 v63, 30, v18
	v_xor_b32_e32 v19, vcc_hi, v21
	v_not_b32_e32 v21, v63
	v_xor_b32_e32 v20, vcc_lo, v20
	v_cmp_gt_i64_e32 vcc, 0, v[62:63]
	v_ashrrev_i32_e32 v21, 31, v21
	v_and_b32_e32 v19, exec_hi, v19
	v_xor_b32_e32 v63, vcc_hi, v21
	v_and_b32_e32 v20, exec_lo, v20
	v_xor_b32_e32 v21, vcc_lo, v21
	v_and_b32_e32 v19, v19, v63
	v_lshlrev_b32_e32 v63, 29, v18
	v_and_b32_e32 v20, v20, v21
	v_not_b32_e32 v21, v63
	v_cmp_gt_i64_e32 vcc, 0, v[62:63]
	v_ashrrev_i32_e32 v21, 31, v21
	v_xor_b32_e32 v63, vcc_hi, v21
	v_xor_b32_e32 v21, vcc_lo, v21
	v_and_b32_e32 v19, v19, v63
	v_lshlrev_b32_e32 v63, 28, v18
	v_and_b32_e32 v20, v20, v21
	v_not_b32_e32 v21, v63
	v_cmp_gt_i64_e32 vcc, 0, v[62:63]
	v_ashrrev_i32_e32 v21, 31, v21
	v_xor_b32_e32 v63, vcc_hi, v21
	;; [unrolled: 8-line block ×5, first 2 shown]
	v_and_b32_e32 v19, v19, v63
	v_lshlrev_b32_e32 v63, 24, v18
	v_not_b32_e32 v18, v63
	v_xor_b32_e32 v21, vcc_lo, v21
	v_cmp_gt_i64_e32 vcc, 0, v[62:63]
	v_ashrrev_i32_e32 v18, 31, v18
	v_and_b32_e32 v20, v20, v21
	v_xor_b32_e32 v21, vcc_hi, v18
	v_xor_b32_e32 v18, vcc_lo, v18
	v_and_b32_e32 v18, v20, v18
	v_and_b32_e32 v19, v19, v21
	v_mbcnt_lo_u32_b32 v20, v18, 0
	v_mbcnt_hi_u32_b32 v65, v19, v20
	v_cmp_eq_u32_e32 vcc, 0, v65
	v_cmp_ne_u64_e64 s[4:5], 0, v[18:19]
	s_and_b64 s[58:59], s[4:5], vcc
	; wave barrier
	s_and_saveexec_b64 s[4:5], s[58:59]
	s_cbranch_execz .LBB211_45
; %bb.44:                               ;   in Loop: Header=BB211_35 Depth=1
	v_bcnt_u32_b32 v18, v18, 0
	v_bcnt_u32_b32 v18, v19, v18
	s_waitcnt lgkmcnt(0)
	v_add_u32_e32 v18, v33, v18
	ds_write_b32 v64, v18
.LBB211_45:                             ;   in Loop: Header=BB211_35 Depth=1
	s_or_b64 exec, exec, s[4:5]
	v_cmp_ne_u32_e32 vcc, s55, v104
	v_cndmask_b32_e32 v18, v94, v104, vcc
	v_lshrrev_b32_e32 v18, s54, v18
	v_and_b32_e32 v18, s57, v18
	v_lshlrev_b32_e32 v19, 2, v18
	v_add_lshl_u32 v19, v19, v96, 2
	; wave barrier
	v_add_u32_e32 v67, 16, v19
	ds_read_b32 v66, v19 offset:16
	v_and_b32_e32 v19, 1, v18
	v_add_co_u32_e32 v20, vcc, -1, v19
	v_addc_co_u32_e64 v21, s[4:5], 0, -1, vcc
	v_cmp_ne_u32_e32 vcc, 0, v19
	v_lshlrev_b32_e32 v63, 30, v18
	v_xor_b32_e32 v19, vcc_hi, v21
	v_not_b32_e32 v21, v63
	v_xor_b32_e32 v20, vcc_lo, v20
	v_cmp_gt_i64_e32 vcc, 0, v[62:63]
	v_ashrrev_i32_e32 v21, 31, v21
	v_and_b32_e32 v19, exec_hi, v19
	v_xor_b32_e32 v63, vcc_hi, v21
	v_and_b32_e32 v20, exec_lo, v20
	v_xor_b32_e32 v21, vcc_lo, v21
	v_and_b32_e32 v19, v19, v63
	v_lshlrev_b32_e32 v63, 29, v18
	v_and_b32_e32 v20, v20, v21
	v_not_b32_e32 v21, v63
	v_cmp_gt_i64_e32 vcc, 0, v[62:63]
	v_ashrrev_i32_e32 v21, 31, v21
	v_xor_b32_e32 v63, vcc_hi, v21
	v_xor_b32_e32 v21, vcc_lo, v21
	v_and_b32_e32 v19, v19, v63
	v_lshlrev_b32_e32 v63, 28, v18
	v_and_b32_e32 v20, v20, v21
	v_not_b32_e32 v21, v63
	v_cmp_gt_i64_e32 vcc, 0, v[62:63]
	v_ashrrev_i32_e32 v21, 31, v21
	v_xor_b32_e32 v63, vcc_hi, v21
	;; [unrolled: 8-line block ×5, first 2 shown]
	v_and_b32_e32 v19, v19, v63
	v_lshlrev_b32_e32 v63, 24, v18
	v_not_b32_e32 v18, v63
	v_xor_b32_e32 v21, vcc_lo, v21
	v_cmp_gt_i64_e32 vcc, 0, v[62:63]
	v_ashrrev_i32_e32 v18, 31, v18
	v_and_b32_e32 v20, v20, v21
	v_xor_b32_e32 v21, vcc_hi, v18
	v_xor_b32_e32 v18, vcc_lo, v18
	v_and_b32_e32 v18, v20, v18
	v_and_b32_e32 v19, v19, v21
	v_mbcnt_lo_u32_b32 v20, v18, 0
	v_mbcnt_hi_u32_b32 v68, v19, v20
	v_cmp_eq_u32_e32 vcc, 0, v68
	v_cmp_ne_u64_e64 s[4:5], 0, v[18:19]
	s_and_b64 s[58:59], s[4:5], vcc
	; wave barrier
	s_and_saveexec_b64 s[4:5], s[58:59]
	s_cbranch_execz .LBB211_47
; %bb.46:                               ;   in Loop: Header=BB211_35 Depth=1
	v_bcnt_u32_b32 v18, v18, 0
	v_bcnt_u32_b32 v18, v19, v18
	s_waitcnt lgkmcnt(0)
	v_add_u32_e32 v18, v66, v18
	ds_write_b32 v67, v18
.LBB211_47:                             ;   in Loop: Header=BB211_35 Depth=1
	s_or_b64 exec, exec, s[4:5]
	v_cmp_ne_u32_e32 vcc, s55, v103
	v_cndmask_b32_e32 v18, v94, v103, vcc
	v_lshrrev_b32_e32 v18, s54, v18
	v_and_b32_e32 v18, s57, v18
	v_lshlrev_b32_e32 v19, 2, v18
	v_add_lshl_u32 v19, v19, v96, 2
	; wave barrier
	v_add_u32_e32 v70, 16, v19
	ds_read_b32 v69, v19 offset:16
	v_and_b32_e32 v19, 1, v18
	v_add_co_u32_e32 v20, vcc, -1, v19
	v_addc_co_u32_e64 v21, s[4:5], 0, -1, vcc
	v_cmp_ne_u32_e32 vcc, 0, v19
	v_lshlrev_b32_e32 v63, 30, v18
	v_xor_b32_e32 v19, vcc_hi, v21
	v_not_b32_e32 v21, v63
	v_xor_b32_e32 v20, vcc_lo, v20
	v_cmp_gt_i64_e32 vcc, 0, v[62:63]
	v_ashrrev_i32_e32 v21, 31, v21
	v_and_b32_e32 v19, exec_hi, v19
	v_xor_b32_e32 v63, vcc_hi, v21
	v_and_b32_e32 v20, exec_lo, v20
	v_xor_b32_e32 v21, vcc_lo, v21
	v_and_b32_e32 v19, v19, v63
	v_lshlrev_b32_e32 v63, 29, v18
	v_and_b32_e32 v20, v20, v21
	v_not_b32_e32 v21, v63
	v_cmp_gt_i64_e32 vcc, 0, v[62:63]
	v_ashrrev_i32_e32 v21, 31, v21
	v_xor_b32_e32 v63, vcc_hi, v21
	v_xor_b32_e32 v21, vcc_lo, v21
	v_and_b32_e32 v19, v19, v63
	v_lshlrev_b32_e32 v63, 28, v18
	v_and_b32_e32 v20, v20, v21
	v_not_b32_e32 v21, v63
	v_cmp_gt_i64_e32 vcc, 0, v[62:63]
	v_ashrrev_i32_e32 v21, 31, v21
	v_xor_b32_e32 v63, vcc_hi, v21
	;; [unrolled: 8-line block ×5, first 2 shown]
	v_and_b32_e32 v19, v19, v63
	v_lshlrev_b32_e32 v63, 24, v18
	v_not_b32_e32 v18, v63
	v_xor_b32_e32 v21, vcc_lo, v21
	v_cmp_gt_i64_e32 vcc, 0, v[62:63]
	v_ashrrev_i32_e32 v18, 31, v18
	v_and_b32_e32 v20, v20, v21
	v_xor_b32_e32 v21, vcc_hi, v18
	v_xor_b32_e32 v18, vcc_lo, v18
	v_and_b32_e32 v18, v20, v18
	v_and_b32_e32 v19, v19, v21
	v_mbcnt_lo_u32_b32 v20, v18, 0
	v_mbcnt_hi_u32_b32 v71, v19, v20
	v_cmp_eq_u32_e32 vcc, 0, v71
	v_cmp_ne_u64_e64 s[4:5], 0, v[18:19]
	s_and_b64 s[58:59], s[4:5], vcc
	; wave barrier
	s_and_saveexec_b64 s[4:5], s[58:59]
	s_cbranch_execz .LBB211_49
; %bb.48:                               ;   in Loop: Header=BB211_35 Depth=1
	v_bcnt_u32_b32 v18, v18, 0
	v_bcnt_u32_b32 v18, v19, v18
	s_waitcnt lgkmcnt(0)
	v_add_u32_e32 v18, v69, v18
	ds_write_b32 v70, v18
.LBB211_49:                             ;   in Loop: Header=BB211_35 Depth=1
	s_or_b64 exec, exec, s[4:5]
	v_cmp_ne_u32_e32 vcc, s55, v102
	v_cndmask_b32_e32 v18, v94, v102, vcc
	v_lshrrev_b32_e32 v18, s54, v18
	v_and_b32_e32 v18, s57, v18
	v_lshlrev_b32_e32 v19, 2, v18
	v_add_lshl_u32 v19, v19, v96, 2
	; wave barrier
	v_add_u32_e32 v111, 16, v19
	ds_read_b32 v110, v19 offset:16
	v_and_b32_e32 v19, 1, v18
	v_add_co_u32_e32 v20, vcc, -1, v19
	v_addc_co_u32_e64 v21, s[4:5], 0, -1, vcc
	v_cmp_ne_u32_e32 vcc, 0, v19
	v_lshlrev_b32_e32 v63, 30, v18
	v_xor_b32_e32 v19, vcc_hi, v21
	v_not_b32_e32 v21, v63
	v_xor_b32_e32 v20, vcc_lo, v20
	v_cmp_gt_i64_e32 vcc, 0, v[62:63]
	v_ashrrev_i32_e32 v21, 31, v21
	v_and_b32_e32 v19, exec_hi, v19
	v_xor_b32_e32 v63, vcc_hi, v21
	v_and_b32_e32 v20, exec_lo, v20
	v_xor_b32_e32 v21, vcc_lo, v21
	v_and_b32_e32 v19, v19, v63
	v_lshlrev_b32_e32 v63, 29, v18
	v_and_b32_e32 v20, v20, v21
	v_not_b32_e32 v21, v63
	v_cmp_gt_i64_e32 vcc, 0, v[62:63]
	v_ashrrev_i32_e32 v21, 31, v21
	v_xor_b32_e32 v63, vcc_hi, v21
	v_xor_b32_e32 v21, vcc_lo, v21
	v_and_b32_e32 v19, v19, v63
	v_lshlrev_b32_e32 v63, 28, v18
	v_and_b32_e32 v20, v20, v21
	v_not_b32_e32 v21, v63
	v_cmp_gt_i64_e32 vcc, 0, v[62:63]
	v_ashrrev_i32_e32 v21, 31, v21
	v_xor_b32_e32 v63, vcc_hi, v21
	;; [unrolled: 8-line block ×5, first 2 shown]
	v_and_b32_e32 v19, v19, v63
	v_lshlrev_b32_e32 v63, 24, v18
	v_not_b32_e32 v18, v63
	v_xor_b32_e32 v21, vcc_lo, v21
	v_cmp_gt_i64_e32 vcc, 0, v[62:63]
	v_ashrrev_i32_e32 v18, 31, v18
	v_and_b32_e32 v20, v20, v21
	v_xor_b32_e32 v21, vcc_hi, v18
	v_xor_b32_e32 v18, vcc_lo, v18
	v_and_b32_e32 v18, v20, v18
	v_and_b32_e32 v19, v19, v21
	v_mbcnt_lo_u32_b32 v20, v18, 0
	v_mbcnt_hi_u32_b32 v117, v19, v20
	v_cmp_eq_u32_e32 vcc, 0, v117
	v_cmp_ne_u64_e64 s[4:5], 0, v[18:19]
	s_and_b64 s[58:59], s[4:5], vcc
	; wave barrier
	s_and_saveexec_b64 s[4:5], s[58:59]
	s_cbranch_execz .LBB211_51
; %bb.50:                               ;   in Loop: Header=BB211_35 Depth=1
	v_bcnt_u32_b32 v18, v18, 0
	v_bcnt_u32_b32 v18, v19, v18
	s_waitcnt lgkmcnt(0)
	v_add_u32_e32 v18, v110, v18
	ds_write_b32 v111, v18
.LBB211_51:                             ;   in Loop: Header=BB211_35 Depth=1
	s_or_b64 exec, exec, s[4:5]
	; wave barrier
	s_waitcnt lgkmcnt(0)
	s_barrier
	ds_read2_b32 v[20:21], v89 offset0:4 offset1:5
	ds_read2_b32 v[18:19], v95 offset0:2 offset1:3
	s_waitcnt lgkmcnt(1)
	v_add_u32_e32 v63, v21, v20
	s_waitcnt lgkmcnt(0)
	v_add3_u32 v19, v63, v18, v19
	s_nop 1
	v_mov_b32_dpp v63, v19 row_shr:1 row_mask:0xf bank_mask:0xf
	v_cndmask_b32_e64 v63, v63, 0, s[22:23]
	v_add_u32_e32 v19, v63, v19
	s_nop 1
	v_mov_b32_dpp v63, v19 row_shr:2 row_mask:0xf bank_mask:0xf
	v_cndmask_b32_e64 v63, 0, v63, s[24:25]
	v_add_u32_e32 v19, v19, v63
	;; [unrolled: 4-line block ×4, first 2 shown]
	s_nop 1
	v_mov_b32_dpp v63, v19 row_bcast:15 row_mask:0xf bank_mask:0xf
	v_cndmask_b32_e64 v63, v63, 0, s[30:31]
	v_add_u32_e32 v19, v19, v63
	s_nop 1
	v_mov_b32_dpp v63, v19 row_bcast:31 row_mask:0xf bank_mask:0xf
	v_cndmask_b32_e64 v63, 0, v63, s[34:35]
	v_add_u32_e32 v19, v19, v63
	s_and_saveexec_b64 s[4:5], s[36:37]
	s_cbranch_execz .LBB211_53
; %bb.52:                               ;   in Loop: Header=BB211_35 Depth=1
	ds_write_b32 v98, v19
.LBB211_53:                             ;   in Loop: Header=BB211_35 Depth=1
	s_or_b64 exec, exec, s[4:5]
	s_waitcnt lgkmcnt(0)
	s_barrier
	s_and_saveexec_b64 s[4:5], s[16:17]
	s_cbranch_execz .LBB211_55
; %bb.54:                               ;   in Loop: Header=BB211_35 Depth=1
	ds_read_b32 v63, v88
	s_waitcnt lgkmcnt(0)
	s_nop 0
	v_mov_b32_dpp v112, v63 row_shr:1 row_mask:0xf bank_mask:0xf
	v_cndmask_b32_e64 v112, v112, 0, s[40:41]
	v_add_u32_e32 v63, v112, v63
	s_nop 1
	v_mov_b32_dpp v112, v63 row_shr:2 row_mask:0xf bank_mask:0xf
	v_cndmask_b32_e64 v112, 0, v112, s[42:43]
	v_add_u32_e32 v63, v63, v112
	ds_write_b32 v88, v63
.LBB211_55:                             ;   in Loop: Header=BB211_35 Depth=1
	s_or_b64 exec, exec, s[4:5]
	v_mov_b32_e32 v63, 0
	s_waitcnt lgkmcnt(0)
	s_barrier
	s_and_saveexec_b64 s[4:5], s[18:19]
	s_cbranch_execz .LBB211_57
; %bb.56:                               ;   in Loop: Header=BB211_35 Depth=1
	ds_read_b32 v63, v99
.LBB211_57:                             ;   in Loop: Header=BB211_35 Depth=1
	s_or_b64 exec, exec, s[4:5]
	s_waitcnt lgkmcnt(0)
	v_add_u32_e32 v19, v63, v19
	ds_bpermute_b32 v19, v97, v19
	s_cmp_gt_u32 s54, 23
	s_waitcnt lgkmcnt(0)
	v_cndmask_b32_e64 v19, v19, v63, s[38:39]
	v_cndmask_b32_e64 v19, v19, 0, s[20:21]
	v_add_u32_e32 v20, v19, v20
	v_add_u32_e32 v21, v20, v21
	;; [unrolled: 1-line block ×3, first 2 shown]
	ds_write2_b32 v89, v19, v20 offset0:4 offset1:5
	ds_write2_b32 v95, v21, v18 offset0:2 offset1:3
	s_waitcnt lgkmcnt(0)
	s_barrier
	ds_read_b32 v18, v22
	ds_read_b32 v19, v25
	;; [unrolled: 1-line block ×8, first 2 shown]
	s_waitcnt lgkmcnt(7)
	v_add_u32_e32 v63, v18, v23
	s_waitcnt lgkmcnt(6)
	v_add3_u32 v111, v26, v24, v19
	s_waitcnt lgkmcnt(5)
	v_add3_u32 v112, v29, v27, v20
	;; [unrolled: 2-line block ×7, first 2 shown]
	s_cbranch_scc0 .LBB211_34
; %bb.58:
                                        ; implicit-def: $vgpr71
                                        ; implicit-def: $vgpr69
                                        ; implicit-def: $vgpr67
                                        ; implicit-def: $vgpr65
                                        ; implicit-def: $vgpr32_vgpr33
                                        ; implicit-def: $vgpr28_vgpr29
                                        ; implicit-def: $vgpr24_vgpr25
                                        ; implicit-def: $vgpr20_vgpr21
                                        ; implicit-def: $sgpr54
                                        ; implicit-def: $sgpr56
.LBB211_59:
	v_lshlrev_b32_e32 v18, 2, v63
	s_barrier
	ds_write_b32 v18, v109
	v_lshlrev_b32_e32 v18, 2, v111
	ds_write_b32 v18, v108
	v_lshlrev_b32_e32 v18, 2, v112
	;; [unrolled: 2-line block ×7, first 2 shown]
	v_lshlrev_b32_e32 v24, 2, v87
	ds_write_b32 v18, v102
	s_waitcnt lgkmcnt(0)
	s_barrier
	ds_read2_b32 v[18:19], v24 offset1:1
	ds_read2_b32 v[20:21], v24 offset0:2 offset1:3
	ds_read2_b32 v[22:23], v24 offset0:4 offset1:5
	;; [unrolled: 1-line block ×3, first 2 shown]
	v_bfrev_b32_e32 v70, 1
	v_lshlrev_b32_e32 v25, 3, v63
	v_lshlrev_b32_e32 v26, 3, v111
	s_waitcnt lgkmcnt(3)
	v_cmp_lt_i32_e32 vcc, -1, v19
	v_cndmask_b32_e64 v24, v70, -1, vcc
	v_cmp_lt_i32_e32 vcc, -1, v18
	v_cndmask_b32_e64 v62, v70, -1, vcc
	s_waitcnt lgkmcnt(2)
	v_cmp_lt_i32_e32 vcc, -1, v21
	v_xor_b32_e32 v62, v62, v18
	v_cndmask_b32_e64 v18, v70, -1, vcc
	v_cmp_lt_i32_e32 vcc, -1, v20
	v_xor_b32_e32 v63, v24, v19
	v_cndmask_b32_e64 v19, v70, -1, vcc
	s_waitcnt lgkmcnt(1)
	v_cmp_lt_i32_e32 vcc, -1, v23
	v_xor_b32_e32 v65, v18, v21
	v_cndmask_b32_e64 v18, v70, -1, vcc
	v_cmp_lt_i32_e32 vcc, -1, v22
	v_lshlrev_b32_e32 v27, 3, v112
	v_lshlrev_b32_e32 v28, 3, v113
	;; [unrolled: 1-line block ×7, first 2 shown]
	v_xor_b32_e32 v64, v19, v20
	v_cndmask_b32_e64 v19, v70, -1, vcc
	v_xor_b32_e32 v66, v19, v22
	v_xor_b32_e32 v67, v18, v23
	s_waitcnt lgkmcnt(0)
	s_barrier
	ds_write_b64 v25, v[60:61]
	ds_write_b64 v26, v[58:59]
	;; [unrolled: 1-line block ×8, first 2 shown]
	s_waitcnt lgkmcnt(0)
	s_barrier
	ds_read2_b64 v[18:21], v33 offset1:1
	ds_read2_b64 v[22:25], v33 offset0:2 offset1:3
	ds_read2_b64 v[26:29], v33 offset0:4 offset1:5
	;; [unrolled: 1-line block ×3, first 2 shown]
	v_cmp_lt_i32_e32 vcc, -1, v69
	v_cndmask_b32_e64 v1, v70, -1, vcc
	v_cmp_lt_i32_e32 vcc, -1, v68
	v_cndmask_b32_e64 v0, v70, -1, vcc
	v_xor_b32_e32 v0, v0, v68
	v_xor_b32_e32 v1, v1, v69
	s_branch .LBB211_95
.LBB211_60:
	v_mov_b32_e32 v37, 0
	v_lshlrev_b64 v[2:3], 3, v[36:37]
	v_mov_b32_e32 v4, s49
	v_add_co_u32_e32 v2, vcc, s48, v2
	v_addc_co_u32_e32 v3, vcc, v4, v3, vcc
	global_load_dwordx2 v[2:3], v[2:3], off
	v_mov_b32_e32 v4, v37
	v_mov_b32_e32 v5, v37
	;; [unrolled: 1-line block ×14, first 2 shown]
	s_or_b64 exec, exec, s[4:5]
	s_and_saveexec_b64 s[4:5], s[2:3]
	s_cbranch_execz .LBB211_25
.LBB211_61:
	v_mul_lo_u32 v4, v30, s46
	v_mov_b32_e32 v5, 0
	v_lshlrev_b64 v[4:5], 3, v[4:5]
	v_mov_b32_e32 v30, s49
	v_add_co_u32_e32 v4, vcc, s48, v4
	v_addc_co_u32_e32 v5, vcc, v30, v5, vcc
	global_load_dwordx2 v[4:5], v[4:5], off
	s_or_b64 exec, exec, s[4:5]
	s_and_saveexec_b64 s[4:5], s[44:45]
	s_cbranch_execz .LBB211_26
.LBB211_62:
	v_mul_lo_u32 v6, v28, s46
	v_mov_b32_e32 v7, 0
	v_lshlrev_b64 v[6:7], 3, v[6:7]
	v_mov_b32_e32 v28, s49
	v_add_co_u32_e32 v6, vcc, s48, v6
	v_addc_co_u32_e32 v7, vcc, v28, v7, vcc
	global_load_dwordx2 v[6:7], v[6:7], off
	s_or_b64 exec, exec, s[4:5]
	s_and_saveexec_b64 s[4:5], s[6:7]
	s_cbranch_execz .LBB211_27
.LBB211_63:
	v_mul_lo_u32 v8, v26, s46
	v_mov_b32_e32 v9, 0
	v_lshlrev_b64 v[8:9], 3, v[8:9]
	v_mov_b32_e32 v26, s49
	v_add_co_u32_e32 v8, vcc, s48, v8
	v_addc_co_u32_e32 v9, vcc, v26, v9, vcc
	global_load_dwordx2 v[8:9], v[8:9], off
	s_or_b64 exec, exec, s[4:5]
	s_and_saveexec_b64 s[4:5], s[8:9]
	s_cbranch_execz .LBB211_28
.LBB211_64:
	v_mul_lo_u32 v10, v24, s46
	v_mov_b32_e32 v11, 0
	v_lshlrev_b64 v[10:11], 3, v[10:11]
	v_mov_b32_e32 v24, s49
	v_add_co_u32_e32 v10, vcc, s48, v10
	v_addc_co_u32_e32 v11, vcc, v24, v11, vcc
	global_load_dwordx2 v[10:11], v[10:11], off
	s_or_b64 exec, exec, s[4:5]
	s_and_saveexec_b64 s[4:5], s[10:11]
	s_cbranch_execz .LBB211_29
.LBB211_65:
	v_mul_lo_u32 v12, v21, s46
	v_mov_b32_e32 v13, 0
	v_lshlrev_b64 v[12:13], 3, v[12:13]
	v_mov_b32_e32 v21, s49
	v_add_co_u32_e32 v12, vcc, s48, v12
	v_addc_co_u32_e32 v13, vcc, v21, v13, vcc
	global_load_dwordx2 v[12:13], v[12:13], off
	s_or_b64 exec, exec, s[4:5]
	s_and_saveexec_b64 s[4:5], s[12:13]
	s_cbranch_execz .LBB211_30
.LBB211_66:
	v_mul_lo_u32 v14, v19, s46
	v_mov_b32_e32 v15, 0
	v_lshlrev_b64 v[14:15], 3, v[14:15]
	v_mov_b32_e32 v19, s49
	v_add_co_u32_e32 v14, vcc, s48, v14
	v_addc_co_u32_e32 v15, vcc, v19, v15, vcc
	global_load_dwordx2 v[14:15], v[14:15], off
	s_or_b64 exec, exec, s[4:5]
	s_xor_b64 s[4:5], s[34:35], -1
	s_and_saveexec_b64 s[16:17], s[14:15]
	s_cbranch_execnz .LBB211_31
	s_branch .LBB211_32
.LBB211_67:
                                        ; implicit-def: $vgpr1
                                        ; implicit-def: $vgpr0
                                        ; implicit-def: $vgpr67
                                        ; implicit-def: $vgpr66
                                        ; implicit-def: $vgpr65
                                        ; implicit-def: $vgpr64
                                        ; implicit-def: $vgpr63
                                        ; implicit-def: $vgpr62
                                        ; implicit-def: $vgpr32_vgpr33
                                        ; implicit-def: $vgpr28_vgpr29
                                        ; implicit-def: $vgpr24_vgpr25
                                        ; implicit-def: $vgpr20_vgpr21
	s_cbranch_execz .LBB211_95
; %bb.68:
	v_bfrev_b32_e32 v48, -2
	v_cmp_gt_i32_e32 vcc, 0, v46
	s_waitcnt lgkmcnt(3)
	v_mbcnt_hi_u32_b32 v18, -1, v93
	v_and_b32_e32 v19, 0x3c0, v38
	v_cndmask_b32_e64 v20, v48, 0, vcc
	v_cmp_gt_i32_e32 vcc, 0, v47
	v_add_u32_e32 v0, v18, v19
	v_cndmask_b32_e64 v21, v48, 0, vcc
	v_lshlrev_b32_e32 v1, 5, v0
	v_xor_b32_e32 v21, v21, v47
	v_xor_b32_e32 v20, v20, v46
	v_cmp_gt_i32_e32 vcc, 0, v44
	ds_write2_b32 v1, v20, v21 offset1:1
	v_cndmask_b32_e64 v20, v48, 0, vcc
	v_cmp_gt_i32_e32 vcc, 0, v45
	v_cndmask_b32_e64 v21, v48, 0, vcc
	v_xor_b32_e32 v21, v21, v45
	v_xor_b32_e32 v20, v20, v44
	v_cmp_gt_i32_e32 vcc, 0, v42
	ds_write2_b32 v1, v20, v21 offset0:2 offset1:3
	v_cndmask_b32_e64 v20, v48, 0, vcc
	v_cmp_gt_i32_e32 vcc, 0, v43
	v_cndmask_b32_e64 v21, v48, 0, vcc
	v_xor_b32_e32 v21, v21, v43
	v_xor_b32_e32 v20, v20, v42
	v_cmp_gt_i32_e32 vcc, 0, v40
	ds_write2_b32 v1, v20, v21 offset0:4 offset1:5
	v_cndmask_b32_e64 v20, v48, 0, vcc
	v_cmp_gt_i32_e32 vcc, 0, v41
	v_cndmask_b32_e64 v21, v48, 0, vcc
	v_xor_b32_e32 v21, v21, v41
	v_xor_b32_e32 v20, v20, v40
	ds_write2_b32 v1, v20, v21 offset0:6 offset1:7
	v_and_b32_e32 v20, 0x1e00, v87
	v_or_b32_e32 v1, v18, v20
	v_lshlrev_b32_e32 v21, 2, v1
	v_lshlrev_b32_e32 v0, 6, v0
	; wave barrier
	ds_read2st64_b32 v[40:41], v21 offset1:1
	ds_read2st64_b32 v[42:43], v21 offset0:2 offset1:3
	ds_read2st64_b32 v[44:45], v21 offset0:4 offset1:5
	;; [unrolled: 1-line block ×3, first 2 shown]
	s_waitcnt lgkmcnt(0)
	s_barrier
	ds_write2_b64 v0, v[14:15], v[16:17] offset1:1
	ds_write2_b64 v0, v[10:11], v[12:13] offset0:2 offset1:3
	ds_write2_b64 v0, v[6:7], v[8:9] offset0:4 offset1:5
	ds_write2_b64 v0, v[2:3], v[4:5] offset0:6 offset1:7
	v_lshlrev_b32_e32 v12, 3, v1
	; wave barrier
	ds_read2st64_b64 v[0:3], v12 offset1:1
	ds_read2st64_b64 v[4:7], v12 offset0:2 offset1:3
	ds_read2st64_b64 v[8:11], v12 offset0:4 offset1:5
	;; [unrolled: 1-line block ×3, first 2 shown]
	s_waitcnt lgkmcnt(0)
	s_barrier
	s_load_dword s16, s[52:53], 0xc
	s_getpc_b64 s[4:5]
	s_add_u32 s4, s4, _ZN7rocprim17ROCPRIM_400000_NS16block_radix_sortIfLj256ELj8ElLj1ELj1ELj0ELNS0_26block_radix_rank_algorithmE1ELNS0_18block_padding_hintE2ELNS0_4arch9wavefront6targetE1EE19radix_bits_per_passE@rel32@lo+4
	s_addc_u32 s5, s5, _ZN7rocprim17ROCPRIM_400000_NS16block_radix_sortIfLj256ELj8ElLj1ELj1ELj0ELNS0_26block_radix_rank_algorithmE1ELNS0_18block_padding_hintE2ELNS0_4arch9wavefront6targetE1EE19radix_bits_per_passE@rel32@hi+12
	s_load_dword s51, s[4:5], 0x0
	v_cmp_gt_u32_e64 s[30:31], 4, v38
	v_cmp_lt_u32_e64 s[34:35], 63, v38
	s_waitcnt lgkmcnt(0)
	s_lshr_b32 s4, s16, 16
	s_and_b32 s5, s16, 0xffff
	v_mad_u32_u24 v16, v92, s4, v91
	v_mad_u64_u32 v[16:17], s[4:5], v16, s5, v[38:39]
	v_lshrrev_b32_e32 v50, 6, v16
	v_and_b32_e32 v16, 15, v18
	v_cmp_eq_u32_e64 s[16:17], 0, v16
	v_cmp_lt_u32_e64 s[18:19], 1, v16
	v_cmp_lt_u32_e64 s[20:21], 3, v16
	;; [unrolled: 1-line block ×3, first 2 shown]
	v_and_b32_e32 v16, 16, v18
	v_cmp_eq_u32_e64 s[24:25], 0, v16
	v_min_u32_e32 v16, 0xc0, v19
	v_or_b32_e32 v16, 63, v16
	v_cmp_eq_u32_e64 s[28:29], v16, v38
	v_add_u32_e32 v16, -1, v18
	v_and_b32_e32 v17, 64, v18
	v_cmp_lt_i32_e32 vcc, v16, v17
	v_cndmask_b32_e32 v16, v16, v18, vcc
	v_lshlrev_b32_e32 v51, 2, v16
	v_and_b32_e32 v16, 3, v18
	v_cmp_eq_u32_e64 s[38:39], 0, v38
	v_and_b32_e32 v38, 60, v90
	v_cmp_eq_u32_e64 s[40:41], 0, v16
	v_cmp_lt_u32_e64 s[42:43], 1, v16
	v_and_or_b32 v16, v18, 63, v20
	s_mov_b32 s52, 0
	v_add_u32_e32 v49, 16, v89
	v_cmp_lt_u32_e64 s[26:27], 31, v18
	v_cmp_eq_u32_e64 s[36:37], 0, v18
	v_add_u32_e32 v52, -4, v38
	v_lshlrev_b32_e32 v53, 2, v16
	v_lshlrev_b32_e32 v54, 3, v16
	s_mov_b32 s54, 32
	v_mov_b32_e32 v32, 0
	s_brev_b32 s53, 1
	s_branch .LBB211_70
.LBB211_69:                             ;   in Loop: Header=BB211_70 Depth=1
	v_lshlrev_b32_e32 v0, 2, v33
	s_barrier
	ds_write_b32 v0, v62
	v_lshlrev_b32_e32 v0, 2, v64
	ds_write_b32 v0, v61
	v_lshlrev_b32_e32 v0, 2, v65
	;; [unrolled: 2-line block ×8, first 2 shown]
	s_waitcnt lgkmcnt(0)
	s_barrier
	ds_read2st64_b32 v[40:41], v53 offset1:1
	ds_read2st64_b32 v[42:43], v53 offset0:2 offset1:3
	ds_read2st64_b32 v[44:45], v53 offset0:4 offset1:5
	;; [unrolled: 1-line block ×3, first 2 shown]
	s_waitcnt lgkmcnt(0)
	s_barrier
	ds_write_b64 v0, v[30:31]
	v_lshlrev_b32_e32 v0, 3, v64
	ds_write_b64 v0, v[28:29]
	v_lshlrev_b32_e32 v0, 3, v65
	;; [unrolled: 2-line block ×7, first 2 shown]
	ds_write_b64 v0, v[16:17]
	s_waitcnt lgkmcnt(0)
	s_barrier
	ds_read2st64_b64 v[0:3], v54 offset1:1
	ds_read2st64_b64 v[4:7], v54 offset0:2 offset1:3
	ds_read2st64_b64 v[8:11], v54 offset0:4 offset1:5
	;; [unrolled: 1-line block ×3, first 2 shown]
	s_add_i32 s52, s52, 8
	s_add_i32 s54, s54, -8
	s_waitcnt lgkmcnt(0)
	s_barrier
	s_cbranch_execz .LBB211_94
.LBB211_70:                             ; =>This Inner Loop Header: Depth=1
	v_mov_b32_e32 v62, v40
	s_min_u32 s4, s51, s54
	v_cmp_ne_u32_e32 vcc, s53, v62
	v_pk_mov_b32 v[30:31], v[0:1], v[0:1] op_sel:[0,1]
	s_lshl_b32 s4, -1, s4
	v_cndmask_b32_e32 v0, v48, v62, vcc
	s_not_b32 s55, s4
	v_lshrrev_b32_e32 v0, s52, v0
	v_and_b32_e32 v0, s55, v0
	v_lshl_add_u32 v1, v0, 2, v50
	v_pk_mov_b32 v[26:27], v[4:5], v[4:5] op_sel:[0,1]
	v_lshl_add_u32 v4, v1, 2, 16
	v_and_b32_e32 v1, 1, v0
	v_pk_mov_b32 v[28:29], v[2:3], v[2:3] op_sel:[0,1]
	v_add_co_u32_e32 v2, vcc, -1, v1
	v_addc_co_u32_e64 v3, s[4:5], 0, -1, vcc
	v_cmp_ne_u32_e32 vcc, 0, v1
	v_lshlrev_b32_e32 v33, 30, v0
	v_xor_b32_e32 v1, vcc_hi, v3
	v_not_b32_e32 v3, v33
	v_xor_b32_e32 v2, vcc_lo, v2
	v_cmp_gt_i64_e32 vcc, 0, v[32:33]
	v_ashrrev_i32_e32 v3, 31, v3
	v_and_b32_e32 v2, exec_lo, v2
	v_xor_b32_e32 v5, vcc_hi, v3
	v_xor_b32_e32 v3, vcc_lo, v3
	v_lshlrev_b32_e32 v33, 29, v0
	v_and_b32_e32 v2, v2, v3
	v_not_b32_e32 v3, v33
	v_and_b32_e32 v1, exec_hi, v1
	v_cmp_gt_i64_e32 vcc, 0, v[32:33]
	v_ashrrev_i32_e32 v3, 31, v3
	v_and_b32_e32 v1, v1, v5
	v_xor_b32_e32 v5, vcc_hi, v3
	v_xor_b32_e32 v3, vcc_lo, v3
	v_lshlrev_b32_e32 v33, 28, v0
	v_and_b32_e32 v2, v2, v3
	v_not_b32_e32 v3, v33
	v_cmp_gt_i64_e32 vcc, 0, v[32:33]
	v_ashrrev_i32_e32 v3, 31, v3
	v_and_b32_e32 v1, v1, v5
	v_xor_b32_e32 v5, vcc_hi, v3
	v_xor_b32_e32 v3, vcc_lo, v3
	v_lshlrev_b32_e32 v33, 27, v0
	v_and_b32_e32 v2, v2, v3
	v_not_b32_e32 v3, v33
	;; [unrolled: 8-line block ×3, first 2 shown]
	v_cmp_gt_i64_e32 vcc, 0, v[32:33]
	v_ashrrev_i32_e32 v3, 31, v3
	v_and_b32_e32 v1, v1, v5
	v_xor_b32_e32 v5, vcc_hi, v3
	v_xor_b32_e32 v3, vcc_lo, v3
	v_lshlrev_b32_e32 v33, 25, v0
	v_and_b32_e32 v2, v2, v3
	v_cmp_gt_i64_e32 vcc, 0, v[32:33]
	v_not_b32_e32 v3, v33
	v_lshlrev_b32_e32 v33, 24, v0
	v_ashrrev_i32_e32 v3, 31, v3
	v_not_b32_e32 v0, v33
	v_and_b32_e32 v1, v1, v5
	v_xor_b32_e32 v5, vcc_hi, v3
	v_xor_b32_e32 v3, vcc_lo, v3
	v_cmp_gt_i64_e32 vcc, 0, v[32:33]
	v_ashrrev_i32_e32 v0, 31, v0
	v_and_b32_e32 v2, v2, v3
	v_xor_b32_e32 v3, vcc_hi, v0
	v_xor_b32_e32 v0, vcc_lo, v0
	v_and_b32_e32 v1, v1, v5
	v_and_b32_e32 v0, v2, v0
	;; [unrolled: 1-line block ×3, first 2 shown]
	v_mbcnt_lo_u32_b32 v2, v0, 0
	v_mbcnt_hi_u32_b32 v5, v1, v2
	v_cmp_eq_u32_e32 vcc, 0, v5
	v_cmp_ne_u64_e64 s[4:5], 0, v[0:1]
	v_mov_b32_e32 v55, v47
	v_mov_b32_e32 v56, v46
	;; [unrolled: 1-line block ×7, first 2 shown]
	v_pk_mov_b32 v[16:17], v[14:15], v[14:15] op_sel:[0,1]
	v_pk_mov_b32 v[18:19], v[12:13], v[12:13] op_sel:[0,1]
	;; [unrolled: 1-line block ×5, first 2 shown]
	s_and_b64 s[56:57], s[4:5], vcc
	ds_write2_b32 v89, v32, v32 offset0:4 offset1:5
	ds_write2_b32 v49, v32, v32 offset0:2 offset1:3
	s_waitcnt lgkmcnt(0)
	s_barrier
	s_waitcnt lgkmcnt(0)
	; wave barrier
	s_and_saveexec_b64 s[4:5], s[56:57]
	s_cbranch_execz .LBB211_72
; %bb.71:                               ;   in Loop: Header=BB211_70 Depth=1
	v_bcnt_u32_b32 v0, v0, 0
	v_bcnt_u32_b32 v0, v1, v0
	ds_write_b32 v4, v0
.LBB211_72:                             ;   in Loop: Header=BB211_70 Depth=1
	s_or_b64 exec, exec, s[4:5]
	v_cmp_ne_u32_e32 vcc, s53, v61
	v_cndmask_b32_e32 v0, v48, v61, vcc
	v_lshrrev_b32_e32 v0, s52, v0
	v_and_b32_e32 v0, s55, v0
	v_lshlrev_b32_e32 v1, 2, v0
	v_add_lshl_u32 v1, v1, v50, 2
	; wave barrier
	v_add_u32_e32 v7, 16, v1
	ds_read_b32 v6, v1 offset:16
	v_and_b32_e32 v1, 1, v0
	v_add_co_u32_e32 v2, vcc, -1, v1
	v_addc_co_u32_e64 v3, s[4:5], 0, -1, vcc
	v_cmp_ne_u32_e32 vcc, 0, v1
	v_lshlrev_b32_e32 v33, 30, v0
	v_xor_b32_e32 v1, vcc_hi, v3
	v_not_b32_e32 v3, v33
	v_xor_b32_e32 v2, vcc_lo, v2
	v_cmp_gt_i64_e32 vcc, 0, v[32:33]
	v_ashrrev_i32_e32 v3, 31, v3
	v_and_b32_e32 v2, exec_lo, v2
	v_xor_b32_e32 v8, vcc_hi, v3
	v_xor_b32_e32 v3, vcc_lo, v3
	v_lshlrev_b32_e32 v33, 29, v0
	v_and_b32_e32 v2, v2, v3
	v_not_b32_e32 v3, v33
	v_and_b32_e32 v1, exec_hi, v1
	v_cmp_gt_i64_e32 vcc, 0, v[32:33]
	v_ashrrev_i32_e32 v3, 31, v3
	v_and_b32_e32 v1, v1, v8
	v_xor_b32_e32 v8, vcc_hi, v3
	v_xor_b32_e32 v3, vcc_lo, v3
	v_lshlrev_b32_e32 v33, 28, v0
	v_and_b32_e32 v2, v2, v3
	v_not_b32_e32 v3, v33
	v_cmp_gt_i64_e32 vcc, 0, v[32:33]
	v_ashrrev_i32_e32 v3, 31, v3
	v_and_b32_e32 v1, v1, v8
	v_xor_b32_e32 v8, vcc_hi, v3
	v_xor_b32_e32 v3, vcc_lo, v3
	v_lshlrev_b32_e32 v33, 27, v0
	v_and_b32_e32 v2, v2, v3
	v_not_b32_e32 v3, v33
	;; [unrolled: 8-line block ×3, first 2 shown]
	v_cmp_gt_i64_e32 vcc, 0, v[32:33]
	v_ashrrev_i32_e32 v3, 31, v3
	v_and_b32_e32 v1, v1, v8
	v_xor_b32_e32 v8, vcc_hi, v3
	v_xor_b32_e32 v3, vcc_lo, v3
	v_lshlrev_b32_e32 v33, 25, v0
	v_and_b32_e32 v2, v2, v3
	v_cmp_gt_i64_e32 vcc, 0, v[32:33]
	v_not_b32_e32 v3, v33
	v_lshlrev_b32_e32 v33, 24, v0
	v_ashrrev_i32_e32 v3, 31, v3
	v_not_b32_e32 v0, v33
	v_and_b32_e32 v1, v1, v8
	v_xor_b32_e32 v8, vcc_hi, v3
	v_xor_b32_e32 v3, vcc_lo, v3
	v_cmp_gt_i64_e32 vcc, 0, v[32:33]
	v_ashrrev_i32_e32 v0, 31, v0
	v_and_b32_e32 v2, v2, v3
	v_xor_b32_e32 v3, vcc_hi, v0
	v_xor_b32_e32 v0, vcc_lo, v0
	v_and_b32_e32 v1, v1, v8
	v_and_b32_e32 v0, v2, v0
	;; [unrolled: 1-line block ×3, first 2 shown]
	v_mbcnt_lo_u32_b32 v2, v0, 0
	v_mbcnt_hi_u32_b32 v8, v1, v2
	v_cmp_eq_u32_e32 vcc, 0, v8
	v_cmp_ne_u64_e64 s[4:5], 0, v[0:1]
	s_and_b64 s[56:57], s[4:5], vcc
	; wave barrier
	s_and_saveexec_b64 s[4:5], s[56:57]
	s_cbranch_execz .LBB211_74
; %bb.73:                               ;   in Loop: Header=BB211_70 Depth=1
	v_bcnt_u32_b32 v0, v0, 0
	v_bcnt_u32_b32 v0, v1, v0
	s_waitcnt lgkmcnt(0)
	v_add_u32_e32 v0, v6, v0
	ds_write_b32 v7, v0
.LBB211_74:                             ;   in Loop: Header=BB211_70 Depth=1
	s_or_b64 exec, exec, s[4:5]
	v_cmp_ne_u32_e32 vcc, s53, v60
	v_cndmask_b32_e32 v0, v48, v60, vcc
	v_lshrrev_b32_e32 v0, s52, v0
	v_and_b32_e32 v0, s55, v0
	v_lshlrev_b32_e32 v1, 2, v0
	v_add_lshl_u32 v1, v1, v50, 2
	; wave barrier
	v_add_u32_e32 v10, 16, v1
	ds_read_b32 v9, v1 offset:16
	v_and_b32_e32 v1, 1, v0
	v_add_co_u32_e32 v2, vcc, -1, v1
	v_addc_co_u32_e64 v3, s[4:5], 0, -1, vcc
	v_cmp_ne_u32_e32 vcc, 0, v1
	v_lshlrev_b32_e32 v33, 30, v0
	v_xor_b32_e32 v1, vcc_hi, v3
	v_not_b32_e32 v3, v33
	v_xor_b32_e32 v2, vcc_lo, v2
	v_cmp_gt_i64_e32 vcc, 0, v[32:33]
	v_ashrrev_i32_e32 v3, 31, v3
	v_and_b32_e32 v2, exec_lo, v2
	v_xor_b32_e32 v11, vcc_hi, v3
	v_xor_b32_e32 v3, vcc_lo, v3
	v_lshlrev_b32_e32 v33, 29, v0
	v_and_b32_e32 v2, v2, v3
	v_not_b32_e32 v3, v33
	v_and_b32_e32 v1, exec_hi, v1
	v_cmp_gt_i64_e32 vcc, 0, v[32:33]
	v_ashrrev_i32_e32 v3, 31, v3
	v_and_b32_e32 v1, v1, v11
	v_xor_b32_e32 v11, vcc_hi, v3
	v_xor_b32_e32 v3, vcc_lo, v3
	v_lshlrev_b32_e32 v33, 28, v0
	v_and_b32_e32 v2, v2, v3
	v_not_b32_e32 v3, v33
	v_cmp_gt_i64_e32 vcc, 0, v[32:33]
	v_ashrrev_i32_e32 v3, 31, v3
	v_and_b32_e32 v1, v1, v11
	v_xor_b32_e32 v11, vcc_hi, v3
	v_xor_b32_e32 v3, vcc_lo, v3
	v_lshlrev_b32_e32 v33, 27, v0
	v_and_b32_e32 v2, v2, v3
	v_not_b32_e32 v3, v33
	;; [unrolled: 8-line block ×3, first 2 shown]
	v_cmp_gt_i64_e32 vcc, 0, v[32:33]
	v_ashrrev_i32_e32 v3, 31, v3
	v_and_b32_e32 v1, v1, v11
	v_xor_b32_e32 v11, vcc_hi, v3
	v_xor_b32_e32 v3, vcc_lo, v3
	v_lshlrev_b32_e32 v33, 25, v0
	v_and_b32_e32 v2, v2, v3
	v_cmp_gt_i64_e32 vcc, 0, v[32:33]
	v_not_b32_e32 v3, v33
	v_lshlrev_b32_e32 v33, 24, v0
	v_ashrrev_i32_e32 v3, 31, v3
	v_not_b32_e32 v0, v33
	v_and_b32_e32 v1, v1, v11
	v_xor_b32_e32 v11, vcc_hi, v3
	v_xor_b32_e32 v3, vcc_lo, v3
	v_cmp_gt_i64_e32 vcc, 0, v[32:33]
	v_ashrrev_i32_e32 v0, 31, v0
	v_and_b32_e32 v2, v2, v3
	v_xor_b32_e32 v3, vcc_hi, v0
	v_xor_b32_e32 v0, vcc_lo, v0
	v_and_b32_e32 v1, v1, v11
	v_and_b32_e32 v0, v2, v0
	;; [unrolled: 1-line block ×3, first 2 shown]
	v_mbcnt_lo_u32_b32 v2, v0, 0
	v_mbcnt_hi_u32_b32 v11, v1, v2
	v_cmp_eq_u32_e32 vcc, 0, v11
	v_cmp_ne_u64_e64 s[4:5], 0, v[0:1]
	s_and_b64 s[56:57], s[4:5], vcc
	; wave barrier
	s_and_saveexec_b64 s[4:5], s[56:57]
	s_cbranch_execz .LBB211_76
; %bb.75:                               ;   in Loop: Header=BB211_70 Depth=1
	v_bcnt_u32_b32 v0, v0, 0
	v_bcnt_u32_b32 v0, v1, v0
	s_waitcnt lgkmcnt(0)
	v_add_u32_e32 v0, v9, v0
	ds_write_b32 v10, v0
.LBB211_76:                             ;   in Loop: Header=BB211_70 Depth=1
	s_or_b64 exec, exec, s[4:5]
	v_cmp_ne_u32_e32 vcc, s53, v59
	v_cndmask_b32_e32 v0, v48, v59, vcc
	v_lshrrev_b32_e32 v0, s52, v0
	v_and_b32_e32 v0, s55, v0
	v_lshlrev_b32_e32 v1, 2, v0
	v_add_lshl_u32 v1, v1, v50, 2
	; wave barrier
	v_add_u32_e32 v13, 16, v1
	ds_read_b32 v12, v1 offset:16
	v_and_b32_e32 v1, 1, v0
	v_add_co_u32_e32 v2, vcc, -1, v1
	v_addc_co_u32_e64 v3, s[4:5], 0, -1, vcc
	v_cmp_ne_u32_e32 vcc, 0, v1
	v_lshlrev_b32_e32 v33, 30, v0
	v_xor_b32_e32 v1, vcc_hi, v3
	v_not_b32_e32 v3, v33
	v_xor_b32_e32 v2, vcc_lo, v2
	v_cmp_gt_i64_e32 vcc, 0, v[32:33]
	v_ashrrev_i32_e32 v3, 31, v3
	v_and_b32_e32 v2, exec_lo, v2
	v_xor_b32_e32 v14, vcc_hi, v3
	v_xor_b32_e32 v3, vcc_lo, v3
	v_lshlrev_b32_e32 v33, 29, v0
	v_and_b32_e32 v2, v2, v3
	v_not_b32_e32 v3, v33
	v_and_b32_e32 v1, exec_hi, v1
	v_cmp_gt_i64_e32 vcc, 0, v[32:33]
	v_ashrrev_i32_e32 v3, 31, v3
	v_and_b32_e32 v1, v1, v14
	v_xor_b32_e32 v14, vcc_hi, v3
	v_xor_b32_e32 v3, vcc_lo, v3
	v_lshlrev_b32_e32 v33, 28, v0
	v_and_b32_e32 v2, v2, v3
	v_not_b32_e32 v3, v33
	v_cmp_gt_i64_e32 vcc, 0, v[32:33]
	v_ashrrev_i32_e32 v3, 31, v3
	v_and_b32_e32 v1, v1, v14
	v_xor_b32_e32 v14, vcc_hi, v3
	v_xor_b32_e32 v3, vcc_lo, v3
	v_lshlrev_b32_e32 v33, 27, v0
	v_and_b32_e32 v2, v2, v3
	v_not_b32_e32 v3, v33
	;; [unrolled: 8-line block ×3, first 2 shown]
	v_cmp_gt_i64_e32 vcc, 0, v[32:33]
	v_ashrrev_i32_e32 v3, 31, v3
	v_and_b32_e32 v1, v1, v14
	v_xor_b32_e32 v14, vcc_hi, v3
	v_xor_b32_e32 v3, vcc_lo, v3
	v_lshlrev_b32_e32 v33, 25, v0
	v_and_b32_e32 v2, v2, v3
	v_cmp_gt_i64_e32 vcc, 0, v[32:33]
	v_not_b32_e32 v3, v33
	v_lshlrev_b32_e32 v33, 24, v0
	v_ashrrev_i32_e32 v3, 31, v3
	v_not_b32_e32 v0, v33
	v_and_b32_e32 v1, v1, v14
	v_xor_b32_e32 v14, vcc_hi, v3
	v_xor_b32_e32 v3, vcc_lo, v3
	v_cmp_gt_i64_e32 vcc, 0, v[32:33]
	v_ashrrev_i32_e32 v0, 31, v0
	v_and_b32_e32 v2, v2, v3
	v_xor_b32_e32 v3, vcc_hi, v0
	v_xor_b32_e32 v0, vcc_lo, v0
	v_and_b32_e32 v1, v1, v14
	v_and_b32_e32 v0, v2, v0
	;; [unrolled: 1-line block ×3, first 2 shown]
	v_mbcnt_lo_u32_b32 v2, v0, 0
	v_mbcnt_hi_u32_b32 v14, v1, v2
	v_cmp_eq_u32_e32 vcc, 0, v14
	v_cmp_ne_u64_e64 s[4:5], 0, v[0:1]
	s_and_b64 s[56:57], s[4:5], vcc
	; wave barrier
	s_and_saveexec_b64 s[4:5], s[56:57]
	s_cbranch_execz .LBB211_78
; %bb.77:                               ;   in Loop: Header=BB211_70 Depth=1
	v_bcnt_u32_b32 v0, v0, 0
	v_bcnt_u32_b32 v0, v1, v0
	s_waitcnt lgkmcnt(0)
	v_add_u32_e32 v0, v12, v0
	ds_write_b32 v13, v0
.LBB211_78:                             ;   in Loop: Header=BB211_70 Depth=1
	s_or_b64 exec, exec, s[4:5]
	v_cmp_ne_u32_e32 vcc, s53, v58
	v_cndmask_b32_e32 v0, v48, v58, vcc
	v_lshrrev_b32_e32 v0, s52, v0
	v_and_b32_e32 v0, s55, v0
	v_lshlrev_b32_e32 v1, 2, v0
	v_add_lshl_u32 v1, v1, v50, 2
	; wave barrier
	v_add_u32_e32 v40, 16, v1
	ds_read_b32 v15, v1 offset:16
	v_and_b32_e32 v1, 1, v0
	v_add_co_u32_e32 v2, vcc, -1, v1
	v_addc_co_u32_e64 v3, s[4:5], 0, -1, vcc
	v_cmp_ne_u32_e32 vcc, 0, v1
	v_lshlrev_b32_e32 v33, 30, v0
	v_xor_b32_e32 v1, vcc_hi, v3
	v_not_b32_e32 v3, v33
	v_xor_b32_e32 v2, vcc_lo, v2
	v_cmp_gt_i64_e32 vcc, 0, v[32:33]
	v_ashrrev_i32_e32 v3, 31, v3
	v_and_b32_e32 v1, exec_hi, v1
	v_xor_b32_e32 v33, vcc_hi, v3
	v_and_b32_e32 v2, exec_lo, v2
	v_xor_b32_e32 v3, vcc_lo, v3
	v_and_b32_e32 v1, v1, v33
	v_lshlrev_b32_e32 v33, 29, v0
	v_and_b32_e32 v2, v2, v3
	v_not_b32_e32 v3, v33
	v_cmp_gt_i64_e32 vcc, 0, v[32:33]
	v_ashrrev_i32_e32 v3, 31, v3
	v_xor_b32_e32 v33, vcc_hi, v3
	v_xor_b32_e32 v3, vcc_lo, v3
	v_and_b32_e32 v1, v1, v33
	v_lshlrev_b32_e32 v33, 28, v0
	v_and_b32_e32 v2, v2, v3
	v_not_b32_e32 v3, v33
	v_cmp_gt_i64_e32 vcc, 0, v[32:33]
	v_ashrrev_i32_e32 v3, 31, v3
	v_xor_b32_e32 v33, vcc_hi, v3
	;; [unrolled: 8-line block ×5, first 2 shown]
	v_and_b32_e32 v1, v1, v33
	v_lshlrev_b32_e32 v33, 24, v0
	v_not_b32_e32 v0, v33
	v_xor_b32_e32 v3, vcc_lo, v3
	v_cmp_gt_i64_e32 vcc, 0, v[32:33]
	v_ashrrev_i32_e32 v0, 31, v0
	v_and_b32_e32 v2, v2, v3
	v_xor_b32_e32 v3, vcc_hi, v0
	v_xor_b32_e32 v0, vcc_lo, v0
	v_and_b32_e32 v0, v2, v0
	v_and_b32_e32 v1, v1, v3
	v_mbcnt_lo_u32_b32 v2, v0, 0
	v_mbcnt_hi_u32_b32 v41, v1, v2
	v_cmp_eq_u32_e32 vcc, 0, v41
	v_cmp_ne_u64_e64 s[4:5], 0, v[0:1]
	s_and_b64 s[56:57], s[4:5], vcc
	; wave barrier
	s_and_saveexec_b64 s[4:5], s[56:57]
	s_cbranch_execz .LBB211_80
; %bb.79:                               ;   in Loop: Header=BB211_70 Depth=1
	v_bcnt_u32_b32 v0, v0, 0
	v_bcnt_u32_b32 v0, v1, v0
	s_waitcnt lgkmcnt(0)
	v_add_u32_e32 v0, v15, v0
	ds_write_b32 v40, v0
.LBB211_80:                             ;   in Loop: Header=BB211_70 Depth=1
	s_or_b64 exec, exec, s[4:5]
	v_cmp_ne_u32_e32 vcc, s53, v57
	v_cndmask_b32_e32 v0, v48, v57, vcc
	v_lshrrev_b32_e32 v0, s52, v0
	v_and_b32_e32 v0, s55, v0
	v_lshlrev_b32_e32 v1, 2, v0
	v_add_lshl_u32 v1, v1, v50, 2
	; wave barrier
	v_add_u32_e32 v43, 16, v1
	ds_read_b32 v42, v1 offset:16
	v_and_b32_e32 v1, 1, v0
	v_add_co_u32_e32 v2, vcc, -1, v1
	v_addc_co_u32_e64 v3, s[4:5], 0, -1, vcc
	v_cmp_ne_u32_e32 vcc, 0, v1
	v_lshlrev_b32_e32 v33, 30, v0
	v_xor_b32_e32 v1, vcc_hi, v3
	v_not_b32_e32 v3, v33
	v_xor_b32_e32 v2, vcc_lo, v2
	v_cmp_gt_i64_e32 vcc, 0, v[32:33]
	v_ashrrev_i32_e32 v3, 31, v3
	v_and_b32_e32 v1, exec_hi, v1
	v_xor_b32_e32 v33, vcc_hi, v3
	v_and_b32_e32 v2, exec_lo, v2
	v_xor_b32_e32 v3, vcc_lo, v3
	v_and_b32_e32 v1, v1, v33
	v_lshlrev_b32_e32 v33, 29, v0
	v_and_b32_e32 v2, v2, v3
	v_not_b32_e32 v3, v33
	v_cmp_gt_i64_e32 vcc, 0, v[32:33]
	v_ashrrev_i32_e32 v3, 31, v3
	v_xor_b32_e32 v33, vcc_hi, v3
	v_xor_b32_e32 v3, vcc_lo, v3
	v_and_b32_e32 v1, v1, v33
	v_lshlrev_b32_e32 v33, 28, v0
	v_and_b32_e32 v2, v2, v3
	v_not_b32_e32 v3, v33
	v_cmp_gt_i64_e32 vcc, 0, v[32:33]
	v_ashrrev_i32_e32 v3, 31, v3
	v_xor_b32_e32 v33, vcc_hi, v3
	;; [unrolled: 8-line block ×5, first 2 shown]
	v_and_b32_e32 v1, v1, v33
	v_lshlrev_b32_e32 v33, 24, v0
	v_not_b32_e32 v0, v33
	v_xor_b32_e32 v3, vcc_lo, v3
	v_cmp_gt_i64_e32 vcc, 0, v[32:33]
	v_ashrrev_i32_e32 v0, 31, v0
	v_and_b32_e32 v2, v2, v3
	v_xor_b32_e32 v3, vcc_hi, v0
	v_xor_b32_e32 v0, vcc_lo, v0
	v_and_b32_e32 v0, v2, v0
	v_and_b32_e32 v1, v1, v3
	v_mbcnt_lo_u32_b32 v2, v0, 0
	v_mbcnt_hi_u32_b32 v44, v1, v2
	v_cmp_eq_u32_e32 vcc, 0, v44
	v_cmp_ne_u64_e64 s[4:5], 0, v[0:1]
	s_and_b64 s[56:57], s[4:5], vcc
	; wave barrier
	s_and_saveexec_b64 s[4:5], s[56:57]
	s_cbranch_execz .LBB211_82
; %bb.81:                               ;   in Loop: Header=BB211_70 Depth=1
	v_bcnt_u32_b32 v0, v0, 0
	v_bcnt_u32_b32 v0, v1, v0
	s_waitcnt lgkmcnt(0)
	v_add_u32_e32 v0, v42, v0
	ds_write_b32 v43, v0
.LBB211_82:                             ;   in Loop: Header=BB211_70 Depth=1
	s_or_b64 exec, exec, s[4:5]
	v_cmp_ne_u32_e32 vcc, s53, v56
	v_cndmask_b32_e32 v0, v48, v56, vcc
	v_lshrrev_b32_e32 v0, s52, v0
	v_and_b32_e32 v0, s55, v0
	v_lshlrev_b32_e32 v1, 2, v0
	v_add_lshl_u32 v1, v1, v50, 2
	; wave barrier
	v_add_u32_e32 v46, 16, v1
	ds_read_b32 v45, v1 offset:16
	v_and_b32_e32 v1, 1, v0
	v_add_co_u32_e32 v2, vcc, -1, v1
	v_addc_co_u32_e64 v3, s[4:5], 0, -1, vcc
	v_cmp_ne_u32_e32 vcc, 0, v1
	v_lshlrev_b32_e32 v33, 30, v0
	v_xor_b32_e32 v1, vcc_hi, v3
	v_not_b32_e32 v3, v33
	v_xor_b32_e32 v2, vcc_lo, v2
	v_cmp_gt_i64_e32 vcc, 0, v[32:33]
	v_ashrrev_i32_e32 v3, 31, v3
	v_and_b32_e32 v1, exec_hi, v1
	v_xor_b32_e32 v33, vcc_hi, v3
	v_and_b32_e32 v2, exec_lo, v2
	v_xor_b32_e32 v3, vcc_lo, v3
	v_and_b32_e32 v1, v1, v33
	v_lshlrev_b32_e32 v33, 29, v0
	v_and_b32_e32 v2, v2, v3
	v_not_b32_e32 v3, v33
	v_cmp_gt_i64_e32 vcc, 0, v[32:33]
	v_ashrrev_i32_e32 v3, 31, v3
	v_xor_b32_e32 v33, vcc_hi, v3
	v_xor_b32_e32 v3, vcc_lo, v3
	v_and_b32_e32 v1, v1, v33
	v_lshlrev_b32_e32 v33, 28, v0
	v_and_b32_e32 v2, v2, v3
	v_not_b32_e32 v3, v33
	v_cmp_gt_i64_e32 vcc, 0, v[32:33]
	v_ashrrev_i32_e32 v3, 31, v3
	v_xor_b32_e32 v33, vcc_hi, v3
	;; [unrolled: 8-line block ×5, first 2 shown]
	v_and_b32_e32 v1, v1, v33
	v_lshlrev_b32_e32 v33, 24, v0
	v_not_b32_e32 v0, v33
	v_xor_b32_e32 v3, vcc_lo, v3
	v_cmp_gt_i64_e32 vcc, 0, v[32:33]
	v_ashrrev_i32_e32 v0, 31, v0
	v_and_b32_e32 v2, v2, v3
	v_xor_b32_e32 v3, vcc_hi, v0
	v_xor_b32_e32 v0, vcc_lo, v0
	v_and_b32_e32 v0, v2, v0
	v_and_b32_e32 v1, v1, v3
	v_mbcnt_lo_u32_b32 v2, v0, 0
	v_mbcnt_hi_u32_b32 v47, v1, v2
	v_cmp_eq_u32_e32 vcc, 0, v47
	v_cmp_ne_u64_e64 s[4:5], 0, v[0:1]
	s_and_b64 s[56:57], s[4:5], vcc
	; wave barrier
	s_and_saveexec_b64 s[4:5], s[56:57]
	s_cbranch_execz .LBB211_84
; %bb.83:                               ;   in Loop: Header=BB211_70 Depth=1
	v_bcnt_u32_b32 v0, v0, 0
	v_bcnt_u32_b32 v0, v1, v0
	s_waitcnt lgkmcnt(0)
	v_add_u32_e32 v0, v45, v0
	ds_write_b32 v46, v0
.LBB211_84:                             ;   in Loop: Header=BB211_70 Depth=1
	s_or_b64 exec, exec, s[4:5]
	v_cmp_ne_u32_e32 vcc, s53, v55
	v_cndmask_b32_e32 v0, v48, v55, vcc
	v_lshrrev_b32_e32 v0, s52, v0
	v_and_b32_e32 v0, s55, v0
	v_lshlrev_b32_e32 v1, 2, v0
	v_add_lshl_u32 v1, v1, v50, 2
	; wave barrier
	v_add_u32_e32 v64, 16, v1
	ds_read_b32 v63, v1 offset:16
	v_and_b32_e32 v1, 1, v0
	v_add_co_u32_e32 v2, vcc, -1, v1
	v_addc_co_u32_e64 v3, s[4:5], 0, -1, vcc
	v_cmp_ne_u32_e32 vcc, 0, v1
	v_lshlrev_b32_e32 v33, 30, v0
	v_xor_b32_e32 v1, vcc_hi, v3
	v_not_b32_e32 v3, v33
	v_xor_b32_e32 v2, vcc_lo, v2
	v_cmp_gt_i64_e32 vcc, 0, v[32:33]
	v_ashrrev_i32_e32 v3, 31, v3
	v_and_b32_e32 v1, exec_hi, v1
	v_xor_b32_e32 v33, vcc_hi, v3
	v_and_b32_e32 v2, exec_lo, v2
	v_xor_b32_e32 v3, vcc_lo, v3
	v_and_b32_e32 v1, v1, v33
	v_lshlrev_b32_e32 v33, 29, v0
	v_and_b32_e32 v2, v2, v3
	v_not_b32_e32 v3, v33
	v_cmp_gt_i64_e32 vcc, 0, v[32:33]
	v_ashrrev_i32_e32 v3, 31, v3
	v_xor_b32_e32 v33, vcc_hi, v3
	v_xor_b32_e32 v3, vcc_lo, v3
	v_and_b32_e32 v1, v1, v33
	v_lshlrev_b32_e32 v33, 28, v0
	v_and_b32_e32 v2, v2, v3
	v_not_b32_e32 v3, v33
	v_cmp_gt_i64_e32 vcc, 0, v[32:33]
	v_ashrrev_i32_e32 v3, 31, v3
	v_xor_b32_e32 v33, vcc_hi, v3
	;; [unrolled: 8-line block ×5, first 2 shown]
	v_and_b32_e32 v1, v1, v33
	v_lshlrev_b32_e32 v33, 24, v0
	v_not_b32_e32 v0, v33
	v_xor_b32_e32 v3, vcc_lo, v3
	v_cmp_gt_i64_e32 vcc, 0, v[32:33]
	v_ashrrev_i32_e32 v0, 31, v0
	v_and_b32_e32 v2, v2, v3
	v_xor_b32_e32 v3, vcc_hi, v0
	v_xor_b32_e32 v0, vcc_lo, v0
	v_and_b32_e32 v0, v2, v0
	v_and_b32_e32 v1, v1, v3
	v_mbcnt_lo_u32_b32 v2, v0, 0
	v_mbcnt_hi_u32_b32 v70, v1, v2
	v_cmp_eq_u32_e32 vcc, 0, v70
	v_cmp_ne_u64_e64 s[4:5], 0, v[0:1]
	s_and_b64 s[56:57], s[4:5], vcc
	; wave barrier
	s_and_saveexec_b64 s[4:5], s[56:57]
	s_cbranch_execz .LBB211_86
; %bb.85:                               ;   in Loop: Header=BB211_70 Depth=1
	v_bcnt_u32_b32 v0, v0, 0
	v_bcnt_u32_b32 v0, v1, v0
	s_waitcnt lgkmcnt(0)
	v_add_u32_e32 v0, v63, v0
	ds_write_b32 v64, v0
.LBB211_86:                             ;   in Loop: Header=BB211_70 Depth=1
	s_or_b64 exec, exec, s[4:5]
	; wave barrier
	s_waitcnt lgkmcnt(0)
	s_barrier
	ds_read2_b32 v[2:3], v89 offset0:4 offset1:5
	ds_read2_b32 v[0:1], v49 offset0:2 offset1:3
	s_waitcnt lgkmcnt(1)
	v_add_u32_e32 v33, v3, v2
	s_waitcnt lgkmcnt(0)
	v_add3_u32 v1, v33, v0, v1
	s_nop 1
	v_mov_b32_dpp v33, v1 row_shr:1 row_mask:0xf bank_mask:0xf
	v_cndmask_b32_e64 v33, v33, 0, s[16:17]
	v_add_u32_e32 v1, v33, v1
	s_nop 1
	v_mov_b32_dpp v33, v1 row_shr:2 row_mask:0xf bank_mask:0xf
	v_cndmask_b32_e64 v33, 0, v33, s[18:19]
	v_add_u32_e32 v1, v1, v33
	s_nop 1
	v_mov_b32_dpp v33, v1 row_shr:4 row_mask:0xf bank_mask:0xf
	v_cndmask_b32_e64 v33, 0, v33, s[20:21]
	v_add_u32_e32 v1, v1, v33
	s_nop 1
	v_mov_b32_dpp v33, v1 row_shr:8 row_mask:0xf bank_mask:0xf
	v_cndmask_b32_e64 v33, 0, v33, s[22:23]
	v_add_u32_e32 v1, v1, v33
	s_nop 1
	v_mov_b32_dpp v33, v1 row_bcast:15 row_mask:0xf bank_mask:0xf
	v_cndmask_b32_e64 v33, v33, 0, s[24:25]
	v_add_u32_e32 v1, v1, v33
	s_nop 1
	v_mov_b32_dpp v33, v1 row_bcast:31 row_mask:0xf bank_mask:0xf
	v_cndmask_b32_e64 v33, 0, v33, s[26:27]
	v_add_u32_e32 v1, v1, v33
	s_and_saveexec_b64 s[4:5], s[28:29]
	s_cbranch_execz .LBB211_88
; %bb.87:                               ;   in Loop: Header=BB211_70 Depth=1
	ds_write_b32 v38, v1
.LBB211_88:                             ;   in Loop: Header=BB211_70 Depth=1
	s_or_b64 exec, exec, s[4:5]
	s_waitcnt lgkmcnt(0)
	s_barrier
	s_and_saveexec_b64 s[4:5], s[30:31]
	s_cbranch_execz .LBB211_90
; %bb.89:                               ;   in Loop: Header=BB211_70 Depth=1
	ds_read_b32 v33, v88
	s_waitcnt lgkmcnt(0)
	s_nop 0
	v_mov_b32_dpp v65, v33 row_shr:1 row_mask:0xf bank_mask:0xf
	v_cndmask_b32_e64 v65, v65, 0, s[40:41]
	v_add_u32_e32 v33, v65, v33
	s_nop 1
	v_mov_b32_dpp v65, v33 row_shr:2 row_mask:0xf bank_mask:0xf
	v_cndmask_b32_e64 v65, 0, v65, s[42:43]
	v_add_u32_e32 v33, v33, v65
	ds_write_b32 v88, v33
.LBB211_90:                             ;   in Loop: Header=BB211_70 Depth=1
	s_or_b64 exec, exec, s[4:5]
	v_mov_b32_e32 v33, 0
	s_waitcnt lgkmcnt(0)
	s_barrier
	s_and_saveexec_b64 s[4:5], s[34:35]
	s_cbranch_execz .LBB211_92
; %bb.91:                               ;   in Loop: Header=BB211_70 Depth=1
	ds_read_b32 v33, v52
.LBB211_92:                             ;   in Loop: Header=BB211_70 Depth=1
	s_or_b64 exec, exec, s[4:5]
	s_waitcnt lgkmcnt(0)
	v_add_u32_e32 v1, v33, v1
	ds_bpermute_b32 v1, v51, v1
	s_cmp_gt_u32 s52, 23
	s_waitcnt lgkmcnt(0)
	v_cndmask_b32_e64 v1, v1, v33, s[36:37]
	v_cndmask_b32_e64 v1, v1, 0, s[38:39]
	v_add_u32_e32 v2, v1, v2
	v_add_u32_e32 v3, v2, v3
	;; [unrolled: 1-line block ×3, first 2 shown]
	ds_write2_b32 v89, v1, v2 offset0:4 offset1:5
	ds_write2_b32 v49, v3, v0 offset0:2 offset1:3
	s_waitcnt lgkmcnt(0)
	s_barrier
	ds_read_b32 v0, v4
	ds_read_b32 v1, v7
	;; [unrolled: 1-line block ×8, first 2 shown]
	s_waitcnt lgkmcnt(7)
	v_add_u32_e32 v33, v0, v5
	s_waitcnt lgkmcnt(6)
	v_add3_u32 v64, v8, v6, v1
	s_waitcnt lgkmcnt(5)
	v_add3_u32 v65, v11, v9, v2
	;; [unrolled: 2-line block ×7, first 2 shown]
	s_cbranch_scc0 .LBB211_69
; %bb.93:
                                        ; implicit-def: $vgpr47
                                        ; implicit-def: $vgpr45
                                        ; implicit-def: $vgpr43
                                        ; implicit-def: $vgpr41
                                        ; implicit-def: $vgpr14_vgpr15
                                        ; implicit-def: $vgpr10_vgpr11
                                        ; implicit-def: $vgpr6_vgpr7
                                        ; implicit-def: $vgpr2_vgpr3
                                        ; implicit-def: $sgpr52
                                        ; implicit-def: $sgpr54
.LBB211_94:
	v_lshlrev_b32_e32 v0, 2, v33
	s_barrier
	ds_write_b32 v0, v62
	v_lshlrev_b32_e32 v0, 2, v64
	ds_write_b32 v0, v61
	v_lshlrev_b32_e32 v0, 2, v65
	;; [unrolled: 2-line block ×7, first 2 shown]
	v_lshlrev_b32_e32 v6, 2, v87
	ds_write_b32 v0, v55
	s_waitcnt lgkmcnt(0)
	s_barrier
	ds_read2_b32 v[0:1], v6 offset1:1
	ds_read2_b32 v[2:3], v6 offset0:2 offset1:3
	ds_read2_b32 v[4:5], v6 offset0:4 offset1:5
	;; [unrolled: 1-line block ×3, first 2 shown]
	v_bfrev_b32_e32 v38, -2
	v_lshlrev_b32_e32 v8, 3, v33
	v_lshlrev_b32_e32 v32, 3, v87
	s_waitcnt lgkmcnt(3)
	v_cmp_gt_i32_e32 vcc, 0, v1
	v_cndmask_b32_e64 v33, v38, 0, vcc
	v_cmp_gt_i32_e32 vcc, 0, v0
	v_lshlrev_b32_e32 v9, 3, v64
	v_lshlrev_b32_e32 v10, 3, v65
	;; [unrolled: 1-line block ×7, first 2 shown]
	v_cndmask_b32_e64 v40, v38, 0, vcc
	v_xor_b32_e32 v63, v33, v1
	s_waitcnt lgkmcnt(2)
	v_cmp_gt_i32_e32 vcc, 0, v3
	s_waitcnt lgkmcnt(0)
	s_barrier
	ds_write_b64 v8, v[30:31]
	ds_write_b64 v9, v[28:29]
	;; [unrolled: 1-line block ×8, first 2 shown]
	s_waitcnt lgkmcnt(0)
	s_barrier
	ds_read2_b64 v[18:21], v32 offset1:1
	ds_read2_b64 v[22:25], v32 offset0:2 offset1:3
	ds_read2_b64 v[26:29], v32 offset0:4 offset1:5
	;; [unrolled: 1-line block ×3, first 2 shown]
	v_xor_b32_e32 v62, v40, v0
	v_cndmask_b32_e64 v0, v38, 0, vcc
	v_cmp_gt_i32_e32 vcc, 0, v2
	v_cndmask_b32_e64 v1, v38, 0, vcc
	v_cmp_gt_i32_e32 vcc, 0, v5
	v_xor_b32_e32 v65, v0, v3
	v_cndmask_b32_e64 v0, v38, 0, vcc
	v_cmp_gt_i32_e32 vcc, 0, v4
	v_xor_b32_e32 v64, v1, v2
	;; [unrolled: 3-line block ×4, first 2 shown]
	v_cndmask_b32_e64 v0, v38, 0, vcc
	v_xor_b32_e32 v0, v0, v6
	v_xor_b32_e32 v1, v1, v7
.LBB211_95:
	s_waitcnt lgkmcnt(0)
	s_barrier
	ds_write2_b32 v78, v62, v63 offset1:1
	ds_write2_b32 v78, v64, v65 offset0:2 offset1:3
	ds_write2_b32 v78, v66, v67 offset0:4 offset1:5
	ds_write2_b32 v78, v0, v1 offset0:6 offset1:7
	s_waitcnt lgkmcnt(0)
	s_barrier
	ds_read_b32 v8, v35 offset:1024
	ds_read_b32 v7, v72 offset:2048
	;; [unrolled: 1-line block ×7, first 2 shown]
	v_mov_b32_e32 v35, 0
	v_lshlrev_b64 v[0:1], 2, v[34:35]
	v_mov_b32_e32 v9, s47
	v_add_co_u32_e32 v0, vcc, s33, v0
	v_addc_co_u32_e32 v1, vcc, v9, v1, vcc
	s_and_saveexec_b64 s[4:5], s[0:1]
	s_cbranch_execnz .LBB211_114
; %bb.96:
	s_or_b64 exec, exec, s[4:5]
	s_and_saveexec_b64 s[4:5], s[2:3]
	s_cbranch_execnz .LBB211_115
.LBB211_97:
	s_or_b64 exec, exec, s[4:5]
	s_and_saveexec_b64 s[4:5], s[44:45]
	s_cbranch_execnz .LBB211_116
.LBB211_98:
	s_or_b64 exec, exec, s[4:5]
	s_and_saveexec_b64 s[4:5], s[6:7]
	s_cbranch_execnz .LBB211_117
.LBB211_99:
	s_or_b64 exec, exec, s[4:5]
	s_and_saveexec_b64 s[4:5], s[8:9]
	s_cbranch_execnz .LBB211_118
.LBB211_100:
	s_or_b64 exec, exec, s[4:5]
	s_and_saveexec_b64 s[4:5], s[10:11]
	s_cbranch_execnz .LBB211_119
.LBB211_101:
	s_or_b64 exec, exec, s[4:5]
	s_and_saveexec_b64 s[4:5], s[12:13]
	s_cbranch_execnz .LBB211_120
.LBB211_102:
	s_or_b64 exec, exec, s[4:5]
	s_and_saveexec_b64 s[4:5], s[14:15]
	s_cbranch_execz .LBB211_104
.LBB211_103:
	s_mul_i32 s16, s50, 0x700
	s_mov_b32 s17, 0
	s_lshl_b64 s[16:17], s[16:17], 2
	s_waitcnt lgkmcnt(1)
	v_mov_b32_e32 v3, s17
	v_add_co_u32_e32 v0, vcc, s16, v0
	v_addc_co_u32_e32 v1, vcc, v1, v3, vcc
	s_waitcnt lgkmcnt(0)
	global_store_dword v[0:1], v2, off
.LBB211_104:
	s_or_b64 exec, exec, s[4:5]
	s_waitcnt lgkmcnt(0)
	s_barrier
	ds_write2_b64 v86, v[18:19], v[20:21] offset1:1
	ds_write2_b64 v86, v[22:23], v[24:25] offset0:2 offset1:3
	ds_write2_b64 v86, v[26:27], v[28:29] offset0:4 offset1:5
	;; [unrolled: 1-line block ×3, first 2 shown]
	s_waitcnt lgkmcnt(0)
	s_barrier
	ds_read_b64 v[14:15], v37 offset:2048
	ds_read_b64 v[12:13], v80 offset:4096
	;; [unrolled: 1-line block ×7, first 2 shown]
	v_mov_b32_e32 v37, 0
	v_lshlrev_b64 v[2:3], 3, v[36:37]
	v_mov_b32_e32 v16, s49
	v_add_co_u32_e32 v2, vcc, s48, v2
	v_addc_co_u32_e32 v3, vcc, v16, v3, vcc
	s_and_saveexec_b64 s[4:5], s[0:1]
	s_cbranch_execnz .LBB211_121
; %bb.105:
	s_or_b64 exec, exec, s[4:5]
	s_and_saveexec_b64 s[0:1], s[2:3]
	s_cbranch_execnz .LBB211_122
.LBB211_106:
	s_or_b64 exec, exec, s[0:1]
	s_and_saveexec_b64 s[0:1], s[44:45]
	s_cbranch_execnz .LBB211_123
.LBB211_107:
	s_or_b64 exec, exec, s[0:1]
	s_and_saveexec_b64 s[0:1], s[6:7]
	s_cbranch_execnz .LBB211_124
.LBB211_108:
	s_or_b64 exec, exec, s[0:1]
	s_and_saveexec_b64 s[0:1], s[8:9]
	s_cbranch_execnz .LBB211_125
.LBB211_109:
	s_or_b64 exec, exec, s[0:1]
	s_and_saveexec_b64 s[0:1], s[10:11]
	s_cbranch_execnz .LBB211_126
.LBB211_110:
	s_or_b64 exec, exec, s[0:1]
	s_and_saveexec_b64 s[0:1], s[12:13]
	s_cbranch_execnz .LBB211_127
.LBB211_111:
	s_or_b64 exec, exec, s[0:1]
	s_and_saveexec_b64 s[0:1], s[14:15]
	s_cbranch_execz .LBB211_113
.LBB211_112:
	s_mul_i32 s0, s46, 0x700
	s_mov_b32 s1, 0
	s_lshl_b64 s[0:1], s[0:1], 3
	s_waitcnt lgkmcnt(1)
	v_mov_b32_e32 v4, s1
	v_add_co_u32_e32 v2, vcc, s0, v2
	v_addc_co_u32_e32 v3, vcc, v3, v4, vcc
	s_waitcnt lgkmcnt(0)
	global_store_dwordx2 v[2:3], v[0:1], off
.LBB211_113:
	s_endpgm
.LBB211_114:
	ds_read_b32 v9, v39
	s_waitcnt lgkmcnt(0)
	global_store_dword v[0:1], v9, off
	s_or_b64 exec, exec, s[4:5]
	s_and_saveexec_b64 s[4:5], s[2:3]
	s_cbranch_execz .LBB211_97
.LBB211_115:
	s_lshl_b32 s16, s50, 8
	s_mov_b32 s17, 0
	s_lshl_b64 s[16:17], s[16:17], 2
	v_mov_b32_e32 v9, s17
	v_add_co_u32_e32 v10, vcc, s16, v0
	v_addc_co_u32_e32 v11, vcc, v1, v9, vcc
	s_waitcnt lgkmcnt(6)
	global_store_dword v[10:11], v8, off
	s_or_b64 exec, exec, s[4:5]
	s_and_saveexec_b64 s[4:5], s[44:45]
	s_cbranch_execz .LBB211_98
.LBB211_116:
	s_lshl_b32 s16, s50, 9
	s_mov_b32 s17, 0
	s_lshl_b64 s[16:17], s[16:17], 2
	v_mov_b32_e32 v9, s17
	s_waitcnt lgkmcnt(6)
	v_add_co_u32_e32 v8, vcc, s16, v0
	v_addc_co_u32_e32 v9, vcc, v1, v9, vcc
	s_waitcnt lgkmcnt(5)
	global_store_dword v[8:9], v7, off
	s_or_b64 exec, exec, s[4:5]
	s_and_saveexec_b64 s[4:5], s[6:7]
	s_cbranch_execz .LBB211_99
.LBB211_117:
	s_mul_i32 s16, s50, 0x300
	s_mov_b32 s17, 0
	s_lshl_b64 s[16:17], s[16:17], 2
	s_waitcnt lgkmcnt(5)
	v_mov_b32_e32 v7, s17
	v_add_co_u32_e32 v8, vcc, s16, v0
	v_addc_co_u32_e32 v9, vcc, v1, v7, vcc
	s_waitcnt lgkmcnt(4)
	global_store_dword v[8:9], v6, off
	s_or_b64 exec, exec, s[4:5]
	s_and_saveexec_b64 s[4:5], s[8:9]
	s_cbranch_execz .LBB211_100
.LBB211_118:
	s_lshl_b32 s16, s50, 10
	s_mov_b32 s17, 0
	s_lshl_b64 s[16:17], s[16:17], 2
	s_waitcnt lgkmcnt(5)
	v_mov_b32_e32 v7, s17
	s_waitcnt lgkmcnt(4)
	v_add_co_u32_e32 v6, vcc, s16, v0
	v_addc_co_u32_e32 v7, vcc, v1, v7, vcc
	s_waitcnt lgkmcnt(3)
	global_store_dword v[6:7], v5, off
	s_or_b64 exec, exec, s[4:5]
	s_and_saveexec_b64 s[4:5], s[10:11]
	s_cbranch_execz .LBB211_101
.LBB211_119:
	s_mul_i32 s16, s50, 0x500
	s_mov_b32 s17, 0
	s_lshl_b64 s[16:17], s[16:17], 2
	s_waitcnt lgkmcnt(3)
	v_mov_b32_e32 v5, s17
	v_add_co_u32_e32 v6, vcc, s16, v0
	v_addc_co_u32_e32 v7, vcc, v1, v5, vcc
	s_waitcnt lgkmcnt(2)
	global_store_dword v[6:7], v4, off
	s_or_b64 exec, exec, s[4:5]
	s_and_saveexec_b64 s[4:5], s[12:13]
	s_cbranch_execz .LBB211_102
.LBB211_120:
	s_mul_i32 s16, s50, 0x600
	s_mov_b32 s17, 0
	s_lshl_b64 s[16:17], s[16:17], 2
	s_waitcnt lgkmcnt(3)
	v_mov_b32_e32 v5, s17
	s_waitcnt lgkmcnt(2)
	v_add_co_u32_e32 v4, vcc, s16, v0
	v_addc_co_u32_e32 v5, vcc, v1, v5, vcc
	s_waitcnt lgkmcnt(1)
	global_store_dword v[4:5], v3, off
	s_or_b64 exec, exec, s[4:5]
	s_and_saveexec_b64 s[4:5], s[14:15]
	s_cbranch_execnz .LBB211_103
	s_branch .LBB211_104
.LBB211_121:
	ds_read_b64 v[16:17], v79
	s_waitcnt lgkmcnt(0)
	global_store_dwordx2 v[2:3], v[16:17], off
	s_or_b64 exec, exec, s[4:5]
	s_and_saveexec_b64 s[0:1], s[2:3]
	s_cbranch_execz .LBB211_106
.LBB211_122:
	s_lshl_b32 s2, s46, 8
	s_mov_b32 s3, 0
	s_lshl_b64 s[2:3], s[2:3], 3
	v_mov_b32_e32 v17, s3
	v_add_co_u32_e32 v16, vcc, s2, v2
	v_addc_co_u32_e32 v17, vcc, v3, v17, vcc
	s_waitcnt lgkmcnt(6)
	global_store_dwordx2 v[16:17], v[14:15], off
	s_or_b64 exec, exec, s[0:1]
	s_and_saveexec_b64 s[0:1], s[44:45]
	s_cbranch_execz .LBB211_107
.LBB211_123:
	s_lshl_b32 s2, s46, 9
	s_mov_b32 s3, 0
	s_lshl_b64 s[2:3], s[2:3], 3
	s_waitcnt lgkmcnt(6)
	v_mov_b32_e32 v15, s3
	v_add_co_u32_e32 v14, vcc, s2, v2
	v_addc_co_u32_e32 v15, vcc, v3, v15, vcc
	s_waitcnt lgkmcnt(5)
	global_store_dwordx2 v[14:15], v[12:13], off
	s_or_b64 exec, exec, s[0:1]
	s_and_saveexec_b64 s[0:1], s[6:7]
	s_cbranch_execz .LBB211_108
.LBB211_124:
	s_mul_i32 s2, s46, 0x300
	s_mov_b32 s3, 0
	s_lshl_b64 s[2:3], s[2:3], 3
	s_waitcnt lgkmcnt(5)
	v_mov_b32_e32 v13, s3
	v_add_co_u32_e32 v12, vcc, s2, v2
	v_addc_co_u32_e32 v13, vcc, v3, v13, vcc
	s_waitcnt lgkmcnt(4)
	global_store_dwordx2 v[12:13], v[10:11], off
	s_or_b64 exec, exec, s[0:1]
	s_and_saveexec_b64 s[0:1], s[8:9]
	s_cbranch_execz .LBB211_109
.LBB211_125:
	s_lshl_b32 s2, s46, 10
	s_mov_b32 s3, 0
	s_lshl_b64 s[2:3], s[2:3], 3
	s_waitcnt lgkmcnt(4)
	v_mov_b32_e32 v11, s3
	v_add_co_u32_e32 v10, vcc, s2, v2
	v_addc_co_u32_e32 v11, vcc, v3, v11, vcc
	s_waitcnt lgkmcnt(3)
	global_store_dwordx2 v[10:11], v[8:9], off
	s_or_b64 exec, exec, s[0:1]
	s_and_saveexec_b64 s[0:1], s[10:11]
	s_cbranch_execz .LBB211_110
.LBB211_126:
	s_mul_i32 s2, s46, 0x500
	s_mov_b32 s3, 0
	s_lshl_b64 s[2:3], s[2:3], 3
	s_waitcnt lgkmcnt(3)
	v_mov_b32_e32 v9, s3
	v_add_co_u32_e32 v8, vcc, s2, v2
	v_addc_co_u32_e32 v9, vcc, v3, v9, vcc
	s_waitcnt lgkmcnt(2)
	global_store_dwordx2 v[8:9], v[6:7], off
	s_or_b64 exec, exec, s[0:1]
	s_and_saveexec_b64 s[0:1], s[12:13]
	s_cbranch_execz .LBB211_111
.LBB211_127:
	s_mul_i32 s2, s46, 0x600
	s_mov_b32 s3, 0
	s_lshl_b64 s[2:3], s[2:3], 3
	s_waitcnt lgkmcnt(2)
	v_mov_b32_e32 v7, s3
	v_add_co_u32_e32 v6, vcc, s2, v2
	v_addc_co_u32_e32 v7, vcc, v3, v7, vcc
	s_waitcnt lgkmcnt(1)
	global_store_dwordx2 v[6:7], v[4:5], off
	s_or_b64 exec, exec, s[0:1]
	s_and_saveexec_b64 s[0:1], s[14:15]
	s_cbranch_execnz .LBB211_112
	s_branch .LBB211_113
	.section	.rodata,"a",@progbits
	.p2align	6, 0x0
	.amdhsa_kernel _ZN2at6native18radixSortKVInPlaceILin1ELin1ELi256ELi8EfljEEvNS_4cuda6detail10TensorInfoIT3_T5_EES6_S6_S6_NS4_IT4_S6_EES6_b
		.amdhsa_group_segment_fixed_size 16896
		.amdhsa_private_segment_fixed_size 0
		.amdhsa_kernarg_size 712
		.amdhsa_user_sgpr_count 6
		.amdhsa_user_sgpr_private_segment_buffer 1
		.amdhsa_user_sgpr_dispatch_ptr 0
		.amdhsa_user_sgpr_queue_ptr 0
		.amdhsa_user_sgpr_kernarg_segment_ptr 1
		.amdhsa_user_sgpr_dispatch_id 0
		.amdhsa_user_sgpr_flat_scratch_init 0
		.amdhsa_user_sgpr_kernarg_preload_length 0
		.amdhsa_user_sgpr_kernarg_preload_offset 0
		.amdhsa_user_sgpr_private_segment_size 0
		.amdhsa_uses_dynamic_stack 0
		.amdhsa_system_sgpr_private_segment_wavefront_offset 0
		.amdhsa_system_sgpr_workgroup_id_x 1
		.amdhsa_system_sgpr_workgroup_id_y 1
		.amdhsa_system_sgpr_workgroup_id_z 1
		.amdhsa_system_sgpr_workgroup_info 0
		.amdhsa_system_vgpr_workitem_id 2
		.amdhsa_next_free_vgpr 118
		.amdhsa_next_free_sgpr 60
		.amdhsa_accum_offset 120
		.amdhsa_reserve_vcc 1
		.amdhsa_reserve_flat_scratch 0
		.amdhsa_float_round_mode_32 0
		.amdhsa_float_round_mode_16_64 0
		.amdhsa_float_denorm_mode_32 3
		.amdhsa_float_denorm_mode_16_64 3
		.amdhsa_dx10_clamp 1
		.amdhsa_ieee_mode 1
		.amdhsa_fp16_overflow 0
		.amdhsa_tg_split 0
		.amdhsa_exception_fp_ieee_invalid_op 0
		.amdhsa_exception_fp_denorm_src 0
		.amdhsa_exception_fp_ieee_div_zero 0
		.amdhsa_exception_fp_ieee_overflow 0
		.amdhsa_exception_fp_ieee_underflow 0
		.amdhsa_exception_fp_ieee_inexact 0
		.amdhsa_exception_int_div_zero 0
	.end_amdhsa_kernel
	.section	.text._ZN2at6native18radixSortKVInPlaceILin1ELin1ELi256ELi8EfljEEvNS_4cuda6detail10TensorInfoIT3_T5_EES6_S6_S6_NS4_IT4_S6_EES6_b,"axG",@progbits,_ZN2at6native18radixSortKVInPlaceILin1ELin1ELi256ELi8EfljEEvNS_4cuda6detail10TensorInfoIT3_T5_EES6_S6_S6_NS4_IT4_S6_EES6_b,comdat
.Lfunc_end211:
	.size	_ZN2at6native18radixSortKVInPlaceILin1ELin1ELi256ELi8EfljEEvNS_4cuda6detail10TensorInfoIT3_T5_EES6_S6_S6_NS4_IT4_S6_EES6_b, .Lfunc_end211-_ZN2at6native18radixSortKVInPlaceILin1ELin1ELi256ELi8EfljEEvNS_4cuda6detail10TensorInfoIT3_T5_EES6_S6_S6_NS4_IT4_S6_EES6_b
                                        ; -- End function
	.section	.AMDGPU.csdata,"",@progbits
; Kernel info:
; codeLenInByte = 13552
; NumSgprs: 64
; NumVgprs: 118
; NumAgprs: 0
; TotalNumVgprs: 118
; ScratchSize: 0
; MemoryBound: 0
; FloatMode: 240
; IeeeMode: 1
; LDSByteSize: 16896 bytes/workgroup (compile time only)
; SGPRBlocks: 7
; VGPRBlocks: 14
; NumSGPRsForWavesPerEU: 64
; NumVGPRsForWavesPerEU: 118
; AccumOffset: 120
; Occupancy: 3
; WaveLimiterHint : 1
; COMPUTE_PGM_RSRC2:SCRATCH_EN: 0
; COMPUTE_PGM_RSRC2:USER_SGPR: 6
; COMPUTE_PGM_RSRC2:TRAP_HANDLER: 0
; COMPUTE_PGM_RSRC2:TGID_X_EN: 1
; COMPUTE_PGM_RSRC2:TGID_Y_EN: 1
; COMPUTE_PGM_RSRC2:TGID_Z_EN: 1
; COMPUTE_PGM_RSRC2:TIDIG_COMP_CNT: 2
; COMPUTE_PGM_RSRC3_GFX90A:ACCUM_OFFSET: 29
; COMPUTE_PGM_RSRC3_GFX90A:TG_SPLIT: 0
	.section	.text._ZN2at6native18radixSortKVInPlaceILin1ELin1ELi128ELi8EfljEEvNS_4cuda6detail10TensorInfoIT3_T5_EES6_S6_S6_NS4_IT4_S6_EES6_b,"axG",@progbits,_ZN2at6native18radixSortKVInPlaceILin1ELin1ELi128ELi8EfljEEvNS_4cuda6detail10TensorInfoIT3_T5_EES6_S6_S6_NS4_IT4_S6_EES6_b,comdat
	.protected	_ZN2at6native18radixSortKVInPlaceILin1ELin1ELi128ELi8EfljEEvNS_4cuda6detail10TensorInfoIT3_T5_EES6_S6_S6_NS4_IT4_S6_EES6_b ; -- Begin function _ZN2at6native18radixSortKVInPlaceILin1ELin1ELi128ELi8EfljEEvNS_4cuda6detail10TensorInfoIT3_T5_EES6_S6_S6_NS4_IT4_S6_EES6_b
	.globl	_ZN2at6native18radixSortKVInPlaceILin1ELin1ELi128ELi8EfljEEvNS_4cuda6detail10TensorInfoIT3_T5_EES6_S6_S6_NS4_IT4_S6_EES6_b
	.p2align	8
	.type	_ZN2at6native18radixSortKVInPlaceILin1ELin1ELi128ELi8EfljEEvNS_4cuda6detail10TensorInfoIT3_T5_EES6_S6_S6_NS4_IT4_S6_EES6_b,@function
_ZN2at6native18radixSortKVInPlaceILin1ELin1ELi128ELi8EfljEEvNS_4cuda6detail10TensorInfoIT3_T5_EES6_S6_S6_NS4_IT4_S6_EES6_b: ; @_ZN2at6native18radixSortKVInPlaceILin1ELin1ELi128ELi8EfljEEvNS_4cuda6detail10TensorInfoIT3_T5_EES6_S6_S6_NS4_IT4_S6_EES6_b
; %bb.0:
	s_load_dwordx2 s[0:1], s[4:5], 0x1c8
	s_load_dwordx4 s[44:47], s[4:5], 0xd8
	s_add_u32 s50, s4, 0x1c8
	s_addc_u32 s51, s5, 0
	s_waitcnt lgkmcnt(0)
	s_mul_i32 s1, s1, s8
	s_add_i32 s1, s1, s7
	s_mul_i32 s0, s1, s0
	s_add_i32 s20, s0, s6
	s_cmp_ge_u32 s20, s44
	s_cbranch_scc1 .LBB212_113
; %bb.1:
	s_load_dword s2, s[4:5], 0xd0
	s_mov_b32 s1, 0
	s_mov_b32 s0, s20
	s_waitcnt lgkmcnt(0)
	s_cmp_lt_i32 s2, 2
	s_cbranch_scc1 .LBB212_4
; %bb.2:
	s_add_i32 s0, s2, -1
	s_add_i32 s6, s2, 1
	s_lshl_b64 s[2:3], s[0:1], 2
	s_add_u32 s0, s2, s4
	s_addc_u32 s3, s3, s5
	s_add_u32 s2, s0, 8
	s_addc_u32 s3, s3, 0
	s_mov_b32 s0, s20
.LBB212_3:                              ; =>This Inner Loop Header: Depth=1
	s_load_dword s7, s[2:3], 0x0
	s_load_dword s9, s[2:3], 0x64
	s_mov_b32 s8, s0
	s_waitcnt lgkmcnt(0)
	v_cvt_f32_u32_e32 v1, s7
	s_sub_i32 s0, 0, s7
	v_rcp_iflag_f32_e32 v1, v1
	v_mul_f32_e32 v1, 0x4f7ffffe, v1
	v_cvt_u32_f32_e32 v1, v1
	v_readfirstlane_b32 s10, v1
	s_mul_i32 s0, s0, s10
	s_mul_hi_u32 s0, s10, s0
	s_add_i32 s10, s10, s0
	s_mul_hi_u32 s0, s8, s10
	s_mul_i32 s10, s0, s7
	s_sub_i32 s10, s8, s10
	s_add_i32 s11, s0, 1
	s_sub_i32 s12, s10, s7
	s_cmp_ge_u32 s10, s7
	s_cselect_b32 s0, s11, s0
	s_cselect_b32 s10, s12, s10
	s_add_i32 s11, s0, 1
	s_cmp_ge_u32 s10, s7
	s_cselect_b32 s0, s11, s0
	s_mul_i32 s7, s0, s7
	s_sub_i32 s7, s8, s7
	s_mul_i32 s7, s9, s7
	s_add_i32 s6, s6, -1
	s_add_i32 s1, s7, s1
	s_add_u32 s2, s2, -4
	s_addc_u32 s3, s3, -1
	s_cmp_gt_u32 s6, 2
	s_cbranch_scc1 .LBB212_3
.LBB212_4:
	s_load_dword s2, s[4:5], 0x1b8
	s_mov_b32 s17, 0
	s_waitcnt lgkmcnt(0)
	s_cmp_lt_i32 s2, 2
	s_cbranch_scc1 .LBB212_7
; %bb.5:
	s_add_i32 s16, s2, -1
	s_add_i32 s6, s2, 1
	s_lshl_b64 s[2:3], s[16:17], 2
	s_add_u32 s2, s2, s4
	s_addc_u32 s3, s3, s5
	s_add_u32 s2, s2, 0xf0
	s_addc_u32 s3, s3, 0
.LBB212_6:                              ; =>This Inner Loop Header: Depth=1
	s_load_dword s7, s[2:3], 0x0
	s_load_dword s9, s[2:3], 0x64
	s_mov_b32 s8, s20
	s_waitcnt lgkmcnt(0)
	v_cvt_f32_u32_e32 v1, s7
	s_sub_i32 s10, 0, s7
	v_rcp_iflag_f32_e32 v1, v1
	v_mul_f32_e32 v1, 0x4f7ffffe, v1
	v_cvt_u32_f32_e32 v1, v1
	v_readfirstlane_b32 s11, v1
	s_mul_i32 s10, s10, s11
	s_mul_hi_u32 s10, s11, s10
	s_add_i32 s11, s11, s10
	s_mul_hi_u32 s10, s20, s11
	s_mul_i32 s11, s10, s7
	s_sub_i32 s11, s20, s11
	s_add_i32 s12, s10, 1
	s_sub_i32 s13, s11, s7
	s_cmp_ge_u32 s11, s7
	s_cselect_b32 s10, s12, s10
	s_cselect_b32 s11, s13, s11
	s_add_i32 s12, s10, 1
	s_cmp_ge_u32 s11, s7
	s_cselect_b32 s20, s12, s10
	s_mul_i32 s7, s20, s7
	s_sub_i32 s7, s8, s7
	s_mul_i32 s7, s9, s7
	s_add_i32 s6, s6, -1
	s_add_i32 s17, s7, s17
	s_add_u32 s2, s2, -4
	s_addc_u32 s3, s3, -1
	s_cmp_gt_u32 s6, 2
	s_cbranch_scc1 .LBB212_6
.LBB212_7:
	s_load_dword s2, s[4:5], 0x6c
	s_load_dwordx2 s[48:49], s[4:5], 0x1c0
	s_mov_b32 s7, 0
	v_bfrev_b32_e32 v1, -2
	v_and_b32_e32 v38, 0x3ff, v0
	s_waitcnt lgkmcnt(0)
	s_mul_i32 s0, s2, s0
	s_load_dwordx2 s[2:3], s[4:5], 0x0
	s_add_i32 s6, s0, s1
	s_bitcmp1_b32 s49, 0
	s_cselect_b64 s[34:35], -1, 0
	s_lshl_b64 s[0:1], s[6:7], 2
	s_waitcnt lgkmcnt(0)
	s_add_u32 s33, s2, s0
	v_cndmask_b32_e64 v1, v1, -1, s[34:35]
	s_addc_u32 s44, s3, s1
	v_mov_b32_e32 v2, v1
	v_mov_b32_e32 v3, v1
	;; [unrolled: 1-line block ×6, first 2 shown]
	v_cmp_gt_u32_e64 s[0:1], s45, v38
	v_mul_lo_u32 v34, v38, s46
	v_mov_b32_e32 v8, v1
	s_and_saveexec_b64 s[2:3], s[0:1]
	s_cbranch_execz .LBB212_9
; %bb.8:
	v_mov_b32_e32 v35, 0
	v_lshlrev_b64 v[8:9], 2, v[34:35]
	v_mov_b32_e32 v10, s44
	v_add_co_u32_e32 v8, vcc, s33, v8
	v_addc_co_u32_e32 v9, vcc, v10, v9, vcc
	global_load_dword v8, v[8:9], off
.LBB212_9:
	s_or_b64 exec, exec, s[2:3]
	v_add_u32_e32 v30, 0x80, v38
	v_cmp_gt_u32_e64 s[2:3], s45, v30
	s_and_saveexec_b64 s[6:7], s[2:3]
	s_cbranch_execz .LBB212_11
; %bb.10:
	v_mul_lo_u32 v10, v30, s46
	v_mov_b32_e32 v11, 0
	v_lshlrev_b64 v[10:11], 2, v[10:11]
	v_mov_b32_e32 v1, s44
	v_add_co_u32_e32 v10, vcc, s33, v10
	v_addc_co_u32_e32 v11, vcc, v1, v11, vcc
	global_load_dword v1, v[10:11], off
.LBB212_11:
	s_or_b64 exec, exec, s[6:7]
	v_add_u32_e32 v28, 0x100, v38
	v_cmp_gt_u32_e64 s[42:43], s45, v28
	s_and_saveexec_b64 s[6:7], s[42:43]
	s_cbranch_execz .LBB212_13
; %bb.12:
	v_mul_lo_u32 v10, v28, s46
	v_mov_b32_e32 v11, 0
	v_lshlrev_b64 v[10:11], 2, v[10:11]
	v_mov_b32_e32 v2, s44
	v_add_co_u32_e32 v10, vcc, s33, v10
	v_addc_co_u32_e32 v11, vcc, v2, v11, vcc
	global_load_dword v2, v[10:11], off
.LBB212_13:
	;; [unrolled: 14-line block ×5, first 2 shown]
	s_or_b64 exec, exec, s[12:13]
	s_load_dwordx2 s[18:19], s[4:5], 0xe8
	v_add_u32_e32 v19, 0x300, v38
	v_cmp_gt_u32_e64 s[12:13], s45, v19
	s_and_saveexec_b64 s[14:15], s[12:13]
	s_cbranch_execz .LBB212_21
; %bb.20:
	v_mul_lo_u32 v10, v19, s46
	v_mov_b32_e32 v11, 0
	v_lshlrev_b64 v[10:11], 2, v[10:11]
	v_mov_b32_e32 v6, s44
	v_add_co_u32_e32 v10, vcc, s33, v10
	v_addc_co_u32_e32 v11, vcc, v6, v11, vcc
	global_load_dword v6, v[10:11], off
.LBB212_21:
	s_or_b64 exec, exec, s[14:15]
	s_load_dword s16, s[4:5], 0x154
	v_add_u32_e32 v18, 0x380, v38
	v_cmp_gt_u32_e64 s[14:15], s45, v18
	s_and_saveexec_b64 s[4:5], s[14:15]
	s_cbranch_execz .LBB212_23
; %bb.22:
	v_mul_lo_u32 v10, v18, s46
	v_mov_b32_e32 v11, 0
	v_lshlrev_b64 v[10:11], 2, v[10:11]
	v_mov_b32_e32 v7, s44
	v_add_co_u32_e32 v10, vcc, s33, v10
	v_addc_co_u32_e32 v11, vcc, v7, v11, vcc
	global_load_dword v7, v[10:11], off
.LBB212_23:
	s_or_b64 exec, exec, s[4:5]
	v_lshrrev_b32_e32 v9, 5, v38
	v_add_u32_e32 v32, v9, v38
	v_lshlrev_b32_e32 v39, 2, v32
	s_waitcnt vmcnt(0)
	ds_write_b32 v39, v8
	v_lshrrev_b32_e32 v8, 5, v30
	v_add_u32_e32 v31, v8, v38
	v_lshlrev_b32_e32 v35, 2, v31
	ds_write_b32 v35, v1 offset:512
	v_lshrrev_b32_e32 v1, 5, v28
	v_add_u32_e32 v29, v1, v38
	v_lshrrev_b32_e32 v1, 5, v26
	v_add_u32_e32 v27, v1, v38
	;; [unrolled: 2-line block ×3, first 2 shown]
	v_lshrrev_b32_e32 v1, 5, v21
	v_lshlrev_b32_e32 v72, 2, v29
	v_add_u32_e32 v23, v1, v38
	v_lshrrev_b32_e32 v1, 5, v19
	ds_write_b32 v72, v2 offset:1024
	v_add_u32_e32 v20, v1, v38
	v_lshrrev_b32_e32 v1, 5, v18
	v_lshlrev_b32_e32 v87, 3, v38
	v_lshrrev_b32_e32 v2, 2, v38
	v_add_u32_e32 v1, v1, v38
	v_add_u32_e32 v22, v2, v87
	v_lshlrev_b32_e32 v73, 2, v27
	v_lshlrev_b32_e32 v74, 2, v25
	;; [unrolled: 1-line block ×6, first 2 shown]
	ds_write_b32 v73, v3 offset:1536
	ds_write_b32 v74, v4 offset:2048
	;; [unrolled: 1-line block ×5, first 2 shown]
	s_waitcnt lgkmcnt(0)
	s_barrier
	ds_read2_b32 v[46:47], v78 offset1:1
	ds_read2_b32 v[44:45], v78 offset0:2 offset1:3
	ds_read2_b32 v[42:43], v78 offset0:4 offset1:5
	;; [unrolled: 1-line block ×3, first 2 shown]
	s_mul_i32 s4, s16, s20
	s_add_i32 s16, s4, s17
	s_mov_b32 s17, 0
	s_lshl_b64 s[4:5], s[16:17], 3
	s_add_u32 s45, s18, s4
	s_mov_b32 s16, s17
	s_addc_u32 s47, s19, s5
	s_mov_b32 s18, s17
	s_mov_b32 s19, s17
	;; [unrolled: 1-line block ×14, first 2 shown]
	v_pk_mov_b32 v[2:3], s[16:17], s[16:17] op_sel:[0,1]
	v_pk_mov_b32 v[4:5], s[18:19], s[18:19] op_sel:[0,1]
	;; [unrolled: 1-line block ×8, first 2 shown]
	v_pk_mov_b32 v[2:3], 0, 0
	v_mul_lo_u32 v36, v38, s48
	s_waitcnt lgkmcnt(0)
	s_barrier
	s_and_saveexec_b64 s[4:5], s[0:1]
	s_cbranch_execnz .LBB212_60
; %bb.24:
	s_or_b64 exec, exec, s[4:5]
	s_and_saveexec_b64 s[4:5], s[2:3]
	s_cbranch_execnz .LBB212_61
.LBB212_25:
	s_or_b64 exec, exec, s[4:5]
	s_and_saveexec_b64 s[4:5], s[42:43]
	s_cbranch_execnz .LBB212_62
.LBB212_26:
	s_or_b64 exec, exec, s[4:5]
	s_and_saveexec_b64 s[4:5], s[6:7]
	s_cbranch_execnz .LBB212_63
.LBB212_27:
	s_or_b64 exec, exec, s[4:5]
	s_and_saveexec_b64 s[4:5], s[8:9]
	s_cbranch_execnz .LBB212_64
.LBB212_28:
	s_or_b64 exec, exec, s[4:5]
	s_and_saveexec_b64 s[4:5], s[10:11]
	s_cbranch_execnz .LBB212_65
.LBB212_29:
	s_or_b64 exec, exec, s[4:5]
	s_and_saveexec_b64 s[4:5], s[12:13]
	s_cbranch_execnz .LBB212_66
.LBB212_30:
	s_or_b64 exec, exec, s[4:5]
	s_xor_b64 s[4:5], s[34:35], -1
	s_and_saveexec_b64 s[16:17], s[14:15]
	s_cbranch_execz .LBB212_32
.LBB212_31:
	v_mul_lo_u32 v16, v18, s48
	v_mov_b32_e32 v17, 0
	v_lshlrev_b64 v[16:17], 3, v[16:17]
	v_mov_b32_e32 v18, s47
	v_add_co_u32_e32 v16, vcc, s45, v16
	v_addc_co_u32_e32 v17, vcc, v18, v17, vcc
	global_load_dwordx2 v[16:17], v[16:17], off
.LBB212_32:
	s_or_b64 exec, exec, s[16:17]
	v_lshlrev_b32_e32 v79, 3, v32
	v_lshlrev_b32_e32 v37, 3, v31
	;; [unrolled: 1-line block ×9, first 2 shown]
	s_waitcnt vmcnt(0)
	ds_write_b64 v79, v[2:3]
	ds_write_b64 v37, v[4:5] offset:1024
	ds_write_b64 v80, v[6:7] offset:2048
	;; [unrolled: 1-line block ×7, first 2 shown]
	s_waitcnt lgkmcnt(0)
	s_barrier
	ds_read2_b64 v[14:17], v86 offset1:1
	ds_read2_b64 v[10:13], v86 offset0:2 offset1:3
	ds_read2_b64 v[6:9], v86 offset0:4 offset1:5
	;; [unrolled: 1-line block ×3, first 2 shown]
	s_and_b64 vcc, exec, s[4:5]
	v_bfe_u32 v91, v0, 10, 10
	v_bfe_u32 v92, v0, 20, 10
	v_mbcnt_lo_u32_b32 v93, -1, 0
	v_lshlrev_b32_e32 v88, 2, v38
	v_lshlrev_b32_e32 v89, 4, v38
	v_cmp_gt_u32_e64 s[16:17], 2, v38
	v_cmp_lt_u32_e64 s[18:19], 63, v38
	v_cmp_eq_u32_e64 s[20:21], 0, v38
	v_lshrrev_b32_e32 v90, 4, v38
	s_waitcnt lgkmcnt(0)
	s_barrier
	s_cbranch_vccz .LBB212_67
; %bb.33:
	v_bfrev_b32_e32 v94, 1
	v_cmp_lt_i32_e32 vcc, -1, v46
	v_mbcnt_hi_u32_b32 v48, -1, v93
	v_and_b32_e32 v49, 0x3c0, v38
	v_cndmask_b32_e32 v18, -1, v94, vcc
	v_cmp_lt_i32_e32 vcc, -1, v47
	v_add_u32_e32 v0, v48, v49
	v_cndmask_b32_e32 v19, -1, v94, vcc
	v_lshlrev_b32_e32 v1, 5, v0
	v_xor_b32_e32 v19, v19, v47
	v_xor_b32_e32 v18, v18, v46
	v_cmp_lt_i32_e32 vcc, -1, v44
	ds_write2_b32 v1, v18, v19 offset1:1
	v_cndmask_b32_e32 v18, -1, v94, vcc
	v_cmp_lt_i32_e32 vcc, -1, v45
	v_cndmask_b32_e32 v19, -1, v94, vcc
	v_xor_b32_e32 v19, v19, v45
	v_xor_b32_e32 v18, v18, v44
	v_cmp_lt_i32_e32 vcc, -1, v42
	ds_write2_b32 v1, v18, v19 offset0:2 offset1:3
	v_cndmask_b32_e32 v18, -1, v94, vcc
	v_cmp_lt_i32_e32 vcc, -1, v43
	v_cndmask_b32_e32 v19, -1, v94, vcc
	v_xor_b32_e32 v19, v19, v43
	v_xor_b32_e32 v18, v18, v42
	v_cmp_lt_i32_e32 vcc, -1, v40
	ds_write2_b32 v1, v18, v19 offset0:4 offset1:5
	v_cndmask_b32_e32 v18, -1, v94, vcc
	v_cmp_lt_i32_e32 vcc, -1, v41
	v_cndmask_b32_e32 v19, -1, v94, vcc
	v_xor_b32_e32 v19, v19, v41
	v_xor_b32_e32 v18, v18, v40
	v_and_b32_e32 v50, 0x1e00, v87
	ds_write2_b32 v1, v18, v19 offset0:6 offset1:7
	v_or_b32_e32 v1, v48, v50
	v_lshlrev_b32_e32 v18, 2, v1
	v_lshlrev_b32_e32 v0, 6, v0
	; wave barrier
	ds_read2st64_b32 v[64:65], v18 offset1:1
	ds_read2st64_b32 v[66:67], v18 offset0:2 offset1:3
	ds_read2st64_b32 v[68:69], v18 offset0:4 offset1:5
	;; [unrolled: 1-line block ×3, first 2 shown]
	s_waitcnt lgkmcnt(0)
	s_barrier
	ds_write2_b64 v0, v[14:15], v[16:17] offset1:1
	ds_write2_b64 v0, v[10:11], v[12:13] offset0:2 offset1:3
	ds_write2_b64 v0, v[6:7], v[8:9] offset0:4 offset1:5
	ds_write2_b64 v0, v[2:3], v[4:5] offset0:6 offset1:7
	v_lshlrev_b32_e32 v0, 3, v1
	; wave barrier
	ds_read2st64_b64 v[18:21], v0 offset1:1
	ds_read2st64_b64 v[22:25], v0 offset0:2 offset1:3
	ds_read2st64_b64 v[26:29], v0 offset0:4 offset1:5
	;; [unrolled: 1-line block ×3, first 2 shown]
	s_waitcnt lgkmcnt(0)
	s_barrier
	s_load_dword s22, s[50:51], 0xc
	s_getpc_b64 s[4:5]
	s_add_u32 s4, s4, _ZN7rocprim17ROCPRIM_400000_NS16block_radix_sortIfLj128ELj8ElLj1ELj1ELj0ELNS0_26block_radix_rank_algorithmE1ELNS0_18block_padding_hintE2ELNS0_4arch9wavefront6targetE1EE19radix_bits_per_passE@rel32@lo+4
	s_addc_u32 s5, s5, _ZN7rocprim17ROCPRIM_400000_NS16block_radix_sortIfLj128ELj8ElLj1ELj1ELj0ELNS0_26block_radix_rank_algorithmE1ELNS0_18block_padding_hintE2ELNS0_4arch9wavefront6targetE1EE19radix_bits_per_passE@rel32@hi+12
	s_load_dword s49, s[4:5], 0x0
	v_and_b32_e32 v98, 60, v90
	s_mov_b32 s52, 0
	s_waitcnt lgkmcnt(0)
	s_lshr_b32 s4, s22, 16
	s_and_b32 s5, s22, 0xffff
	v_mad_u32_u24 v0, v92, s4, v91
	v_mad_u64_u32 v[0:1], s[4:5], v0, s5, v[38:39]
	v_lshrrev_b32_e32 v96, 6, v0
	v_and_b32_e32 v0, 15, v48
	v_cmp_eq_u32_e64 s[22:23], 0, v0
	v_cmp_lt_u32_e64 s[24:25], 1, v0
	v_cmp_lt_u32_e64 s[26:27], 3, v0
	;; [unrolled: 1-line block ×3, first 2 shown]
	v_and_b32_e32 v0, 16, v48
	v_cmp_eq_u32_e64 s[30:31], 0, v0
	v_min_u32_e32 v0, 64, v49
	v_or_b32_e32 v0, 63, v0
	v_cmp_eq_u32_e64 s[36:37], v0, v38
	v_add_u32_e32 v0, -1, v48
	v_and_b32_e32 v1, 64, v48
	v_cmp_lt_i32_e32 vcc, v0, v1
	v_cndmask_b32_e32 v0, v0, v48, vcc
	v_lshlrev_b32_e32 v97, 2, v0
	v_and_b32_e32 v0, 1, v48
	v_cmp_eq_u32_e64 s[40:41], 0, v0
	v_and_or_b32 v0, v48, 63, v50
	v_or_b32_e32 v95, 8, v89
	v_cmp_lt_u32_e64 s[34:35], 31, v48
	v_cmp_eq_u32_e64 s[38:39], 0, v48
	v_add_u32_e32 v99, -4, v98
	v_lshlrev_b32_e32 v100, 2, v0
	v_lshlrev_b32_e32 v101, 3, v0
	s_mov_b32 s54, 32
	s_brev_b32 s53, -2
	v_mov_b32_e32 v62, 0
	s_branch .LBB212_35
.LBB212_34:                             ;   in Loop: Header=BB212_35 Depth=1
	v_lshlrev_b32_e32 v18, 2, v63
	s_barrier
	ds_write_b32 v18, v109
	v_lshlrev_b32_e32 v18, 2, v111
	ds_write_b32 v18, v108
	v_lshlrev_b32_e32 v18, 2, v112
	;; [unrolled: 2-line block ×8, first 2 shown]
	s_waitcnt lgkmcnt(0)
	s_barrier
	ds_read2st64_b32 v[64:65], v100 offset1:1
	ds_read2st64_b32 v[66:67], v100 offset0:2 offset1:3
	ds_read2st64_b32 v[68:69], v100 offset0:4 offset1:5
	;; [unrolled: 1-line block ×3, first 2 shown]
	s_waitcnt lgkmcnt(0)
	s_barrier
	ds_write_b64 v18, v[60:61]
	v_lshlrev_b32_e32 v18, 3, v111
	ds_write_b64 v18, v[58:59]
	v_lshlrev_b32_e32 v18, 3, v112
	;; [unrolled: 2-line block ×7, first 2 shown]
	ds_write_b64 v18, v[0:1]
	s_waitcnt lgkmcnt(0)
	s_barrier
	ds_read2st64_b64 v[18:21], v101 offset1:1
	ds_read2st64_b64 v[22:25], v101 offset0:2 offset1:3
	ds_read2st64_b64 v[26:29], v101 offset0:4 offset1:5
	ds_read2st64_b64 v[30:33], v101 offset0:6 offset1:7
	s_add_i32 s52, s52, 8
	s_add_i32 s54, s54, -8
	s_waitcnt lgkmcnt(0)
	s_barrier
	s_cbranch_execz .LBB212_59
.LBB212_35:                             ; =>This Inner Loop Header: Depth=1
	v_mov_b32_e32 v109, v64
	s_min_u32 s4, s49, s54
	v_cmp_ne_u32_e32 vcc, s53, v109
	v_pk_mov_b32 v[60:61], v[18:19], v[18:19] op_sel:[0,1]
	s_lshl_b32 s4, -1, s4
	v_cndmask_b32_e32 v18, v94, v109, vcc
	s_not_b32 s55, s4
	v_lshrrev_b32_e32 v18, s52, v18
	v_and_b32_e32 v18, s55, v18
	v_lshl_add_u32 v19, v18, 1, v96
	v_pk_mov_b32 v[56:57], v[22:23], v[22:23] op_sel:[0,1]
	v_lshl_add_u32 v22, v19, 2, 8
	v_and_b32_e32 v19, 1, v18
	v_pk_mov_b32 v[58:59], v[20:21], v[20:21] op_sel:[0,1]
	v_add_co_u32_e32 v20, vcc, -1, v19
	v_addc_co_u32_e64 v21, s[4:5], 0, -1, vcc
	v_cmp_ne_u32_e32 vcc, 0, v19
	v_lshlrev_b32_e32 v63, 30, v18
	v_xor_b32_e32 v19, vcc_hi, v21
	v_not_b32_e32 v21, v63
	v_xor_b32_e32 v20, vcc_lo, v20
	v_cmp_gt_i64_e32 vcc, 0, v[62:63]
	v_ashrrev_i32_e32 v21, 31, v21
	v_and_b32_e32 v20, exec_lo, v20
	v_xor_b32_e32 v23, vcc_hi, v21
	v_xor_b32_e32 v21, vcc_lo, v21
	v_lshlrev_b32_e32 v63, 29, v18
	v_and_b32_e32 v20, v20, v21
	v_not_b32_e32 v21, v63
	v_and_b32_e32 v19, exec_hi, v19
	v_cmp_gt_i64_e32 vcc, 0, v[62:63]
	v_ashrrev_i32_e32 v21, 31, v21
	v_and_b32_e32 v19, v19, v23
	v_xor_b32_e32 v23, vcc_hi, v21
	v_xor_b32_e32 v21, vcc_lo, v21
	v_lshlrev_b32_e32 v63, 28, v18
	v_and_b32_e32 v20, v20, v21
	v_not_b32_e32 v21, v63
	v_cmp_gt_i64_e32 vcc, 0, v[62:63]
	v_ashrrev_i32_e32 v21, 31, v21
	v_and_b32_e32 v19, v19, v23
	v_xor_b32_e32 v23, vcc_hi, v21
	v_xor_b32_e32 v21, vcc_lo, v21
	v_lshlrev_b32_e32 v63, 27, v18
	v_and_b32_e32 v20, v20, v21
	v_not_b32_e32 v21, v63
	;; [unrolled: 8-line block ×3, first 2 shown]
	v_cmp_gt_i64_e32 vcc, 0, v[62:63]
	v_ashrrev_i32_e32 v21, 31, v21
	v_and_b32_e32 v19, v19, v23
	v_xor_b32_e32 v23, vcc_hi, v21
	v_xor_b32_e32 v21, vcc_lo, v21
	v_lshlrev_b32_e32 v63, 25, v18
	v_and_b32_e32 v20, v20, v21
	v_cmp_gt_i64_e32 vcc, 0, v[62:63]
	v_not_b32_e32 v21, v63
	v_lshlrev_b32_e32 v63, 24, v18
	v_ashrrev_i32_e32 v21, 31, v21
	v_not_b32_e32 v18, v63
	v_and_b32_e32 v19, v19, v23
	v_xor_b32_e32 v23, vcc_hi, v21
	v_xor_b32_e32 v21, vcc_lo, v21
	v_cmp_gt_i64_e32 vcc, 0, v[62:63]
	v_ashrrev_i32_e32 v18, 31, v18
	v_and_b32_e32 v20, v20, v21
	v_xor_b32_e32 v21, vcc_hi, v18
	v_xor_b32_e32 v18, vcc_lo, v18
	v_and_b32_e32 v19, v19, v23
	v_and_b32_e32 v18, v20, v18
	v_and_b32_e32 v19, v19, v21
	v_mbcnt_lo_u32_b32 v20, v18, 0
	v_mbcnt_hi_u32_b32 v23, v19, v20
	v_cmp_eq_u32_e32 vcc, 0, v23
	v_cmp_ne_u64_e64 s[4:5], 0, v[18:19]
	v_mov_b32_e32 v102, v71
	v_mov_b32_e32 v103, v70
	;; [unrolled: 1-line block ×7, first 2 shown]
	v_pk_mov_b32 v[0:1], v[32:33], v[32:33] op_sel:[0,1]
	v_pk_mov_b32 v[48:49], v[30:31], v[30:31] op_sel:[0,1]
	;; [unrolled: 1-line block ×5, first 2 shown]
	s_and_b64 s[56:57], s[4:5], vcc
	ds_write2_b32 v89, v62, v62 offset0:2 offset1:3
	ds_write2_b32 v95, v62, v62 offset0:2 offset1:3
	s_waitcnt lgkmcnt(0)
	s_barrier
	s_waitcnt lgkmcnt(0)
	; wave barrier
	s_and_saveexec_b64 s[4:5], s[56:57]
	s_cbranch_execz .LBB212_37
; %bb.36:                               ;   in Loop: Header=BB212_35 Depth=1
	v_bcnt_u32_b32 v18, v18, 0
	v_bcnt_u32_b32 v18, v19, v18
	ds_write_b32 v22, v18
.LBB212_37:                             ;   in Loop: Header=BB212_35 Depth=1
	s_or_b64 exec, exec, s[4:5]
	v_cmp_ne_u32_e32 vcc, s53, v108
	v_cndmask_b32_e32 v18, v94, v108, vcc
	v_lshrrev_b32_e32 v18, s52, v18
	v_and_b32_e32 v18, s55, v18
	v_lshlrev_b32_e32 v19, 1, v18
	v_add_lshl_u32 v19, v19, v96, 2
	; wave barrier
	v_add_u32_e32 v25, 8, v19
	ds_read_b32 v24, v19 offset:8
	v_and_b32_e32 v19, 1, v18
	v_add_co_u32_e32 v20, vcc, -1, v19
	v_addc_co_u32_e64 v21, s[4:5], 0, -1, vcc
	v_cmp_ne_u32_e32 vcc, 0, v19
	v_lshlrev_b32_e32 v63, 30, v18
	v_xor_b32_e32 v19, vcc_hi, v21
	v_not_b32_e32 v21, v63
	v_xor_b32_e32 v20, vcc_lo, v20
	v_cmp_gt_i64_e32 vcc, 0, v[62:63]
	v_ashrrev_i32_e32 v21, 31, v21
	v_and_b32_e32 v20, exec_lo, v20
	v_xor_b32_e32 v26, vcc_hi, v21
	v_xor_b32_e32 v21, vcc_lo, v21
	v_lshlrev_b32_e32 v63, 29, v18
	v_and_b32_e32 v20, v20, v21
	v_not_b32_e32 v21, v63
	v_and_b32_e32 v19, exec_hi, v19
	v_cmp_gt_i64_e32 vcc, 0, v[62:63]
	v_ashrrev_i32_e32 v21, 31, v21
	v_and_b32_e32 v19, v19, v26
	v_xor_b32_e32 v26, vcc_hi, v21
	v_xor_b32_e32 v21, vcc_lo, v21
	v_lshlrev_b32_e32 v63, 28, v18
	v_and_b32_e32 v20, v20, v21
	v_not_b32_e32 v21, v63
	v_cmp_gt_i64_e32 vcc, 0, v[62:63]
	v_ashrrev_i32_e32 v21, 31, v21
	v_and_b32_e32 v19, v19, v26
	v_xor_b32_e32 v26, vcc_hi, v21
	v_xor_b32_e32 v21, vcc_lo, v21
	v_lshlrev_b32_e32 v63, 27, v18
	v_and_b32_e32 v20, v20, v21
	v_not_b32_e32 v21, v63
	;; [unrolled: 8-line block ×3, first 2 shown]
	v_cmp_gt_i64_e32 vcc, 0, v[62:63]
	v_ashrrev_i32_e32 v21, 31, v21
	v_and_b32_e32 v19, v19, v26
	v_xor_b32_e32 v26, vcc_hi, v21
	v_xor_b32_e32 v21, vcc_lo, v21
	v_lshlrev_b32_e32 v63, 25, v18
	v_and_b32_e32 v20, v20, v21
	v_cmp_gt_i64_e32 vcc, 0, v[62:63]
	v_not_b32_e32 v21, v63
	v_lshlrev_b32_e32 v63, 24, v18
	v_ashrrev_i32_e32 v21, 31, v21
	v_not_b32_e32 v18, v63
	v_and_b32_e32 v19, v19, v26
	v_xor_b32_e32 v26, vcc_hi, v21
	v_xor_b32_e32 v21, vcc_lo, v21
	v_cmp_gt_i64_e32 vcc, 0, v[62:63]
	v_ashrrev_i32_e32 v18, 31, v18
	v_and_b32_e32 v20, v20, v21
	v_xor_b32_e32 v21, vcc_hi, v18
	v_xor_b32_e32 v18, vcc_lo, v18
	v_and_b32_e32 v19, v19, v26
	v_and_b32_e32 v18, v20, v18
	;; [unrolled: 1-line block ×3, first 2 shown]
	v_mbcnt_lo_u32_b32 v20, v18, 0
	v_mbcnt_hi_u32_b32 v26, v19, v20
	v_cmp_eq_u32_e32 vcc, 0, v26
	v_cmp_ne_u64_e64 s[4:5], 0, v[18:19]
	s_and_b64 s[56:57], s[4:5], vcc
	; wave barrier
	s_and_saveexec_b64 s[4:5], s[56:57]
	s_cbranch_execz .LBB212_39
; %bb.38:                               ;   in Loop: Header=BB212_35 Depth=1
	v_bcnt_u32_b32 v18, v18, 0
	v_bcnt_u32_b32 v18, v19, v18
	s_waitcnt lgkmcnt(0)
	v_add_u32_e32 v18, v24, v18
	ds_write_b32 v25, v18
.LBB212_39:                             ;   in Loop: Header=BB212_35 Depth=1
	s_or_b64 exec, exec, s[4:5]
	v_cmp_ne_u32_e32 vcc, s53, v107
	v_cndmask_b32_e32 v18, v94, v107, vcc
	v_lshrrev_b32_e32 v18, s52, v18
	v_and_b32_e32 v18, s55, v18
	v_lshlrev_b32_e32 v19, 1, v18
	v_add_lshl_u32 v19, v19, v96, 2
	; wave barrier
	v_add_u32_e32 v28, 8, v19
	ds_read_b32 v27, v19 offset:8
	v_and_b32_e32 v19, 1, v18
	v_add_co_u32_e32 v20, vcc, -1, v19
	v_addc_co_u32_e64 v21, s[4:5], 0, -1, vcc
	v_cmp_ne_u32_e32 vcc, 0, v19
	v_lshlrev_b32_e32 v63, 30, v18
	v_xor_b32_e32 v19, vcc_hi, v21
	v_not_b32_e32 v21, v63
	v_xor_b32_e32 v20, vcc_lo, v20
	v_cmp_gt_i64_e32 vcc, 0, v[62:63]
	v_ashrrev_i32_e32 v21, 31, v21
	v_and_b32_e32 v20, exec_lo, v20
	v_xor_b32_e32 v29, vcc_hi, v21
	v_xor_b32_e32 v21, vcc_lo, v21
	v_lshlrev_b32_e32 v63, 29, v18
	v_and_b32_e32 v20, v20, v21
	v_not_b32_e32 v21, v63
	v_and_b32_e32 v19, exec_hi, v19
	v_cmp_gt_i64_e32 vcc, 0, v[62:63]
	v_ashrrev_i32_e32 v21, 31, v21
	v_and_b32_e32 v19, v19, v29
	v_xor_b32_e32 v29, vcc_hi, v21
	v_xor_b32_e32 v21, vcc_lo, v21
	v_lshlrev_b32_e32 v63, 28, v18
	v_and_b32_e32 v20, v20, v21
	v_not_b32_e32 v21, v63
	v_cmp_gt_i64_e32 vcc, 0, v[62:63]
	v_ashrrev_i32_e32 v21, 31, v21
	v_and_b32_e32 v19, v19, v29
	v_xor_b32_e32 v29, vcc_hi, v21
	v_xor_b32_e32 v21, vcc_lo, v21
	v_lshlrev_b32_e32 v63, 27, v18
	v_and_b32_e32 v20, v20, v21
	v_not_b32_e32 v21, v63
	;; [unrolled: 8-line block ×3, first 2 shown]
	v_cmp_gt_i64_e32 vcc, 0, v[62:63]
	v_ashrrev_i32_e32 v21, 31, v21
	v_and_b32_e32 v19, v19, v29
	v_xor_b32_e32 v29, vcc_hi, v21
	v_xor_b32_e32 v21, vcc_lo, v21
	v_lshlrev_b32_e32 v63, 25, v18
	v_and_b32_e32 v20, v20, v21
	v_cmp_gt_i64_e32 vcc, 0, v[62:63]
	v_not_b32_e32 v21, v63
	v_lshlrev_b32_e32 v63, 24, v18
	v_ashrrev_i32_e32 v21, 31, v21
	v_not_b32_e32 v18, v63
	v_and_b32_e32 v19, v19, v29
	v_xor_b32_e32 v29, vcc_hi, v21
	v_xor_b32_e32 v21, vcc_lo, v21
	v_cmp_gt_i64_e32 vcc, 0, v[62:63]
	v_ashrrev_i32_e32 v18, 31, v18
	v_and_b32_e32 v20, v20, v21
	v_xor_b32_e32 v21, vcc_hi, v18
	v_xor_b32_e32 v18, vcc_lo, v18
	v_and_b32_e32 v19, v19, v29
	v_and_b32_e32 v18, v20, v18
	;; [unrolled: 1-line block ×3, first 2 shown]
	v_mbcnt_lo_u32_b32 v20, v18, 0
	v_mbcnt_hi_u32_b32 v29, v19, v20
	v_cmp_eq_u32_e32 vcc, 0, v29
	v_cmp_ne_u64_e64 s[4:5], 0, v[18:19]
	s_and_b64 s[56:57], s[4:5], vcc
	; wave barrier
	s_and_saveexec_b64 s[4:5], s[56:57]
	s_cbranch_execz .LBB212_41
; %bb.40:                               ;   in Loop: Header=BB212_35 Depth=1
	v_bcnt_u32_b32 v18, v18, 0
	v_bcnt_u32_b32 v18, v19, v18
	s_waitcnt lgkmcnt(0)
	v_add_u32_e32 v18, v27, v18
	ds_write_b32 v28, v18
.LBB212_41:                             ;   in Loop: Header=BB212_35 Depth=1
	s_or_b64 exec, exec, s[4:5]
	v_cmp_ne_u32_e32 vcc, s53, v106
	v_cndmask_b32_e32 v18, v94, v106, vcc
	v_lshrrev_b32_e32 v18, s52, v18
	v_and_b32_e32 v18, s55, v18
	v_lshlrev_b32_e32 v19, 1, v18
	v_add_lshl_u32 v19, v19, v96, 2
	; wave barrier
	v_add_u32_e32 v31, 8, v19
	ds_read_b32 v30, v19 offset:8
	v_and_b32_e32 v19, 1, v18
	v_add_co_u32_e32 v20, vcc, -1, v19
	v_addc_co_u32_e64 v21, s[4:5], 0, -1, vcc
	v_cmp_ne_u32_e32 vcc, 0, v19
	v_lshlrev_b32_e32 v63, 30, v18
	v_xor_b32_e32 v19, vcc_hi, v21
	v_not_b32_e32 v21, v63
	v_xor_b32_e32 v20, vcc_lo, v20
	v_cmp_gt_i64_e32 vcc, 0, v[62:63]
	v_ashrrev_i32_e32 v21, 31, v21
	v_and_b32_e32 v20, exec_lo, v20
	v_xor_b32_e32 v32, vcc_hi, v21
	v_xor_b32_e32 v21, vcc_lo, v21
	v_lshlrev_b32_e32 v63, 29, v18
	v_and_b32_e32 v20, v20, v21
	v_not_b32_e32 v21, v63
	v_and_b32_e32 v19, exec_hi, v19
	v_cmp_gt_i64_e32 vcc, 0, v[62:63]
	v_ashrrev_i32_e32 v21, 31, v21
	v_and_b32_e32 v19, v19, v32
	v_xor_b32_e32 v32, vcc_hi, v21
	v_xor_b32_e32 v21, vcc_lo, v21
	v_lshlrev_b32_e32 v63, 28, v18
	v_and_b32_e32 v20, v20, v21
	v_not_b32_e32 v21, v63
	v_cmp_gt_i64_e32 vcc, 0, v[62:63]
	v_ashrrev_i32_e32 v21, 31, v21
	v_and_b32_e32 v19, v19, v32
	v_xor_b32_e32 v32, vcc_hi, v21
	v_xor_b32_e32 v21, vcc_lo, v21
	v_lshlrev_b32_e32 v63, 27, v18
	v_and_b32_e32 v20, v20, v21
	v_not_b32_e32 v21, v63
	;; [unrolled: 8-line block ×3, first 2 shown]
	v_cmp_gt_i64_e32 vcc, 0, v[62:63]
	v_ashrrev_i32_e32 v21, 31, v21
	v_and_b32_e32 v19, v19, v32
	v_xor_b32_e32 v32, vcc_hi, v21
	v_xor_b32_e32 v21, vcc_lo, v21
	v_lshlrev_b32_e32 v63, 25, v18
	v_and_b32_e32 v20, v20, v21
	v_cmp_gt_i64_e32 vcc, 0, v[62:63]
	v_not_b32_e32 v21, v63
	v_lshlrev_b32_e32 v63, 24, v18
	v_ashrrev_i32_e32 v21, 31, v21
	v_not_b32_e32 v18, v63
	v_and_b32_e32 v19, v19, v32
	v_xor_b32_e32 v32, vcc_hi, v21
	v_xor_b32_e32 v21, vcc_lo, v21
	v_cmp_gt_i64_e32 vcc, 0, v[62:63]
	v_ashrrev_i32_e32 v18, 31, v18
	v_and_b32_e32 v20, v20, v21
	v_xor_b32_e32 v21, vcc_hi, v18
	v_xor_b32_e32 v18, vcc_lo, v18
	v_and_b32_e32 v19, v19, v32
	v_and_b32_e32 v18, v20, v18
	;; [unrolled: 1-line block ×3, first 2 shown]
	v_mbcnt_lo_u32_b32 v20, v18, 0
	v_mbcnt_hi_u32_b32 v32, v19, v20
	v_cmp_eq_u32_e32 vcc, 0, v32
	v_cmp_ne_u64_e64 s[4:5], 0, v[18:19]
	s_and_b64 s[56:57], s[4:5], vcc
	; wave barrier
	s_and_saveexec_b64 s[4:5], s[56:57]
	s_cbranch_execz .LBB212_43
; %bb.42:                               ;   in Loop: Header=BB212_35 Depth=1
	v_bcnt_u32_b32 v18, v18, 0
	v_bcnt_u32_b32 v18, v19, v18
	s_waitcnt lgkmcnt(0)
	v_add_u32_e32 v18, v30, v18
	ds_write_b32 v31, v18
.LBB212_43:                             ;   in Loop: Header=BB212_35 Depth=1
	s_or_b64 exec, exec, s[4:5]
	v_cmp_ne_u32_e32 vcc, s53, v105
	v_cndmask_b32_e32 v18, v94, v105, vcc
	v_lshrrev_b32_e32 v18, s52, v18
	v_and_b32_e32 v18, s55, v18
	v_lshlrev_b32_e32 v19, 1, v18
	v_add_lshl_u32 v19, v19, v96, 2
	; wave barrier
	v_add_u32_e32 v64, 8, v19
	ds_read_b32 v33, v19 offset:8
	v_and_b32_e32 v19, 1, v18
	v_add_co_u32_e32 v20, vcc, -1, v19
	v_addc_co_u32_e64 v21, s[4:5], 0, -1, vcc
	v_cmp_ne_u32_e32 vcc, 0, v19
	v_lshlrev_b32_e32 v63, 30, v18
	v_xor_b32_e32 v19, vcc_hi, v21
	v_not_b32_e32 v21, v63
	v_xor_b32_e32 v20, vcc_lo, v20
	v_cmp_gt_i64_e32 vcc, 0, v[62:63]
	v_ashrrev_i32_e32 v21, 31, v21
	v_and_b32_e32 v19, exec_hi, v19
	v_xor_b32_e32 v63, vcc_hi, v21
	v_and_b32_e32 v20, exec_lo, v20
	v_xor_b32_e32 v21, vcc_lo, v21
	v_and_b32_e32 v19, v19, v63
	v_lshlrev_b32_e32 v63, 29, v18
	v_and_b32_e32 v20, v20, v21
	v_not_b32_e32 v21, v63
	v_cmp_gt_i64_e32 vcc, 0, v[62:63]
	v_ashrrev_i32_e32 v21, 31, v21
	v_xor_b32_e32 v63, vcc_hi, v21
	v_xor_b32_e32 v21, vcc_lo, v21
	v_and_b32_e32 v19, v19, v63
	v_lshlrev_b32_e32 v63, 28, v18
	v_and_b32_e32 v20, v20, v21
	v_not_b32_e32 v21, v63
	v_cmp_gt_i64_e32 vcc, 0, v[62:63]
	v_ashrrev_i32_e32 v21, 31, v21
	v_xor_b32_e32 v63, vcc_hi, v21
	;; [unrolled: 8-line block ×5, first 2 shown]
	v_and_b32_e32 v19, v19, v63
	v_lshlrev_b32_e32 v63, 24, v18
	v_not_b32_e32 v18, v63
	v_xor_b32_e32 v21, vcc_lo, v21
	v_cmp_gt_i64_e32 vcc, 0, v[62:63]
	v_ashrrev_i32_e32 v18, 31, v18
	v_and_b32_e32 v20, v20, v21
	v_xor_b32_e32 v21, vcc_hi, v18
	v_xor_b32_e32 v18, vcc_lo, v18
	v_and_b32_e32 v18, v20, v18
	v_and_b32_e32 v19, v19, v21
	v_mbcnt_lo_u32_b32 v20, v18, 0
	v_mbcnt_hi_u32_b32 v65, v19, v20
	v_cmp_eq_u32_e32 vcc, 0, v65
	v_cmp_ne_u64_e64 s[4:5], 0, v[18:19]
	s_and_b64 s[56:57], s[4:5], vcc
	; wave barrier
	s_and_saveexec_b64 s[4:5], s[56:57]
	s_cbranch_execz .LBB212_45
; %bb.44:                               ;   in Loop: Header=BB212_35 Depth=1
	v_bcnt_u32_b32 v18, v18, 0
	v_bcnt_u32_b32 v18, v19, v18
	s_waitcnt lgkmcnt(0)
	v_add_u32_e32 v18, v33, v18
	ds_write_b32 v64, v18
.LBB212_45:                             ;   in Loop: Header=BB212_35 Depth=1
	s_or_b64 exec, exec, s[4:5]
	v_cmp_ne_u32_e32 vcc, s53, v104
	v_cndmask_b32_e32 v18, v94, v104, vcc
	v_lshrrev_b32_e32 v18, s52, v18
	v_and_b32_e32 v18, s55, v18
	v_lshlrev_b32_e32 v19, 1, v18
	v_add_lshl_u32 v19, v19, v96, 2
	; wave barrier
	v_add_u32_e32 v67, 8, v19
	ds_read_b32 v66, v19 offset:8
	v_and_b32_e32 v19, 1, v18
	v_add_co_u32_e32 v20, vcc, -1, v19
	v_addc_co_u32_e64 v21, s[4:5], 0, -1, vcc
	v_cmp_ne_u32_e32 vcc, 0, v19
	v_lshlrev_b32_e32 v63, 30, v18
	v_xor_b32_e32 v19, vcc_hi, v21
	v_not_b32_e32 v21, v63
	v_xor_b32_e32 v20, vcc_lo, v20
	v_cmp_gt_i64_e32 vcc, 0, v[62:63]
	v_ashrrev_i32_e32 v21, 31, v21
	v_and_b32_e32 v19, exec_hi, v19
	v_xor_b32_e32 v63, vcc_hi, v21
	v_and_b32_e32 v20, exec_lo, v20
	v_xor_b32_e32 v21, vcc_lo, v21
	v_and_b32_e32 v19, v19, v63
	v_lshlrev_b32_e32 v63, 29, v18
	v_and_b32_e32 v20, v20, v21
	v_not_b32_e32 v21, v63
	v_cmp_gt_i64_e32 vcc, 0, v[62:63]
	v_ashrrev_i32_e32 v21, 31, v21
	v_xor_b32_e32 v63, vcc_hi, v21
	v_xor_b32_e32 v21, vcc_lo, v21
	v_and_b32_e32 v19, v19, v63
	v_lshlrev_b32_e32 v63, 28, v18
	v_and_b32_e32 v20, v20, v21
	v_not_b32_e32 v21, v63
	v_cmp_gt_i64_e32 vcc, 0, v[62:63]
	v_ashrrev_i32_e32 v21, 31, v21
	v_xor_b32_e32 v63, vcc_hi, v21
	;; [unrolled: 8-line block ×5, first 2 shown]
	v_and_b32_e32 v19, v19, v63
	v_lshlrev_b32_e32 v63, 24, v18
	v_not_b32_e32 v18, v63
	v_xor_b32_e32 v21, vcc_lo, v21
	v_cmp_gt_i64_e32 vcc, 0, v[62:63]
	v_ashrrev_i32_e32 v18, 31, v18
	v_and_b32_e32 v20, v20, v21
	v_xor_b32_e32 v21, vcc_hi, v18
	v_xor_b32_e32 v18, vcc_lo, v18
	v_and_b32_e32 v18, v20, v18
	v_and_b32_e32 v19, v19, v21
	v_mbcnt_lo_u32_b32 v20, v18, 0
	v_mbcnt_hi_u32_b32 v68, v19, v20
	v_cmp_eq_u32_e32 vcc, 0, v68
	v_cmp_ne_u64_e64 s[4:5], 0, v[18:19]
	s_and_b64 s[56:57], s[4:5], vcc
	; wave barrier
	s_and_saveexec_b64 s[4:5], s[56:57]
	s_cbranch_execz .LBB212_47
; %bb.46:                               ;   in Loop: Header=BB212_35 Depth=1
	v_bcnt_u32_b32 v18, v18, 0
	v_bcnt_u32_b32 v18, v19, v18
	s_waitcnt lgkmcnt(0)
	v_add_u32_e32 v18, v66, v18
	ds_write_b32 v67, v18
.LBB212_47:                             ;   in Loop: Header=BB212_35 Depth=1
	s_or_b64 exec, exec, s[4:5]
	v_cmp_ne_u32_e32 vcc, s53, v103
	v_cndmask_b32_e32 v18, v94, v103, vcc
	v_lshrrev_b32_e32 v18, s52, v18
	v_and_b32_e32 v18, s55, v18
	v_lshlrev_b32_e32 v19, 1, v18
	v_add_lshl_u32 v19, v19, v96, 2
	; wave barrier
	v_add_u32_e32 v70, 8, v19
	ds_read_b32 v69, v19 offset:8
	v_and_b32_e32 v19, 1, v18
	v_add_co_u32_e32 v20, vcc, -1, v19
	v_addc_co_u32_e64 v21, s[4:5], 0, -1, vcc
	v_cmp_ne_u32_e32 vcc, 0, v19
	v_lshlrev_b32_e32 v63, 30, v18
	v_xor_b32_e32 v19, vcc_hi, v21
	v_not_b32_e32 v21, v63
	v_xor_b32_e32 v20, vcc_lo, v20
	v_cmp_gt_i64_e32 vcc, 0, v[62:63]
	v_ashrrev_i32_e32 v21, 31, v21
	v_and_b32_e32 v19, exec_hi, v19
	v_xor_b32_e32 v63, vcc_hi, v21
	v_and_b32_e32 v20, exec_lo, v20
	v_xor_b32_e32 v21, vcc_lo, v21
	v_and_b32_e32 v19, v19, v63
	v_lshlrev_b32_e32 v63, 29, v18
	v_and_b32_e32 v20, v20, v21
	v_not_b32_e32 v21, v63
	v_cmp_gt_i64_e32 vcc, 0, v[62:63]
	v_ashrrev_i32_e32 v21, 31, v21
	v_xor_b32_e32 v63, vcc_hi, v21
	v_xor_b32_e32 v21, vcc_lo, v21
	v_and_b32_e32 v19, v19, v63
	v_lshlrev_b32_e32 v63, 28, v18
	v_and_b32_e32 v20, v20, v21
	v_not_b32_e32 v21, v63
	v_cmp_gt_i64_e32 vcc, 0, v[62:63]
	v_ashrrev_i32_e32 v21, 31, v21
	v_xor_b32_e32 v63, vcc_hi, v21
	;; [unrolled: 8-line block ×5, first 2 shown]
	v_and_b32_e32 v19, v19, v63
	v_lshlrev_b32_e32 v63, 24, v18
	v_not_b32_e32 v18, v63
	v_xor_b32_e32 v21, vcc_lo, v21
	v_cmp_gt_i64_e32 vcc, 0, v[62:63]
	v_ashrrev_i32_e32 v18, 31, v18
	v_and_b32_e32 v20, v20, v21
	v_xor_b32_e32 v21, vcc_hi, v18
	v_xor_b32_e32 v18, vcc_lo, v18
	v_and_b32_e32 v18, v20, v18
	v_and_b32_e32 v19, v19, v21
	v_mbcnt_lo_u32_b32 v20, v18, 0
	v_mbcnt_hi_u32_b32 v71, v19, v20
	v_cmp_eq_u32_e32 vcc, 0, v71
	v_cmp_ne_u64_e64 s[4:5], 0, v[18:19]
	s_and_b64 s[56:57], s[4:5], vcc
	; wave barrier
	s_and_saveexec_b64 s[4:5], s[56:57]
	s_cbranch_execz .LBB212_49
; %bb.48:                               ;   in Loop: Header=BB212_35 Depth=1
	v_bcnt_u32_b32 v18, v18, 0
	v_bcnt_u32_b32 v18, v19, v18
	s_waitcnt lgkmcnt(0)
	v_add_u32_e32 v18, v69, v18
	ds_write_b32 v70, v18
.LBB212_49:                             ;   in Loop: Header=BB212_35 Depth=1
	s_or_b64 exec, exec, s[4:5]
	v_cmp_ne_u32_e32 vcc, s53, v102
	v_cndmask_b32_e32 v18, v94, v102, vcc
	v_lshrrev_b32_e32 v18, s52, v18
	v_and_b32_e32 v18, s55, v18
	v_lshlrev_b32_e32 v19, 1, v18
	v_add_lshl_u32 v19, v19, v96, 2
	; wave barrier
	v_add_u32_e32 v111, 8, v19
	ds_read_b32 v110, v19 offset:8
	v_and_b32_e32 v19, 1, v18
	v_add_co_u32_e32 v20, vcc, -1, v19
	v_addc_co_u32_e64 v21, s[4:5], 0, -1, vcc
	v_cmp_ne_u32_e32 vcc, 0, v19
	v_lshlrev_b32_e32 v63, 30, v18
	v_xor_b32_e32 v19, vcc_hi, v21
	v_not_b32_e32 v21, v63
	v_xor_b32_e32 v20, vcc_lo, v20
	v_cmp_gt_i64_e32 vcc, 0, v[62:63]
	v_ashrrev_i32_e32 v21, 31, v21
	v_and_b32_e32 v19, exec_hi, v19
	v_xor_b32_e32 v63, vcc_hi, v21
	v_and_b32_e32 v20, exec_lo, v20
	v_xor_b32_e32 v21, vcc_lo, v21
	v_and_b32_e32 v19, v19, v63
	v_lshlrev_b32_e32 v63, 29, v18
	v_and_b32_e32 v20, v20, v21
	v_not_b32_e32 v21, v63
	v_cmp_gt_i64_e32 vcc, 0, v[62:63]
	v_ashrrev_i32_e32 v21, 31, v21
	v_xor_b32_e32 v63, vcc_hi, v21
	v_xor_b32_e32 v21, vcc_lo, v21
	v_and_b32_e32 v19, v19, v63
	v_lshlrev_b32_e32 v63, 28, v18
	v_and_b32_e32 v20, v20, v21
	v_not_b32_e32 v21, v63
	v_cmp_gt_i64_e32 vcc, 0, v[62:63]
	v_ashrrev_i32_e32 v21, 31, v21
	v_xor_b32_e32 v63, vcc_hi, v21
	;; [unrolled: 8-line block ×5, first 2 shown]
	v_and_b32_e32 v19, v19, v63
	v_lshlrev_b32_e32 v63, 24, v18
	v_not_b32_e32 v18, v63
	v_xor_b32_e32 v21, vcc_lo, v21
	v_cmp_gt_i64_e32 vcc, 0, v[62:63]
	v_ashrrev_i32_e32 v18, 31, v18
	v_and_b32_e32 v20, v20, v21
	v_xor_b32_e32 v21, vcc_hi, v18
	v_xor_b32_e32 v18, vcc_lo, v18
	v_and_b32_e32 v18, v20, v18
	v_and_b32_e32 v19, v19, v21
	v_mbcnt_lo_u32_b32 v20, v18, 0
	v_mbcnt_hi_u32_b32 v117, v19, v20
	v_cmp_eq_u32_e32 vcc, 0, v117
	v_cmp_ne_u64_e64 s[4:5], 0, v[18:19]
	s_and_b64 s[56:57], s[4:5], vcc
	; wave barrier
	s_and_saveexec_b64 s[4:5], s[56:57]
	s_cbranch_execz .LBB212_51
; %bb.50:                               ;   in Loop: Header=BB212_35 Depth=1
	v_bcnt_u32_b32 v18, v18, 0
	v_bcnt_u32_b32 v18, v19, v18
	s_waitcnt lgkmcnt(0)
	v_add_u32_e32 v18, v110, v18
	ds_write_b32 v111, v18
.LBB212_51:                             ;   in Loop: Header=BB212_35 Depth=1
	s_or_b64 exec, exec, s[4:5]
	; wave barrier
	s_waitcnt lgkmcnt(0)
	s_barrier
	ds_read2_b32 v[20:21], v89 offset0:2 offset1:3
	ds_read2_b32 v[18:19], v95 offset0:2 offset1:3
	s_waitcnt lgkmcnt(1)
	v_add_u32_e32 v63, v21, v20
	s_waitcnt lgkmcnt(0)
	v_add3_u32 v19, v63, v18, v19
	s_nop 1
	v_mov_b32_dpp v63, v19 row_shr:1 row_mask:0xf bank_mask:0xf
	v_cndmask_b32_e64 v63, v63, 0, s[22:23]
	v_add_u32_e32 v19, v63, v19
	s_nop 1
	v_mov_b32_dpp v63, v19 row_shr:2 row_mask:0xf bank_mask:0xf
	v_cndmask_b32_e64 v63, 0, v63, s[24:25]
	v_add_u32_e32 v19, v19, v63
	;; [unrolled: 4-line block ×4, first 2 shown]
	s_nop 1
	v_mov_b32_dpp v63, v19 row_bcast:15 row_mask:0xf bank_mask:0xf
	v_cndmask_b32_e64 v63, v63, 0, s[30:31]
	v_add_u32_e32 v19, v19, v63
	s_nop 1
	v_mov_b32_dpp v63, v19 row_bcast:31 row_mask:0xf bank_mask:0xf
	v_cndmask_b32_e64 v63, 0, v63, s[34:35]
	v_add_u32_e32 v19, v19, v63
	s_and_saveexec_b64 s[4:5], s[36:37]
	s_cbranch_execz .LBB212_53
; %bb.52:                               ;   in Loop: Header=BB212_35 Depth=1
	ds_write_b32 v98, v19
.LBB212_53:                             ;   in Loop: Header=BB212_35 Depth=1
	s_or_b64 exec, exec, s[4:5]
	s_waitcnt lgkmcnt(0)
	s_barrier
	s_and_saveexec_b64 s[4:5], s[16:17]
	s_cbranch_execz .LBB212_55
; %bb.54:                               ;   in Loop: Header=BB212_35 Depth=1
	ds_read_b32 v63, v88
	s_waitcnt lgkmcnt(0)
	s_nop 0
	v_mov_b32_dpp v112, v63 row_shr:1 row_mask:0xf bank_mask:0xf
	v_cndmask_b32_e64 v112, v112, 0, s[40:41]
	v_add_u32_e32 v63, v112, v63
	ds_write_b32 v88, v63
.LBB212_55:                             ;   in Loop: Header=BB212_35 Depth=1
	s_or_b64 exec, exec, s[4:5]
	v_mov_b32_e32 v63, 0
	s_waitcnt lgkmcnt(0)
	s_barrier
	s_and_saveexec_b64 s[4:5], s[18:19]
	s_cbranch_execz .LBB212_57
; %bb.56:                               ;   in Loop: Header=BB212_35 Depth=1
	ds_read_b32 v63, v99
.LBB212_57:                             ;   in Loop: Header=BB212_35 Depth=1
	s_or_b64 exec, exec, s[4:5]
	s_waitcnt lgkmcnt(0)
	v_add_u32_e32 v19, v63, v19
	ds_bpermute_b32 v19, v97, v19
	s_cmp_gt_u32 s52, 23
	s_waitcnt lgkmcnt(0)
	v_cndmask_b32_e64 v19, v19, v63, s[38:39]
	v_cndmask_b32_e64 v19, v19, 0, s[20:21]
	v_add_u32_e32 v20, v19, v20
	v_add_u32_e32 v21, v20, v21
	;; [unrolled: 1-line block ×3, first 2 shown]
	ds_write2_b32 v89, v19, v20 offset0:2 offset1:3
	ds_write2_b32 v95, v21, v18 offset0:2 offset1:3
	s_waitcnt lgkmcnt(0)
	s_barrier
	ds_read_b32 v18, v22
	ds_read_b32 v19, v25
	;; [unrolled: 1-line block ×8, first 2 shown]
	s_waitcnt lgkmcnt(7)
	v_add_u32_e32 v63, v18, v23
	s_waitcnt lgkmcnt(6)
	v_add3_u32 v111, v26, v24, v19
	s_waitcnt lgkmcnt(5)
	v_add3_u32 v112, v29, v27, v20
	;; [unrolled: 2-line block ×7, first 2 shown]
	s_cbranch_scc0 .LBB212_34
; %bb.58:
                                        ; implicit-def: $vgpr71
                                        ; implicit-def: $vgpr69
                                        ; implicit-def: $vgpr67
                                        ; implicit-def: $vgpr65
                                        ; implicit-def: $vgpr32_vgpr33
                                        ; implicit-def: $vgpr28_vgpr29
                                        ; implicit-def: $vgpr24_vgpr25
                                        ; implicit-def: $vgpr20_vgpr21
                                        ; implicit-def: $sgpr52
                                        ; implicit-def: $sgpr54
.LBB212_59:
	v_lshlrev_b32_e32 v18, 2, v63
	s_barrier
	ds_write_b32 v18, v109
	v_lshlrev_b32_e32 v18, 2, v111
	ds_write_b32 v18, v108
	v_lshlrev_b32_e32 v18, 2, v112
	;; [unrolled: 2-line block ×7, first 2 shown]
	v_lshlrev_b32_e32 v24, 2, v87
	ds_write_b32 v18, v102
	s_waitcnt lgkmcnt(0)
	s_barrier
	ds_read2_b32 v[18:19], v24 offset1:1
	ds_read2_b32 v[20:21], v24 offset0:2 offset1:3
	ds_read2_b32 v[22:23], v24 offset0:4 offset1:5
	;; [unrolled: 1-line block ×3, first 2 shown]
	v_bfrev_b32_e32 v70, 1
	v_lshlrev_b32_e32 v25, 3, v63
	v_lshlrev_b32_e32 v26, 3, v111
	s_waitcnt lgkmcnt(3)
	v_cmp_lt_i32_e32 vcc, -1, v19
	v_cndmask_b32_e64 v24, v70, -1, vcc
	v_cmp_lt_i32_e32 vcc, -1, v18
	v_cndmask_b32_e64 v62, v70, -1, vcc
	s_waitcnt lgkmcnt(2)
	v_cmp_lt_i32_e32 vcc, -1, v21
	v_xor_b32_e32 v62, v62, v18
	v_cndmask_b32_e64 v18, v70, -1, vcc
	v_cmp_lt_i32_e32 vcc, -1, v20
	v_xor_b32_e32 v63, v24, v19
	v_cndmask_b32_e64 v19, v70, -1, vcc
	s_waitcnt lgkmcnt(1)
	v_cmp_lt_i32_e32 vcc, -1, v23
	v_xor_b32_e32 v65, v18, v21
	v_cndmask_b32_e64 v18, v70, -1, vcc
	v_cmp_lt_i32_e32 vcc, -1, v22
	v_lshlrev_b32_e32 v27, 3, v112
	v_lshlrev_b32_e32 v28, 3, v113
	;; [unrolled: 1-line block ×7, first 2 shown]
	v_xor_b32_e32 v64, v19, v20
	v_cndmask_b32_e64 v19, v70, -1, vcc
	v_xor_b32_e32 v66, v19, v22
	v_xor_b32_e32 v67, v18, v23
	s_waitcnt lgkmcnt(0)
	s_barrier
	ds_write_b64 v25, v[60:61]
	ds_write_b64 v26, v[58:59]
	;; [unrolled: 1-line block ×8, first 2 shown]
	s_waitcnt lgkmcnt(0)
	s_barrier
	ds_read2_b64 v[18:21], v33 offset1:1
	ds_read2_b64 v[22:25], v33 offset0:2 offset1:3
	ds_read2_b64 v[26:29], v33 offset0:4 offset1:5
	;; [unrolled: 1-line block ×3, first 2 shown]
	v_cmp_lt_i32_e32 vcc, -1, v69
	v_cndmask_b32_e64 v1, v70, -1, vcc
	v_cmp_lt_i32_e32 vcc, -1, v68
	v_cndmask_b32_e64 v0, v70, -1, vcc
	v_xor_b32_e32 v0, v0, v68
	v_xor_b32_e32 v1, v1, v69
	s_branch .LBB212_95
.LBB212_60:
	v_mov_b32_e32 v37, 0
	v_lshlrev_b64 v[2:3], 3, v[36:37]
	v_mov_b32_e32 v4, s47
	v_add_co_u32_e32 v2, vcc, s45, v2
	v_addc_co_u32_e32 v3, vcc, v4, v3, vcc
	global_load_dwordx2 v[2:3], v[2:3], off
	v_mov_b32_e32 v4, v37
	v_mov_b32_e32 v5, v37
	;; [unrolled: 1-line block ×14, first 2 shown]
	s_or_b64 exec, exec, s[4:5]
	s_and_saveexec_b64 s[4:5], s[2:3]
	s_cbranch_execz .LBB212_25
.LBB212_61:
	v_mul_lo_u32 v4, v30, s48
	v_mov_b32_e32 v5, 0
	v_lshlrev_b64 v[4:5], 3, v[4:5]
	v_mov_b32_e32 v30, s47
	v_add_co_u32_e32 v4, vcc, s45, v4
	v_addc_co_u32_e32 v5, vcc, v30, v5, vcc
	global_load_dwordx2 v[4:5], v[4:5], off
	s_or_b64 exec, exec, s[4:5]
	s_and_saveexec_b64 s[4:5], s[42:43]
	s_cbranch_execz .LBB212_26
.LBB212_62:
	v_mul_lo_u32 v6, v28, s48
	v_mov_b32_e32 v7, 0
	v_lshlrev_b64 v[6:7], 3, v[6:7]
	v_mov_b32_e32 v28, s47
	v_add_co_u32_e32 v6, vcc, s45, v6
	v_addc_co_u32_e32 v7, vcc, v28, v7, vcc
	global_load_dwordx2 v[6:7], v[6:7], off
	s_or_b64 exec, exec, s[4:5]
	s_and_saveexec_b64 s[4:5], s[6:7]
	s_cbranch_execz .LBB212_27
.LBB212_63:
	v_mul_lo_u32 v8, v26, s48
	v_mov_b32_e32 v9, 0
	v_lshlrev_b64 v[8:9], 3, v[8:9]
	v_mov_b32_e32 v26, s47
	v_add_co_u32_e32 v8, vcc, s45, v8
	v_addc_co_u32_e32 v9, vcc, v26, v9, vcc
	global_load_dwordx2 v[8:9], v[8:9], off
	s_or_b64 exec, exec, s[4:5]
	s_and_saveexec_b64 s[4:5], s[8:9]
	s_cbranch_execz .LBB212_28
.LBB212_64:
	v_mul_lo_u32 v10, v24, s48
	v_mov_b32_e32 v11, 0
	v_lshlrev_b64 v[10:11], 3, v[10:11]
	v_mov_b32_e32 v24, s47
	v_add_co_u32_e32 v10, vcc, s45, v10
	v_addc_co_u32_e32 v11, vcc, v24, v11, vcc
	global_load_dwordx2 v[10:11], v[10:11], off
	s_or_b64 exec, exec, s[4:5]
	s_and_saveexec_b64 s[4:5], s[10:11]
	s_cbranch_execz .LBB212_29
.LBB212_65:
	v_mul_lo_u32 v12, v21, s48
	v_mov_b32_e32 v13, 0
	v_lshlrev_b64 v[12:13], 3, v[12:13]
	v_mov_b32_e32 v21, s47
	v_add_co_u32_e32 v12, vcc, s45, v12
	v_addc_co_u32_e32 v13, vcc, v21, v13, vcc
	global_load_dwordx2 v[12:13], v[12:13], off
	s_or_b64 exec, exec, s[4:5]
	s_and_saveexec_b64 s[4:5], s[12:13]
	s_cbranch_execz .LBB212_30
.LBB212_66:
	v_mul_lo_u32 v14, v19, s48
	v_mov_b32_e32 v15, 0
	v_lshlrev_b64 v[14:15], 3, v[14:15]
	v_mov_b32_e32 v19, s47
	v_add_co_u32_e32 v14, vcc, s45, v14
	v_addc_co_u32_e32 v15, vcc, v19, v15, vcc
	global_load_dwordx2 v[14:15], v[14:15], off
	s_or_b64 exec, exec, s[4:5]
	s_xor_b64 s[4:5], s[34:35], -1
	s_and_saveexec_b64 s[16:17], s[14:15]
	s_cbranch_execnz .LBB212_31
	s_branch .LBB212_32
.LBB212_67:
                                        ; implicit-def: $vgpr1
                                        ; implicit-def: $vgpr0
                                        ; implicit-def: $vgpr67
                                        ; implicit-def: $vgpr66
                                        ; implicit-def: $vgpr65
                                        ; implicit-def: $vgpr64
                                        ; implicit-def: $vgpr63
                                        ; implicit-def: $vgpr62
                                        ; implicit-def: $vgpr32_vgpr33
                                        ; implicit-def: $vgpr28_vgpr29
                                        ; implicit-def: $vgpr24_vgpr25
                                        ; implicit-def: $vgpr20_vgpr21
	s_cbranch_execz .LBB212_95
; %bb.68:
	v_bfrev_b32_e32 v48, -2
	v_cmp_gt_i32_e32 vcc, 0, v46
	s_waitcnt lgkmcnt(3)
	v_mbcnt_hi_u32_b32 v18, -1, v93
	v_and_b32_e32 v19, 0x3c0, v38
	v_cndmask_b32_e64 v20, v48, 0, vcc
	v_cmp_gt_i32_e32 vcc, 0, v47
	v_add_u32_e32 v0, v18, v19
	v_cndmask_b32_e64 v21, v48, 0, vcc
	v_lshlrev_b32_e32 v1, 5, v0
	v_xor_b32_e32 v21, v21, v47
	v_xor_b32_e32 v20, v20, v46
	v_cmp_gt_i32_e32 vcc, 0, v44
	ds_write2_b32 v1, v20, v21 offset1:1
	v_cndmask_b32_e64 v20, v48, 0, vcc
	v_cmp_gt_i32_e32 vcc, 0, v45
	v_cndmask_b32_e64 v21, v48, 0, vcc
	v_xor_b32_e32 v21, v21, v45
	v_xor_b32_e32 v20, v20, v44
	v_cmp_gt_i32_e32 vcc, 0, v42
	ds_write2_b32 v1, v20, v21 offset0:2 offset1:3
	v_cndmask_b32_e64 v20, v48, 0, vcc
	v_cmp_gt_i32_e32 vcc, 0, v43
	v_cndmask_b32_e64 v21, v48, 0, vcc
	v_xor_b32_e32 v21, v21, v43
	v_xor_b32_e32 v20, v20, v42
	v_cmp_gt_i32_e32 vcc, 0, v40
	ds_write2_b32 v1, v20, v21 offset0:4 offset1:5
	v_cndmask_b32_e64 v20, v48, 0, vcc
	v_cmp_gt_i32_e32 vcc, 0, v41
	v_cndmask_b32_e64 v21, v48, 0, vcc
	v_xor_b32_e32 v21, v21, v41
	v_xor_b32_e32 v20, v20, v40
	ds_write2_b32 v1, v20, v21 offset0:6 offset1:7
	v_and_b32_e32 v20, 0x1e00, v87
	v_or_b32_e32 v1, v18, v20
	v_lshlrev_b32_e32 v21, 2, v1
	v_lshlrev_b32_e32 v0, 6, v0
	; wave barrier
	ds_read2st64_b32 v[40:41], v21 offset1:1
	ds_read2st64_b32 v[42:43], v21 offset0:2 offset1:3
	ds_read2st64_b32 v[44:45], v21 offset0:4 offset1:5
	;; [unrolled: 1-line block ×3, first 2 shown]
	s_waitcnt lgkmcnt(0)
	s_barrier
	ds_write2_b64 v0, v[14:15], v[16:17] offset1:1
	ds_write2_b64 v0, v[10:11], v[12:13] offset0:2 offset1:3
	ds_write2_b64 v0, v[6:7], v[8:9] offset0:4 offset1:5
	;; [unrolled: 1-line block ×3, first 2 shown]
	v_lshlrev_b32_e32 v12, 3, v1
	; wave barrier
	ds_read2st64_b64 v[0:3], v12 offset1:1
	ds_read2st64_b64 v[4:7], v12 offset0:2 offset1:3
	ds_read2st64_b64 v[8:11], v12 offset0:4 offset1:5
	ds_read2st64_b64 v[12:15], v12 offset0:6 offset1:7
	s_waitcnt lgkmcnt(0)
	s_barrier
	s_load_dword s16, s[50:51], 0xc
	s_getpc_b64 s[4:5]
	s_add_u32 s4, s4, _ZN7rocprim17ROCPRIM_400000_NS16block_radix_sortIfLj128ELj8ElLj1ELj1ELj0ELNS0_26block_radix_rank_algorithmE1ELNS0_18block_padding_hintE2ELNS0_4arch9wavefront6targetE1EE19radix_bits_per_passE@rel32@lo+4
	s_addc_u32 s5, s5, _ZN7rocprim17ROCPRIM_400000_NS16block_radix_sortIfLj128ELj8ElLj1ELj1ELj0ELNS0_26block_radix_rank_algorithmE1ELNS0_18block_padding_hintE2ELNS0_4arch9wavefront6targetE1EE19radix_bits_per_passE@rel32@hi+12
	s_load_dword s49, s[4:5], 0x0
	v_cmp_gt_u32_e64 s[30:31], 2, v38
	v_cmp_lt_u32_e64 s[34:35], 63, v38
	s_waitcnt lgkmcnt(0)
	s_lshr_b32 s4, s16, 16
	s_and_b32 s5, s16, 0xffff
	v_mad_u32_u24 v16, v92, s4, v91
	v_mad_u64_u32 v[16:17], s[4:5], v16, s5, v[38:39]
	v_lshrrev_b32_e32 v50, 6, v16
	v_and_b32_e32 v16, 15, v18
	v_cmp_eq_u32_e64 s[16:17], 0, v16
	v_cmp_lt_u32_e64 s[18:19], 1, v16
	v_cmp_lt_u32_e64 s[20:21], 3, v16
	;; [unrolled: 1-line block ×3, first 2 shown]
	v_and_b32_e32 v16, 16, v18
	v_cmp_eq_u32_e64 s[24:25], 0, v16
	v_min_u32_e32 v16, 64, v19
	v_or_b32_e32 v16, 63, v16
	v_cmp_eq_u32_e64 s[28:29], v16, v38
	v_add_u32_e32 v16, -1, v18
	v_and_b32_e32 v17, 64, v18
	v_cmp_lt_i32_e32 vcc, v16, v17
	v_cndmask_b32_e32 v16, v16, v18, vcc
	v_lshlrev_b32_e32 v51, 2, v16
	v_and_b32_e32 v16, 1, v18
	v_cmp_eq_u32_e64 s[38:39], 0, v38
	v_and_b32_e32 v38, 60, v90
	v_cmp_eq_u32_e64 s[40:41], 0, v16
	v_and_or_b32 v16, v18, 63, v20
	s_mov_b32 s50, 0
	v_or_b32_e32 v49, 8, v89
	v_cmp_lt_u32_e64 s[26:27], 31, v18
	v_cmp_eq_u32_e64 s[36:37], 0, v18
	v_add_u32_e32 v52, -4, v38
	v_lshlrev_b32_e32 v53, 2, v16
	v_lshlrev_b32_e32 v54, 3, v16
	s_mov_b32 s52, 32
	s_brev_b32 s51, 1
	v_mov_b32_e32 v32, 0
	s_branch .LBB212_70
.LBB212_69:                             ;   in Loop: Header=BB212_70 Depth=1
	v_lshlrev_b32_e32 v0, 2, v33
	s_barrier
	ds_write_b32 v0, v62
	v_lshlrev_b32_e32 v0, 2, v64
	ds_write_b32 v0, v61
	v_lshlrev_b32_e32 v0, 2, v65
	ds_write_b32 v0, v60
	v_lshlrev_b32_e32 v0, 2, v66
	ds_write_b32 v0, v59
	v_lshlrev_b32_e32 v0, 2, v67
	ds_write_b32 v0, v58
	v_lshlrev_b32_e32 v0, 2, v68
	ds_write_b32 v0, v57
	v_lshlrev_b32_e32 v0, 2, v69
	ds_write_b32 v0, v56
	v_lshlrev_b32_e32 v0, 2, v63
	ds_write_b32 v0, v55
	v_lshlrev_b32_e32 v0, 3, v33
	s_waitcnt lgkmcnt(0)
	s_barrier
	ds_read2st64_b32 v[40:41], v53 offset1:1
	ds_read2st64_b32 v[42:43], v53 offset0:2 offset1:3
	ds_read2st64_b32 v[44:45], v53 offset0:4 offset1:5
	;; [unrolled: 1-line block ×3, first 2 shown]
	s_waitcnt lgkmcnt(0)
	s_barrier
	ds_write_b64 v0, v[30:31]
	v_lshlrev_b32_e32 v0, 3, v64
	ds_write_b64 v0, v[28:29]
	v_lshlrev_b32_e32 v0, 3, v65
	;; [unrolled: 2-line block ×7, first 2 shown]
	ds_write_b64 v0, v[16:17]
	s_waitcnt lgkmcnt(0)
	s_barrier
	ds_read2st64_b64 v[0:3], v54 offset1:1
	ds_read2st64_b64 v[4:7], v54 offset0:2 offset1:3
	ds_read2st64_b64 v[8:11], v54 offset0:4 offset1:5
	;; [unrolled: 1-line block ×3, first 2 shown]
	s_add_i32 s50, s50, 8
	s_add_i32 s52, s52, -8
	s_waitcnt lgkmcnt(0)
	s_barrier
	s_cbranch_execz .LBB212_94
.LBB212_70:                             ; =>This Inner Loop Header: Depth=1
	v_mov_b32_e32 v62, v40
	s_min_u32 s4, s49, s52
	v_cmp_ne_u32_e32 vcc, s51, v62
	v_pk_mov_b32 v[30:31], v[0:1], v[0:1] op_sel:[0,1]
	s_lshl_b32 s4, -1, s4
	v_cndmask_b32_e32 v0, v48, v62, vcc
	s_not_b32 s53, s4
	v_lshrrev_b32_e32 v0, s50, v0
	v_and_b32_e32 v0, s53, v0
	v_lshl_add_u32 v1, v0, 1, v50
	v_pk_mov_b32 v[26:27], v[4:5], v[4:5] op_sel:[0,1]
	v_lshl_add_u32 v4, v1, 2, 8
	v_and_b32_e32 v1, 1, v0
	v_pk_mov_b32 v[28:29], v[2:3], v[2:3] op_sel:[0,1]
	v_add_co_u32_e32 v2, vcc, -1, v1
	v_addc_co_u32_e64 v3, s[4:5], 0, -1, vcc
	v_cmp_ne_u32_e32 vcc, 0, v1
	v_lshlrev_b32_e32 v33, 30, v0
	v_xor_b32_e32 v1, vcc_hi, v3
	v_not_b32_e32 v3, v33
	v_xor_b32_e32 v2, vcc_lo, v2
	v_cmp_gt_i64_e32 vcc, 0, v[32:33]
	v_ashrrev_i32_e32 v3, 31, v3
	v_and_b32_e32 v2, exec_lo, v2
	v_xor_b32_e32 v5, vcc_hi, v3
	v_xor_b32_e32 v3, vcc_lo, v3
	v_lshlrev_b32_e32 v33, 29, v0
	v_and_b32_e32 v2, v2, v3
	v_not_b32_e32 v3, v33
	v_and_b32_e32 v1, exec_hi, v1
	v_cmp_gt_i64_e32 vcc, 0, v[32:33]
	v_ashrrev_i32_e32 v3, 31, v3
	v_and_b32_e32 v1, v1, v5
	v_xor_b32_e32 v5, vcc_hi, v3
	v_xor_b32_e32 v3, vcc_lo, v3
	v_lshlrev_b32_e32 v33, 28, v0
	v_and_b32_e32 v2, v2, v3
	v_not_b32_e32 v3, v33
	v_cmp_gt_i64_e32 vcc, 0, v[32:33]
	v_ashrrev_i32_e32 v3, 31, v3
	v_and_b32_e32 v1, v1, v5
	v_xor_b32_e32 v5, vcc_hi, v3
	v_xor_b32_e32 v3, vcc_lo, v3
	v_lshlrev_b32_e32 v33, 27, v0
	v_and_b32_e32 v2, v2, v3
	v_not_b32_e32 v3, v33
	;; [unrolled: 8-line block ×3, first 2 shown]
	v_cmp_gt_i64_e32 vcc, 0, v[32:33]
	v_ashrrev_i32_e32 v3, 31, v3
	v_and_b32_e32 v1, v1, v5
	v_xor_b32_e32 v5, vcc_hi, v3
	v_xor_b32_e32 v3, vcc_lo, v3
	v_lshlrev_b32_e32 v33, 25, v0
	v_and_b32_e32 v2, v2, v3
	v_cmp_gt_i64_e32 vcc, 0, v[32:33]
	v_not_b32_e32 v3, v33
	v_lshlrev_b32_e32 v33, 24, v0
	v_ashrrev_i32_e32 v3, 31, v3
	v_not_b32_e32 v0, v33
	v_and_b32_e32 v1, v1, v5
	v_xor_b32_e32 v5, vcc_hi, v3
	v_xor_b32_e32 v3, vcc_lo, v3
	v_cmp_gt_i64_e32 vcc, 0, v[32:33]
	v_ashrrev_i32_e32 v0, 31, v0
	v_and_b32_e32 v2, v2, v3
	v_xor_b32_e32 v3, vcc_hi, v0
	v_xor_b32_e32 v0, vcc_lo, v0
	v_and_b32_e32 v1, v1, v5
	v_and_b32_e32 v0, v2, v0
	;; [unrolled: 1-line block ×3, first 2 shown]
	v_mbcnt_lo_u32_b32 v2, v0, 0
	v_mbcnt_hi_u32_b32 v5, v1, v2
	v_cmp_eq_u32_e32 vcc, 0, v5
	v_cmp_ne_u64_e64 s[4:5], 0, v[0:1]
	v_mov_b32_e32 v55, v47
	v_mov_b32_e32 v56, v46
	;; [unrolled: 1-line block ×7, first 2 shown]
	v_pk_mov_b32 v[16:17], v[14:15], v[14:15] op_sel:[0,1]
	v_pk_mov_b32 v[18:19], v[12:13], v[12:13] op_sel:[0,1]
	;; [unrolled: 1-line block ×5, first 2 shown]
	s_and_b64 s[54:55], s[4:5], vcc
	ds_write2_b32 v89, v32, v32 offset0:2 offset1:3
	ds_write2_b32 v49, v32, v32 offset0:2 offset1:3
	s_waitcnt lgkmcnt(0)
	s_barrier
	s_waitcnt lgkmcnt(0)
	; wave barrier
	s_and_saveexec_b64 s[4:5], s[54:55]
	s_cbranch_execz .LBB212_72
; %bb.71:                               ;   in Loop: Header=BB212_70 Depth=1
	v_bcnt_u32_b32 v0, v0, 0
	v_bcnt_u32_b32 v0, v1, v0
	ds_write_b32 v4, v0
.LBB212_72:                             ;   in Loop: Header=BB212_70 Depth=1
	s_or_b64 exec, exec, s[4:5]
	v_cmp_ne_u32_e32 vcc, s51, v61
	v_cndmask_b32_e32 v0, v48, v61, vcc
	v_lshrrev_b32_e32 v0, s50, v0
	v_and_b32_e32 v0, s53, v0
	v_lshlrev_b32_e32 v1, 1, v0
	v_add_lshl_u32 v1, v1, v50, 2
	; wave barrier
	v_add_u32_e32 v7, 8, v1
	ds_read_b32 v6, v1 offset:8
	v_and_b32_e32 v1, 1, v0
	v_add_co_u32_e32 v2, vcc, -1, v1
	v_addc_co_u32_e64 v3, s[4:5], 0, -1, vcc
	v_cmp_ne_u32_e32 vcc, 0, v1
	v_lshlrev_b32_e32 v33, 30, v0
	v_xor_b32_e32 v1, vcc_hi, v3
	v_not_b32_e32 v3, v33
	v_xor_b32_e32 v2, vcc_lo, v2
	v_cmp_gt_i64_e32 vcc, 0, v[32:33]
	v_ashrrev_i32_e32 v3, 31, v3
	v_and_b32_e32 v2, exec_lo, v2
	v_xor_b32_e32 v8, vcc_hi, v3
	v_xor_b32_e32 v3, vcc_lo, v3
	v_lshlrev_b32_e32 v33, 29, v0
	v_and_b32_e32 v2, v2, v3
	v_not_b32_e32 v3, v33
	v_and_b32_e32 v1, exec_hi, v1
	v_cmp_gt_i64_e32 vcc, 0, v[32:33]
	v_ashrrev_i32_e32 v3, 31, v3
	v_and_b32_e32 v1, v1, v8
	v_xor_b32_e32 v8, vcc_hi, v3
	v_xor_b32_e32 v3, vcc_lo, v3
	v_lshlrev_b32_e32 v33, 28, v0
	v_and_b32_e32 v2, v2, v3
	v_not_b32_e32 v3, v33
	v_cmp_gt_i64_e32 vcc, 0, v[32:33]
	v_ashrrev_i32_e32 v3, 31, v3
	v_and_b32_e32 v1, v1, v8
	v_xor_b32_e32 v8, vcc_hi, v3
	v_xor_b32_e32 v3, vcc_lo, v3
	v_lshlrev_b32_e32 v33, 27, v0
	v_and_b32_e32 v2, v2, v3
	v_not_b32_e32 v3, v33
	;; [unrolled: 8-line block ×3, first 2 shown]
	v_cmp_gt_i64_e32 vcc, 0, v[32:33]
	v_ashrrev_i32_e32 v3, 31, v3
	v_and_b32_e32 v1, v1, v8
	v_xor_b32_e32 v8, vcc_hi, v3
	v_xor_b32_e32 v3, vcc_lo, v3
	v_lshlrev_b32_e32 v33, 25, v0
	v_and_b32_e32 v2, v2, v3
	v_cmp_gt_i64_e32 vcc, 0, v[32:33]
	v_not_b32_e32 v3, v33
	v_lshlrev_b32_e32 v33, 24, v0
	v_ashrrev_i32_e32 v3, 31, v3
	v_not_b32_e32 v0, v33
	v_and_b32_e32 v1, v1, v8
	v_xor_b32_e32 v8, vcc_hi, v3
	v_xor_b32_e32 v3, vcc_lo, v3
	v_cmp_gt_i64_e32 vcc, 0, v[32:33]
	v_ashrrev_i32_e32 v0, 31, v0
	v_and_b32_e32 v2, v2, v3
	v_xor_b32_e32 v3, vcc_hi, v0
	v_xor_b32_e32 v0, vcc_lo, v0
	v_and_b32_e32 v1, v1, v8
	v_and_b32_e32 v0, v2, v0
	;; [unrolled: 1-line block ×3, first 2 shown]
	v_mbcnt_lo_u32_b32 v2, v0, 0
	v_mbcnt_hi_u32_b32 v8, v1, v2
	v_cmp_eq_u32_e32 vcc, 0, v8
	v_cmp_ne_u64_e64 s[4:5], 0, v[0:1]
	s_and_b64 s[54:55], s[4:5], vcc
	; wave barrier
	s_and_saveexec_b64 s[4:5], s[54:55]
	s_cbranch_execz .LBB212_74
; %bb.73:                               ;   in Loop: Header=BB212_70 Depth=1
	v_bcnt_u32_b32 v0, v0, 0
	v_bcnt_u32_b32 v0, v1, v0
	s_waitcnt lgkmcnt(0)
	v_add_u32_e32 v0, v6, v0
	ds_write_b32 v7, v0
.LBB212_74:                             ;   in Loop: Header=BB212_70 Depth=1
	s_or_b64 exec, exec, s[4:5]
	v_cmp_ne_u32_e32 vcc, s51, v60
	v_cndmask_b32_e32 v0, v48, v60, vcc
	v_lshrrev_b32_e32 v0, s50, v0
	v_and_b32_e32 v0, s53, v0
	v_lshlrev_b32_e32 v1, 1, v0
	v_add_lshl_u32 v1, v1, v50, 2
	; wave barrier
	v_add_u32_e32 v10, 8, v1
	ds_read_b32 v9, v1 offset:8
	v_and_b32_e32 v1, 1, v0
	v_add_co_u32_e32 v2, vcc, -1, v1
	v_addc_co_u32_e64 v3, s[4:5], 0, -1, vcc
	v_cmp_ne_u32_e32 vcc, 0, v1
	v_lshlrev_b32_e32 v33, 30, v0
	v_xor_b32_e32 v1, vcc_hi, v3
	v_not_b32_e32 v3, v33
	v_xor_b32_e32 v2, vcc_lo, v2
	v_cmp_gt_i64_e32 vcc, 0, v[32:33]
	v_ashrrev_i32_e32 v3, 31, v3
	v_and_b32_e32 v2, exec_lo, v2
	v_xor_b32_e32 v11, vcc_hi, v3
	v_xor_b32_e32 v3, vcc_lo, v3
	v_lshlrev_b32_e32 v33, 29, v0
	v_and_b32_e32 v2, v2, v3
	v_not_b32_e32 v3, v33
	v_and_b32_e32 v1, exec_hi, v1
	v_cmp_gt_i64_e32 vcc, 0, v[32:33]
	v_ashrrev_i32_e32 v3, 31, v3
	v_and_b32_e32 v1, v1, v11
	v_xor_b32_e32 v11, vcc_hi, v3
	v_xor_b32_e32 v3, vcc_lo, v3
	v_lshlrev_b32_e32 v33, 28, v0
	v_and_b32_e32 v2, v2, v3
	v_not_b32_e32 v3, v33
	v_cmp_gt_i64_e32 vcc, 0, v[32:33]
	v_ashrrev_i32_e32 v3, 31, v3
	v_and_b32_e32 v1, v1, v11
	v_xor_b32_e32 v11, vcc_hi, v3
	v_xor_b32_e32 v3, vcc_lo, v3
	v_lshlrev_b32_e32 v33, 27, v0
	v_and_b32_e32 v2, v2, v3
	v_not_b32_e32 v3, v33
	;; [unrolled: 8-line block ×3, first 2 shown]
	v_cmp_gt_i64_e32 vcc, 0, v[32:33]
	v_ashrrev_i32_e32 v3, 31, v3
	v_and_b32_e32 v1, v1, v11
	v_xor_b32_e32 v11, vcc_hi, v3
	v_xor_b32_e32 v3, vcc_lo, v3
	v_lshlrev_b32_e32 v33, 25, v0
	v_and_b32_e32 v2, v2, v3
	v_cmp_gt_i64_e32 vcc, 0, v[32:33]
	v_not_b32_e32 v3, v33
	v_lshlrev_b32_e32 v33, 24, v0
	v_ashrrev_i32_e32 v3, 31, v3
	v_not_b32_e32 v0, v33
	v_and_b32_e32 v1, v1, v11
	v_xor_b32_e32 v11, vcc_hi, v3
	v_xor_b32_e32 v3, vcc_lo, v3
	v_cmp_gt_i64_e32 vcc, 0, v[32:33]
	v_ashrrev_i32_e32 v0, 31, v0
	v_and_b32_e32 v2, v2, v3
	v_xor_b32_e32 v3, vcc_hi, v0
	v_xor_b32_e32 v0, vcc_lo, v0
	v_and_b32_e32 v1, v1, v11
	v_and_b32_e32 v0, v2, v0
	;; [unrolled: 1-line block ×3, first 2 shown]
	v_mbcnt_lo_u32_b32 v2, v0, 0
	v_mbcnt_hi_u32_b32 v11, v1, v2
	v_cmp_eq_u32_e32 vcc, 0, v11
	v_cmp_ne_u64_e64 s[4:5], 0, v[0:1]
	s_and_b64 s[54:55], s[4:5], vcc
	; wave barrier
	s_and_saveexec_b64 s[4:5], s[54:55]
	s_cbranch_execz .LBB212_76
; %bb.75:                               ;   in Loop: Header=BB212_70 Depth=1
	v_bcnt_u32_b32 v0, v0, 0
	v_bcnt_u32_b32 v0, v1, v0
	s_waitcnt lgkmcnt(0)
	v_add_u32_e32 v0, v9, v0
	ds_write_b32 v10, v0
.LBB212_76:                             ;   in Loop: Header=BB212_70 Depth=1
	s_or_b64 exec, exec, s[4:5]
	v_cmp_ne_u32_e32 vcc, s51, v59
	v_cndmask_b32_e32 v0, v48, v59, vcc
	v_lshrrev_b32_e32 v0, s50, v0
	v_and_b32_e32 v0, s53, v0
	v_lshlrev_b32_e32 v1, 1, v0
	v_add_lshl_u32 v1, v1, v50, 2
	; wave barrier
	v_add_u32_e32 v13, 8, v1
	ds_read_b32 v12, v1 offset:8
	v_and_b32_e32 v1, 1, v0
	v_add_co_u32_e32 v2, vcc, -1, v1
	v_addc_co_u32_e64 v3, s[4:5], 0, -1, vcc
	v_cmp_ne_u32_e32 vcc, 0, v1
	v_lshlrev_b32_e32 v33, 30, v0
	v_xor_b32_e32 v1, vcc_hi, v3
	v_not_b32_e32 v3, v33
	v_xor_b32_e32 v2, vcc_lo, v2
	v_cmp_gt_i64_e32 vcc, 0, v[32:33]
	v_ashrrev_i32_e32 v3, 31, v3
	v_and_b32_e32 v2, exec_lo, v2
	v_xor_b32_e32 v14, vcc_hi, v3
	v_xor_b32_e32 v3, vcc_lo, v3
	v_lshlrev_b32_e32 v33, 29, v0
	v_and_b32_e32 v2, v2, v3
	v_not_b32_e32 v3, v33
	v_and_b32_e32 v1, exec_hi, v1
	v_cmp_gt_i64_e32 vcc, 0, v[32:33]
	v_ashrrev_i32_e32 v3, 31, v3
	v_and_b32_e32 v1, v1, v14
	v_xor_b32_e32 v14, vcc_hi, v3
	v_xor_b32_e32 v3, vcc_lo, v3
	v_lshlrev_b32_e32 v33, 28, v0
	v_and_b32_e32 v2, v2, v3
	v_not_b32_e32 v3, v33
	v_cmp_gt_i64_e32 vcc, 0, v[32:33]
	v_ashrrev_i32_e32 v3, 31, v3
	v_and_b32_e32 v1, v1, v14
	v_xor_b32_e32 v14, vcc_hi, v3
	v_xor_b32_e32 v3, vcc_lo, v3
	v_lshlrev_b32_e32 v33, 27, v0
	v_and_b32_e32 v2, v2, v3
	v_not_b32_e32 v3, v33
	;; [unrolled: 8-line block ×3, first 2 shown]
	v_cmp_gt_i64_e32 vcc, 0, v[32:33]
	v_ashrrev_i32_e32 v3, 31, v3
	v_and_b32_e32 v1, v1, v14
	v_xor_b32_e32 v14, vcc_hi, v3
	v_xor_b32_e32 v3, vcc_lo, v3
	v_lshlrev_b32_e32 v33, 25, v0
	v_and_b32_e32 v2, v2, v3
	v_cmp_gt_i64_e32 vcc, 0, v[32:33]
	v_not_b32_e32 v3, v33
	v_lshlrev_b32_e32 v33, 24, v0
	v_ashrrev_i32_e32 v3, 31, v3
	v_not_b32_e32 v0, v33
	v_and_b32_e32 v1, v1, v14
	v_xor_b32_e32 v14, vcc_hi, v3
	v_xor_b32_e32 v3, vcc_lo, v3
	v_cmp_gt_i64_e32 vcc, 0, v[32:33]
	v_ashrrev_i32_e32 v0, 31, v0
	v_and_b32_e32 v2, v2, v3
	v_xor_b32_e32 v3, vcc_hi, v0
	v_xor_b32_e32 v0, vcc_lo, v0
	v_and_b32_e32 v1, v1, v14
	v_and_b32_e32 v0, v2, v0
	;; [unrolled: 1-line block ×3, first 2 shown]
	v_mbcnt_lo_u32_b32 v2, v0, 0
	v_mbcnt_hi_u32_b32 v14, v1, v2
	v_cmp_eq_u32_e32 vcc, 0, v14
	v_cmp_ne_u64_e64 s[4:5], 0, v[0:1]
	s_and_b64 s[54:55], s[4:5], vcc
	; wave barrier
	s_and_saveexec_b64 s[4:5], s[54:55]
	s_cbranch_execz .LBB212_78
; %bb.77:                               ;   in Loop: Header=BB212_70 Depth=1
	v_bcnt_u32_b32 v0, v0, 0
	v_bcnt_u32_b32 v0, v1, v0
	s_waitcnt lgkmcnt(0)
	v_add_u32_e32 v0, v12, v0
	ds_write_b32 v13, v0
.LBB212_78:                             ;   in Loop: Header=BB212_70 Depth=1
	s_or_b64 exec, exec, s[4:5]
	v_cmp_ne_u32_e32 vcc, s51, v58
	v_cndmask_b32_e32 v0, v48, v58, vcc
	v_lshrrev_b32_e32 v0, s50, v0
	v_and_b32_e32 v0, s53, v0
	v_lshlrev_b32_e32 v1, 1, v0
	v_add_lshl_u32 v1, v1, v50, 2
	; wave barrier
	v_add_u32_e32 v40, 8, v1
	ds_read_b32 v15, v1 offset:8
	v_and_b32_e32 v1, 1, v0
	v_add_co_u32_e32 v2, vcc, -1, v1
	v_addc_co_u32_e64 v3, s[4:5], 0, -1, vcc
	v_cmp_ne_u32_e32 vcc, 0, v1
	v_lshlrev_b32_e32 v33, 30, v0
	v_xor_b32_e32 v1, vcc_hi, v3
	v_not_b32_e32 v3, v33
	v_xor_b32_e32 v2, vcc_lo, v2
	v_cmp_gt_i64_e32 vcc, 0, v[32:33]
	v_ashrrev_i32_e32 v3, 31, v3
	v_and_b32_e32 v1, exec_hi, v1
	v_xor_b32_e32 v33, vcc_hi, v3
	v_and_b32_e32 v2, exec_lo, v2
	v_xor_b32_e32 v3, vcc_lo, v3
	v_and_b32_e32 v1, v1, v33
	v_lshlrev_b32_e32 v33, 29, v0
	v_and_b32_e32 v2, v2, v3
	v_not_b32_e32 v3, v33
	v_cmp_gt_i64_e32 vcc, 0, v[32:33]
	v_ashrrev_i32_e32 v3, 31, v3
	v_xor_b32_e32 v33, vcc_hi, v3
	v_xor_b32_e32 v3, vcc_lo, v3
	v_and_b32_e32 v1, v1, v33
	v_lshlrev_b32_e32 v33, 28, v0
	v_and_b32_e32 v2, v2, v3
	v_not_b32_e32 v3, v33
	v_cmp_gt_i64_e32 vcc, 0, v[32:33]
	v_ashrrev_i32_e32 v3, 31, v3
	v_xor_b32_e32 v33, vcc_hi, v3
	;; [unrolled: 8-line block ×5, first 2 shown]
	v_and_b32_e32 v1, v1, v33
	v_lshlrev_b32_e32 v33, 24, v0
	v_not_b32_e32 v0, v33
	v_xor_b32_e32 v3, vcc_lo, v3
	v_cmp_gt_i64_e32 vcc, 0, v[32:33]
	v_ashrrev_i32_e32 v0, 31, v0
	v_and_b32_e32 v2, v2, v3
	v_xor_b32_e32 v3, vcc_hi, v0
	v_xor_b32_e32 v0, vcc_lo, v0
	v_and_b32_e32 v0, v2, v0
	v_and_b32_e32 v1, v1, v3
	v_mbcnt_lo_u32_b32 v2, v0, 0
	v_mbcnt_hi_u32_b32 v41, v1, v2
	v_cmp_eq_u32_e32 vcc, 0, v41
	v_cmp_ne_u64_e64 s[4:5], 0, v[0:1]
	s_and_b64 s[54:55], s[4:5], vcc
	; wave barrier
	s_and_saveexec_b64 s[4:5], s[54:55]
	s_cbranch_execz .LBB212_80
; %bb.79:                               ;   in Loop: Header=BB212_70 Depth=1
	v_bcnt_u32_b32 v0, v0, 0
	v_bcnt_u32_b32 v0, v1, v0
	s_waitcnt lgkmcnt(0)
	v_add_u32_e32 v0, v15, v0
	ds_write_b32 v40, v0
.LBB212_80:                             ;   in Loop: Header=BB212_70 Depth=1
	s_or_b64 exec, exec, s[4:5]
	v_cmp_ne_u32_e32 vcc, s51, v57
	v_cndmask_b32_e32 v0, v48, v57, vcc
	v_lshrrev_b32_e32 v0, s50, v0
	v_and_b32_e32 v0, s53, v0
	v_lshlrev_b32_e32 v1, 1, v0
	v_add_lshl_u32 v1, v1, v50, 2
	; wave barrier
	v_add_u32_e32 v43, 8, v1
	ds_read_b32 v42, v1 offset:8
	v_and_b32_e32 v1, 1, v0
	v_add_co_u32_e32 v2, vcc, -1, v1
	v_addc_co_u32_e64 v3, s[4:5], 0, -1, vcc
	v_cmp_ne_u32_e32 vcc, 0, v1
	v_lshlrev_b32_e32 v33, 30, v0
	v_xor_b32_e32 v1, vcc_hi, v3
	v_not_b32_e32 v3, v33
	v_xor_b32_e32 v2, vcc_lo, v2
	v_cmp_gt_i64_e32 vcc, 0, v[32:33]
	v_ashrrev_i32_e32 v3, 31, v3
	v_and_b32_e32 v1, exec_hi, v1
	v_xor_b32_e32 v33, vcc_hi, v3
	v_and_b32_e32 v2, exec_lo, v2
	v_xor_b32_e32 v3, vcc_lo, v3
	v_and_b32_e32 v1, v1, v33
	v_lshlrev_b32_e32 v33, 29, v0
	v_and_b32_e32 v2, v2, v3
	v_not_b32_e32 v3, v33
	v_cmp_gt_i64_e32 vcc, 0, v[32:33]
	v_ashrrev_i32_e32 v3, 31, v3
	v_xor_b32_e32 v33, vcc_hi, v3
	v_xor_b32_e32 v3, vcc_lo, v3
	v_and_b32_e32 v1, v1, v33
	v_lshlrev_b32_e32 v33, 28, v0
	v_and_b32_e32 v2, v2, v3
	v_not_b32_e32 v3, v33
	v_cmp_gt_i64_e32 vcc, 0, v[32:33]
	v_ashrrev_i32_e32 v3, 31, v3
	v_xor_b32_e32 v33, vcc_hi, v3
	;; [unrolled: 8-line block ×5, first 2 shown]
	v_and_b32_e32 v1, v1, v33
	v_lshlrev_b32_e32 v33, 24, v0
	v_not_b32_e32 v0, v33
	v_xor_b32_e32 v3, vcc_lo, v3
	v_cmp_gt_i64_e32 vcc, 0, v[32:33]
	v_ashrrev_i32_e32 v0, 31, v0
	v_and_b32_e32 v2, v2, v3
	v_xor_b32_e32 v3, vcc_hi, v0
	v_xor_b32_e32 v0, vcc_lo, v0
	v_and_b32_e32 v0, v2, v0
	v_and_b32_e32 v1, v1, v3
	v_mbcnt_lo_u32_b32 v2, v0, 0
	v_mbcnt_hi_u32_b32 v44, v1, v2
	v_cmp_eq_u32_e32 vcc, 0, v44
	v_cmp_ne_u64_e64 s[4:5], 0, v[0:1]
	s_and_b64 s[54:55], s[4:5], vcc
	; wave barrier
	s_and_saveexec_b64 s[4:5], s[54:55]
	s_cbranch_execz .LBB212_82
; %bb.81:                               ;   in Loop: Header=BB212_70 Depth=1
	v_bcnt_u32_b32 v0, v0, 0
	v_bcnt_u32_b32 v0, v1, v0
	s_waitcnt lgkmcnt(0)
	v_add_u32_e32 v0, v42, v0
	ds_write_b32 v43, v0
.LBB212_82:                             ;   in Loop: Header=BB212_70 Depth=1
	s_or_b64 exec, exec, s[4:5]
	v_cmp_ne_u32_e32 vcc, s51, v56
	v_cndmask_b32_e32 v0, v48, v56, vcc
	v_lshrrev_b32_e32 v0, s50, v0
	v_and_b32_e32 v0, s53, v0
	v_lshlrev_b32_e32 v1, 1, v0
	v_add_lshl_u32 v1, v1, v50, 2
	; wave barrier
	v_add_u32_e32 v46, 8, v1
	ds_read_b32 v45, v1 offset:8
	v_and_b32_e32 v1, 1, v0
	v_add_co_u32_e32 v2, vcc, -1, v1
	v_addc_co_u32_e64 v3, s[4:5], 0, -1, vcc
	v_cmp_ne_u32_e32 vcc, 0, v1
	v_lshlrev_b32_e32 v33, 30, v0
	v_xor_b32_e32 v1, vcc_hi, v3
	v_not_b32_e32 v3, v33
	v_xor_b32_e32 v2, vcc_lo, v2
	v_cmp_gt_i64_e32 vcc, 0, v[32:33]
	v_ashrrev_i32_e32 v3, 31, v3
	v_and_b32_e32 v1, exec_hi, v1
	v_xor_b32_e32 v33, vcc_hi, v3
	v_and_b32_e32 v2, exec_lo, v2
	v_xor_b32_e32 v3, vcc_lo, v3
	v_and_b32_e32 v1, v1, v33
	v_lshlrev_b32_e32 v33, 29, v0
	v_and_b32_e32 v2, v2, v3
	v_not_b32_e32 v3, v33
	v_cmp_gt_i64_e32 vcc, 0, v[32:33]
	v_ashrrev_i32_e32 v3, 31, v3
	v_xor_b32_e32 v33, vcc_hi, v3
	v_xor_b32_e32 v3, vcc_lo, v3
	v_and_b32_e32 v1, v1, v33
	v_lshlrev_b32_e32 v33, 28, v0
	v_and_b32_e32 v2, v2, v3
	v_not_b32_e32 v3, v33
	v_cmp_gt_i64_e32 vcc, 0, v[32:33]
	v_ashrrev_i32_e32 v3, 31, v3
	v_xor_b32_e32 v33, vcc_hi, v3
	;; [unrolled: 8-line block ×5, first 2 shown]
	v_and_b32_e32 v1, v1, v33
	v_lshlrev_b32_e32 v33, 24, v0
	v_not_b32_e32 v0, v33
	v_xor_b32_e32 v3, vcc_lo, v3
	v_cmp_gt_i64_e32 vcc, 0, v[32:33]
	v_ashrrev_i32_e32 v0, 31, v0
	v_and_b32_e32 v2, v2, v3
	v_xor_b32_e32 v3, vcc_hi, v0
	v_xor_b32_e32 v0, vcc_lo, v0
	v_and_b32_e32 v0, v2, v0
	v_and_b32_e32 v1, v1, v3
	v_mbcnt_lo_u32_b32 v2, v0, 0
	v_mbcnt_hi_u32_b32 v47, v1, v2
	v_cmp_eq_u32_e32 vcc, 0, v47
	v_cmp_ne_u64_e64 s[4:5], 0, v[0:1]
	s_and_b64 s[54:55], s[4:5], vcc
	; wave barrier
	s_and_saveexec_b64 s[4:5], s[54:55]
	s_cbranch_execz .LBB212_84
; %bb.83:                               ;   in Loop: Header=BB212_70 Depth=1
	v_bcnt_u32_b32 v0, v0, 0
	v_bcnt_u32_b32 v0, v1, v0
	s_waitcnt lgkmcnt(0)
	v_add_u32_e32 v0, v45, v0
	ds_write_b32 v46, v0
.LBB212_84:                             ;   in Loop: Header=BB212_70 Depth=1
	s_or_b64 exec, exec, s[4:5]
	v_cmp_ne_u32_e32 vcc, s51, v55
	v_cndmask_b32_e32 v0, v48, v55, vcc
	v_lshrrev_b32_e32 v0, s50, v0
	v_and_b32_e32 v0, s53, v0
	v_lshlrev_b32_e32 v1, 1, v0
	v_add_lshl_u32 v1, v1, v50, 2
	; wave barrier
	v_add_u32_e32 v64, 8, v1
	ds_read_b32 v63, v1 offset:8
	v_and_b32_e32 v1, 1, v0
	v_add_co_u32_e32 v2, vcc, -1, v1
	v_addc_co_u32_e64 v3, s[4:5], 0, -1, vcc
	v_cmp_ne_u32_e32 vcc, 0, v1
	v_lshlrev_b32_e32 v33, 30, v0
	v_xor_b32_e32 v1, vcc_hi, v3
	v_not_b32_e32 v3, v33
	v_xor_b32_e32 v2, vcc_lo, v2
	v_cmp_gt_i64_e32 vcc, 0, v[32:33]
	v_ashrrev_i32_e32 v3, 31, v3
	v_and_b32_e32 v1, exec_hi, v1
	v_xor_b32_e32 v33, vcc_hi, v3
	v_and_b32_e32 v2, exec_lo, v2
	v_xor_b32_e32 v3, vcc_lo, v3
	v_and_b32_e32 v1, v1, v33
	v_lshlrev_b32_e32 v33, 29, v0
	v_and_b32_e32 v2, v2, v3
	v_not_b32_e32 v3, v33
	v_cmp_gt_i64_e32 vcc, 0, v[32:33]
	v_ashrrev_i32_e32 v3, 31, v3
	v_xor_b32_e32 v33, vcc_hi, v3
	v_xor_b32_e32 v3, vcc_lo, v3
	v_and_b32_e32 v1, v1, v33
	v_lshlrev_b32_e32 v33, 28, v0
	v_and_b32_e32 v2, v2, v3
	v_not_b32_e32 v3, v33
	v_cmp_gt_i64_e32 vcc, 0, v[32:33]
	v_ashrrev_i32_e32 v3, 31, v3
	v_xor_b32_e32 v33, vcc_hi, v3
	;; [unrolled: 8-line block ×5, first 2 shown]
	v_and_b32_e32 v1, v1, v33
	v_lshlrev_b32_e32 v33, 24, v0
	v_not_b32_e32 v0, v33
	v_xor_b32_e32 v3, vcc_lo, v3
	v_cmp_gt_i64_e32 vcc, 0, v[32:33]
	v_ashrrev_i32_e32 v0, 31, v0
	v_and_b32_e32 v2, v2, v3
	v_xor_b32_e32 v3, vcc_hi, v0
	v_xor_b32_e32 v0, vcc_lo, v0
	v_and_b32_e32 v0, v2, v0
	v_and_b32_e32 v1, v1, v3
	v_mbcnt_lo_u32_b32 v2, v0, 0
	v_mbcnt_hi_u32_b32 v70, v1, v2
	v_cmp_eq_u32_e32 vcc, 0, v70
	v_cmp_ne_u64_e64 s[4:5], 0, v[0:1]
	s_and_b64 s[54:55], s[4:5], vcc
	; wave barrier
	s_and_saveexec_b64 s[4:5], s[54:55]
	s_cbranch_execz .LBB212_86
; %bb.85:                               ;   in Loop: Header=BB212_70 Depth=1
	v_bcnt_u32_b32 v0, v0, 0
	v_bcnt_u32_b32 v0, v1, v0
	s_waitcnt lgkmcnt(0)
	v_add_u32_e32 v0, v63, v0
	ds_write_b32 v64, v0
.LBB212_86:                             ;   in Loop: Header=BB212_70 Depth=1
	s_or_b64 exec, exec, s[4:5]
	; wave barrier
	s_waitcnt lgkmcnt(0)
	s_barrier
	ds_read2_b32 v[2:3], v89 offset0:2 offset1:3
	ds_read2_b32 v[0:1], v49 offset0:2 offset1:3
	s_waitcnt lgkmcnt(1)
	v_add_u32_e32 v33, v3, v2
	s_waitcnt lgkmcnt(0)
	v_add3_u32 v1, v33, v0, v1
	s_nop 1
	v_mov_b32_dpp v33, v1 row_shr:1 row_mask:0xf bank_mask:0xf
	v_cndmask_b32_e64 v33, v33, 0, s[16:17]
	v_add_u32_e32 v1, v33, v1
	s_nop 1
	v_mov_b32_dpp v33, v1 row_shr:2 row_mask:0xf bank_mask:0xf
	v_cndmask_b32_e64 v33, 0, v33, s[18:19]
	v_add_u32_e32 v1, v1, v33
	;; [unrolled: 4-line block ×4, first 2 shown]
	s_nop 1
	v_mov_b32_dpp v33, v1 row_bcast:15 row_mask:0xf bank_mask:0xf
	v_cndmask_b32_e64 v33, v33, 0, s[24:25]
	v_add_u32_e32 v1, v1, v33
	s_nop 1
	v_mov_b32_dpp v33, v1 row_bcast:31 row_mask:0xf bank_mask:0xf
	v_cndmask_b32_e64 v33, 0, v33, s[26:27]
	v_add_u32_e32 v1, v1, v33
	s_and_saveexec_b64 s[4:5], s[28:29]
	s_cbranch_execz .LBB212_88
; %bb.87:                               ;   in Loop: Header=BB212_70 Depth=1
	ds_write_b32 v38, v1
.LBB212_88:                             ;   in Loop: Header=BB212_70 Depth=1
	s_or_b64 exec, exec, s[4:5]
	s_waitcnt lgkmcnt(0)
	s_barrier
	s_and_saveexec_b64 s[4:5], s[30:31]
	s_cbranch_execz .LBB212_90
; %bb.89:                               ;   in Loop: Header=BB212_70 Depth=1
	ds_read_b32 v33, v88
	s_waitcnt lgkmcnt(0)
	s_nop 0
	v_mov_b32_dpp v65, v33 row_shr:1 row_mask:0xf bank_mask:0xf
	v_cndmask_b32_e64 v65, v65, 0, s[40:41]
	v_add_u32_e32 v33, v65, v33
	ds_write_b32 v88, v33
.LBB212_90:                             ;   in Loop: Header=BB212_70 Depth=1
	s_or_b64 exec, exec, s[4:5]
	v_mov_b32_e32 v33, 0
	s_waitcnt lgkmcnt(0)
	s_barrier
	s_and_saveexec_b64 s[4:5], s[34:35]
	s_cbranch_execz .LBB212_92
; %bb.91:                               ;   in Loop: Header=BB212_70 Depth=1
	ds_read_b32 v33, v52
.LBB212_92:                             ;   in Loop: Header=BB212_70 Depth=1
	s_or_b64 exec, exec, s[4:5]
	s_waitcnt lgkmcnt(0)
	v_add_u32_e32 v1, v33, v1
	ds_bpermute_b32 v1, v51, v1
	s_cmp_gt_u32 s50, 23
	s_waitcnt lgkmcnt(0)
	v_cndmask_b32_e64 v1, v1, v33, s[36:37]
	v_cndmask_b32_e64 v1, v1, 0, s[38:39]
	v_add_u32_e32 v2, v1, v2
	v_add_u32_e32 v3, v2, v3
	;; [unrolled: 1-line block ×3, first 2 shown]
	ds_write2_b32 v89, v1, v2 offset0:2 offset1:3
	ds_write2_b32 v49, v3, v0 offset0:2 offset1:3
	s_waitcnt lgkmcnt(0)
	s_barrier
	ds_read_b32 v0, v4
	ds_read_b32 v1, v7
	;; [unrolled: 1-line block ×8, first 2 shown]
	s_waitcnt lgkmcnt(7)
	v_add_u32_e32 v33, v0, v5
	s_waitcnt lgkmcnt(6)
	v_add3_u32 v64, v8, v6, v1
	s_waitcnt lgkmcnt(5)
	v_add3_u32 v65, v11, v9, v2
	;; [unrolled: 2-line block ×7, first 2 shown]
	s_cbranch_scc0 .LBB212_69
; %bb.93:
                                        ; implicit-def: $vgpr47
                                        ; implicit-def: $vgpr45
                                        ; implicit-def: $vgpr43
                                        ; implicit-def: $vgpr41
                                        ; implicit-def: $vgpr14_vgpr15
                                        ; implicit-def: $vgpr10_vgpr11
                                        ; implicit-def: $vgpr6_vgpr7
                                        ; implicit-def: $vgpr2_vgpr3
                                        ; implicit-def: $sgpr50
                                        ; implicit-def: $sgpr52
.LBB212_94:
	v_lshlrev_b32_e32 v0, 2, v33
	s_barrier
	ds_write_b32 v0, v62
	v_lshlrev_b32_e32 v0, 2, v64
	ds_write_b32 v0, v61
	v_lshlrev_b32_e32 v0, 2, v65
	;; [unrolled: 2-line block ×7, first 2 shown]
	v_lshlrev_b32_e32 v6, 2, v87
	ds_write_b32 v0, v55
	s_waitcnt lgkmcnt(0)
	s_barrier
	ds_read2_b32 v[0:1], v6 offset1:1
	ds_read2_b32 v[2:3], v6 offset0:2 offset1:3
	ds_read2_b32 v[4:5], v6 offset0:4 offset1:5
	;; [unrolled: 1-line block ×3, first 2 shown]
	v_bfrev_b32_e32 v38, -2
	v_lshlrev_b32_e32 v8, 3, v33
	v_lshlrev_b32_e32 v32, 3, v87
	s_waitcnt lgkmcnt(3)
	v_cmp_gt_i32_e32 vcc, 0, v1
	v_cndmask_b32_e64 v33, v38, 0, vcc
	v_cmp_gt_i32_e32 vcc, 0, v0
	v_lshlrev_b32_e32 v9, 3, v64
	v_lshlrev_b32_e32 v10, 3, v65
	;; [unrolled: 1-line block ×7, first 2 shown]
	v_cndmask_b32_e64 v40, v38, 0, vcc
	v_xor_b32_e32 v63, v33, v1
	s_waitcnt lgkmcnt(2)
	v_cmp_gt_i32_e32 vcc, 0, v3
	s_waitcnt lgkmcnt(0)
	s_barrier
	ds_write_b64 v8, v[30:31]
	ds_write_b64 v9, v[28:29]
	;; [unrolled: 1-line block ×8, first 2 shown]
	s_waitcnt lgkmcnt(0)
	s_barrier
	ds_read2_b64 v[18:21], v32 offset1:1
	ds_read2_b64 v[22:25], v32 offset0:2 offset1:3
	ds_read2_b64 v[26:29], v32 offset0:4 offset1:5
	;; [unrolled: 1-line block ×3, first 2 shown]
	v_xor_b32_e32 v62, v40, v0
	v_cndmask_b32_e64 v0, v38, 0, vcc
	v_cmp_gt_i32_e32 vcc, 0, v2
	v_cndmask_b32_e64 v1, v38, 0, vcc
	v_cmp_gt_i32_e32 vcc, 0, v5
	v_xor_b32_e32 v65, v0, v3
	v_cndmask_b32_e64 v0, v38, 0, vcc
	v_cmp_gt_i32_e32 vcc, 0, v4
	v_xor_b32_e32 v64, v1, v2
	;; [unrolled: 3-line block ×4, first 2 shown]
	v_cndmask_b32_e64 v0, v38, 0, vcc
	v_xor_b32_e32 v0, v0, v6
	v_xor_b32_e32 v1, v1, v7
.LBB212_95:
	s_waitcnt lgkmcnt(0)
	s_barrier
	ds_write2_b32 v78, v62, v63 offset1:1
	ds_write2_b32 v78, v64, v65 offset0:2 offset1:3
	ds_write2_b32 v78, v66, v67 offset0:4 offset1:5
	ds_write2_b32 v78, v0, v1 offset0:6 offset1:7
	s_waitcnt lgkmcnt(0)
	s_barrier
	ds_read_b32 v8, v35 offset:512
	ds_read_b32 v7, v72 offset:1024
	;; [unrolled: 1-line block ×7, first 2 shown]
	v_mov_b32_e32 v35, 0
	v_lshlrev_b64 v[0:1], 2, v[34:35]
	v_mov_b32_e32 v9, s44
	v_add_co_u32_e32 v0, vcc, s33, v0
	v_addc_co_u32_e32 v1, vcc, v9, v1, vcc
	s_and_saveexec_b64 s[4:5], s[0:1]
	s_cbranch_execnz .LBB212_114
; %bb.96:
	s_or_b64 exec, exec, s[4:5]
	s_and_saveexec_b64 s[4:5], s[2:3]
	s_cbranch_execnz .LBB212_115
.LBB212_97:
	s_or_b64 exec, exec, s[4:5]
	s_and_saveexec_b64 s[4:5], s[42:43]
	s_cbranch_execnz .LBB212_116
.LBB212_98:
	s_or_b64 exec, exec, s[4:5]
	s_and_saveexec_b64 s[4:5], s[6:7]
	s_cbranch_execnz .LBB212_117
.LBB212_99:
	s_or_b64 exec, exec, s[4:5]
	s_and_saveexec_b64 s[4:5], s[8:9]
	s_cbranch_execnz .LBB212_118
.LBB212_100:
	s_or_b64 exec, exec, s[4:5]
	s_and_saveexec_b64 s[4:5], s[10:11]
	s_cbranch_execnz .LBB212_119
.LBB212_101:
	s_or_b64 exec, exec, s[4:5]
	s_and_saveexec_b64 s[4:5], s[12:13]
	s_cbranch_execnz .LBB212_120
.LBB212_102:
	s_or_b64 exec, exec, s[4:5]
	s_and_saveexec_b64 s[4:5], s[14:15]
	s_cbranch_execz .LBB212_104
.LBB212_103:
	s_mul_i32 s16, s46, 0x380
	s_mov_b32 s17, 0
	s_lshl_b64 s[16:17], s[16:17], 2
	s_waitcnt lgkmcnt(1)
	v_mov_b32_e32 v3, s17
	v_add_co_u32_e32 v0, vcc, s16, v0
	v_addc_co_u32_e32 v1, vcc, v1, v3, vcc
	s_waitcnt lgkmcnt(0)
	global_store_dword v[0:1], v2, off
.LBB212_104:
	s_or_b64 exec, exec, s[4:5]
	s_waitcnt lgkmcnt(0)
	s_barrier
	ds_write2_b64 v86, v[18:19], v[20:21] offset1:1
	ds_write2_b64 v86, v[22:23], v[24:25] offset0:2 offset1:3
	ds_write2_b64 v86, v[26:27], v[28:29] offset0:4 offset1:5
	;; [unrolled: 1-line block ×3, first 2 shown]
	s_waitcnt lgkmcnt(0)
	s_barrier
	ds_read_b64 v[14:15], v37 offset:1024
	ds_read_b64 v[12:13], v80 offset:2048
	;; [unrolled: 1-line block ×7, first 2 shown]
	v_mov_b32_e32 v37, 0
	v_lshlrev_b64 v[2:3], 3, v[36:37]
	v_mov_b32_e32 v16, s47
	v_add_co_u32_e32 v2, vcc, s45, v2
	v_addc_co_u32_e32 v3, vcc, v16, v3, vcc
	s_and_saveexec_b64 s[4:5], s[0:1]
	s_cbranch_execnz .LBB212_121
; %bb.105:
	s_or_b64 exec, exec, s[4:5]
	s_and_saveexec_b64 s[0:1], s[2:3]
	s_cbranch_execnz .LBB212_122
.LBB212_106:
	s_or_b64 exec, exec, s[0:1]
	s_and_saveexec_b64 s[0:1], s[42:43]
	s_cbranch_execnz .LBB212_123
.LBB212_107:
	s_or_b64 exec, exec, s[0:1]
	s_and_saveexec_b64 s[0:1], s[6:7]
	s_cbranch_execnz .LBB212_124
.LBB212_108:
	s_or_b64 exec, exec, s[0:1]
	s_and_saveexec_b64 s[0:1], s[8:9]
	s_cbranch_execnz .LBB212_125
.LBB212_109:
	s_or_b64 exec, exec, s[0:1]
	s_and_saveexec_b64 s[0:1], s[10:11]
	s_cbranch_execnz .LBB212_126
.LBB212_110:
	s_or_b64 exec, exec, s[0:1]
	s_and_saveexec_b64 s[0:1], s[12:13]
	s_cbranch_execnz .LBB212_127
.LBB212_111:
	s_or_b64 exec, exec, s[0:1]
	s_and_saveexec_b64 s[0:1], s[14:15]
	s_cbranch_execz .LBB212_113
.LBB212_112:
	s_mul_i32 s0, s48, 0x380
	s_mov_b32 s1, 0
	s_lshl_b64 s[0:1], s[0:1], 3
	s_waitcnt lgkmcnt(1)
	v_mov_b32_e32 v4, s1
	v_add_co_u32_e32 v2, vcc, s0, v2
	v_addc_co_u32_e32 v3, vcc, v3, v4, vcc
	s_waitcnt lgkmcnt(0)
	global_store_dwordx2 v[2:3], v[0:1], off
.LBB212_113:
	s_endpgm
.LBB212_114:
	ds_read_b32 v9, v39
	s_waitcnt lgkmcnt(0)
	global_store_dword v[0:1], v9, off
	s_or_b64 exec, exec, s[4:5]
	s_and_saveexec_b64 s[4:5], s[2:3]
	s_cbranch_execz .LBB212_97
.LBB212_115:
	s_lshl_b32 s16, s46, 7
	s_mov_b32 s17, 0
	s_lshl_b64 s[16:17], s[16:17], 2
	v_mov_b32_e32 v9, s17
	v_add_co_u32_e32 v10, vcc, s16, v0
	v_addc_co_u32_e32 v11, vcc, v1, v9, vcc
	s_waitcnt lgkmcnt(6)
	global_store_dword v[10:11], v8, off
	s_or_b64 exec, exec, s[4:5]
	s_and_saveexec_b64 s[4:5], s[42:43]
	s_cbranch_execz .LBB212_98
.LBB212_116:
	s_lshl_b32 s16, s46, 8
	s_mov_b32 s17, 0
	s_lshl_b64 s[16:17], s[16:17], 2
	v_mov_b32_e32 v9, s17
	s_waitcnt lgkmcnt(6)
	v_add_co_u32_e32 v8, vcc, s16, v0
	v_addc_co_u32_e32 v9, vcc, v1, v9, vcc
	s_waitcnt lgkmcnt(5)
	global_store_dword v[8:9], v7, off
	s_or_b64 exec, exec, s[4:5]
	s_and_saveexec_b64 s[4:5], s[6:7]
	s_cbranch_execz .LBB212_99
.LBB212_117:
	s_mul_i32 s16, s46, 0x180
	s_mov_b32 s17, 0
	s_lshl_b64 s[16:17], s[16:17], 2
	s_waitcnt lgkmcnt(5)
	v_mov_b32_e32 v7, s17
	v_add_co_u32_e32 v8, vcc, s16, v0
	v_addc_co_u32_e32 v9, vcc, v1, v7, vcc
	s_waitcnt lgkmcnt(4)
	global_store_dword v[8:9], v6, off
	s_or_b64 exec, exec, s[4:5]
	s_and_saveexec_b64 s[4:5], s[8:9]
	s_cbranch_execz .LBB212_100
.LBB212_118:
	s_lshl_b32 s16, s46, 9
	s_mov_b32 s17, 0
	s_lshl_b64 s[16:17], s[16:17], 2
	s_waitcnt lgkmcnt(5)
	v_mov_b32_e32 v7, s17
	s_waitcnt lgkmcnt(4)
	v_add_co_u32_e32 v6, vcc, s16, v0
	v_addc_co_u32_e32 v7, vcc, v1, v7, vcc
	s_waitcnt lgkmcnt(3)
	global_store_dword v[6:7], v5, off
	s_or_b64 exec, exec, s[4:5]
	s_and_saveexec_b64 s[4:5], s[10:11]
	s_cbranch_execz .LBB212_101
.LBB212_119:
	s_mul_i32 s16, s46, 0x280
	s_mov_b32 s17, 0
	s_lshl_b64 s[16:17], s[16:17], 2
	s_waitcnt lgkmcnt(3)
	v_mov_b32_e32 v5, s17
	v_add_co_u32_e32 v6, vcc, s16, v0
	v_addc_co_u32_e32 v7, vcc, v1, v5, vcc
	s_waitcnt lgkmcnt(2)
	global_store_dword v[6:7], v4, off
	s_or_b64 exec, exec, s[4:5]
	s_and_saveexec_b64 s[4:5], s[12:13]
	s_cbranch_execz .LBB212_102
.LBB212_120:
	s_mul_i32 s16, s46, 0x300
	s_mov_b32 s17, 0
	s_lshl_b64 s[16:17], s[16:17], 2
	s_waitcnt lgkmcnt(3)
	v_mov_b32_e32 v5, s17
	s_waitcnt lgkmcnt(2)
	v_add_co_u32_e32 v4, vcc, s16, v0
	v_addc_co_u32_e32 v5, vcc, v1, v5, vcc
	s_waitcnt lgkmcnt(1)
	global_store_dword v[4:5], v3, off
	s_or_b64 exec, exec, s[4:5]
	s_and_saveexec_b64 s[4:5], s[14:15]
	s_cbranch_execnz .LBB212_103
	s_branch .LBB212_104
.LBB212_121:
	ds_read_b64 v[16:17], v79
	s_waitcnt lgkmcnt(0)
	global_store_dwordx2 v[2:3], v[16:17], off
	s_or_b64 exec, exec, s[4:5]
	s_and_saveexec_b64 s[0:1], s[2:3]
	s_cbranch_execz .LBB212_106
.LBB212_122:
	s_lshl_b32 s2, s48, 7
	s_mov_b32 s3, 0
	s_lshl_b64 s[2:3], s[2:3], 3
	v_mov_b32_e32 v17, s3
	v_add_co_u32_e32 v16, vcc, s2, v2
	v_addc_co_u32_e32 v17, vcc, v3, v17, vcc
	s_waitcnt lgkmcnt(6)
	global_store_dwordx2 v[16:17], v[14:15], off
	s_or_b64 exec, exec, s[0:1]
	s_and_saveexec_b64 s[0:1], s[42:43]
	s_cbranch_execz .LBB212_107
.LBB212_123:
	s_lshl_b32 s2, s48, 8
	s_mov_b32 s3, 0
	s_lshl_b64 s[2:3], s[2:3], 3
	s_waitcnt lgkmcnt(6)
	v_mov_b32_e32 v15, s3
	v_add_co_u32_e32 v14, vcc, s2, v2
	v_addc_co_u32_e32 v15, vcc, v3, v15, vcc
	s_waitcnt lgkmcnt(5)
	global_store_dwordx2 v[14:15], v[12:13], off
	s_or_b64 exec, exec, s[0:1]
	s_and_saveexec_b64 s[0:1], s[6:7]
	s_cbranch_execz .LBB212_108
.LBB212_124:
	s_mul_i32 s2, s48, 0x180
	s_mov_b32 s3, 0
	s_lshl_b64 s[2:3], s[2:3], 3
	s_waitcnt lgkmcnt(5)
	v_mov_b32_e32 v13, s3
	v_add_co_u32_e32 v12, vcc, s2, v2
	v_addc_co_u32_e32 v13, vcc, v3, v13, vcc
	s_waitcnt lgkmcnt(4)
	global_store_dwordx2 v[12:13], v[10:11], off
	s_or_b64 exec, exec, s[0:1]
	s_and_saveexec_b64 s[0:1], s[8:9]
	s_cbranch_execz .LBB212_109
.LBB212_125:
	s_lshl_b32 s2, s48, 9
	s_mov_b32 s3, 0
	s_lshl_b64 s[2:3], s[2:3], 3
	s_waitcnt lgkmcnt(4)
	v_mov_b32_e32 v11, s3
	v_add_co_u32_e32 v10, vcc, s2, v2
	v_addc_co_u32_e32 v11, vcc, v3, v11, vcc
	s_waitcnt lgkmcnt(3)
	global_store_dwordx2 v[10:11], v[8:9], off
	s_or_b64 exec, exec, s[0:1]
	s_and_saveexec_b64 s[0:1], s[10:11]
	s_cbranch_execz .LBB212_110
.LBB212_126:
	s_mul_i32 s2, s48, 0x280
	s_mov_b32 s3, 0
	s_lshl_b64 s[2:3], s[2:3], 3
	s_waitcnt lgkmcnt(3)
	v_mov_b32_e32 v9, s3
	v_add_co_u32_e32 v8, vcc, s2, v2
	v_addc_co_u32_e32 v9, vcc, v3, v9, vcc
	s_waitcnt lgkmcnt(2)
	global_store_dwordx2 v[8:9], v[6:7], off
	s_or_b64 exec, exec, s[0:1]
	s_and_saveexec_b64 s[0:1], s[12:13]
	s_cbranch_execz .LBB212_111
.LBB212_127:
	s_mul_i32 s2, s48, 0x300
	s_mov_b32 s3, 0
	s_lshl_b64 s[2:3], s[2:3], 3
	s_waitcnt lgkmcnt(2)
	v_mov_b32_e32 v7, s3
	v_add_co_u32_e32 v6, vcc, s2, v2
	v_addc_co_u32_e32 v7, vcc, v3, v7, vcc
	s_waitcnt lgkmcnt(1)
	global_store_dwordx2 v[6:7], v[4:5], off
	s_or_b64 exec, exec, s[0:1]
	s_and_saveexec_b64 s[0:1], s[14:15]
	s_cbranch_execnz .LBB212_112
	s_branch .LBB212_113
	.section	.rodata,"a",@progbits
	.p2align	6, 0x0
	.amdhsa_kernel _ZN2at6native18radixSortKVInPlaceILin1ELin1ELi128ELi8EfljEEvNS_4cuda6detail10TensorInfoIT3_T5_EES6_S6_S6_NS4_IT4_S6_EES6_b
		.amdhsa_group_segment_fixed_size 8448
		.amdhsa_private_segment_fixed_size 0
		.amdhsa_kernarg_size 712
		.amdhsa_user_sgpr_count 6
		.amdhsa_user_sgpr_private_segment_buffer 1
		.amdhsa_user_sgpr_dispatch_ptr 0
		.amdhsa_user_sgpr_queue_ptr 0
		.amdhsa_user_sgpr_kernarg_segment_ptr 1
		.amdhsa_user_sgpr_dispatch_id 0
		.amdhsa_user_sgpr_flat_scratch_init 0
		.amdhsa_user_sgpr_kernarg_preload_length 0
		.amdhsa_user_sgpr_kernarg_preload_offset 0
		.amdhsa_user_sgpr_private_segment_size 0
		.amdhsa_uses_dynamic_stack 0
		.amdhsa_system_sgpr_private_segment_wavefront_offset 0
		.amdhsa_system_sgpr_workgroup_id_x 1
		.amdhsa_system_sgpr_workgroup_id_y 1
		.amdhsa_system_sgpr_workgroup_id_z 1
		.amdhsa_system_sgpr_workgroup_info 0
		.amdhsa_system_vgpr_workitem_id 2
		.amdhsa_next_free_vgpr 118
		.amdhsa_next_free_sgpr 58
		.amdhsa_accum_offset 120
		.amdhsa_reserve_vcc 1
		.amdhsa_reserve_flat_scratch 0
		.amdhsa_float_round_mode_32 0
		.amdhsa_float_round_mode_16_64 0
		.amdhsa_float_denorm_mode_32 3
		.amdhsa_float_denorm_mode_16_64 3
		.amdhsa_dx10_clamp 1
		.amdhsa_ieee_mode 1
		.amdhsa_fp16_overflow 0
		.amdhsa_tg_split 0
		.amdhsa_exception_fp_ieee_invalid_op 0
		.amdhsa_exception_fp_denorm_src 0
		.amdhsa_exception_fp_ieee_div_zero 0
		.amdhsa_exception_fp_ieee_overflow 0
		.amdhsa_exception_fp_ieee_underflow 0
		.amdhsa_exception_fp_ieee_inexact 0
		.amdhsa_exception_int_div_zero 0
	.end_amdhsa_kernel
	.section	.text._ZN2at6native18radixSortKVInPlaceILin1ELin1ELi128ELi8EfljEEvNS_4cuda6detail10TensorInfoIT3_T5_EES6_S6_S6_NS4_IT4_S6_EES6_b,"axG",@progbits,_ZN2at6native18radixSortKVInPlaceILin1ELin1ELi128ELi8EfljEEvNS_4cuda6detail10TensorInfoIT3_T5_EES6_S6_S6_NS4_IT4_S6_EES6_b,comdat
.Lfunc_end212:
	.size	_ZN2at6native18radixSortKVInPlaceILin1ELin1ELi128ELi8EfljEEvNS_4cuda6detail10TensorInfoIT3_T5_EES6_S6_S6_NS4_IT4_S6_EES6_b, .Lfunc_end212-_ZN2at6native18radixSortKVInPlaceILin1ELin1ELi128ELi8EfljEEvNS_4cuda6detail10TensorInfoIT3_T5_EES6_S6_S6_NS4_IT4_S6_EES6_b
                                        ; -- End function
	.section	.AMDGPU.csdata,"",@progbits
; Kernel info:
; codeLenInByte = 13480
; NumSgprs: 62
; NumVgprs: 118
; NumAgprs: 0
; TotalNumVgprs: 118
; ScratchSize: 0
; MemoryBound: 0
; FloatMode: 240
; IeeeMode: 1
; LDSByteSize: 8448 bytes/workgroup (compile time only)
; SGPRBlocks: 7
; VGPRBlocks: 14
; NumSGPRsForWavesPerEU: 62
; NumVGPRsForWavesPerEU: 118
; AccumOffset: 120
; Occupancy: 4
; WaveLimiterHint : 1
; COMPUTE_PGM_RSRC2:SCRATCH_EN: 0
; COMPUTE_PGM_RSRC2:USER_SGPR: 6
; COMPUTE_PGM_RSRC2:TRAP_HANDLER: 0
; COMPUTE_PGM_RSRC2:TGID_X_EN: 1
; COMPUTE_PGM_RSRC2:TGID_Y_EN: 1
; COMPUTE_PGM_RSRC2:TGID_Z_EN: 1
; COMPUTE_PGM_RSRC2:TIDIG_COMP_CNT: 2
; COMPUTE_PGM_RSRC3_GFX90A:ACCUM_OFFSET: 29
; COMPUTE_PGM_RSRC3_GFX90A:TG_SPLIT: 0
	.section	.text._ZN2at6native18radixSortKVInPlaceILin1ELin1ELi32ELi4EfljEEvNS_4cuda6detail10TensorInfoIT3_T5_EES6_S6_S6_NS4_IT4_S6_EES6_b,"axG",@progbits,_ZN2at6native18radixSortKVInPlaceILin1ELin1ELi32ELi4EfljEEvNS_4cuda6detail10TensorInfoIT3_T5_EES6_S6_S6_NS4_IT4_S6_EES6_b,comdat
	.protected	_ZN2at6native18radixSortKVInPlaceILin1ELin1ELi32ELi4EfljEEvNS_4cuda6detail10TensorInfoIT3_T5_EES6_S6_S6_NS4_IT4_S6_EES6_b ; -- Begin function _ZN2at6native18radixSortKVInPlaceILin1ELin1ELi32ELi4EfljEEvNS_4cuda6detail10TensorInfoIT3_T5_EES6_S6_S6_NS4_IT4_S6_EES6_b
	.globl	_ZN2at6native18radixSortKVInPlaceILin1ELin1ELi32ELi4EfljEEvNS_4cuda6detail10TensorInfoIT3_T5_EES6_S6_S6_NS4_IT4_S6_EES6_b
	.p2align	8
	.type	_ZN2at6native18radixSortKVInPlaceILin1ELin1ELi32ELi4EfljEEvNS_4cuda6detail10TensorInfoIT3_T5_EES6_S6_S6_NS4_IT4_S6_EES6_b,@function
_ZN2at6native18radixSortKVInPlaceILin1ELin1ELi32ELi4EfljEEvNS_4cuda6detail10TensorInfoIT3_T5_EES6_S6_S6_NS4_IT4_S6_EES6_b: ; @_ZN2at6native18radixSortKVInPlaceILin1ELin1ELi32ELi4EfljEEvNS_4cuda6detail10TensorInfoIT3_T5_EES6_S6_S6_NS4_IT4_S6_EES6_b
; %bb.0:
	s_load_dwordx2 s[0:1], s[4:5], 0x1c8
	s_load_dwordx4 s[28:31], s[4:5], 0xd8
	s_waitcnt lgkmcnt(0)
	s_mul_i32 s1, s1, s8
	s_add_i32 s1, s1, s7
	s_mul_i32 s0, s1, s0
	s_add_i32 s14, s0, s6
	s_cmp_ge_u32 s14, s28
	s_cbranch_scc1 .LBB213_63
; %bb.1:
	s_load_dword s2, s[4:5], 0xd0
	s_mov_b32 s1, 0
	s_mov_b32 s0, s14
	s_waitcnt lgkmcnt(0)
	s_cmp_lt_i32 s2, 2
	s_cbranch_scc1 .LBB213_4
; %bb.2:
	s_add_i32 s0, s2, -1
	s_add_i32 s6, s2, 1
	s_lshl_b64 s[2:3], s[0:1], 2
	s_add_u32 s0, s2, s4
	s_addc_u32 s3, s3, s5
	s_add_u32 s2, s0, 8
	s_addc_u32 s3, s3, 0
	s_mov_b32 s0, s14
.LBB213_3:                              ; =>This Inner Loop Header: Depth=1
	s_load_dword s7, s[2:3], 0x0
	s_load_dword s9, s[2:3], 0x64
	s_mov_b32 s8, s0
	s_waitcnt lgkmcnt(0)
	v_cvt_f32_u32_e32 v1, s7
	s_sub_i32 s0, 0, s7
	v_rcp_iflag_f32_e32 v1, v1
	v_mul_f32_e32 v1, 0x4f7ffffe, v1
	v_cvt_u32_f32_e32 v1, v1
	v_readfirstlane_b32 s10, v1
	s_mul_i32 s0, s0, s10
	s_mul_hi_u32 s0, s10, s0
	s_add_i32 s10, s10, s0
	s_mul_hi_u32 s0, s8, s10
	s_mul_i32 s10, s0, s7
	s_sub_i32 s10, s8, s10
	s_add_i32 s11, s0, 1
	s_sub_i32 s12, s10, s7
	s_cmp_ge_u32 s10, s7
	s_cselect_b32 s0, s11, s0
	s_cselect_b32 s10, s12, s10
	s_add_i32 s11, s0, 1
	s_cmp_ge_u32 s10, s7
	s_cselect_b32 s0, s11, s0
	s_mul_i32 s7, s0, s7
	s_sub_i32 s7, s8, s7
	s_mul_i32 s7, s9, s7
	s_add_i32 s6, s6, -1
	s_add_i32 s1, s7, s1
	s_add_u32 s2, s2, -4
	s_addc_u32 s3, s3, -1
	s_cmp_gt_u32 s6, 2
	s_cbranch_scc1 .LBB213_3
.LBB213_4:
	s_load_dword s2, s[4:5], 0x1b8
	s_mov_b32 s11, 0
	s_waitcnt lgkmcnt(0)
	s_cmp_lt_i32 s2, 2
	s_cbranch_scc1 .LBB213_7
; %bb.5:
	s_add_i32 s10, s2, -1
	s_add_i32 s6, s2, 1
	s_lshl_b64 s[2:3], s[10:11], 2
	s_add_u32 s2, s2, s4
	s_addc_u32 s3, s3, s5
	s_add_u32 s2, s2, 0xf0
	s_addc_u32 s3, s3, 0
.LBB213_6:                              ; =>This Inner Loop Header: Depth=1
	s_load_dword s7, s[2:3], 0x0
	s_load_dword s9, s[2:3], 0x64
	s_mov_b32 s8, s14
	s_waitcnt lgkmcnt(0)
	v_cvt_f32_u32_e32 v1, s7
	s_sub_i32 s10, 0, s7
	v_rcp_iflag_f32_e32 v1, v1
	v_mul_f32_e32 v1, 0x4f7ffffe, v1
	v_cvt_u32_f32_e32 v1, v1
	v_readfirstlane_b32 s12, v1
	s_mul_i32 s10, s10, s12
	s_mul_hi_u32 s10, s12, s10
	s_add_i32 s12, s12, s10
	s_mul_hi_u32 s10, s14, s12
	s_mul_i32 s12, s10, s7
	s_sub_i32 s12, s14, s12
	s_add_i32 s13, s10, 1
	s_sub_i32 s14, s12, s7
	s_cmp_ge_u32 s12, s7
	s_cselect_b32 s10, s13, s10
	s_cselect_b32 s12, s14, s12
	s_add_i32 s13, s10, 1
	s_cmp_ge_u32 s12, s7
	s_cselect_b32 s14, s13, s10
	s_mul_i32 s7, s14, s7
	s_sub_i32 s7, s8, s7
	s_mul_i32 s7, s9, s7
	s_add_i32 s6, s6, -1
	s_add_i32 s11, s7, s11
	s_add_u32 s2, s2, -4
	s_addc_u32 s3, s3, -1
	s_cmp_gt_u32 s6, 2
	s_cbranch_scc1 .LBB213_6
.LBB213_7:
	s_load_dword s2, s[4:5], 0x6c
	s_load_dwordx2 s[26:27], s[4:5], 0x1c0
	s_mov_b32 s7, 0
	v_bfrev_b32_e32 v1, -2
	v_mul_lo_u32 v22, v0, s30
	s_waitcnt lgkmcnt(0)
	s_mul_i32 s0, s2, s0
	s_load_dwordx2 s[2:3], s[4:5], 0x0
	s_add_i32 s6, s0, s1
	s_bitcmp1_b32 s27, 0
	s_cselect_b64 s[8:9], -1, 0
	s_lshl_b64 s[0:1], s[6:7], 2
	s_waitcnt lgkmcnt(0)
	s_add_u32 s27, s2, s0
	v_cndmask_b32_e64 v5, v1, -1, s[8:9]
	s_addc_u32 s31, s3, s1
	v_mov_b32_e32 v2, v5
	v_mov_b32_e32 v3, v5
	v_cmp_gt_u32_e64 s[0:1], s29, v0
	v_mov_b32_e32 v4, v5
	s_and_saveexec_b64 s[2:3], s[0:1]
	s_cbranch_execz .LBB213_9
; %bb.8:
	v_mov_b32_e32 v23, 0
	v_lshlrev_b64 v[6:7], 2, v[22:23]
	v_mov_b32_e32 v1, s31
	v_add_co_u32_e32 v6, vcc, s27, v6
	v_addc_co_u32_e32 v7, vcc, v1, v7, vcc
	global_load_dword v4, v[6:7], off
.LBB213_9:
	s_or_b64 exec, exec, s[2:3]
	v_or_b32_e32 v1, 32, v0
	v_cmp_gt_u32_e64 s[2:3], s29, v1
	s_and_saveexec_b64 s[6:7], s[2:3]
	s_cbranch_execz .LBB213_11
; %bb.10:
	v_mul_lo_u32 v6, v1, s30
	v_mov_b32_e32 v7, 0
	v_lshlrev_b64 v[6:7], 2, v[6:7]
	v_mov_b32_e32 v5, s31
	v_add_co_u32_e32 v6, vcc, s27, v6
	v_addc_co_u32_e32 v7, vcc, v5, v7, vcc
	global_load_dword v5, v[6:7], off
.LBB213_11:
	s_or_b64 exec, exec, s[6:7]
	s_load_dwordx2 s[12:13], s[4:5], 0xe8
	v_or_b32_e32 v11, 64, v0
	v_cmp_gt_u32_e64 s[24:25], s29, v11
	s_and_saveexec_b64 s[6:7], s[24:25]
	s_cbranch_execz .LBB213_13
; %bb.12:
	v_mul_lo_u32 v6, v11, s30
	v_mov_b32_e32 v7, 0
	v_lshlrev_b64 v[6:7], 2, v[6:7]
	v_mov_b32_e32 v2, s31
	v_add_co_u32_e32 v6, vcc, s27, v6
	v_addc_co_u32_e32 v7, vcc, v2, v7, vcc
	global_load_dword v2, v[6:7], off
.LBB213_13:
	s_or_b64 exec, exec, s[6:7]
	s_load_dword s10, s[4:5], 0x154
	v_or_b32_e32 v10, 0x60, v0
	v_cmp_gt_u32_e64 s[6:7], s29, v10
	s_and_saveexec_b64 s[4:5], s[6:7]
	s_cbranch_execz .LBB213_15
; %bb.14:
	v_mul_lo_u32 v6, v10, s30
	v_mov_b32_e32 v7, 0
	v_lshlrev_b64 v[6:7], 2, v[6:7]
	v_mov_b32_e32 v3, s31
	v_add_co_u32_e32 v6, vcc, s27, v6
	v_addc_co_u32_e32 v7, vcc, v3, v7, vcc
	global_load_dword v3, v[6:7], off
.LBB213_15:
	s_or_b64 exec, exec, s[4:5]
	v_lshlrev_b32_e32 v38, 2, v0
	s_waitcnt vmcnt(0)
	ds_write_b32 v38, v4
	v_lshrrev_b32_e32 v4, 5, v1
	v_add_u32_e32 v15, v4, v0
	v_lshrrev_b32_e32 v4, 5, v11
	v_add_u32_e32 v13, v4, v0
	v_lshlrev_b32_e32 v23, 2, v15
	v_lshlrev_b32_e32 v39, 2, v13
	ds_write_b32 v23, v5 offset:128
	ds_write_b32 v39, v2 offset:256
	v_lshrrev_b32_e32 v2, 5, v10
	v_add_u32_e32 v12, v2, v0
	v_lshrrev_b32_e32 v2, 3, v0
	v_or_b32_e32 v14, v2, v38
	v_lshlrev_b32_e32 v40, 2, v12
	v_lshlrev_b32_e32 v41, 2, v14
	s_waitcnt lgkmcnt(0)
	s_mul_i32 s4, s10, s14
	ds_write_b32 v40, v3 offset:384
	s_waitcnt lgkmcnt(0)
	; wave barrier
	s_waitcnt lgkmcnt(0)
	ds_read2_b32 v[28:29], v41 offset1:1
	ds_read2_b32 v[26:27], v41 offset0:2 offset1:3
	s_add_i32 s16, s4, s11
	s_mov_b32 s17, 0
	s_lshl_b64 s[4:5], s[16:17], 3
	s_mov_b32 s16, s17
	s_add_u32 s33, s12, s4
	s_mov_b32 s18, s17
	s_mov_b32 s19, s17
	;; [unrolled: 1-line block ×6, first 2 shown]
	v_pk_mov_b32 v[2:3], s[16:17], s[16:17] op_sel:[0,1]
	s_addc_u32 s38, s13, s5
	v_pk_mov_b32 v[4:5], s[18:19], s[18:19] op_sel:[0,1]
	v_pk_mov_b32 v[6:7], s[20:21], s[20:21] op_sel:[0,1]
	v_pk_mov_b32 v[8:9], s[22:23], s[22:23] op_sel:[0,1]
	v_pk_mov_b32 v[2:3], 0, 0
	v_mul_lo_u32 v24, v0, s26
	s_waitcnt lgkmcnt(0)
	; wave barrier
	s_waitcnt lgkmcnt(0)
	s_and_saveexec_b64 s[4:5], s[0:1]
	s_cbranch_execnz .LBB213_35
; %bb.16:
	s_or_b64 exec, exec, s[4:5]
	s_and_saveexec_b64 s[4:5], s[2:3]
	s_cbranch_execnz .LBB213_36
.LBB213_17:
	s_or_b64 exec, exec, s[4:5]
	s_and_saveexec_b64 s[4:5], s[24:25]
	s_cbranch_execnz .LBB213_37
.LBB213_18:
	s_or_b64 exec, exec, s[4:5]
	s_xor_b64 s[4:5], s[8:9], -1
	s_and_saveexec_b64 s[8:9], s[6:7]
	s_cbranch_execz .LBB213_20
.LBB213_19:
	v_mul_lo_u32 v8, v10, s26
	v_mov_b32_e32 v9, 0
	v_lshlrev_b64 v[8:9], 3, v[8:9]
	v_mov_b32_e32 v10, s38
	v_add_co_u32_e32 v8, vcc, s33, v8
	v_addc_co_u32_e32 v9, vcc, v10, v9, vcc
	global_load_dwordx2 v[8:9], v[8:9], off
.LBB213_20:
	s_or_b64 exec, exec, s[8:9]
	v_mbcnt_lo_u32_b32 v10, -1, 0
	v_mbcnt_hi_u32_b32 v10, -1, v10
	v_lshlrev_b32_e32 v42, 3, v0
	v_lshlrev_b32_e32 v25, 3, v15
	;; [unrolled: 1-line block ×5, first 2 shown]
	s_getpc_b64 s[8:9]
	s_add_u32 s8, s8, _ZN7rocprim17ROCPRIM_400000_NS16block_radix_sortIfLj32ELj4ElLj1ELj1ELj0ELNS0_26block_radix_rank_algorithmE1ELNS0_18block_padding_hintE2ELNS0_4arch9wavefront6targetE1EE19radix_bits_per_passE@rel32@lo+4
	s_addc_u32 s9, s9, _ZN7rocprim17ROCPRIM_400000_NS16block_radix_sortIfLj32ELj4ElLj1ELj1ELj0ELNS0_26block_radix_rank_algorithmE1ELNS0_18block_padding_hintE2ELNS0_4arch9wavefront6targetE1EE19radix_bits_per_passE@rel32@hi+12
	v_and_b32_e32 v11, 15, v10
	s_waitcnt vmcnt(0)
	ds_write_b64 v42, v[2:3]
	ds_write_b64 v25, v[4:5] offset:256
	ds_write_b64 v43, v[6:7] offset:512
	;; [unrolled: 1-line block ×3, first 2 shown]
	s_waitcnt lgkmcnt(0)
	; wave barrier
	s_waitcnt lgkmcnt(0)
	ds_read2_b64 v[2:5], v45 offset1:1
	ds_read2_b64 v[6:9], v45 offset0:2 offset1:3
	s_load_dword s39, s[8:9], 0x0
	v_cmp_eq_u32_e64 s[10:11], 0, v11
	v_cmp_lt_u32_e64 s[12:13], 1, v11
	v_cmp_lt_u32_e64 s[14:15], 3, v11
	v_cmp_lt_u32_e64 s[16:17], 7, v11
	v_and_b32_e32 v11, 16, v10
	v_cmp_eq_u32_e64 s[18:19], 0, v11
	v_add_u32_e32 v11, -1, v10
	v_and_b32_e32 v12, 0x60, v10
	v_cmp_lt_i32_e32 vcc, v11, v12
	s_movk_i32 s8, 0x100
	v_cndmask_b32_e32 v11, v11, v10, vcc
	v_cmp_gt_u32_e64 s[8:9], s8, v0
	v_lshlrev_b32_e32 v48, 5, v0
	s_mov_b32 s40, 0
	v_cmp_eq_u32_e64 s[20:21], 31, v0
	v_lshlrev_b32_e32 v49, 2, v11
	v_cmp_eq_u32_e64 s[22:23], 0, v10
	v_lshlrev_b32_e32 v47, 2, v38
	v_lshlrev_b32_e32 v46, 3, v38
	s_and_b64 vcc, exec, s[4:5]
	v_add_u32_e64 v50, 7, 2
	s_waitcnt lgkmcnt(0)
	; wave barrier
	s_waitcnt lgkmcnt(0)
	s_cbranch_vccz .LBB213_38
; %bb.21:
	v_bfrev_b32_e32 v51, 1
	v_cmp_lt_i32_e32 vcc, -1, v28
	v_cndmask_b32_e32 v10, -1, v51, vcc
	v_cmp_lt_i32_e32 vcc, -1, v29
	v_xor_b32_e32 v34, v10, v28
	v_cndmask_b32_e32 v10, -1, v51, vcc
	v_cmp_lt_i32_e32 vcc, -1, v26
	v_xor_b32_e32 v35, v10, v29
	;; [unrolled: 3-line block ×3, first 2 shown]
	v_cndmask_b32_e32 v10, -1, v51, vcc
	v_xor_b32_e32 v37, v10, v27
	v_and_b32_e32 v52, 14, v50
	v_mov_b32_e32 v53, 0
	s_brev_b32 s41, -2
	s_movk_i32 s42, 0xe0
	v_pk_mov_b32 v[10:11], v[2:3], v[2:3] op_sel:[0,1]
	v_pk_mov_b32 v[12:13], v[4:5], v[4:5] op_sel:[0,1]
	;; [unrolled: 1-line block ×4, first 2 shown]
	s_branch .LBB213_23
.LBB213_22:                             ;   in Loop: Header=BB213_23 Depth=1
	v_lshlrev_b32_e32 v10, 2, v58
	s_waitcnt lgkmcnt(0)
	; wave barrier
	ds_write_b32 v10, v57
	v_lshlrev_b32_e32 v10, 2, v59
	ds_write_b32 v10, v56
	v_lshlrev_b32_e32 v10, 2, v60
	;; [unrolled: 2-line block ×4, first 2 shown]
	s_waitcnt lgkmcnt(0)
	; wave barrier
	s_waitcnt lgkmcnt(0)
	ds_read2_b32 v[34:35], v47 offset1:1
	ds_read2_b32 v[36:37], v47 offset0:2 offset1:3
	s_waitcnt lgkmcnt(0)
	; wave barrier
	s_waitcnt lgkmcnt(0)
	ds_write_b64 v10, v[32:33]
	v_lshlrev_b32_e32 v10, 3, v59
	ds_write_b64 v10, v[30:31]
	v_lshlrev_b32_e32 v10, 3, v60
	;; [unrolled: 2-line block ×3, first 2 shown]
	ds_write_b64 v10, v[18:19]
	s_waitcnt lgkmcnt(0)
	; wave barrier
	s_waitcnt lgkmcnt(0)
	ds_read2_b64 v[10:13], v46 offset1:1
	ds_read2_b64 v[14:17], v46 offset0:2 offset1:3
	s_add_i32 s40, s40, 4
	s_waitcnt lgkmcnt(0)
	; wave barrier
	s_waitcnt lgkmcnt(0)
	s_cbranch_execz .LBB213_34
.LBB213_23:                             ; =>This Loop Header: Depth=1
                                        ;     Child Loop BB213_26 Depth 2
	v_mov_b32_e32 v54, v37
	v_mov_b32_e32 v55, v36
	;; [unrolled: 1-line block ×4, first 2 shown]
	v_pk_mov_b32 v[18:19], v[16:17], v[16:17] op_sel:[0,1]
	v_pk_mov_b32 v[20:21], v[14:15], v[14:15] op_sel:[0,1]
	;; [unrolled: 1-line block ×4, first 2 shown]
	s_and_saveexec_b64 s[4:5], s[8:9]
	s_cbranch_execz .LBB213_30
; %bb.24:                               ;   in Loop: Header=BB213_23 Depth=1
	s_mov_b32 s43, 0
	s_mov_b64 s[28:29], 0
	v_pk_mov_b32 v[10:11], v[0:1], v[0:1] op_sel:[0,1]
	s_branch .LBB213_26
.LBB213_25:                             ;   in Loop: Header=BB213_26 Depth=2
	s_or_b64 exec, exec, s[36:37]
	s_add_i32 s43, s43, 2
	v_cmp_eq_u32_e32 vcc, s43, v52
	v_add_u32_e32 v11, 64, v11
	s_or_b64 s[28:29], vcc, s[28:29]
	v_add_u32_e32 v10, 64, v10
	s_andn2_b64 exec, exec, s[28:29]
	s_cbranch_execz .LBB213_30
.LBB213_26:                             ;   Parent Loop BB213_23 Depth=1
                                        ; =>  This Inner Loop Header: Depth=2
	s_or_b32 s34, s43, 1
	v_cmp_le_u32_e64 s[34:35], s34, 7
	v_cmp_le_u32_e64 s[44:45], s43, 7
	s_and_saveexec_b64 s[36:37], s[44:45]
	s_cbranch_execz .LBB213_28
; %bb.27:                               ;   in Loop: Header=BB213_26 Depth=2
	v_lshlrev_b32_e32 v12, 2, v10
	ds_write_b32 v12, v53
.LBB213_28:                             ;   in Loop: Header=BB213_26 Depth=2
	s_or_b64 exec, exec, s[36:37]
	s_and_saveexec_b64 s[36:37], s[34:35]
	s_cbranch_execz .LBB213_25
; %bb.29:                               ;   in Loop: Header=BB213_26 Depth=2
	v_lshlrev_b32_e32 v12, 2, v11
	ds_write_b32 v12, v53
	s_branch .LBB213_25
.LBB213_30:                             ;   in Loop: Header=BB213_23 Depth=1
	s_or_b64 exec, exec, s[4:5]
	s_sub_i32 s4, 32, s40
	s_min_u32 s4, s39, s4
	v_cmp_ne_u32_e32 vcc, s41, v57
	s_lshl_b32 s4, -1, s4
	v_cndmask_b32_e32 v10, v51, v57, vcc
	s_not_b32 s4, s4
	v_lshrrev_b32_e32 v10, s40, v10
	v_and_b32_e32 v10, s4, v10
	v_lshrrev_b32_e32 v11, 3, v10
	v_lshlrev_b32_e32 v10, 5, v10
	v_and_or_b32 v10, v10, s42, v0
	v_lshlrev_b32_e32 v10, 1, v10
	v_add_lshl_u32 v35, v10, v11, 1
	ds_read_u16 v34, v35
	v_cmp_ne_u32_e32 vcc, s41, v56
	s_waitcnt lgkmcnt(0)
	v_add_u16_e32 v10, 1, v34
	ds_write_b16 v35, v10
	v_cndmask_b32_e32 v10, v51, v56, vcc
	v_lshrrev_b32_e32 v10, s40, v10
	v_and_b32_e32 v10, s4, v10
	v_lshrrev_b32_e32 v11, 3, v10
	v_lshlrev_b32_e32 v10, 5, v10
	v_and_or_b32 v10, v10, s42, v0
	v_lshlrev_b32_e32 v10, 1, v10
	v_add_lshl_u32 v37, v10, v11, 1
	ds_read_u16 v36, v37
	v_cmp_ne_u32_e32 vcc, s41, v55
	s_waitcnt lgkmcnt(0)
	v_add_u16_e32 v10, 1, v36
	ds_write_b16 v37, v10
	v_cndmask_b32_e32 v10, v51, v55, vcc
	;; [unrolled: 13-line block ×3, first 2 shown]
	v_lshrrev_b32_e32 v10, s40, v10
	v_and_b32_e32 v10, s4, v10
	v_lshrrev_b32_e32 v11, 3, v10
	v_lshlrev_b32_e32 v10, 5, v10
	v_and_or_b32 v10, v10, s42, v0
	v_lshlrev_b32_e32 v10, 1, v10
	v_add_lshl_u32 v59, v10, v11, 1
	ds_read_u16 v61, v59
	s_waitcnt lgkmcnt(0)
	v_add_u16_e32 v10, 1, v61
	ds_write_b16 v59, v10
	s_waitcnt lgkmcnt(0)
	; wave barrier
	s_waitcnt lgkmcnt(0)
	ds_read2_b32 v[16:17], v48 offset1:1
	ds_read2_b32 v[14:15], v48 offset0:2 offset1:3
	ds_read2_b32 v[10:11], v48 offset0:4 offset1:5
	;; [unrolled: 1-line block ×3, first 2 shown]
	s_waitcnt lgkmcnt(3)
	v_add_u32_e32 v62, v17, v16
	s_waitcnt lgkmcnt(2)
	v_add3_u32 v62, v62, v14, v15
	s_waitcnt lgkmcnt(1)
	v_add3_u32 v62, v62, v10, v11
	;; [unrolled: 2-line block ×3, first 2 shown]
	s_nop 1
	v_mov_b32_dpp v62, v13 row_shr:1 row_mask:0xf bank_mask:0xf
	v_cndmask_b32_e64 v62, v62, 0, s[10:11]
	v_add_u32_e32 v13, v62, v13
	s_nop 1
	v_mov_b32_dpp v62, v13 row_shr:2 row_mask:0xf bank_mask:0xf
	v_cndmask_b32_e64 v62, 0, v62, s[12:13]
	v_add_u32_e32 v13, v13, v62
	;; [unrolled: 4-line block ×4, first 2 shown]
	s_nop 1
	v_mov_b32_dpp v62, v13 row_bcast:15 row_mask:0xf bank_mask:0xf
	v_cndmask_b32_e64 v62, v62, 0, s[18:19]
	v_add_u32_e32 v13, v13, v62
	s_and_saveexec_b64 s[4:5], s[20:21]
	s_cbranch_execz .LBB213_32
; %bb.31:                               ;   in Loop: Header=BB213_23 Depth=1
	ds_write_b32 v53, v13 offset:1024
.LBB213_32:                             ;   in Loop: Header=BB213_23 Depth=1
	s_or_b64 exec, exec, s[4:5]
	ds_bpermute_b32 v13, v49, v13
	s_waitcnt lgkmcnt(0)
	; wave barrier
	s_waitcnt lgkmcnt(0)
	ds_read_b32 v62, v53 offset:1024
	s_cmp_gt_u32 s40, 27
	v_cndmask_b32_e64 v13, v13, 0, s[22:23]
	s_waitcnt lgkmcnt(0)
	v_lshl_add_u32 v13, v62, 16, v13
	v_add_u32_e32 v16, v13, v16
	v_add_u32_e32 v17, v16, v17
	ds_write2_b32 v48, v13, v16 offset1:1
	v_add_u32_e32 v13, v17, v14
	v_add_u32_e32 v14, v13, v15
	;; [unrolled: 1-line block ×5, first 2 shown]
	ds_write2_b32 v48, v17, v13 offset0:2 offset1:3
	ds_write2_b32 v48, v14, v10 offset0:4 offset1:5
	;; [unrolled: 1-line block ×3, first 2 shown]
	s_waitcnt lgkmcnt(0)
	; wave barrier
	s_waitcnt lgkmcnt(0)
	ds_read_u16 v10, v35
	ds_read_u16 v11, v37
	;; [unrolled: 1-line block ×4, first 2 shown]
	s_waitcnt lgkmcnt(3)
	v_add_u32_sdwa v58, v10, v34 dst_sel:DWORD dst_unused:UNUSED_PAD src0_sel:DWORD src1_sel:WORD_0
	s_waitcnt lgkmcnt(2)
	v_add_u32_sdwa v59, v11, v36 dst_sel:DWORD dst_unused:UNUSED_PAD src0_sel:DWORD src1_sel:WORD_0
	s_waitcnt lgkmcnt(1)
	v_add_u32_sdwa v60, v12, v60 dst_sel:DWORD dst_unused:UNUSED_PAD src0_sel:DWORD src1_sel:WORD_0
	s_waitcnt lgkmcnt(0)
	v_add_u32_sdwa v61, v13, v61 dst_sel:DWORD dst_unused:UNUSED_PAD src0_sel:DWORD src1_sel:WORD_0
	s_cbranch_scc0 .LBB213_22
; %bb.33:
                                        ; implicit-def: $vgpr37
                                        ; implicit-def: $vgpr35
                                        ; implicit-def: $vgpr16_vgpr17
                                        ; implicit-def: $vgpr12_vgpr13
                                        ; implicit-def: $sgpr40
.LBB213_34:
	v_lshlrev_b32_e32 v10, 2, v58
	s_waitcnt lgkmcnt(0)
	; wave barrier
	ds_write_b32 v10, v57
	v_lshlrev_b32_e32 v10, 2, v59
	ds_write_b32 v10, v56
	v_lshlrev_b32_e32 v10, 2, v60
	;; [unrolled: 2-line block ×3, first 2 shown]
	ds_write_b32 v10, v54
	s_waitcnt lgkmcnt(0)
	; wave barrier
	s_waitcnt lgkmcnt(0)
	ds_read2_b32 v[34:35], v47 offset1:1
	ds_read2_b32 v[36:37], v47 offset0:2 offset1:3
	v_lshlrev_b32_e32 v10, 3, v58
	v_lshlrev_b32_e32 v11, 3, v59
	;; [unrolled: 1-line block ×4, first 2 shown]
	s_waitcnt lgkmcnt(0)
	; wave barrier
	s_waitcnt lgkmcnt(0)
	ds_write_b64 v10, v[32:33]
	ds_write_b64 v11, v[30:31]
	;; [unrolled: 1-line block ×4, first 2 shown]
	s_waitcnt lgkmcnt(0)
	; wave barrier
	s_waitcnt lgkmcnt(0)
	ds_read2_b64 v[10:13], v46 offset1:1
	ds_read2_b64 v[14:17], v46 offset0:2 offset1:3
	v_bfrev_b32_e32 v18, 1
	v_cmp_lt_i32_e32 vcc, -1, v34
	v_cndmask_b32_e64 v30, v18, -1, vcc
	v_cmp_lt_i32_e32 vcc, -1, v35
	v_cndmask_b32_e64 v19, v18, -1, vcc
	;; [unrolled: 2-line block ×4, first 2 shown]
	v_xor_b32_e32 v21, v18, v37
	v_xor_b32_e32 v20, v20, v36
	;; [unrolled: 1-line block ×4, first 2 shown]
	s_branch .LBB213_53
.LBB213_35:
	v_mov_b32_e32 v25, 0
	v_lshlrev_b64 v[2:3], 3, v[24:25]
	v_mov_b32_e32 v4, s38
	v_add_co_u32_e32 v2, vcc, s33, v2
	v_addc_co_u32_e32 v3, vcc, v4, v3, vcc
	global_load_dwordx2 v[2:3], v[2:3], off
	v_mov_b32_e32 v4, v25
	v_mov_b32_e32 v5, v25
	;; [unrolled: 1-line block ×6, first 2 shown]
	s_or_b64 exec, exec, s[4:5]
	s_and_saveexec_b64 s[4:5], s[2:3]
	s_cbranch_execz .LBB213_17
.LBB213_36:
	v_mul_lo_u32 v4, v1, s26
	v_mov_b32_e32 v5, 0
	v_lshlrev_b64 v[4:5], 3, v[4:5]
	v_mov_b32_e32 v16, s38
	v_add_co_u32_e32 v4, vcc, s33, v4
	v_addc_co_u32_e32 v5, vcc, v16, v5, vcc
	global_load_dwordx2 v[4:5], v[4:5], off
	s_or_b64 exec, exec, s[4:5]
	s_and_saveexec_b64 s[4:5], s[24:25]
	s_cbranch_execz .LBB213_18
.LBB213_37:
	v_mul_lo_u32 v6, v11, s26
	v_mov_b32_e32 v7, 0
	v_lshlrev_b64 v[6:7], 3, v[6:7]
	v_mov_b32_e32 v11, s38
	v_add_co_u32_e32 v6, vcc, s33, v6
	v_addc_co_u32_e32 v7, vcc, v11, v7, vcc
	global_load_dwordx2 v[6:7], v[6:7], off
	s_or_b64 exec, exec, s[4:5]
	s_xor_b64 s[4:5], s[8:9], -1
	s_and_saveexec_b64 s[8:9], s[6:7]
	s_cbranch_execnz .LBB213_19
	s_branch .LBB213_20
.LBB213_38:
                                        ; implicit-def: $vgpr16_vgpr17
                                        ; implicit-def: $vgpr12_vgpr13
                                        ; implicit-def: $vgpr18_vgpr19_vgpr20_vgpr21
	s_cbranch_execz .LBB213_53
; %bb.39:
	v_bfrev_b32_e32 v30, -2
	v_cmp_gt_i32_e32 vcc, 0, v28
	s_waitcnt lgkmcnt(1)
	v_cndmask_b32_e64 v10, v30, 0, vcc
	v_cmp_gt_i32_e32 vcc, 0, v29
	v_xor_b32_e32 v18, v10, v28
	v_cndmask_b32_e64 v10, v30, 0, vcc
	v_cmp_gt_i32_e32 vcc, 0, v26
	v_xor_b32_e32 v19, v10, v29
	;; [unrolled: 3-line block ×3, first 2 shown]
	v_cndmask_b32_e64 v10, v30, 0, vcc
	s_mov_b32 s40, 0
	v_xor_b32_e32 v21, v10, v27
	v_and_b32_e32 v26, 14, v50
	v_mov_b32_e32 v27, 0
	s_brev_b32 s41, 1
	s_movk_i32 s42, 0xe0
	s_branch .LBB213_41
.LBB213_40:                             ;   in Loop: Header=BB213_41 Depth=1
	v_lshlrev_b32_e32 v2, 2, v33
	s_waitcnt lgkmcnt(0)
	; wave barrier
	ds_write_b32 v2, v32
	v_lshlrev_b32_e32 v2, 2, v34
	ds_write_b32 v2, v31
	v_lshlrev_b32_e32 v2, 2, v35
	;; [unrolled: 2-line block ×4, first 2 shown]
	s_waitcnt lgkmcnt(0)
	; wave barrier
	s_waitcnt lgkmcnt(0)
	ds_read2_b32 v[18:19], v47 offset1:1
	ds_read2_b32 v[20:21], v47 offset0:2 offset1:3
	s_waitcnt lgkmcnt(0)
	; wave barrier
	s_waitcnt lgkmcnt(0)
	ds_write_b64 v2, v[16:17]
	v_lshlrev_b32_e32 v2, 3, v34
	ds_write_b64 v2, v[14:15]
	v_lshlrev_b32_e32 v2, 3, v35
	ds_write_b64 v2, v[12:13]
	v_lshlrev_b32_e32 v2, 3, v36
	ds_write_b64 v2, v[10:11]
	s_waitcnt lgkmcnt(0)
	; wave barrier
	s_waitcnt lgkmcnt(0)
	ds_read2_b64 v[2:5], v46 offset1:1
	ds_read2_b64 v[6:9], v46 offset0:2 offset1:3
	s_add_i32 s40, s40, 4
	s_waitcnt lgkmcnt(0)
	; wave barrier
	s_waitcnt lgkmcnt(0)
	s_cbranch_execz .LBB213_52
.LBB213_41:                             ; =>This Loop Header: Depth=1
                                        ;     Child Loop BB213_44 Depth 2
	v_mov_b32_e32 v28, v21
	v_mov_b32_e32 v29, v20
	;; [unrolled: 1-line block ×4, first 2 shown]
	v_pk_mov_b32 v[10:11], v[8:9], v[8:9] op_sel:[0,1]
	v_pk_mov_b32 v[12:13], v[6:7], v[6:7] op_sel:[0,1]
	s_waitcnt lgkmcnt(0)
	v_pk_mov_b32 v[14:15], v[4:5], v[4:5] op_sel:[0,1]
	v_pk_mov_b32 v[16:17], v[2:3], v[2:3] op_sel:[0,1]
	s_and_saveexec_b64 s[4:5], s[8:9]
	s_cbranch_execz .LBB213_48
; %bb.42:                               ;   in Loop: Header=BB213_41 Depth=1
	s_mov_b32 s43, 0
	s_mov_b64 s[28:29], 0
	v_pk_mov_b32 v[2:3], v[0:1], v[0:1] op_sel:[0,1]
	s_branch .LBB213_44
.LBB213_43:                             ;   in Loop: Header=BB213_44 Depth=2
	s_or_b64 exec, exec, s[36:37]
	s_add_i32 s43, s43, 2
	v_cmp_eq_u32_e32 vcc, s43, v26
	v_add_u32_e32 v3, 64, v3
	s_or_b64 s[28:29], vcc, s[28:29]
	v_add_u32_e32 v2, 64, v2
	s_andn2_b64 exec, exec, s[28:29]
	s_cbranch_execz .LBB213_48
.LBB213_44:                             ;   Parent Loop BB213_41 Depth=1
                                        ; =>  This Inner Loop Header: Depth=2
	s_or_b32 s34, s43, 1
	v_cmp_le_u32_e64 s[34:35], s34, 7
	v_cmp_le_u32_e64 s[44:45], s43, 7
	s_and_saveexec_b64 s[36:37], s[44:45]
	s_cbranch_execz .LBB213_46
; %bb.45:                               ;   in Loop: Header=BB213_44 Depth=2
	v_lshlrev_b32_e32 v4, 2, v2
	ds_write_b32 v4, v27
.LBB213_46:                             ;   in Loop: Header=BB213_44 Depth=2
	s_or_b64 exec, exec, s[36:37]
	s_and_saveexec_b64 s[36:37], s[34:35]
	s_cbranch_execz .LBB213_43
; %bb.47:                               ;   in Loop: Header=BB213_44 Depth=2
	v_lshlrev_b32_e32 v4, 2, v3
	ds_write_b32 v4, v27
	s_branch .LBB213_43
.LBB213_48:                             ;   in Loop: Header=BB213_41 Depth=1
	s_or_b64 exec, exec, s[4:5]
	s_sub_i32 s4, 32, s40
	s_min_u32 s4, s39, s4
	v_cmp_ne_u32_e32 vcc, s41, v32
	s_lshl_b32 s4, -1, s4
	v_cndmask_b32_e32 v2, v30, v32, vcc
	s_not_b32 s4, s4
	v_lshrrev_b32_e32 v2, s40, v2
	v_and_b32_e32 v2, s4, v2
	v_lshrrev_b32_e32 v3, 3, v2
	v_lshlrev_b32_e32 v2, 5, v2
	v_and_or_b32 v2, v2, s42, v0
	v_lshlrev_b32_e32 v2, 1, v2
	v_add_lshl_u32 v19, v2, v3, 1
	ds_read_u16 v18, v19
	v_cmp_ne_u32_e32 vcc, s41, v31
	s_waitcnt lgkmcnt(0)
	v_add_u16_e32 v2, 1, v18
	ds_write_b16 v19, v2
	v_cndmask_b32_e32 v2, v30, v31, vcc
	v_lshrrev_b32_e32 v2, s40, v2
	v_and_b32_e32 v2, s4, v2
	v_lshrrev_b32_e32 v3, 3, v2
	v_lshlrev_b32_e32 v2, 5, v2
	v_and_or_b32 v2, v2, s42, v0
	v_lshlrev_b32_e32 v2, 1, v2
	v_add_lshl_u32 v21, v2, v3, 1
	ds_read_u16 v20, v21
	v_cmp_ne_u32_e32 vcc, s41, v29
	s_waitcnt lgkmcnt(0)
	v_add_u16_e32 v2, 1, v20
	ds_write_b16 v21, v2
	v_cndmask_b32_e32 v2, v30, v29, vcc
	;; [unrolled: 13-line block ×3, first 2 shown]
	v_lshrrev_b32_e32 v2, s40, v2
	v_and_b32_e32 v2, s4, v2
	v_lshrrev_b32_e32 v3, 3, v2
	v_lshlrev_b32_e32 v2, 5, v2
	v_and_or_b32 v2, v2, s42, v0
	v_lshlrev_b32_e32 v2, 1, v2
	v_add_lshl_u32 v34, v2, v3, 1
	ds_read_u16 v36, v34
	s_waitcnt lgkmcnt(0)
	v_add_u16_e32 v2, 1, v36
	ds_write_b16 v34, v2
	s_waitcnt lgkmcnt(0)
	; wave barrier
	s_waitcnt lgkmcnt(0)
	ds_read2_b32 v[8:9], v48 offset1:1
	ds_read2_b32 v[6:7], v48 offset0:2 offset1:3
	ds_read2_b32 v[2:3], v48 offset0:4 offset1:5
	;; [unrolled: 1-line block ×3, first 2 shown]
	s_waitcnt lgkmcnt(3)
	v_add_u32_e32 v37, v9, v8
	s_waitcnt lgkmcnt(2)
	v_add3_u32 v37, v37, v6, v7
	s_waitcnt lgkmcnt(1)
	v_add3_u32 v37, v37, v2, v3
	;; [unrolled: 2-line block ×3, first 2 shown]
	s_nop 1
	v_mov_b32_dpp v37, v5 row_shr:1 row_mask:0xf bank_mask:0xf
	v_cndmask_b32_e64 v37, v37, 0, s[10:11]
	v_add_u32_e32 v5, v37, v5
	s_nop 1
	v_mov_b32_dpp v37, v5 row_shr:2 row_mask:0xf bank_mask:0xf
	v_cndmask_b32_e64 v37, 0, v37, s[12:13]
	v_add_u32_e32 v5, v5, v37
	;; [unrolled: 4-line block ×4, first 2 shown]
	s_nop 1
	v_mov_b32_dpp v37, v5 row_bcast:15 row_mask:0xf bank_mask:0xf
	v_cndmask_b32_e64 v37, v37, 0, s[18:19]
	v_add_u32_e32 v5, v5, v37
	s_and_saveexec_b64 s[4:5], s[20:21]
	s_cbranch_execz .LBB213_50
; %bb.49:                               ;   in Loop: Header=BB213_41 Depth=1
	ds_write_b32 v27, v5 offset:1024
.LBB213_50:                             ;   in Loop: Header=BB213_41 Depth=1
	s_or_b64 exec, exec, s[4:5]
	ds_bpermute_b32 v5, v49, v5
	s_waitcnt lgkmcnt(0)
	; wave barrier
	s_waitcnt lgkmcnt(0)
	ds_read_b32 v37, v27 offset:1024
	s_cmp_gt_u32 s40, 27
	v_cndmask_b32_e64 v5, v5, 0, s[22:23]
	s_waitcnt lgkmcnt(0)
	v_lshl_add_u32 v5, v37, 16, v5
	v_add_u32_e32 v8, v5, v8
	v_add_u32_e32 v9, v8, v9
	ds_write2_b32 v48, v5, v8 offset1:1
	v_add_u32_e32 v5, v9, v6
	v_add_u32_e32 v6, v5, v7
	;; [unrolled: 1-line block ×5, first 2 shown]
	ds_write2_b32 v48, v9, v5 offset0:2 offset1:3
	ds_write2_b32 v48, v6, v2 offset0:4 offset1:5
	;; [unrolled: 1-line block ×3, first 2 shown]
	s_waitcnt lgkmcnt(0)
	; wave barrier
	s_waitcnt lgkmcnt(0)
	ds_read_u16 v2, v19
	ds_read_u16 v3, v21
	;; [unrolled: 1-line block ×4, first 2 shown]
	s_waitcnt lgkmcnt(3)
	v_add_u32_sdwa v33, v2, v18 dst_sel:DWORD dst_unused:UNUSED_PAD src0_sel:DWORD src1_sel:WORD_0
	s_waitcnt lgkmcnt(2)
	v_add_u32_sdwa v34, v3, v20 dst_sel:DWORD dst_unused:UNUSED_PAD src0_sel:DWORD src1_sel:WORD_0
	;; [unrolled: 2-line block ×4, first 2 shown]
	s_cbranch_scc0 .LBB213_40
; %bb.51:
                                        ; implicit-def: $vgpr21
                                        ; implicit-def: $vgpr19
                                        ; implicit-def: $vgpr8_vgpr9
                                        ; implicit-def: $vgpr4_vgpr5
                                        ; implicit-def: $sgpr40
.LBB213_52:
	v_lshlrev_b32_e32 v0, 2, v33
	s_waitcnt lgkmcnt(0)
	; wave barrier
	ds_write_b32 v0, v32
	v_lshlrev_b32_e32 v0, 2, v34
	ds_write_b32 v0, v31
	v_lshlrev_b32_e32 v0, 2, v35
	;; [unrolled: 2-line block ×3, first 2 shown]
	ds_write_b32 v0, v28
	s_waitcnt lgkmcnt(0)
	; wave barrier
	s_waitcnt lgkmcnt(0)
	ds_read2_b32 v[0:1], v47 offset1:1
	ds_read2_b32 v[2:3], v47 offset0:2 offset1:3
	v_lshlrev_b32_e32 v4, 3, v33
	v_lshlrev_b32_e32 v5, 3, v34
	v_lshlrev_b32_e32 v6, 3, v35
	v_lshlrev_b32_e32 v7, 3, v36
	s_waitcnt lgkmcnt(0)
	; wave barrier
	s_waitcnt lgkmcnt(0)
	ds_write_b64 v4, v[16:17]
	ds_write_b64 v5, v[14:15]
	;; [unrolled: 1-line block ×4, first 2 shown]
	s_waitcnt lgkmcnt(0)
	; wave barrier
	s_waitcnt lgkmcnt(0)
	ds_read2_b64 v[10:13], v46 offset1:1
	ds_read2_b64 v[14:17], v46 offset0:2 offset1:3
	v_bfrev_b32_e32 v4, -2
	v_cmp_gt_i32_e32 vcc, 0, v0
	v_cndmask_b32_e64 v5, v4, 0, vcc
	v_cmp_gt_i32_e32 vcc, 0, v1
	v_cndmask_b32_e64 v6, v4, 0, vcc
	;; [unrolled: 2-line block ×4, first 2 shown]
	v_xor_b32_e32 v21, v4, v3
	v_xor_b32_e32 v20, v7, v2
	;; [unrolled: 1-line block ×4, first 2 shown]
.LBB213_53:
	s_waitcnt lgkmcnt(0)
	; wave barrier
	s_waitcnt lgkmcnt(0)
	ds_write2_b32 v41, v18, v19 offset1:1
	ds_write2_b32 v41, v20, v21 offset0:2 offset1:3
	s_waitcnt lgkmcnt(0)
	; wave barrier
	s_waitcnt lgkmcnt(0)
	ds_read_b32 v4, v23 offset:128
	ds_read_b32 v3, v39 offset:256
	;; [unrolled: 1-line block ×3, first 2 shown]
	v_mov_b32_e32 v23, 0
	v_lshlrev_b64 v[0:1], 2, v[22:23]
	v_mov_b32_e32 v5, s31
	v_add_co_u32_e32 v0, vcc, s27, v0
	v_addc_co_u32_e32 v1, vcc, v5, v1, vcc
	s_and_saveexec_b64 s[4:5], s[0:1]
	s_cbranch_execnz .LBB213_64
; %bb.54:
	s_or_b64 exec, exec, s[4:5]
	s_and_saveexec_b64 s[4:5], s[2:3]
	s_cbranch_execnz .LBB213_65
.LBB213_55:
	s_or_b64 exec, exec, s[4:5]
	s_and_saveexec_b64 s[4:5], s[24:25]
	s_cbranch_execnz .LBB213_66
.LBB213_56:
	s_or_b64 exec, exec, s[4:5]
	s_and_saveexec_b64 s[4:5], s[6:7]
	s_cbranch_execz .LBB213_58
.LBB213_57:
	s_mul_i32 s8, s30, 0x60
	s_mov_b32 s9, 0
	s_lshl_b64 s[8:9], s[8:9], 2
	s_waitcnt lgkmcnt(1)
	v_mov_b32_e32 v3, s9
	v_add_co_u32_e32 v0, vcc, s8, v0
	v_addc_co_u32_e32 v1, vcc, v1, v3, vcc
	s_waitcnt lgkmcnt(0)
	global_store_dword v[0:1], v2, off
.LBB213_58:
	s_or_b64 exec, exec, s[4:5]
	s_waitcnt lgkmcnt(0)
	; wave barrier
	s_waitcnt lgkmcnt(0)
	ds_write2_b64 v45, v[10:11], v[12:13] offset1:1
	ds_write2_b64 v45, v[14:15], v[16:17] offset0:2 offset1:3
	s_waitcnt lgkmcnt(0)
	; wave barrier
	s_waitcnt lgkmcnt(0)
	ds_read_b64 v[6:7], v25 offset:256
	ds_read_b64 v[4:5], v43 offset:512
	;; [unrolled: 1-line block ×3, first 2 shown]
	v_mov_b32_e32 v25, 0
	v_lshlrev_b64 v[2:3], 3, v[24:25]
	v_mov_b32_e32 v8, s38
	v_add_co_u32_e32 v2, vcc, s33, v2
	v_addc_co_u32_e32 v3, vcc, v8, v3, vcc
	s_and_saveexec_b64 s[4:5], s[0:1]
	s_cbranch_execnz .LBB213_67
; %bb.59:
	s_or_b64 exec, exec, s[4:5]
	s_and_saveexec_b64 s[0:1], s[2:3]
	s_cbranch_execnz .LBB213_68
.LBB213_60:
	s_or_b64 exec, exec, s[0:1]
	s_and_saveexec_b64 s[0:1], s[24:25]
	s_cbranch_execnz .LBB213_69
.LBB213_61:
	s_or_b64 exec, exec, s[0:1]
	s_and_saveexec_b64 s[0:1], s[6:7]
	s_cbranch_execz .LBB213_63
.LBB213_62:
	s_mul_i32 s0, s26, 0x60
	s_mov_b32 s1, 0
	s_lshl_b64 s[0:1], s[0:1], 3
	s_waitcnt lgkmcnt(1)
	v_mov_b32_e32 v4, s1
	v_add_co_u32_e32 v2, vcc, s0, v2
	v_addc_co_u32_e32 v3, vcc, v3, v4, vcc
	s_waitcnt lgkmcnt(0)
	global_store_dwordx2 v[2:3], v[0:1], off
.LBB213_63:
	s_endpgm
.LBB213_64:
	ds_read_b32 v5, v38
	s_waitcnt lgkmcnt(0)
	global_store_dword v[0:1], v5, off
	s_or_b64 exec, exec, s[4:5]
	s_and_saveexec_b64 s[4:5], s[2:3]
	s_cbranch_execz .LBB213_55
.LBB213_65:
	s_lshl_b32 s8, s30, 5
	s_mov_b32 s9, 0
	s_lshl_b64 s[8:9], s[8:9], 2
	v_mov_b32_e32 v5, s9
	v_add_co_u32_e32 v6, vcc, s8, v0
	v_addc_co_u32_e32 v7, vcc, v1, v5, vcc
	s_waitcnt lgkmcnt(2)
	global_store_dword v[6:7], v4, off
	s_or_b64 exec, exec, s[4:5]
	s_and_saveexec_b64 s[4:5], s[24:25]
	s_cbranch_execz .LBB213_56
.LBB213_66:
	s_lshl_b32 s8, s30, 6
	s_mov_b32 s9, 0
	s_lshl_b64 s[8:9], s[8:9], 2
	v_mov_b32_e32 v5, s9
	s_waitcnt lgkmcnt(2)
	v_add_co_u32_e32 v4, vcc, s8, v0
	v_addc_co_u32_e32 v5, vcc, v1, v5, vcc
	s_waitcnt lgkmcnt(1)
	global_store_dword v[4:5], v3, off
	s_or_b64 exec, exec, s[4:5]
	s_and_saveexec_b64 s[4:5], s[6:7]
	s_cbranch_execnz .LBB213_57
	s_branch .LBB213_58
.LBB213_67:
	ds_read_b64 v[8:9], v42
	s_waitcnt lgkmcnt(0)
	global_store_dwordx2 v[2:3], v[8:9], off
	s_or_b64 exec, exec, s[4:5]
	s_and_saveexec_b64 s[0:1], s[2:3]
	s_cbranch_execz .LBB213_60
.LBB213_68:
	s_lshl_b32 s2, s26, 5
	s_mov_b32 s3, 0
	s_lshl_b64 s[2:3], s[2:3], 3
	v_mov_b32_e32 v9, s3
	v_add_co_u32_e32 v8, vcc, s2, v2
	v_addc_co_u32_e32 v9, vcc, v3, v9, vcc
	s_waitcnt lgkmcnt(2)
	global_store_dwordx2 v[8:9], v[6:7], off
	s_or_b64 exec, exec, s[0:1]
	s_and_saveexec_b64 s[0:1], s[24:25]
	s_cbranch_execz .LBB213_61
.LBB213_69:
	s_lshl_b32 s2, s26, 6
	s_mov_b32 s3, 0
	s_lshl_b64 s[2:3], s[2:3], 3
	s_waitcnt lgkmcnt(2)
	v_mov_b32_e32 v7, s3
	v_add_co_u32_e32 v6, vcc, s2, v2
	v_addc_co_u32_e32 v7, vcc, v3, v7, vcc
	s_waitcnt lgkmcnt(1)
	global_store_dwordx2 v[6:7], v[4:5], off
	s_or_b64 exec, exec, s[0:1]
	s_and_saveexec_b64 s[0:1], s[6:7]
	s_cbranch_execnz .LBB213_62
	s_branch .LBB213_63
	.section	.rodata,"a",@progbits
	.p2align	6, 0x0
	.amdhsa_kernel _ZN2at6native18radixSortKVInPlaceILin1ELin1ELi32ELi4EfljEEvNS_4cuda6detail10TensorInfoIT3_T5_EES6_S6_S6_NS4_IT4_S6_EES6_b
		.amdhsa_group_segment_fixed_size 1056
		.amdhsa_private_segment_fixed_size 0
		.amdhsa_kernarg_size 712
		.amdhsa_user_sgpr_count 6
		.amdhsa_user_sgpr_private_segment_buffer 1
		.amdhsa_user_sgpr_dispatch_ptr 0
		.amdhsa_user_sgpr_queue_ptr 0
		.amdhsa_user_sgpr_kernarg_segment_ptr 1
		.amdhsa_user_sgpr_dispatch_id 0
		.amdhsa_user_sgpr_flat_scratch_init 0
		.amdhsa_user_sgpr_kernarg_preload_length 0
		.amdhsa_user_sgpr_kernarg_preload_offset 0
		.amdhsa_user_sgpr_private_segment_size 0
		.amdhsa_uses_dynamic_stack 0
		.amdhsa_system_sgpr_private_segment_wavefront_offset 0
		.amdhsa_system_sgpr_workgroup_id_x 1
		.amdhsa_system_sgpr_workgroup_id_y 1
		.amdhsa_system_sgpr_workgroup_id_z 1
		.amdhsa_system_sgpr_workgroup_info 0
		.amdhsa_system_vgpr_workitem_id 0
		.amdhsa_next_free_vgpr 63
		.amdhsa_next_free_sgpr 46
		.amdhsa_accum_offset 64
		.amdhsa_reserve_vcc 1
		.amdhsa_reserve_flat_scratch 0
		.amdhsa_float_round_mode_32 0
		.amdhsa_float_round_mode_16_64 0
		.amdhsa_float_denorm_mode_32 3
		.amdhsa_float_denorm_mode_16_64 3
		.amdhsa_dx10_clamp 1
		.amdhsa_ieee_mode 1
		.amdhsa_fp16_overflow 0
		.amdhsa_tg_split 0
		.amdhsa_exception_fp_ieee_invalid_op 0
		.amdhsa_exception_fp_denorm_src 0
		.amdhsa_exception_fp_ieee_div_zero 0
		.amdhsa_exception_fp_ieee_overflow 0
		.amdhsa_exception_fp_ieee_underflow 0
		.amdhsa_exception_fp_ieee_inexact 0
		.amdhsa_exception_int_div_zero 0
	.end_amdhsa_kernel
	.section	.text._ZN2at6native18radixSortKVInPlaceILin1ELin1ELi32ELi4EfljEEvNS_4cuda6detail10TensorInfoIT3_T5_EES6_S6_S6_NS4_IT4_S6_EES6_b,"axG",@progbits,_ZN2at6native18radixSortKVInPlaceILin1ELin1ELi32ELi4EfljEEvNS_4cuda6detail10TensorInfoIT3_T5_EES6_S6_S6_NS4_IT4_S6_EES6_b,comdat
.Lfunc_end213:
	.size	_ZN2at6native18radixSortKVInPlaceILin1ELin1ELi32ELi4EfljEEvNS_4cuda6detail10TensorInfoIT3_T5_EES6_S6_S6_NS4_IT4_S6_EES6_b, .Lfunc_end213-_ZN2at6native18radixSortKVInPlaceILin1ELin1ELi32ELi4EfljEEvNS_4cuda6detail10TensorInfoIT3_T5_EES6_S6_S6_NS4_IT4_S6_EES6_b
                                        ; -- End function
	.section	.AMDGPU.csdata,"",@progbits
; Kernel info:
; codeLenInByte = 4972
; NumSgprs: 50
; NumVgprs: 63
; NumAgprs: 0
; TotalNumVgprs: 63
; ScratchSize: 0
; MemoryBound: 0
; FloatMode: 240
; IeeeMode: 1
; LDSByteSize: 1056 bytes/workgroup (compile time only)
; SGPRBlocks: 6
; VGPRBlocks: 7
; NumSGPRsForWavesPerEU: 50
; NumVGPRsForWavesPerEU: 63
; AccumOffset: 64
; Occupancy: 8
; WaveLimiterHint : 1
; COMPUTE_PGM_RSRC2:SCRATCH_EN: 0
; COMPUTE_PGM_RSRC2:USER_SGPR: 6
; COMPUTE_PGM_RSRC2:TRAP_HANDLER: 0
; COMPUTE_PGM_RSRC2:TGID_X_EN: 1
; COMPUTE_PGM_RSRC2:TGID_Y_EN: 1
; COMPUTE_PGM_RSRC2:TGID_Z_EN: 1
; COMPUTE_PGM_RSRC2:TIDIG_COMP_CNT: 0
; COMPUTE_PGM_RSRC3_GFX90A:ACCUM_OFFSET: 15
; COMPUTE_PGM_RSRC3_GFX90A:TG_SPLIT: 0
	.section	.text._ZN2at6native18radixSortKVInPlaceILin1ELin1ELi16ELi2EfljEEvNS_4cuda6detail10TensorInfoIT3_T5_EES6_S6_S6_NS4_IT4_S6_EES6_b,"axG",@progbits,_ZN2at6native18radixSortKVInPlaceILin1ELin1ELi16ELi2EfljEEvNS_4cuda6detail10TensorInfoIT3_T5_EES6_S6_S6_NS4_IT4_S6_EES6_b,comdat
	.protected	_ZN2at6native18radixSortKVInPlaceILin1ELin1ELi16ELi2EfljEEvNS_4cuda6detail10TensorInfoIT3_T5_EES6_S6_S6_NS4_IT4_S6_EES6_b ; -- Begin function _ZN2at6native18radixSortKVInPlaceILin1ELin1ELi16ELi2EfljEEvNS_4cuda6detail10TensorInfoIT3_T5_EES6_S6_S6_NS4_IT4_S6_EES6_b
	.globl	_ZN2at6native18radixSortKVInPlaceILin1ELin1ELi16ELi2EfljEEvNS_4cuda6detail10TensorInfoIT3_T5_EES6_S6_S6_NS4_IT4_S6_EES6_b
	.p2align	8
	.type	_ZN2at6native18radixSortKVInPlaceILin1ELin1ELi16ELi2EfljEEvNS_4cuda6detail10TensorInfoIT3_T5_EES6_S6_S6_NS4_IT4_S6_EES6_b,@function
_ZN2at6native18radixSortKVInPlaceILin1ELin1ELi16ELi2EfljEEvNS_4cuda6detail10TensorInfoIT3_T5_EES6_S6_S6_NS4_IT4_S6_EES6_b: ; @_ZN2at6native18radixSortKVInPlaceILin1ELin1ELi16ELi2EfljEEvNS_4cuda6detail10TensorInfoIT3_T5_EES6_S6_S6_NS4_IT4_S6_EES6_b
; %bb.0:
	s_load_dwordx2 s[0:1], s[4:5], 0x1c8
	s_load_dwordx4 s[16:19], s[4:5], 0xd8
	s_waitcnt lgkmcnt(0)
	s_mul_i32 s1, s1, s8
	s_add_i32 s1, s1, s7
	s_mul_i32 s0, s1, s0
	s_add_i32 s12, s0, s6
	s_cmp_ge_u32 s12, s16
	s_cbranch_scc1 .LBB214_53
; %bb.1:
	s_load_dword s2, s[4:5], 0xd0
	s_mov_b32 s1, 0
	s_mov_b32 s0, s12
	s_waitcnt lgkmcnt(0)
	s_cmp_lt_i32 s2, 2
	s_cbranch_scc1 .LBB214_4
; %bb.2:
	s_add_i32 s0, s2, -1
	s_add_i32 s6, s2, 1
	s_lshl_b64 s[2:3], s[0:1], 2
	s_add_u32 s0, s2, s4
	s_addc_u32 s3, s3, s5
	s_add_u32 s2, s0, 8
	s_addc_u32 s3, s3, 0
	s_mov_b32 s0, s12
.LBB214_3:                              ; =>This Inner Loop Header: Depth=1
	s_load_dword s7, s[2:3], 0x0
	s_load_dword s9, s[2:3], 0x64
	s_mov_b32 s8, s0
	s_waitcnt lgkmcnt(0)
	v_cvt_f32_u32_e32 v1, s7
	s_sub_i32 s0, 0, s7
	v_rcp_iflag_f32_e32 v1, v1
	v_mul_f32_e32 v1, 0x4f7ffffe, v1
	v_cvt_u32_f32_e32 v1, v1
	v_readfirstlane_b32 s10, v1
	s_mul_i32 s0, s0, s10
	s_mul_hi_u32 s0, s10, s0
	s_add_i32 s10, s10, s0
	s_mul_hi_u32 s0, s8, s10
	s_mul_i32 s10, s0, s7
	s_sub_i32 s10, s8, s10
	s_add_i32 s11, s0, 1
	s_sub_i32 s13, s10, s7
	s_cmp_ge_u32 s10, s7
	s_cselect_b32 s0, s11, s0
	s_cselect_b32 s10, s13, s10
	s_add_i32 s11, s0, 1
	s_cmp_ge_u32 s10, s7
	s_cselect_b32 s0, s11, s0
	s_mul_i32 s7, s0, s7
	s_sub_i32 s7, s8, s7
	s_mul_i32 s7, s9, s7
	s_add_i32 s6, s6, -1
	s_add_i32 s1, s7, s1
	s_add_u32 s2, s2, -4
	s_addc_u32 s3, s3, -1
	s_cmp_gt_u32 s6, 2
	s_cbranch_scc1 .LBB214_3
.LBB214_4:
	s_load_dword s2, s[4:5], 0x1b8
	s_mov_b32 s7, 0
	s_waitcnt lgkmcnt(0)
	s_cmp_lt_i32 s2, 2
	s_cbranch_scc1 .LBB214_7
; %bb.5:
	s_add_i32 s6, s2, -1
	s_add_i32 s8, s2, 1
	s_lshl_b64 s[2:3], s[6:7], 2
	s_add_u32 s2, s2, s4
	s_addc_u32 s3, s3, s5
	s_add_u32 s2, s2, 0xf0
	s_addc_u32 s3, s3, 0
.LBB214_6:                              ; =>This Inner Loop Header: Depth=1
	s_load_dword s6, s[2:3], 0x0
	s_load_dword s10, s[2:3], 0x64
	s_mov_b32 s9, s12
	s_waitcnt lgkmcnt(0)
	v_cvt_f32_u32_e32 v1, s6
	s_sub_i32 s11, 0, s6
	v_rcp_iflag_f32_e32 v1, v1
	v_mul_f32_e32 v1, 0x4f7ffffe, v1
	v_cvt_u32_f32_e32 v1, v1
	v_readfirstlane_b32 s12, v1
	s_mul_i32 s11, s11, s12
	s_mul_hi_u32 s11, s12, s11
	s_add_i32 s12, s12, s11
	s_mul_hi_u32 s11, s9, s12
	s_mul_i32 s12, s11, s6
	s_sub_i32 s12, s9, s12
	s_add_i32 s13, s11, 1
	s_sub_i32 s14, s12, s6
	s_cmp_ge_u32 s12, s6
	s_cselect_b32 s11, s13, s11
	s_cselect_b32 s12, s14, s12
	s_add_i32 s13, s11, 1
	s_cmp_ge_u32 s12, s6
	s_cselect_b32 s12, s13, s11
	s_mul_i32 s6, s12, s6
	s_sub_i32 s6, s9, s6
	s_mul_i32 s6, s10, s6
	s_add_i32 s8, s8, -1
	s_add_i32 s7, s6, s7
	s_add_u32 s2, s2, -4
	s_addc_u32 s3, s3, -1
	s_cmp_gt_u32 s8, 2
	s_cbranch_scc1 .LBB214_6
.LBB214_7:
	s_load_dword s2, s[4:5], 0x6c
	s_load_dwordx2 s[20:21], s[4:5], 0x1c0
	v_bfrev_b32_e32 v1, -2
	v_mul_lo_u32 v10, v0, s18
	s_waitcnt lgkmcnt(0)
	s_mul_i32 s0, s2, s0
	s_load_dwordx2 s[2:3], s[4:5], 0x0
	s_load_dwordx2 s[10:11], s[4:5], 0xe8
	s_add_i32 s0, s0, s1
	s_bitcmp1_b32 s21, 0
	s_mov_b32 s1, 0
	s_cselect_b64 s[8:9], -1, 0
	s_lshl_b64 s[0:1], s[0:1], 2
	s_waitcnt lgkmcnt(0)
	s_add_u32 s19, s2, s0
	v_cndmask_b32_e64 v3, v1, -1, s[8:9]
	s_addc_u32 s21, s3, s1
	v_cmp_gt_u32_e64 s[0:1], s17, v0
	v_pk_mov_b32 v[4:5], v[2:3], v[2:3] op_sel:[0,1]
	s_and_saveexec_b64 s[2:3], s[0:1]
	s_cbranch_execz .LBB214_9
; %bb.8:
	v_mov_b32_e32 v11, 0
	v_lshlrev_b64 v[4:5], 2, v[10:11]
	v_mov_b32_e32 v1, s21
	v_add_co_u32_e32 v4, vcc, s19, v4
	v_addc_co_u32_e32 v5, vcc, v1, v5, vcc
	global_load_dword v1, v[4:5], off
	v_pk_mov_b32 v[4:5], v[2:3], v[2:3] op_sel:[0,1]
	s_waitcnt vmcnt(0)
	v_mov_b32_e32 v3, v1
.LBB214_9:
	s_or_b64 exec, exec, s[2:3]
	s_load_dword s6, s[4:5], 0x154
	v_or_b32_e32 v1, 16, v0
	v_cmp_gt_u32_e64 s[2:3], s17, v1
	s_and_saveexec_b64 s[4:5], s[2:3]
	s_cbranch_execz .LBB214_11
; %bb.10:
	v_mul_lo_u32 v4, v1, s18
	v_mov_b32_e32 v5, 0
	v_lshlrev_b64 v[4:5], 2, v[4:5]
	v_mov_b32_e32 v2, s21
	v_add_co_u32_e32 v4, vcc, s19, v4
	v_addc_co_u32_e32 v5, vcc, v2, v5, vcc
	global_load_dword v5, v[4:5], off
.LBB214_11:
	s_or_b64 exec, exec, s[4:5]
	s_waitcnt lgkmcnt(0)
	s_mul_i32 s4, s6, s12
	v_lshlrev_b32_e32 v27, 2, v0
	v_lshlrev_b32_e32 v26, 3, v0
	s_add_i32 s4, s4, s7
	s_mov_b32 s5, 0
	s_waitcnt vmcnt(0)
	ds_write2_b32 v27, v3, v5 offset1:16
	s_waitcnt lgkmcnt(0)
	; wave barrier
	s_waitcnt lgkmcnt(0)
	ds_read2_b32 v[14:15], v26 offset1:1
	s_lshl_b64 s[6:7], s[4:5], 3
	s_add_u32 s30, s10, s6
	s_mov_b32 s4, s5
	s_addc_u32 s31, s11, s7
	s_mov_b32 s6, s5
	s_mov_b32 s7, s5
	v_pk_mov_b32 v[2:3], s[4:5], s[4:5] op_sel:[0,1]
	v_pk_mov_b32 v[4:5], s[6:7], s[6:7] op_sel:[0,1]
	v_pk_mov_b32 v[2:3], 0, 0
	v_mul_lo_u32 v12, v0, s20
	s_waitcnt lgkmcnt(0)
	; wave barrier
	s_waitcnt lgkmcnt(0)
	s_and_saveexec_b64 s[4:5], s[0:1]
	s_cbranch_execz .LBB214_13
; %bb.12:
	v_mov_b32_e32 v13, 0
	v_lshlrev_b64 v[2:3], 3, v[12:13]
	v_mov_b32_e32 v4, s31
	v_add_co_u32_e32 v2, vcc, s30, v2
	v_addc_co_u32_e32 v3, vcc, v4, v3, vcc
	global_load_dwordx2 v[2:3], v[2:3], off
	v_mov_b32_e32 v4, v13
	v_mov_b32_e32 v5, v13
.LBB214_13:
	s_or_b64 exec, exec, s[4:5]
	s_xor_b64 s[22:23], s[8:9], -1
	v_lshlrev_b32_e32 v6, 1, v0
	s_and_saveexec_b64 s[4:5], s[2:3]
	s_cbranch_execz .LBB214_15
; %bb.14:
	v_mul_lo_u32 v4, v1, s20
	v_mov_b32_e32 v5, 0
	v_lshlrev_b64 v[4:5], 3, v[4:5]
	v_mov_b32_e32 v7, s31
	v_add_co_u32_e32 v4, vcc, s30, v4
	v_addc_co_u32_e32 v5, vcc, v7, v5, vcc
	global_load_dwordx2 v[4:5], v[4:5], off
.LBB214_15:
	s_or_b64 exec, exec, s[4:5]
	v_mbcnt_lo_u32_b32 v7, -1, 0
	v_lshlrev_b32_e32 v13, 3, v6
	s_getpc_b64 s[4:5]
	s_add_u32 s4, s4, _ZN7rocprim17ROCPRIM_400000_NS16block_radix_sortIfLj16ELj2ElLj1ELj1ELj0ELNS0_26block_radix_rank_algorithmE1ELNS0_18block_padding_hintE2ELNS0_4arch9wavefront6targetE1EE19radix_bits_per_passE@rel32@lo+4
	s_addc_u32 s5, s5, _ZN7rocprim17ROCPRIM_400000_NS16block_radix_sortIfLj16ELj2ElLj1ELj1ELj0ELNS0_26block_radix_rank_algorithmE1ELNS0_18block_padding_hintE2ELNS0_4arch9wavefront6targetE1EE19radix_bits_per_passE@rel32@hi+12
	v_mbcnt_hi_u32_b32 v7, -1, v7
	s_waitcnt vmcnt(0)
	ds_write2_b64 v26, v[2:3], v[4:5] offset1:16
	s_waitcnt lgkmcnt(0)
	; wave barrier
	s_waitcnt lgkmcnt(0)
	ds_read2_b64 v[2:5], v13 offset1:1
	s_load_dword s33, s[4:5], 0x0
	v_and_b32_e32 v8, 15, v7
	v_cmp_eq_u32_e64 s[6:7], 0, v8
	v_cmp_lt_u32_e64 s[8:9], 1, v8
	v_cmp_lt_u32_e64 s[10:11], 3, v8
	;; [unrolled: 1-line block ×3, first 2 shown]
	v_add_u32_e32 v8, -1, v7
	v_and_b32_e32 v9, 0x70, v7
	v_cmp_lt_i32_e32 vcc, v8, v9
	s_movk_i32 s4, 0x80
	v_cndmask_b32_e32 v8, v8, v7, vcc
	v_cmp_gt_u32_e64 s[4:5], s4, v0
	v_lshlrev_b32_e32 v11, 5, v0
	s_mov_b32 s34, 0
	v_cmp_eq_u32_e64 s[14:15], 15, v0
	s_movk_i32 s35, 0x70
	v_lshlrev_b32_e32 v29, 2, v8
	v_cmp_eq_u32_e64 s[16:17], 0, v7
	v_lshlrev_b32_e32 v28, 2, v6
	s_and_b64 vcc, exec, s[22:23]
	v_add_u32_e64 v30, 7, 2
	s_waitcnt lgkmcnt(0)
	; wave barrier
	s_waitcnt lgkmcnt(0)
	s_cbranch_vccz .LBB214_30
; %bb.16:
	v_bfrev_b32_e32 v31, 1
	v_cmp_lt_i32_e32 vcc, -1, v14
	v_cndmask_b32_e32 v6, -1, v31, vcc
	v_cmp_lt_i32_e32 vcc, -1, v15
	v_xor_b32_e32 v22, v6, v14
	v_cndmask_b32_e32 v6, -1, v31, vcc
	v_xor_b32_e32 v23, v6, v15
	v_and_b32_e32 v32, 14, v30
	v_mov_b32_e32 v33, 0
	s_brev_b32 s36, -2
	v_pk_mov_b32 v[6:7], v[2:3], v[2:3] op_sel:[0,1]
	v_pk_mov_b32 v[8:9], v[4:5], v[4:5] op_sel:[0,1]
	s_branch .LBB214_18
.LBB214_17:                             ;   in Loop: Header=BB214_18 Depth=1
	v_lshlrev_b32_e32 v6, 2, v24
	s_waitcnt lgkmcnt(0)
	; wave barrier
	ds_write_b32 v6, v20
	v_lshlrev_b32_e32 v6, 2, v25
	ds_write_b32 v6, v21
	v_lshlrev_b32_e32 v6, 3, v24
	s_waitcnt lgkmcnt(0)
	; wave barrier
	s_waitcnt lgkmcnt(0)
	ds_read2_b32 v[22:23], v28 offset1:1
	s_waitcnt lgkmcnt(0)
	; wave barrier
	s_waitcnt lgkmcnt(0)
	ds_write_b64 v6, v[18:19]
	v_lshlrev_b32_e32 v6, 3, v25
	ds_write_b64 v6, v[16:17]
	s_waitcnt lgkmcnt(0)
	; wave barrier
	s_waitcnt lgkmcnt(0)
	ds_read2_b64 v[6:9], v13 offset1:1
	s_add_i32 s34, s34, 4
	s_waitcnt lgkmcnt(0)
	; wave barrier
	s_waitcnt lgkmcnt(0)
	s_cbranch_execz .LBB214_29
.LBB214_18:                             ; =>This Loop Header: Depth=1
                                        ;     Child Loop BB214_21 Depth 2
	v_pk_mov_b32 v[16:17], v[8:9], v[8:9] op_sel:[0,1]
	v_pk_mov_b32 v[18:19], v[6:7], v[6:7] op_sel:[0,1]
	;; [unrolled: 1-line block ×3, first 2 shown]
	s_and_saveexec_b64 s[22:23], s[4:5]
	s_cbranch_execz .LBB214_25
; %bb.19:                               ;   in Loop: Header=BB214_18 Depth=1
	s_mov_b32 s37, 0
	s_mov_b64 s[24:25], 0
	v_pk_mov_b32 v[6:7], v[0:1], v[0:1] op_sel:[0,1]
	s_branch .LBB214_21
.LBB214_20:                             ;   in Loop: Header=BB214_21 Depth=2
	s_or_b64 exec, exec, s[28:29]
	s_add_i32 s37, s37, 2
	v_cmp_eq_u32_e32 vcc, s37, v32
	v_add_u32_e32 v7, 32, v7
	s_or_b64 s[24:25], vcc, s[24:25]
	v_add_u32_e32 v6, 32, v6
	s_andn2_b64 exec, exec, s[24:25]
	s_cbranch_execz .LBB214_25
.LBB214_21:                             ;   Parent Loop BB214_18 Depth=1
                                        ; =>  This Inner Loop Header: Depth=2
	s_or_b32 s26, s37, 1
	v_cmp_le_u32_e64 s[26:27], s26, 7
	v_cmp_le_u32_e64 s[38:39], s37, 7
	s_and_saveexec_b64 s[28:29], s[38:39]
	s_cbranch_execz .LBB214_23
; %bb.22:                               ;   in Loop: Header=BB214_21 Depth=2
	v_lshlrev_b32_e32 v8, 2, v6
	ds_write_b32 v8, v33
.LBB214_23:                             ;   in Loop: Header=BB214_21 Depth=2
	s_or_b64 exec, exec, s[28:29]
	s_and_saveexec_b64 s[28:29], s[26:27]
	s_cbranch_execz .LBB214_20
; %bb.24:                               ;   in Loop: Header=BB214_21 Depth=2
	v_lshlrev_b32_e32 v8, 2, v7
	ds_write_b32 v8, v33
	s_branch .LBB214_20
.LBB214_25:                             ;   in Loop: Header=BB214_18 Depth=1
	s_or_b64 exec, exec, s[22:23]
	s_sub_i32 s22, 32, s34
	s_min_u32 s22, s33, s22
	v_cmp_ne_u32_e32 vcc, s36, v20
	s_lshl_b32 s22, -1, s22
	v_cndmask_b32_e32 v6, v31, v20, vcc
	s_not_b32 s22, s22
	v_lshrrev_b32_e32 v6, s34, v6
	v_and_b32_e32 v6, s22, v6
	v_lshrrev_b32_e32 v7, 3, v6
	v_lshlrev_b32_e32 v6, 4, v6
	v_and_or_b32 v6, v6, s35, v0
	v_lshlrev_b32_e32 v6, 1, v6
	v_add_lshl_u32 v35, v6, v7, 1
	ds_read_u16 v34, v35
	v_cmp_ne_u32_e32 vcc, s36, v21
	s_waitcnt lgkmcnt(0)
	v_add_u16_e32 v6, 1, v34
	ds_write_b16 v35, v6
	v_cndmask_b32_e32 v6, v31, v21, vcc
	v_lshrrev_b32_e32 v6, s34, v6
	v_and_b32_e32 v6, s22, v6
	v_lshrrev_b32_e32 v7, 3, v6
	v_lshlrev_b32_e32 v6, 4, v6
	v_and_or_b32 v6, v6, s35, v0
	v_lshlrev_b32_e32 v6, 1, v6
	v_add_lshl_u32 v37, v6, v7, 1
	ds_read_u16 v36, v37
	s_waitcnt lgkmcnt(0)
	v_add_u16_e32 v6, 1, v36
	ds_write_b16 v37, v6
	s_waitcnt lgkmcnt(0)
	; wave barrier
	s_waitcnt lgkmcnt(0)
	ds_read2_b32 v[24:25], v11 offset1:1
	ds_read2_b32 v[22:23], v11 offset0:2 offset1:3
	ds_read2_b32 v[6:7], v11 offset0:4 offset1:5
	;; [unrolled: 1-line block ×3, first 2 shown]
	s_waitcnt lgkmcnt(3)
	v_add_u32_e32 v38, v25, v24
	s_waitcnt lgkmcnt(2)
	v_add3_u32 v38, v38, v22, v23
	s_waitcnt lgkmcnt(1)
	v_add3_u32 v38, v38, v6, v7
	;; [unrolled: 2-line block ×3, first 2 shown]
	s_nop 1
	v_mov_b32_dpp v38, v9 row_shr:1 row_mask:0xf bank_mask:0xf
	v_cndmask_b32_e64 v38, v38, 0, s[6:7]
	v_add_u32_e32 v9, v38, v9
	s_nop 1
	v_mov_b32_dpp v38, v9 row_shr:2 row_mask:0xf bank_mask:0xf
	v_cndmask_b32_e64 v38, 0, v38, s[8:9]
	v_add_u32_e32 v9, v9, v38
	;; [unrolled: 4-line block ×4, first 2 shown]
	s_and_saveexec_b64 s[22:23], s[14:15]
	s_cbranch_execz .LBB214_27
; %bb.26:                               ;   in Loop: Header=BB214_18 Depth=1
	ds_write_b32 v33, v9 offset:512
.LBB214_27:                             ;   in Loop: Header=BB214_18 Depth=1
	s_or_b64 exec, exec, s[22:23]
	ds_bpermute_b32 v9, v29, v9
	s_waitcnt lgkmcnt(0)
	; wave barrier
	s_waitcnt lgkmcnt(0)
	ds_read_b32 v38, v33 offset:512
	s_cmp_gt_u32 s34, 27
	v_cndmask_b32_e64 v9, v9, 0, s[16:17]
	s_waitcnt lgkmcnt(0)
	v_lshl_add_u32 v9, v38, 16, v9
	v_add_u32_e32 v24, v9, v24
	v_add_u32_e32 v25, v24, v25
	ds_write2_b32 v11, v9, v24 offset1:1
	v_add_u32_e32 v9, v25, v22
	v_add_u32_e32 v22, v9, v23
	v_add_u32_e32 v6, v22, v6
	v_add_u32_e32 v7, v6, v7
	v_add_u32_e32 v8, v7, v8
	ds_write2_b32 v11, v25, v9 offset0:2 offset1:3
	ds_write2_b32 v11, v22, v6 offset0:4 offset1:5
	;; [unrolled: 1-line block ×3, first 2 shown]
	s_waitcnt lgkmcnt(0)
	; wave barrier
	s_waitcnt lgkmcnt(0)
	ds_read_u16 v6, v35
	ds_read_u16 v7, v37
	s_waitcnt lgkmcnt(1)
	v_add_u32_sdwa v24, v6, v34 dst_sel:DWORD dst_unused:UNUSED_PAD src0_sel:DWORD src1_sel:WORD_0
	s_waitcnt lgkmcnt(0)
	v_add_u32_sdwa v25, v7, v36 dst_sel:DWORD dst_unused:UNUSED_PAD src0_sel:DWORD src1_sel:WORD_0
	s_cbranch_scc0 .LBB214_17
; %bb.28:
                                        ; implicit-def: $vgpr8_vgpr9
                                        ; implicit-def: $sgpr34
                                        ; implicit-def: $vgpr22_vgpr23
.LBB214_29:
	v_lshlrev_b32_e32 v6, 2, v24
	s_waitcnt lgkmcnt(0)
	; wave barrier
	ds_write_b32 v6, v20
	v_lshlrev_b32_e32 v6, 2, v25
	ds_write_b32 v6, v21
	s_waitcnt lgkmcnt(0)
	; wave barrier
	s_waitcnt lgkmcnt(0)
	ds_read2_b32 v[20:21], v28 offset1:1
	v_lshlrev_b32_e32 v6, 3, v24
	v_lshlrev_b32_e32 v7, 3, v25
	s_waitcnt lgkmcnt(0)
	; wave barrier
	s_waitcnt lgkmcnt(0)
	ds_write_b64 v6, v[18:19]
	ds_write_b64 v7, v[16:17]
	s_waitcnt lgkmcnt(0)
	; wave barrier
	s_waitcnt lgkmcnt(0)
	ds_read2_b64 v[6:9], v13 offset1:1
	v_bfrev_b32_e32 v16, 1
	v_cmp_lt_i32_e32 vcc, -1, v20
	v_cndmask_b32_e64 v18, v16, -1, vcc
	v_cmp_lt_i32_e32 vcc, -1, v21
	v_cndmask_b32_e64 v16, v16, -1, vcc
	v_xor_b32_e32 v17, v16, v21
	v_xor_b32_e32 v16, v18, v20
	s_branch .LBB214_45
.LBB214_30:
                                        ; implicit-def: $vgpr8_vgpr9
                                        ; implicit-def: $vgpr16_vgpr17
	s_cbranch_execz .LBB214_45
; %bb.31:
	v_bfrev_b32_e32 v20, -2
	v_cmp_gt_i32_e32 vcc, 0, v14
	s_waitcnt lgkmcnt(0)
	v_cndmask_b32_e64 v6, v20, 0, vcc
	v_cmp_gt_i32_e32 vcc, 0, v15
	v_xor_b32_e32 v16, v6, v14
	v_cndmask_b32_e64 v6, v20, 0, vcc
	s_mov_b32 s34, 0
	v_xor_b32_e32 v17, v6, v15
	v_and_b32_e32 v21, 14, v30
	v_mov_b32_e32 v22, 0
	s_brev_b32 s35, 1
	s_movk_i32 s36, 0x70
	s_branch .LBB214_33
.LBB214_32:                             ;   in Loop: Header=BB214_33 Depth=1
	v_lshlrev_b32_e32 v2, 2, v18
	s_waitcnt lgkmcnt(0)
	; wave barrier
	ds_write_b32 v2, v14
	v_lshlrev_b32_e32 v2, 2, v19
	ds_write_b32 v2, v15
	v_lshlrev_b32_e32 v2, 3, v18
	s_waitcnt lgkmcnt(0)
	; wave barrier
	s_waitcnt lgkmcnt(0)
	ds_read2_b32 v[16:17], v28 offset1:1
	s_waitcnt lgkmcnt(0)
	; wave barrier
	s_waitcnt lgkmcnt(0)
	ds_write_b64 v2, v[8:9]
	v_lshlrev_b32_e32 v2, 3, v19
	ds_write_b64 v2, v[6:7]
	s_waitcnt lgkmcnt(0)
	; wave barrier
	s_waitcnt lgkmcnt(0)
	ds_read2_b64 v[2:5], v13 offset1:1
	s_add_i32 s34, s34, 4
	s_waitcnt lgkmcnt(0)
	; wave barrier
	s_waitcnt lgkmcnt(0)
	s_cbranch_execz .LBB214_44
.LBB214_33:                             ; =>This Loop Header: Depth=1
                                        ;     Child Loop BB214_36 Depth 2
	v_pk_mov_b32 v[6:7], v[4:5], v[4:5] op_sel:[0,1]
	v_pk_mov_b32 v[8:9], v[2:3], v[2:3] op_sel:[0,1]
	;; [unrolled: 1-line block ×3, first 2 shown]
	s_and_saveexec_b64 s[22:23], s[4:5]
	s_cbranch_execz .LBB214_40
; %bb.34:                               ;   in Loop: Header=BB214_33 Depth=1
	s_mov_b32 s37, 0
	s_mov_b64 s[24:25], 0
	v_pk_mov_b32 v[2:3], v[0:1], v[0:1] op_sel:[0,1]
	s_branch .LBB214_36
.LBB214_35:                             ;   in Loop: Header=BB214_36 Depth=2
	s_or_b64 exec, exec, s[28:29]
	s_add_i32 s37, s37, 2
	v_cmp_eq_u32_e32 vcc, s37, v21
	v_add_u32_e32 v3, 32, v3
	s_or_b64 s[24:25], vcc, s[24:25]
	v_add_u32_e32 v2, 32, v2
	s_andn2_b64 exec, exec, s[24:25]
	s_cbranch_execz .LBB214_40
.LBB214_36:                             ;   Parent Loop BB214_33 Depth=1
                                        ; =>  This Inner Loop Header: Depth=2
	s_or_b32 s26, s37, 1
	v_cmp_le_u32_e64 s[26:27], s26, 7
	v_cmp_le_u32_e64 s[38:39], s37, 7
	s_and_saveexec_b64 s[28:29], s[38:39]
	s_cbranch_execz .LBB214_38
; %bb.37:                               ;   in Loop: Header=BB214_36 Depth=2
	v_lshlrev_b32_e32 v4, 2, v2
	ds_write_b32 v4, v22
.LBB214_38:                             ;   in Loop: Header=BB214_36 Depth=2
	s_or_b64 exec, exec, s[28:29]
	s_and_saveexec_b64 s[28:29], s[26:27]
	s_cbranch_execz .LBB214_35
; %bb.39:                               ;   in Loop: Header=BB214_36 Depth=2
	v_lshlrev_b32_e32 v4, 2, v3
	ds_write_b32 v4, v22
	s_branch .LBB214_35
.LBB214_40:                             ;   in Loop: Header=BB214_33 Depth=1
	s_or_b64 exec, exec, s[22:23]
	s_sub_i32 s22, 32, s34
	s_min_u32 s22, s33, s22
	v_cmp_ne_u32_e32 vcc, s35, v14
	s_lshl_b32 s22, -1, s22
	v_cndmask_b32_e32 v2, v20, v14, vcc
	s_not_b32 s22, s22
	v_lshrrev_b32_e32 v2, s34, v2
	v_and_b32_e32 v2, s22, v2
	v_lshrrev_b32_e32 v3, 3, v2
	v_lshlrev_b32_e32 v2, 4, v2
	v_and_or_b32 v2, v2, s36, v0
	v_lshlrev_b32_e32 v2, 1, v2
	v_add_lshl_u32 v24, v2, v3, 1
	ds_read_u16 v23, v24
	v_cmp_ne_u32_e32 vcc, s35, v15
	s_waitcnt lgkmcnt(0)
	v_add_u16_e32 v2, 1, v23
	ds_write_b16 v24, v2
	v_cndmask_b32_e32 v2, v20, v15, vcc
	v_lshrrev_b32_e32 v2, s34, v2
	v_and_b32_e32 v2, s22, v2
	v_lshrrev_b32_e32 v3, 3, v2
	v_lshlrev_b32_e32 v2, 4, v2
	v_and_or_b32 v2, v2, s36, v0
	v_lshlrev_b32_e32 v2, 1, v2
	v_add_lshl_u32 v30, v2, v3, 1
	ds_read_u16 v25, v30
	s_waitcnt lgkmcnt(0)
	v_add_u16_e32 v2, 1, v25
	ds_write_b16 v30, v2
	s_waitcnt lgkmcnt(0)
	; wave barrier
	s_waitcnt lgkmcnt(0)
	ds_read2_b32 v[18:19], v11 offset1:1
	ds_read2_b32 v[16:17], v11 offset0:2 offset1:3
	ds_read2_b32 v[2:3], v11 offset0:4 offset1:5
	;; [unrolled: 1-line block ×3, first 2 shown]
	s_waitcnt lgkmcnt(3)
	v_add_u32_e32 v31, v19, v18
	s_waitcnt lgkmcnt(2)
	v_add3_u32 v31, v31, v16, v17
	s_waitcnt lgkmcnt(1)
	v_add3_u32 v31, v31, v2, v3
	;; [unrolled: 2-line block ×3, first 2 shown]
	s_nop 1
	v_mov_b32_dpp v31, v5 row_shr:1 row_mask:0xf bank_mask:0xf
	v_cndmask_b32_e64 v31, v31, 0, s[6:7]
	v_add_u32_e32 v5, v31, v5
	s_nop 1
	v_mov_b32_dpp v31, v5 row_shr:2 row_mask:0xf bank_mask:0xf
	v_cndmask_b32_e64 v31, 0, v31, s[8:9]
	v_add_u32_e32 v5, v5, v31
	;; [unrolled: 4-line block ×4, first 2 shown]
	s_and_saveexec_b64 s[22:23], s[14:15]
	s_cbranch_execz .LBB214_42
; %bb.41:                               ;   in Loop: Header=BB214_33 Depth=1
	ds_write_b32 v22, v5 offset:512
.LBB214_42:                             ;   in Loop: Header=BB214_33 Depth=1
	s_or_b64 exec, exec, s[22:23]
	ds_bpermute_b32 v5, v29, v5
	s_waitcnt lgkmcnt(0)
	; wave barrier
	s_waitcnt lgkmcnt(0)
	ds_read_b32 v31, v22 offset:512
	s_cmp_gt_u32 s34, 27
	v_cndmask_b32_e64 v5, v5, 0, s[16:17]
	s_waitcnt lgkmcnt(0)
	v_lshl_add_u32 v5, v31, 16, v5
	v_add_u32_e32 v18, v5, v18
	v_add_u32_e32 v19, v18, v19
	ds_write2_b32 v11, v5, v18 offset1:1
	v_add_u32_e32 v5, v19, v16
	v_add_u32_e32 v16, v5, v17
	;; [unrolled: 1-line block ×5, first 2 shown]
	ds_write2_b32 v11, v19, v5 offset0:2 offset1:3
	ds_write2_b32 v11, v16, v2 offset0:4 offset1:5
	;; [unrolled: 1-line block ×3, first 2 shown]
	s_waitcnt lgkmcnt(0)
	; wave barrier
	s_waitcnt lgkmcnt(0)
	ds_read_u16 v2, v24
	ds_read_u16 v3, v30
	s_waitcnt lgkmcnt(1)
	v_add_u32_sdwa v18, v2, v23 dst_sel:DWORD dst_unused:UNUSED_PAD src0_sel:DWORD src1_sel:WORD_0
	s_waitcnt lgkmcnt(0)
	v_add_u32_sdwa v19, v3, v25 dst_sel:DWORD dst_unused:UNUSED_PAD src0_sel:DWORD src1_sel:WORD_0
	s_cbranch_scc0 .LBB214_32
; %bb.43:
                                        ; implicit-def: $vgpr4_vgpr5
                                        ; implicit-def: $sgpr34
                                        ; implicit-def: $vgpr16_vgpr17
.LBB214_44:
	v_lshlrev_b32_e32 v0, 2, v18
	s_waitcnt lgkmcnt(0)
	; wave barrier
	ds_write_b32 v0, v14
	v_lshlrev_b32_e32 v0, 2, v19
	ds_write_b32 v0, v15
	s_waitcnt lgkmcnt(0)
	; wave barrier
	s_waitcnt lgkmcnt(0)
	ds_read2_b32 v[0:1], v28 offset1:1
	v_lshlrev_b32_e32 v2, 3, v18
	v_lshlrev_b32_e32 v3, 3, v19
	s_waitcnt lgkmcnt(0)
	; wave barrier
	s_waitcnt lgkmcnt(0)
	ds_write_b64 v2, v[8:9]
	ds_write_b64 v3, v[6:7]
	s_waitcnt lgkmcnt(0)
	; wave barrier
	s_waitcnt lgkmcnt(0)
	ds_read2_b64 v[6:9], v13 offset1:1
	v_bfrev_b32_e32 v2, -2
	v_cmp_gt_i32_e32 vcc, 0, v0
	v_cndmask_b32_e64 v3, v2, 0, vcc
	v_cmp_gt_i32_e32 vcc, 0, v1
	v_cndmask_b32_e64 v2, v2, 0, vcc
	v_xor_b32_e32 v17, v2, v1
	v_xor_b32_e32 v16, v3, v0
.LBB214_45:
	s_waitcnt lgkmcnt(0)
	; wave barrier
	s_waitcnt lgkmcnt(0)
	ds_write2_b32 v26, v16, v17 offset1:1
	s_waitcnt lgkmcnt(0)
	; wave barrier
	s_waitcnt lgkmcnt(0)
	ds_read_b32 v2, v27 offset:64
	v_mov_b32_e32 v11, 0
	v_lshlrev_b64 v[0:1], 2, v[10:11]
	v_mov_b32_e32 v3, s21
	v_add_co_u32_e32 v0, vcc, s19, v0
	v_addc_co_u32_e32 v1, vcc, v3, v1, vcc
	s_and_saveexec_b64 s[4:5], s[0:1]
	s_cbranch_execz .LBB214_47
; %bb.46:
	ds_read_b32 v3, v27
	s_waitcnt lgkmcnt(0)
	global_store_dword v[0:1], v3, off
.LBB214_47:
	s_or_b64 exec, exec, s[4:5]
	s_and_saveexec_b64 s[4:5], s[2:3]
	s_cbranch_execz .LBB214_49
; %bb.48:
	s_lshl_b32 s6, s18, 4
	s_mov_b32 s7, 0
	s_lshl_b64 s[6:7], s[6:7], 2
	v_mov_b32_e32 v3, s7
	v_add_co_u32_e32 v0, vcc, s6, v0
	v_addc_co_u32_e32 v1, vcc, v1, v3, vcc
	s_waitcnt lgkmcnt(0)
	global_store_dword v[0:1], v2, off
.LBB214_49:
	s_or_b64 exec, exec, s[4:5]
	s_waitcnt lgkmcnt(0)
	; wave barrier
	s_waitcnt lgkmcnt(0)
	ds_write2_b64 v13, v[6:7], v[8:9] offset1:1
	s_waitcnt lgkmcnt(0)
	; wave barrier
	s_waitcnt lgkmcnt(0)
	ds_read_b64 v[0:1], v26 offset:128
	v_mov_b32_e32 v13, 0
	v_lshlrev_b64 v[2:3], 3, v[12:13]
	v_mov_b32_e32 v4, s31
	v_add_co_u32_e32 v2, vcc, s30, v2
	v_addc_co_u32_e32 v3, vcc, v4, v3, vcc
	s_and_saveexec_b64 s[4:5], s[0:1]
	s_cbranch_execz .LBB214_51
; %bb.50:
	ds_read_b64 v[4:5], v26
	s_waitcnt lgkmcnt(0)
	global_store_dwordx2 v[2:3], v[4:5], off
.LBB214_51:
	s_or_b64 exec, exec, s[4:5]
	s_and_saveexec_b64 s[0:1], s[2:3]
	s_cbranch_execz .LBB214_53
; %bb.52:
	s_lshl_b32 s0, s20, 4
	s_mov_b32 s1, 0
	s_lshl_b64 s[0:1], s[0:1], 3
	v_mov_b32_e32 v4, s1
	v_add_co_u32_e32 v2, vcc, s0, v2
	v_addc_co_u32_e32 v3, vcc, v3, v4, vcc
	s_waitcnt lgkmcnt(0)
	global_store_dwordx2 v[2:3], v[0:1], off
.LBB214_53:
	s_endpgm
	.section	.rodata,"a",@progbits
	.p2align	6, 0x0
	.amdhsa_kernel _ZN2at6native18radixSortKVInPlaceILin1ELin1ELi16ELi2EfljEEvNS_4cuda6detail10TensorInfoIT3_T5_EES6_S6_S6_NS4_IT4_S6_EES6_b
		.amdhsa_group_segment_fixed_size 528
		.amdhsa_private_segment_fixed_size 0
		.amdhsa_kernarg_size 712
		.amdhsa_user_sgpr_count 6
		.amdhsa_user_sgpr_private_segment_buffer 1
		.amdhsa_user_sgpr_dispatch_ptr 0
		.amdhsa_user_sgpr_queue_ptr 0
		.amdhsa_user_sgpr_kernarg_segment_ptr 1
		.amdhsa_user_sgpr_dispatch_id 0
		.amdhsa_user_sgpr_flat_scratch_init 0
		.amdhsa_user_sgpr_kernarg_preload_length 0
		.amdhsa_user_sgpr_kernarg_preload_offset 0
		.amdhsa_user_sgpr_private_segment_size 0
		.amdhsa_uses_dynamic_stack 0
		.amdhsa_system_sgpr_private_segment_wavefront_offset 0
		.amdhsa_system_sgpr_workgroup_id_x 1
		.amdhsa_system_sgpr_workgroup_id_y 1
		.amdhsa_system_sgpr_workgroup_id_z 1
		.amdhsa_system_sgpr_workgroup_info 0
		.amdhsa_system_vgpr_workitem_id 0
		.amdhsa_next_free_vgpr 39
		.amdhsa_next_free_sgpr 40
		.amdhsa_accum_offset 40
		.amdhsa_reserve_vcc 1
		.amdhsa_reserve_flat_scratch 0
		.amdhsa_float_round_mode_32 0
		.amdhsa_float_round_mode_16_64 0
		.amdhsa_float_denorm_mode_32 3
		.amdhsa_float_denorm_mode_16_64 3
		.amdhsa_dx10_clamp 1
		.amdhsa_ieee_mode 1
		.amdhsa_fp16_overflow 0
		.amdhsa_tg_split 0
		.amdhsa_exception_fp_ieee_invalid_op 0
		.amdhsa_exception_fp_denorm_src 0
		.amdhsa_exception_fp_ieee_div_zero 0
		.amdhsa_exception_fp_ieee_overflow 0
		.amdhsa_exception_fp_ieee_underflow 0
		.amdhsa_exception_fp_ieee_inexact 0
		.amdhsa_exception_int_div_zero 0
	.end_amdhsa_kernel
	.section	.text._ZN2at6native18radixSortKVInPlaceILin1ELin1ELi16ELi2EfljEEvNS_4cuda6detail10TensorInfoIT3_T5_EES6_S6_S6_NS4_IT4_S6_EES6_b,"axG",@progbits,_ZN2at6native18radixSortKVInPlaceILin1ELin1ELi16ELi2EfljEEvNS_4cuda6detail10TensorInfoIT3_T5_EES6_S6_S6_NS4_IT4_S6_EES6_b,comdat
.Lfunc_end214:
	.size	_ZN2at6native18radixSortKVInPlaceILin1ELin1ELi16ELi2EfljEEvNS_4cuda6detail10TensorInfoIT3_T5_EES6_S6_S6_NS4_IT4_S6_EES6_b, .Lfunc_end214-_ZN2at6native18radixSortKVInPlaceILin1ELin1ELi16ELi2EfljEEvNS_4cuda6detail10TensorInfoIT3_T5_EES6_S6_S6_NS4_IT4_S6_EES6_b
                                        ; -- End function
	.section	.AMDGPU.csdata,"",@progbits
; Kernel info:
; codeLenInByte = 3332
; NumSgprs: 44
; NumVgprs: 39
; NumAgprs: 0
; TotalNumVgprs: 39
; ScratchSize: 0
; MemoryBound: 0
; FloatMode: 240
; IeeeMode: 1
; LDSByteSize: 528 bytes/workgroup (compile time only)
; SGPRBlocks: 5
; VGPRBlocks: 4
; NumSGPRsForWavesPerEU: 44
; NumVGPRsForWavesPerEU: 39
; AccumOffset: 40
; Occupancy: 8
; WaveLimiterHint : 1
; COMPUTE_PGM_RSRC2:SCRATCH_EN: 0
; COMPUTE_PGM_RSRC2:USER_SGPR: 6
; COMPUTE_PGM_RSRC2:TRAP_HANDLER: 0
; COMPUTE_PGM_RSRC2:TGID_X_EN: 1
; COMPUTE_PGM_RSRC2:TGID_Y_EN: 1
; COMPUTE_PGM_RSRC2:TGID_Z_EN: 1
; COMPUTE_PGM_RSRC2:TIDIG_COMP_CNT: 0
; COMPUTE_PGM_RSRC3_GFX90A:ACCUM_OFFSET: 9
; COMPUTE_PGM_RSRC3_GFX90A:TG_SPLIT: 0
	.section	.text._ZN2at6native18radixSortKVInPlaceILin1ELin1ELi512ELi8EflmEEvNS_4cuda6detail10TensorInfoIT3_T5_EES6_S6_S6_NS4_IT4_S6_EES6_b,"axG",@progbits,_ZN2at6native18radixSortKVInPlaceILin1ELin1ELi512ELi8EflmEEvNS_4cuda6detail10TensorInfoIT3_T5_EES6_S6_S6_NS4_IT4_S6_EES6_b,comdat
	.protected	_ZN2at6native18radixSortKVInPlaceILin1ELin1ELi512ELi8EflmEEvNS_4cuda6detail10TensorInfoIT3_T5_EES6_S6_S6_NS4_IT4_S6_EES6_b ; -- Begin function _ZN2at6native18radixSortKVInPlaceILin1ELin1ELi512ELi8EflmEEvNS_4cuda6detail10TensorInfoIT3_T5_EES6_S6_S6_NS4_IT4_S6_EES6_b
	.globl	_ZN2at6native18radixSortKVInPlaceILin1ELin1ELi512ELi8EflmEEvNS_4cuda6detail10TensorInfoIT3_T5_EES6_S6_S6_NS4_IT4_S6_EES6_b
	.p2align	8
	.type	_ZN2at6native18radixSortKVInPlaceILin1ELin1ELi512ELi8EflmEEvNS_4cuda6detail10TensorInfoIT3_T5_EES6_S6_S6_NS4_IT4_S6_EES6_b,@function
_ZN2at6native18radixSortKVInPlaceILin1ELin1ELi512ELi8EflmEEvNS_4cuda6detail10TensorInfoIT3_T5_EES6_S6_S6_NS4_IT4_S6_EES6_b: ; @_ZN2at6native18radixSortKVInPlaceILin1ELin1ELi512ELi8EflmEEvNS_4cuda6detail10TensorInfoIT3_T5_EES6_S6_S6_NS4_IT4_S6_EES6_b
; %bb.0:
	s_load_dwordx4 s[12:15], s[4:5], 0x1a0
	s_load_dwordx2 s[0:1], s[4:5], 0x368
	s_add_u32 s52, s4, 0x368
	s_addc_u32 s53, s5, 0
	s_waitcnt lgkmcnt(0)
	v_mov_b32_e32 v2, s12
	s_mul_i32 s1, s1, s8
	s_add_i32 s1, s1, s7
	s_mul_i32 s0, s1, s0
	v_mov_b32_e32 v3, s13
	s_add_i32 s6, s0, s6
	s_mov_b32 s7, 0
	v_cmp_ge_u64_e32 vcc, s[6:7], v[2:3]
	s_cbranch_vccnz .LBB215_124
; %bb.1:
	s_load_dword s0, s[4:5], 0x198
	s_load_dwordx2 s[48:49], s[4:5], 0x1b0
	s_mov_b64 s[2:3], 0
	s_mov_b64 s[8:9], s[6:7]
	s_waitcnt lgkmcnt(0)
	s_cmp_lt_i32 s0, 2
	s_cbranch_scc1 .LBB215_9
; %bb.2:
	s_mov_b32 s10, 0
	s_add_i32 s15, s0, 1
	s_add_i32 s0, s0, -1
	s_mov_b32 s1, s10
	s_lshl_b64 s[0:1], s[0:1], 3
	s_add_u32 s0, s0, s4
	s_addc_u32 s1, s1, s5
	s_add_u32 s12, s0, 8
	s_addc_u32 s13, s1, 0
	s_mov_b64 s[16:17], s[6:7]
.LBB215_3:                              ; =>This Inner Loop Header: Depth=1
	s_load_dwordx2 s[18:19], s[12:13], 0x0
	s_waitcnt lgkmcnt(0)
	s_or_b64 s[0:1], s[16:17], s[18:19]
	s_mov_b32 s11, s1
	s_cmp_lg_u64 s[10:11], 0
	s_cbranch_scc0 .LBB215_8
; %bb.4:                                ;   in Loop: Header=BB215_3 Depth=1
	v_cvt_f32_u32_e32 v1, s18
	v_cvt_f32_u32_e32 v2, s19
	s_sub_u32 s0, 0, s18
	s_subb_u32 s1, 0, s19
	v_mac_f32_e32 v1, 0x4f800000, v2
	v_rcp_f32_e32 v1, v1
	v_mul_f32_e32 v1, 0x5f7ffffc, v1
	v_mul_f32_e32 v2, 0x2f800000, v1
	v_trunc_f32_e32 v2, v2
	v_mac_f32_e32 v1, 0xcf800000, v2
	v_cvt_u32_f32_e32 v2, v2
	v_cvt_u32_f32_e32 v1, v1
	v_readfirstlane_b32 s8, v2
	v_readfirstlane_b32 s9, v1
	s_mul_i32 s11, s0, s8
	s_mul_hi_u32 s21, s0, s9
	s_mul_i32 s20, s1, s9
	s_add_i32 s11, s21, s11
	s_mul_i32 s22, s0, s9
	s_add_i32 s11, s11, s20
	s_mul_hi_u32 s20, s9, s11
	s_mul_i32 s21, s9, s11
	s_mul_hi_u32 s9, s9, s22
	s_add_u32 s9, s9, s21
	s_addc_u32 s20, 0, s20
	s_mul_hi_u32 s23, s8, s22
	s_mul_i32 s22, s8, s22
	s_add_u32 s9, s9, s22
	s_mul_hi_u32 s21, s8, s11
	s_addc_u32 s9, s20, s23
	s_addc_u32 s20, s21, 0
	s_mul_i32 s11, s8, s11
	s_add_u32 s9, s9, s11
	s_addc_u32 s11, 0, s20
	v_add_co_u32_e32 v1, vcc, s9, v1
	s_cmp_lg_u64 vcc, 0
	s_addc_u32 s8, s8, s11
	v_readfirstlane_b32 s11, v1
	s_mul_i32 s9, s0, s8
	s_mul_hi_u32 s20, s0, s11
	s_add_i32 s9, s20, s9
	s_mul_i32 s1, s1, s11
	s_add_i32 s9, s9, s1
	s_mul_i32 s0, s0, s11
	s_mul_hi_u32 s20, s8, s0
	s_mul_i32 s21, s8, s0
	s_mul_i32 s23, s11, s9
	s_mul_hi_u32 s0, s11, s0
	s_mul_hi_u32 s22, s11, s9
	s_add_u32 s0, s0, s23
	s_addc_u32 s11, 0, s22
	s_add_u32 s0, s0, s21
	s_mul_hi_u32 s1, s8, s9
	s_addc_u32 s0, s11, s20
	s_addc_u32 s1, s1, 0
	s_mul_i32 s9, s8, s9
	s_add_u32 s0, s0, s9
	s_addc_u32 s1, 0, s1
	v_add_co_u32_e32 v1, vcc, s0, v1
	s_cmp_lg_u64 vcc, 0
	s_addc_u32 s0, s8, s1
	v_readfirstlane_b32 s9, v1
	s_mul_i32 s8, s16, s0
	s_mul_hi_u32 s11, s16, s9
	s_mul_hi_u32 s1, s16, s0
	s_add_u32 s8, s11, s8
	s_addc_u32 s1, 0, s1
	s_mul_hi_u32 s20, s17, s9
	s_mul_i32 s9, s17, s9
	s_add_u32 s8, s8, s9
	s_mul_hi_u32 s11, s17, s0
	s_addc_u32 s1, s1, s20
	s_addc_u32 s8, s11, 0
	s_mul_i32 s0, s17, s0
	s_add_u32 s11, s1, s0
	s_addc_u32 s8, 0, s8
	s_mul_i32 s0, s18, s8
	s_mul_hi_u32 s1, s18, s11
	s_add_i32 s0, s1, s0
	s_mul_i32 s1, s19, s11
	s_add_i32 s9, s0, s1
	s_mul_i32 s1, s18, s11
	v_mov_b32_e32 v1, s1
	s_sub_i32 s0, s17, s9
	v_sub_co_u32_e32 v1, vcc, s16, v1
	s_cmp_lg_u64 vcc, 0
	s_subb_u32 s20, s0, s19
	v_subrev_co_u32_e64 v2, s[0:1], s18, v1
	s_cmp_lg_u64 s[0:1], 0
	s_subb_u32 s0, s20, 0
	s_cmp_ge_u32 s0, s19
	v_readfirstlane_b32 s20, v2
	s_cselect_b32 s1, -1, 0
	s_cmp_ge_u32 s20, s18
	s_cselect_b32 s20, -1, 0
	s_cmp_eq_u32 s0, s19
	s_cselect_b32 s0, s20, s1
	s_add_u32 s1, s11, 1
	s_addc_u32 s20, s8, 0
	s_add_u32 s21, s11, 2
	s_addc_u32 s22, s8, 0
	s_cmp_lg_u32 s0, 0
	s_cselect_b32 s0, s21, s1
	s_cselect_b32 s1, s22, s20
	s_cmp_lg_u64 vcc, 0
	s_subb_u32 s9, s17, s9
	s_cmp_ge_u32 s9, s19
	v_readfirstlane_b32 s21, v1
	s_cselect_b32 s20, -1, 0
	s_cmp_ge_u32 s21, s18
	s_cselect_b32 s21, -1, 0
	s_cmp_eq_u32 s9, s19
	s_cselect_b32 s9, s21, s20
	s_cmp_lg_u32 s9, 0
	s_cselect_b32 s9, s1, s8
	s_cselect_b32 s8, s0, s11
	s_cbranch_execnz .LBB215_6
.LBB215_5:                              ;   in Loop: Header=BB215_3 Depth=1
	v_cvt_f32_u32_e32 v1, s18
	s_sub_i32 s0, 0, s18
	v_rcp_iflag_f32_e32 v1, v1
	v_mul_f32_e32 v1, 0x4f7ffffe, v1
	v_cvt_u32_f32_e32 v1, v1
	v_readfirstlane_b32 s1, v1
	s_mul_i32 s0, s0, s1
	s_mul_hi_u32 s0, s1, s0
	s_add_i32 s1, s1, s0
	s_mul_hi_u32 s0, s16, s1
	s_mul_i32 s8, s0, s18
	s_sub_i32 s8, s16, s8
	s_add_i32 s1, s0, 1
	s_sub_i32 s9, s8, s18
	s_cmp_ge_u32 s8, s18
	s_cselect_b32 s0, s1, s0
	s_cselect_b32 s8, s9, s8
	s_add_i32 s1, s0, 1
	s_cmp_ge_u32 s8, s18
	s_cselect_b32 s8, s1, s0
	s_mov_b32 s9, s10
.LBB215_6:                              ;   in Loop: Header=BB215_3 Depth=1
	s_mul_i32 s0, s8, s19
	s_mul_hi_u32 s1, s8, s18
	s_add_i32 s11, s1, s0
	s_load_dwordx2 s[0:1], s[12:13], 0xc8
	s_mul_i32 s19, s9, s18
	s_add_i32 s11, s11, s19
	s_mul_i32 s18, s8, s18
	s_sub_u32 s16, s16, s18
	s_subb_u32 s11, s17, s11
	s_waitcnt lgkmcnt(0)
	s_mul_i32 s11, s0, s11
	s_mul_hi_u32 s17, s0, s16
	s_add_i32 s11, s17, s11
	s_mul_i32 s1, s1, s16
	s_add_i32 s11, s11, s1
	s_mul_i32 s0, s0, s16
	s_add_u32 s2, s0, s2
	s_addc_u32 s3, s11, s3
	s_add_i32 s15, s15, -1
	s_add_u32 s12, s12, -8
	s_addc_u32 s13, s13, -1
	s_cmp_gt_u32 s15, 2
	s_cbranch_scc0 .LBB215_9
; %bb.7:                                ;   in Loop: Header=BB215_3 Depth=1
	s_mov_b64 s[16:17], s[8:9]
	s_branch .LBB215_3
.LBB215_8:                              ;   in Loop: Header=BB215_3 Depth=1
                                        ; implicit-def: $sgpr8_sgpr9
	s_branch .LBB215_5
.LBB215_9:
	s_load_dword s0, s[4:5], 0x350
	s_load_dwordx2 s[10:11], s[4:5], 0xd0
	s_mov_b64 s[16:17], 0
	s_waitcnt lgkmcnt(0)
	s_cmp_lt_i32 s0, 2
	s_cbranch_scc1 .LBB215_17
; %bb.10:
	s_mov_b32 s12, 0
	s_add_i32 s15, s0, 1
	s_add_i32 s0, s0, -1
	s_mov_b32 s1, s12
	s_lshl_b64 s[0:1], s[0:1], 3
	s_add_u32 s0, s0, s4
	s_addc_u32 s1, s1, s5
	s_add_u32 s20, s0, 0x1c0
	s_addc_u32 s21, s1, 0
.LBB215_11:                             ; =>This Inner Loop Header: Depth=1
	s_load_dwordx2 s[22:23], s[20:21], 0x0
	s_waitcnt lgkmcnt(0)
	s_or_b64 s[0:1], s[6:7], s[22:23]
	s_mov_b32 s13, s1
	s_cmp_lg_u64 s[12:13], 0
	s_cbranch_scc0 .LBB215_16
; %bb.12:                               ;   in Loop: Header=BB215_11 Depth=1
	v_cvt_f32_u32_e32 v1, s22
	v_cvt_f32_u32_e32 v2, s23
	s_sub_u32 s0, 0, s22
	s_subb_u32 s1, 0, s23
	v_mac_f32_e32 v1, 0x4f800000, v2
	v_rcp_f32_e32 v1, v1
	v_mul_f32_e32 v1, 0x5f7ffffc, v1
	v_mul_f32_e32 v2, 0x2f800000, v1
	v_trunc_f32_e32 v2, v2
	v_mac_f32_e32 v1, 0xcf800000, v2
	v_cvt_u32_f32_e32 v2, v2
	v_cvt_u32_f32_e32 v1, v1
	v_readfirstlane_b32 s13, v2
	v_readfirstlane_b32 s18, v1
	s_mul_i32 s19, s0, s13
	s_mul_hi_u32 s25, s0, s18
	s_mul_i32 s24, s1, s18
	s_add_i32 s19, s25, s19
	s_mul_i32 s26, s0, s18
	s_add_i32 s19, s19, s24
	s_mul_hi_u32 s24, s18, s19
	s_mul_i32 s25, s18, s19
	s_mul_hi_u32 s18, s18, s26
	s_add_u32 s18, s18, s25
	s_addc_u32 s24, 0, s24
	s_mul_hi_u32 s27, s13, s26
	s_mul_i32 s26, s13, s26
	s_add_u32 s18, s18, s26
	s_mul_hi_u32 s25, s13, s19
	s_addc_u32 s18, s24, s27
	s_addc_u32 s24, s25, 0
	s_mul_i32 s19, s13, s19
	s_add_u32 s18, s18, s19
	s_addc_u32 s19, 0, s24
	v_add_co_u32_e32 v1, vcc, s18, v1
	s_cmp_lg_u64 vcc, 0
	s_addc_u32 s13, s13, s19
	v_readfirstlane_b32 s19, v1
	s_mul_i32 s18, s0, s13
	s_mul_hi_u32 s24, s0, s19
	s_add_i32 s18, s24, s18
	s_mul_i32 s1, s1, s19
	s_add_i32 s18, s18, s1
	s_mul_i32 s0, s0, s19
	s_mul_hi_u32 s24, s13, s0
	s_mul_i32 s25, s13, s0
	s_mul_i32 s27, s19, s18
	s_mul_hi_u32 s0, s19, s0
	s_mul_hi_u32 s26, s19, s18
	s_add_u32 s0, s0, s27
	s_addc_u32 s19, 0, s26
	s_add_u32 s0, s0, s25
	s_mul_hi_u32 s1, s13, s18
	s_addc_u32 s0, s19, s24
	s_addc_u32 s1, s1, 0
	s_mul_i32 s18, s13, s18
	s_add_u32 s0, s0, s18
	s_addc_u32 s1, 0, s1
	v_add_co_u32_e32 v1, vcc, s0, v1
	s_cmp_lg_u64 vcc, 0
	s_addc_u32 s0, s13, s1
	v_readfirstlane_b32 s18, v1
	s_mul_i32 s13, s6, s0
	s_mul_hi_u32 s19, s6, s18
	s_mul_hi_u32 s1, s6, s0
	s_add_u32 s13, s19, s13
	s_addc_u32 s1, 0, s1
	s_mul_hi_u32 s24, s7, s18
	s_mul_i32 s18, s7, s18
	s_add_u32 s13, s13, s18
	s_mul_hi_u32 s19, s7, s0
	s_addc_u32 s1, s1, s24
	s_addc_u32 s13, s19, 0
	s_mul_i32 s0, s7, s0
	s_add_u32 s18, s1, s0
	s_addc_u32 s13, 0, s13
	s_mul_i32 s0, s22, s13
	s_mul_hi_u32 s1, s22, s18
	s_add_i32 s0, s1, s0
	s_mul_i32 s1, s23, s18
	s_add_i32 s19, s0, s1
	s_mul_i32 s1, s22, s18
	v_mov_b32_e32 v1, s1
	s_sub_i32 s0, s7, s19
	v_sub_co_u32_e32 v1, vcc, s6, v1
	s_cmp_lg_u64 vcc, 0
	s_subb_u32 s24, s0, s23
	v_subrev_co_u32_e64 v2, s[0:1], s22, v1
	s_cmp_lg_u64 s[0:1], 0
	s_subb_u32 s0, s24, 0
	s_cmp_ge_u32 s0, s23
	v_readfirstlane_b32 s24, v2
	s_cselect_b32 s1, -1, 0
	s_cmp_ge_u32 s24, s22
	s_cselect_b32 s24, -1, 0
	s_cmp_eq_u32 s0, s23
	s_cselect_b32 s0, s24, s1
	s_add_u32 s1, s18, 1
	s_addc_u32 s24, s13, 0
	s_add_u32 s25, s18, 2
	s_addc_u32 s26, s13, 0
	s_cmp_lg_u32 s0, 0
	s_cselect_b32 s0, s25, s1
	s_cselect_b32 s1, s26, s24
	s_cmp_lg_u64 vcc, 0
	s_subb_u32 s19, s7, s19
	s_cmp_ge_u32 s19, s23
	v_readfirstlane_b32 s25, v1
	s_cselect_b32 s24, -1, 0
	s_cmp_ge_u32 s25, s22
	s_cselect_b32 s25, -1, 0
	s_cmp_eq_u32 s19, s23
	s_cselect_b32 s19, s25, s24
	s_cmp_lg_u32 s19, 0
	s_cselect_b32 s19, s1, s13
	s_cselect_b32 s18, s0, s18
	s_cbranch_execnz .LBB215_14
.LBB215_13:                             ;   in Loop: Header=BB215_11 Depth=1
	v_cvt_f32_u32_e32 v1, s22
	s_sub_i32 s0, 0, s22
	s_mov_b32 s19, s12
	v_rcp_iflag_f32_e32 v1, v1
	v_mul_f32_e32 v1, 0x4f7ffffe, v1
	v_cvt_u32_f32_e32 v1, v1
	v_readfirstlane_b32 s1, v1
	s_mul_i32 s0, s0, s1
	s_mul_hi_u32 s0, s1, s0
	s_add_i32 s1, s1, s0
	s_mul_hi_u32 s0, s6, s1
	s_mul_i32 s13, s0, s22
	s_sub_i32 s13, s6, s13
	s_add_i32 s1, s0, 1
	s_sub_i32 s18, s13, s22
	s_cmp_ge_u32 s13, s22
	s_cselect_b32 s0, s1, s0
	s_cselect_b32 s13, s18, s13
	s_add_i32 s1, s0, 1
	s_cmp_ge_u32 s13, s22
	s_cselect_b32 s18, s1, s0
.LBB215_14:                             ;   in Loop: Header=BB215_11 Depth=1
	s_mul_i32 s0, s18, s23
	s_mul_hi_u32 s1, s18, s22
	s_add_i32 s13, s1, s0
	s_load_dwordx2 s[0:1], s[20:21], 0xc8
	s_mul_i32 s23, s19, s22
	s_add_i32 s13, s13, s23
	s_mul_i32 s22, s18, s22
	s_sub_u32 s6, s6, s22
	s_subb_u32 s7, s7, s13
	s_waitcnt lgkmcnt(0)
	s_mul_i32 s7, s0, s7
	s_mul_hi_u32 s13, s0, s6
	s_add_i32 s7, s13, s7
	s_mul_i32 s1, s1, s6
	s_add_i32 s7, s7, s1
	s_mul_i32 s0, s0, s6
	s_add_u32 s16, s0, s16
	s_addc_u32 s17, s7, s17
	s_add_i32 s15, s15, -1
	s_add_u32 s20, s20, -8
	s_addc_u32 s21, s21, -1
	s_cmp_gt_u32 s15, 2
	s_cbranch_scc0 .LBB215_18
; %bb.15:                               ;   in Loop: Header=BB215_11 Depth=1
	s_mov_b64 s[6:7], s[18:19]
	s_branch .LBB215_11
.LBB215_16:                             ;   in Loop: Header=BB215_11 Depth=1
                                        ; implicit-def: $sgpr18_sgpr19
	s_branch .LBB215_13
.LBB215_17:
	s_mov_b64 s[18:19], s[6:7]
.LBB215_18:
	s_mul_i32 s0, s10, s9
	s_load_dword s9, s[4:5], 0x360
	s_load_dwordx2 s[6:7], s[4:5], 0x0
	s_mul_hi_u32 s1, s10, s8
	s_add_i32 s0, s1, s0
	s_mul_i32 s1, s11, s8
	s_add_i32 s1, s0, s1
	s_mul_i32 s0, s10, s8
	s_waitcnt lgkmcnt(0)
	s_bitcmp1_b32 s9, 0
	s_cselect_b64 s[34:35], -1, 0
	s_lshl_b64 s[0:1], s[0:1], 2
	s_add_u32 s6, s6, s0
	v_bfrev_b32_e32 v1, -2
	s_addc_u32 s7, s7, s1
	s_lshl_b64 s[0:1], s[2:3], 2
	s_add_u32 s33, s6, s0
	v_cndmask_b32_e64 v1, v1, -1, s[34:35]
	v_and_b32_e32 v34, 0x3ff, v0
	s_addc_u32 s54, s7, s1
	v_mov_b32_e32 v2, v1
	v_mov_b32_e32 v3, v1
	;; [unrolled: 1-line block ×6, first 2 shown]
	v_cmp_gt_u32_e64 s[0:1], s14, v34
	v_mov_b32_e32 v8, v1
	s_and_saveexec_b64 s[2:3], s[0:1]
	s_cbranch_execz .LBB215_20
; %bb.19:
	v_mad_u64_u32 v[8:9], s[6:7], v34, s48, 0
	v_mov_b32_e32 v10, v9
	v_mad_u64_u32 v[10:11], s[6:7], v34, s49, v[10:11]
	v_mov_b32_e32 v9, v10
	v_lshlrev_b64 v[8:9], 2, v[8:9]
	v_mov_b32_e32 v10, s54
	v_add_co_u32_e32 v8, vcc, s33, v8
	v_addc_co_u32_e32 v9, vcc, v10, v9, vcc
	global_load_dword v8, v[8:9], off
.LBB215_20:
	s_or_b64 exec, exec, s[2:3]
	v_add_u32_e32 v24, 0x200, v34
	v_cmp_gt_u32_e64 s[2:3], s14, v24
	s_and_saveexec_b64 s[6:7], s[2:3]
	s_cbranch_execz .LBB215_22
; %bb.21:
	v_mad_u64_u32 v[10:11], s[8:9], v24, s48, 0
	v_mov_b32_e32 v12, v11
	v_mad_u64_u32 v[12:13], s[8:9], v24, s49, v[12:13]
	v_mov_b32_e32 v11, v12
	v_lshlrev_b64 v[10:11], 2, v[10:11]
	v_mov_b32_e32 v1, s54
	v_add_co_u32_e32 v10, vcc, s33, v10
	v_addc_co_u32_e32 v11, vcc, v1, v11, vcc
	global_load_dword v1, v[10:11], off
.LBB215_22:
	s_or_b64 exec, exec, s[6:7]
	v_or_b32_e32 v23, 0x400, v34
	v_cmp_gt_u32_e64 s[46:47], s14, v23
	s_and_saveexec_b64 s[6:7], s[46:47]
	s_cbranch_execz .LBB215_24
; %bb.23:
	v_mad_u64_u32 v[10:11], s[8:9], v23, s48, 0
	v_mov_b32_e32 v2, v11
	v_mad_u64_u32 v[12:13], s[8:9], v23, s49, v[2:3]
	v_mov_b32_e32 v11, v12
	v_lshlrev_b64 v[10:11], 2, v[10:11]
	v_mov_b32_e32 v2, s54
	v_add_co_u32_e32 v10, vcc, s33, v10
	v_addc_co_u32_e32 v11, vcc, v2, v11, vcc
	global_load_dword v2, v[10:11], off
.LBB215_24:
	s_or_b64 exec, exec, s[6:7]
	v_add_u32_e32 v22, 0x600, v34
	v_cmp_gt_u32_e64 s[6:7], s14, v22
	s_and_saveexec_b64 s[8:9], s[6:7]
	s_cbranch_execz .LBB215_26
; %bb.25:
	v_mad_u64_u32 v[10:11], s[10:11], v22, s48, 0
	v_mov_b32_e32 v12, v11
	v_mad_u64_u32 v[12:13], s[10:11], v22, s49, v[12:13]
	v_mov_b32_e32 v11, v12
	v_lshlrev_b64 v[10:11], 2, v[10:11]
	v_mov_b32_e32 v3, s54
	v_add_co_u32_e32 v10, vcc, s33, v10
	v_addc_co_u32_e32 v11, vcc, v3, v11, vcc
	global_load_dword v3, v[10:11], off
.LBB215_26:
	s_or_b64 exec, exec, s[8:9]
	v_or_b32_e32 v21, 0x800, v34
	v_cmp_gt_u32_e64 s[8:9], s14, v21
	s_and_saveexec_b64 s[10:11], s[8:9]
	s_cbranch_execz .LBB215_28
; %bb.27:
	v_mad_u64_u32 v[10:11], s[12:13], v21, s48, 0
	v_mov_b32_e32 v4, v11
	v_mad_u64_u32 v[12:13], s[12:13], v21, s49, v[4:5]
	v_mov_b32_e32 v11, v12
	v_lshlrev_b64 v[10:11], 2, v[10:11]
	v_mov_b32_e32 v4, s54
	v_add_co_u32_e32 v10, vcc, s33, v10
	v_addc_co_u32_e32 v11, vcc, v4, v11, vcc
	global_load_dword v4, v[10:11], off
.LBB215_28:
	s_or_b64 exec, exec, s[10:11]
	v_add_u32_e32 v19, 0xa00, v34
	v_cmp_gt_u32_e64 s[10:11], s14, v19
	s_and_saveexec_b64 s[12:13], s[10:11]
	s_cbranch_execz .LBB215_30
; %bb.29:
	v_mad_u64_u32 v[10:11], s[20:21], v19, s48, 0
	v_mov_b32_e32 v12, v11
	v_mad_u64_u32 v[12:13], s[20:21], v19, s49, v[12:13]
	v_mov_b32_e32 v11, v12
	v_lshlrev_b64 v[10:11], 2, v[10:11]
	v_mov_b32_e32 v5, s54
	v_add_co_u32_e32 v10, vcc, s33, v10
	v_addc_co_u32_e32 v11, vcc, v5, v11, vcc
	global_load_dword v5, v[10:11], off
.LBB215_30:
	s_or_b64 exec, exec, s[12:13]
	s_load_dwordx2 s[22:23], s[4:5], 0x288
	s_load_dwordx2 s[20:21], s[4:5], 0x1b8
	v_or_b32_e32 v20, 0xc00, v34
	v_cmp_gt_u32_e64 s[12:13], s14, v20
	s_and_saveexec_b64 s[24:25], s[12:13]
	s_cbranch_execz .LBB215_32
; %bb.31:
	v_mad_u64_u32 v[10:11], s[26:27], v20, s48, 0
	v_mov_b32_e32 v6, v11
	v_mad_u64_u32 v[12:13], s[26:27], v20, s49, v[6:7]
	v_mov_b32_e32 v11, v12
	v_lshlrev_b64 v[10:11], 2, v[10:11]
	v_mov_b32_e32 v6, s54
	v_add_co_u32_e32 v10, vcc, s33, v10
	v_addc_co_u32_e32 v11, vcc, v6, v11, vcc
	global_load_dword v6, v[10:11], off
.LBB215_32:
	s_or_b64 exec, exec, s[24:25]
	v_add_u32_e32 v18, 0xe00, v34
	v_cmp_gt_u32_e64 s[14:15], s14, v18
	s_and_saveexec_b64 s[24:25], s[14:15]
	s_cbranch_execz .LBB215_34
; %bb.33:
	v_mad_u64_u32 v[10:11], s[26:27], v18, s48, 0
	v_mov_b32_e32 v12, v11
	v_mad_u64_u32 v[12:13], s[26:27], v18, s49, v[12:13]
	v_mov_b32_e32 v11, v12
	v_lshlrev_b64 v[10:11], 2, v[10:11]
	v_mov_b32_e32 v7, s54
	v_add_co_u32_e32 v10, vcc, s33, v10
	v_addc_co_u32_e32 v11, vcc, v7, v11, vcc
	global_load_dword v7, v[10:11], off
.LBB215_34:
	s_or_b64 exec, exec, s[24:25]
	v_lshrrev_b32_e32 v9, 5, v34
	v_add_u32_e32 v32, v9, v34
	v_lshlrev_b32_e32 v35, 2, v32
	s_waitcnt vmcnt(0)
	ds_write_b32 v35, v8
	v_lshrrev_b32_e32 v8, 5, v24
	v_add_u32_e32 v31, v8, v34
	v_lshlrev_b32_e32 v68, 2, v31
	ds_write_b32 v68, v1 offset:2048
	v_lshrrev_b32_e32 v1, 5, v23
	v_add_u32_e32 v30, v1, v34
	v_lshrrev_b32_e32 v1, 5, v22
	v_add_u32_e32 v29, v1, v34
	;; [unrolled: 2-line block ×3, first 2 shown]
	v_lshrrev_b32_e32 v1, 5, v19
	v_lshlrev_b32_e32 v69, 2, v30
	v_add_u32_e32 v27, v1, v34
	v_lshrrev_b32_e32 v1, 5, v20
	s_waitcnt lgkmcnt(0)
	s_mul_i32 s19, s22, s19
	s_mul_hi_u32 s24, s22, s18
	ds_write_b32 v69, v2 offset:4096
	v_add_u32_e32 v25, v1, v34
	v_lshrrev_b32_e32 v1, 5, v18
	v_lshlrev_b32_e32 v84, 3, v34
	v_lshrrev_b32_e32 v2, 2, v34
	s_add_i32 s19, s24, s19
	s_mul_i32 s23, s23, s18
	v_add_u32_e32 v1, v1, v34
	v_add_u32_e32 v26, v2, v84
	s_add_i32 s19, s19, s23
	s_mul_i32 s18, s22, s18
	v_lshlrev_b32_e32 v70, 2, v29
	v_lshlrev_b32_e32 v71, 2, v28
	;; [unrolled: 1-line block ×6, first 2 shown]
	s_lshl_b64 s[18:19], s[18:19], 3
	ds_write_b32 v70, v3 offset:6144
	ds_write_b32 v71, v4 offset:8192
	;; [unrolled: 1-line block ×5, first 2 shown]
	s_waitcnt lgkmcnt(0)
	s_barrier
	ds_read2_b32 v[42:43], v75 offset1:1
	ds_read2_b32 v[40:41], v75 offset0:2 offset1:3
	ds_read2_b32 v[38:39], v75 offset0:4 offset1:5
	;; [unrolled: 1-line block ×3, first 2 shown]
	s_add_u32 s18, s20, s18
	s_addc_u32 s19, s21, s19
	s_lshl_b64 s[16:17], s[16:17], 3
	s_load_dwordx2 s[50:51], s[4:5], 0x358
	s_add_u32 s55, s18, s16
	s_mov_b32 s16, 0
	s_addc_u32 s56, s19, s17
	s_mov_b32 s17, s16
	s_mov_b32 s18, s16
	;; [unrolled: 1-line block ×15, first 2 shown]
	v_pk_mov_b32 v[2:3], s[16:17], s[16:17] op_sel:[0,1]
	v_pk_mov_b32 v[4:5], s[18:19], s[18:19] op_sel:[0,1]
	;; [unrolled: 1-line block ×8, first 2 shown]
	v_pk_mov_b32 v[2:3], 0, 0
	s_waitcnt lgkmcnt(0)
	s_barrier
	s_and_saveexec_b64 s[4:5], s[0:1]
	s_cbranch_execnz .LBB215_71
; %bb.35:
	s_or_b64 exec, exec, s[4:5]
	s_and_saveexec_b64 s[4:5], s[2:3]
	s_cbranch_execnz .LBB215_72
.LBB215_36:
	s_or_b64 exec, exec, s[4:5]
	s_and_saveexec_b64 s[4:5], s[46:47]
	s_cbranch_execnz .LBB215_73
.LBB215_37:
	s_or_b64 exec, exec, s[4:5]
	s_and_saveexec_b64 s[4:5], s[6:7]
	s_cbranch_execnz .LBB215_74
.LBB215_38:
	s_or_b64 exec, exec, s[4:5]
	s_and_saveexec_b64 s[4:5], s[8:9]
	s_cbranch_execnz .LBB215_75
.LBB215_39:
	s_or_b64 exec, exec, s[4:5]
	s_and_saveexec_b64 s[4:5], s[10:11]
	s_cbranch_execnz .LBB215_76
.LBB215_40:
	s_or_b64 exec, exec, s[4:5]
	s_and_saveexec_b64 s[4:5], s[12:13]
	s_cbranch_execnz .LBB215_77
.LBB215_41:
	s_or_b64 exec, exec, s[4:5]
	s_xor_b64 s[4:5], s[34:35], -1
	s_and_saveexec_b64 s[16:17], s[14:15]
	s_cbranch_execz .LBB215_43
.LBB215_42:
	v_mad_u64_u32 v[16:17], s[18:19], v18, s50, 0
	v_mov_b32_e32 v20, v17
	v_mad_u64_u32 v[18:19], s[18:19], v18, s51, v[20:21]
	v_mov_b32_e32 v17, v18
	v_lshlrev_b64 v[16:17], 3, v[16:17]
	v_mov_b32_e32 v18, s56
	v_add_co_u32_e32 v16, vcc, s55, v16
	v_addc_co_u32_e32 v17, vcc, v18, v17, vcc
	global_load_dwordx2 v[16:17], v[16:17], off
.LBB215_43:
	s_or_b64 exec, exec, s[16:17]
	v_lshlrev_b32_e32 v76, 3, v32
	v_lshlrev_b32_e32 v77, 3, v31
	;; [unrolled: 1-line block ×9, first 2 shown]
	s_waitcnt vmcnt(0)
	ds_write_b64 v76, v[2:3]
	ds_write_b64 v77, v[4:5] offset:4096
	ds_write_b64 v78, v[6:7] offset:8192
	;; [unrolled: 1-line block ×7, first 2 shown]
	s_waitcnt lgkmcnt(0)
	s_barrier
	ds_read2_b64 v[14:17], v85 offset1:1
	ds_read2_b64 v[10:13], v85 offset0:2 offset1:3
	ds_read2_b64 v[6:9], v85 offset0:4 offset1:5
	;; [unrolled: 1-line block ×3, first 2 shown]
	s_and_b64 vcc, exec, s[4:5]
	v_bfe_u32 v89, v0, 10, 10
	v_bfe_u32 v90, v0, 20, 10
	v_mbcnt_lo_u32_b32 v91, -1, 0
	v_lshlrev_b32_e32 v86, 2, v34
	v_lshlrev_b32_e32 v87, 4, v34
	v_cmp_gt_u32_e64 s[16:17], 8, v34
	v_cmp_lt_u32_e64 s[18:19], 63, v34
	v_cmp_eq_u32_e64 s[20:21], 0, v34
	v_lshrrev_b32_e32 v88, 4, v34
	s_waitcnt lgkmcnt(0)
	s_barrier
	s_cbranch_vccz .LBB215_78
; %bb.44:
	v_bfrev_b32_e32 v92, 1
	v_cmp_lt_i32_e32 vcc, -1, v42
	v_mbcnt_hi_u32_b32 v44, -1, v91
	v_and_b32_e32 v45, 0x3c0, v34
	v_cndmask_b32_e32 v18, -1, v92, vcc
	v_cmp_lt_i32_e32 vcc, -1, v43
	v_add_u32_e32 v0, v44, v45
	v_cndmask_b32_e32 v19, -1, v92, vcc
	v_lshlrev_b32_e32 v1, 5, v0
	v_xor_b32_e32 v19, v19, v43
	v_xor_b32_e32 v18, v18, v42
	v_cmp_lt_i32_e32 vcc, -1, v40
	ds_write2_b32 v1, v18, v19 offset1:1
	v_cndmask_b32_e32 v18, -1, v92, vcc
	v_cmp_lt_i32_e32 vcc, -1, v41
	v_cndmask_b32_e32 v19, -1, v92, vcc
	v_xor_b32_e32 v19, v19, v41
	v_xor_b32_e32 v18, v18, v40
	v_cmp_lt_i32_e32 vcc, -1, v38
	ds_write2_b32 v1, v18, v19 offset0:2 offset1:3
	v_cndmask_b32_e32 v18, -1, v92, vcc
	v_cmp_lt_i32_e32 vcc, -1, v39
	v_cndmask_b32_e32 v19, -1, v92, vcc
	v_xor_b32_e32 v19, v19, v39
	v_xor_b32_e32 v18, v18, v38
	v_cmp_lt_i32_e32 vcc, -1, v36
	ds_write2_b32 v1, v18, v19 offset0:4 offset1:5
	v_cndmask_b32_e32 v18, -1, v92, vcc
	v_cmp_lt_i32_e32 vcc, -1, v37
	v_cndmask_b32_e32 v19, -1, v92, vcc
	v_xor_b32_e32 v19, v19, v37
	v_xor_b32_e32 v18, v18, v36
	v_and_b32_e32 v46, 0x1e00, v84
	ds_write2_b32 v1, v18, v19 offset0:6 offset1:7
	v_or_b32_e32 v1, v44, v46
	v_lshlrev_b32_e32 v18, 2, v1
	v_lshlrev_b32_e32 v0, 6, v0
	; wave barrier
	ds_read2st64_b32 v[60:61], v18 offset1:1
	ds_read2st64_b32 v[62:63], v18 offset0:2 offset1:3
	ds_read2st64_b32 v[64:65], v18 offset0:4 offset1:5
	;; [unrolled: 1-line block ×3, first 2 shown]
	s_waitcnt lgkmcnt(0)
	s_barrier
	ds_write2_b64 v0, v[14:15], v[16:17] offset1:1
	ds_write2_b64 v0, v[10:11], v[12:13] offset0:2 offset1:3
	ds_write2_b64 v0, v[6:7], v[8:9] offset0:4 offset1:5
	;; [unrolled: 1-line block ×3, first 2 shown]
	v_lshlrev_b32_e32 v0, 3, v1
	; wave barrier
	ds_read2st64_b64 v[18:21], v0 offset1:1
	ds_read2st64_b64 v[22:25], v0 offset0:2 offset1:3
	ds_read2st64_b64 v[26:29], v0 offset0:4 offset1:5
	ds_read2st64_b64 v[30:33], v0 offset0:6 offset1:7
	s_waitcnt lgkmcnt(0)
	s_barrier
	s_load_dword s22, s[52:53], 0xc
	s_getpc_b64 s[4:5]
	s_add_u32 s4, s4, _ZN7rocprim17ROCPRIM_400000_NS16block_radix_sortIfLj512ELj8ElLj1ELj1ELj0ELNS0_26block_radix_rank_algorithmE1ELNS0_18block_padding_hintE2ELNS0_4arch9wavefront6targetE1EE19radix_bits_per_passE@rel32@lo+4
	s_addc_u32 s5, s5, _ZN7rocprim17ROCPRIM_400000_NS16block_radix_sortIfLj512ELj8ElLj1ELj1ELj0ELNS0_26block_radix_rank_algorithmE1ELNS0_18block_padding_hintE2ELNS0_4arch9wavefront6targetE1EE19radix_bits_per_passE@rel32@hi+12
	s_load_dword s57, s[4:5], 0x0
	v_and_b32_e32 v96, 60, v88
	s_mov_b32 s58, 0
	s_waitcnt lgkmcnt(0)
	s_lshr_b32 s4, s22, 16
	s_and_b32 s5, s22, 0xffff
	v_mad_u32_u24 v0, v90, s4, v89
	v_mad_u64_u32 v[0:1], s[4:5], v0, s5, v[34:35]
	v_lshrrev_b32_e32 v94, 6, v0
	v_and_b32_e32 v0, 15, v44
	v_cmp_eq_u32_e64 s[22:23], 0, v0
	v_cmp_lt_u32_e64 s[24:25], 1, v0
	v_cmp_lt_u32_e64 s[26:27], 3, v0
	;; [unrolled: 1-line block ×3, first 2 shown]
	v_and_b32_e32 v0, 16, v44
	v_cmp_eq_u32_e64 s[30:31], 0, v0
	v_min_u32_e32 v0, 0x1c0, v45
	v_or_b32_e32 v0, 63, v0
	v_cmp_eq_u32_e64 s[36:37], v0, v34
	v_add_u32_e32 v0, -1, v44
	v_and_b32_e32 v1, 64, v44
	v_cmp_lt_i32_e32 vcc, v0, v1
	v_cndmask_b32_e32 v0, v0, v44, vcc
	v_lshlrev_b32_e32 v95, 2, v0
	v_and_b32_e32 v0, 7, v44
	v_cmp_eq_u32_e64 s[40:41], 0, v0
	v_cmp_lt_u32_e64 s[42:43], 1, v0
	v_cmp_lt_u32_e64 s[44:45], 3, v0
	v_and_or_b32 v0, v44, 63, v46
	s_mov_b32 s59, 32
	v_add_u32_e32 v93, 32, v87
	v_cmp_lt_u32_e64 s[34:35], 31, v44
	v_cmp_eq_u32_e64 s[38:39], 0, v44
	v_add_u32_e32 v97, -4, v96
	v_lshlrev_b32_e32 v98, 2, v0
	v_lshlrev_b32_e32 v99, 3, v0
	v_mov_b32_e32 v58, 0
	s_brev_b32 s60, -2
	s_branch .LBB215_46
.LBB215_45:                             ;   in Loop: Header=BB215_46 Depth=1
	v_lshlrev_b32_e32 v18, 2, v59
	s_barrier
	ds_write_b32 v18, v107
	v_lshlrev_b32_e32 v18, 2, v109
	ds_write_b32 v18, v106
	v_lshlrev_b32_e32 v18, 2, v110
	;; [unrolled: 2-line block ×8, first 2 shown]
	s_waitcnt lgkmcnt(0)
	s_barrier
	ds_read2st64_b32 v[60:61], v98 offset1:1
	ds_read2st64_b32 v[62:63], v98 offset0:2 offset1:3
	ds_read2st64_b32 v[64:65], v98 offset0:4 offset1:5
	;; [unrolled: 1-line block ×3, first 2 shown]
	s_waitcnt lgkmcnt(0)
	s_barrier
	ds_write_b64 v18, v[56:57]
	v_lshlrev_b32_e32 v18, 3, v109
	ds_write_b64 v18, v[54:55]
	v_lshlrev_b32_e32 v18, 3, v110
	;; [unrolled: 2-line block ×7, first 2 shown]
	ds_write_b64 v18, v[0:1]
	s_waitcnt lgkmcnt(0)
	s_barrier
	ds_read2st64_b64 v[18:21], v99 offset1:1
	ds_read2st64_b64 v[22:25], v99 offset0:2 offset1:3
	ds_read2st64_b64 v[26:29], v99 offset0:4 offset1:5
	;; [unrolled: 1-line block ×3, first 2 shown]
	s_add_i32 s58, s58, 8
	s_add_i32 s59, s59, -8
	s_waitcnt lgkmcnt(0)
	s_barrier
	s_cbranch_execz .LBB215_70
.LBB215_46:                             ; =>This Inner Loop Header: Depth=1
	v_mov_b32_e32 v107, v60
	s_min_u32 s4, s57, s59
	v_cmp_ne_u32_e32 vcc, s60, v107
	v_pk_mov_b32 v[56:57], v[18:19], v[18:19] op_sel:[0,1]
	s_lshl_b32 s4, -1, s4
	v_cndmask_b32_e32 v18, v92, v107, vcc
	s_not_b32 s61, s4
	v_lshrrev_b32_e32 v18, s58, v18
	v_and_b32_e32 v18, s61, v18
	v_lshl_add_u32 v19, v18, 3, v94
	v_pk_mov_b32 v[52:53], v[22:23], v[22:23] op_sel:[0,1]
	v_lshl_add_u32 v22, v19, 2, 32
	v_and_b32_e32 v19, 1, v18
	v_pk_mov_b32 v[54:55], v[20:21], v[20:21] op_sel:[0,1]
	v_add_co_u32_e32 v20, vcc, -1, v19
	v_addc_co_u32_e64 v21, s[4:5], 0, -1, vcc
	v_cmp_ne_u32_e32 vcc, 0, v19
	v_lshlrev_b32_e32 v59, 30, v18
	v_xor_b32_e32 v19, vcc_hi, v21
	v_not_b32_e32 v21, v59
	v_xor_b32_e32 v20, vcc_lo, v20
	v_cmp_gt_i64_e32 vcc, 0, v[58:59]
	v_ashrrev_i32_e32 v21, 31, v21
	v_and_b32_e32 v20, exec_lo, v20
	v_xor_b32_e32 v23, vcc_hi, v21
	v_xor_b32_e32 v21, vcc_lo, v21
	v_lshlrev_b32_e32 v59, 29, v18
	v_and_b32_e32 v20, v20, v21
	v_not_b32_e32 v21, v59
	v_and_b32_e32 v19, exec_hi, v19
	v_cmp_gt_i64_e32 vcc, 0, v[58:59]
	v_ashrrev_i32_e32 v21, 31, v21
	v_and_b32_e32 v19, v19, v23
	v_xor_b32_e32 v23, vcc_hi, v21
	v_xor_b32_e32 v21, vcc_lo, v21
	v_lshlrev_b32_e32 v59, 28, v18
	v_and_b32_e32 v20, v20, v21
	v_not_b32_e32 v21, v59
	v_cmp_gt_i64_e32 vcc, 0, v[58:59]
	v_ashrrev_i32_e32 v21, 31, v21
	v_and_b32_e32 v19, v19, v23
	v_xor_b32_e32 v23, vcc_hi, v21
	v_xor_b32_e32 v21, vcc_lo, v21
	v_lshlrev_b32_e32 v59, 27, v18
	v_and_b32_e32 v20, v20, v21
	v_not_b32_e32 v21, v59
	;; [unrolled: 8-line block ×3, first 2 shown]
	v_cmp_gt_i64_e32 vcc, 0, v[58:59]
	v_ashrrev_i32_e32 v21, 31, v21
	v_and_b32_e32 v19, v19, v23
	v_xor_b32_e32 v23, vcc_hi, v21
	v_xor_b32_e32 v21, vcc_lo, v21
	v_lshlrev_b32_e32 v59, 25, v18
	v_and_b32_e32 v20, v20, v21
	v_cmp_gt_i64_e32 vcc, 0, v[58:59]
	v_not_b32_e32 v21, v59
	v_lshlrev_b32_e32 v59, 24, v18
	v_ashrrev_i32_e32 v21, 31, v21
	v_not_b32_e32 v18, v59
	v_and_b32_e32 v19, v19, v23
	v_xor_b32_e32 v23, vcc_hi, v21
	v_xor_b32_e32 v21, vcc_lo, v21
	v_cmp_gt_i64_e32 vcc, 0, v[58:59]
	v_ashrrev_i32_e32 v18, 31, v18
	v_and_b32_e32 v20, v20, v21
	v_xor_b32_e32 v21, vcc_hi, v18
	v_xor_b32_e32 v18, vcc_lo, v18
	v_and_b32_e32 v19, v19, v23
	v_and_b32_e32 v18, v20, v18
	;; [unrolled: 1-line block ×3, first 2 shown]
	v_mbcnt_lo_u32_b32 v20, v18, 0
	v_mbcnt_hi_u32_b32 v23, v19, v20
	v_cmp_eq_u32_e32 vcc, 0, v23
	v_cmp_ne_u64_e64 s[4:5], 0, v[18:19]
	v_mov_b32_e32 v100, v67
	v_mov_b32_e32 v101, v66
	;; [unrolled: 1-line block ×7, first 2 shown]
	v_pk_mov_b32 v[0:1], v[32:33], v[32:33] op_sel:[0,1]
	v_pk_mov_b32 v[44:45], v[30:31], v[30:31] op_sel:[0,1]
	v_pk_mov_b32 v[46:47], v[28:29], v[28:29] op_sel:[0,1]
	v_pk_mov_b32 v[48:49], v[26:27], v[26:27] op_sel:[0,1]
	v_pk_mov_b32 v[50:51], v[24:25], v[24:25] op_sel:[0,1]
	s_and_b64 s[62:63], s[4:5], vcc
	ds_write2_b32 v87, v58, v58 offset0:8 offset1:9
	ds_write2_b32 v93, v58, v58 offset0:2 offset1:3
	s_waitcnt lgkmcnt(0)
	s_barrier
	s_waitcnt lgkmcnt(0)
	; wave barrier
	s_and_saveexec_b64 s[4:5], s[62:63]
	s_cbranch_execz .LBB215_48
; %bb.47:                               ;   in Loop: Header=BB215_46 Depth=1
	v_bcnt_u32_b32 v18, v18, 0
	v_bcnt_u32_b32 v18, v19, v18
	ds_write_b32 v22, v18
.LBB215_48:                             ;   in Loop: Header=BB215_46 Depth=1
	s_or_b64 exec, exec, s[4:5]
	v_cmp_ne_u32_e32 vcc, s60, v106
	v_cndmask_b32_e32 v18, v92, v106, vcc
	v_lshrrev_b32_e32 v18, s58, v18
	v_and_b32_e32 v18, s61, v18
	v_lshlrev_b32_e32 v19, 3, v18
	v_add_lshl_u32 v19, v19, v94, 2
	; wave barrier
	v_add_u32_e32 v25, 32, v19
	ds_read_b32 v24, v19 offset:32
	v_and_b32_e32 v19, 1, v18
	v_add_co_u32_e32 v20, vcc, -1, v19
	v_addc_co_u32_e64 v21, s[4:5], 0, -1, vcc
	v_cmp_ne_u32_e32 vcc, 0, v19
	v_lshlrev_b32_e32 v59, 30, v18
	v_xor_b32_e32 v19, vcc_hi, v21
	v_not_b32_e32 v21, v59
	v_xor_b32_e32 v20, vcc_lo, v20
	v_cmp_gt_i64_e32 vcc, 0, v[58:59]
	v_ashrrev_i32_e32 v21, 31, v21
	v_and_b32_e32 v20, exec_lo, v20
	v_xor_b32_e32 v26, vcc_hi, v21
	v_xor_b32_e32 v21, vcc_lo, v21
	v_lshlrev_b32_e32 v59, 29, v18
	v_and_b32_e32 v20, v20, v21
	v_not_b32_e32 v21, v59
	v_and_b32_e32 v19, exec_hi, v19
	v_cmp_gt_i64_e32 vcc, 0, v[58:59]
	v_ashrrev_i32_e32 v21, 31, v21
	v_and_b32_e32 v19, v19, v26
	v_xor_b32_e32 v26, vcc_hi, v21
	v_xor_b32_e32 v21, vcc_lo, v21
	v_lshlrev_b32_e32 v59, 28, v18
	v_and_b32_e32 v20, v20, v21
	v_not_b32_e32 v21, v59
	v_cmp_gt_i64_e32 vcc, 0, v[58:59]
	v_ashrrev_i32_e32 v21, 31, v21
	v_and_b32_e32 v19, v19, v26
	v_xor_b32_e32 v26, vcc_hi, v21
	v_xor_b32_e32 v21, vcc_lo, v21
	v_lshlrev_b32_e32 v59, 27, v18
	v_and_b32_e32 v20, v20, v21
	v_not_b32_e32 v21, v59
	;; [unrolled: 8-line block ×3, first 2 shown]
	v_cmp_gt_i64_e32 vcc, 0, v[58:59]
	v_ashrrev_i32_e32 v21, 31, v21
	v_and_b32_e32 v19, v19, v26
	v_xor_b32_e32 v26, vcc_hi, v21
	v_xor_b32_e32 v21, vcc_lo, v21
	v_lshlrev_b32_e32 v59, 25, v18
	v_and_b32_e32 v20, v20, v21
	v_cmp_gt_i64_e32 vcc, 0, v[58:59]
	v_not_b32_e32 v21, v59
	v_lshlrev_b32_e32 v59, 24, v18
	v_ashrrev_i32_e32 v21, 31, v21
	v_not_b32_e32 v18, v59
	v_and_b32_e32 v19, v19, v26
	v_xor_b32_e32 v26, vcc_hi, v21
	v_xor_b32_e32 v21, vcc_lo, v21
	v_cmp_gt_i64_e32 vcc, 0, v[58:59]
	v_ashrrev_i32_e32 v18, 31, v18
	v_and_b32_e32 v20, v20, v21
	v_xor_b32_e32 v21, vcc_hi, v18
	v_xor_b32_e32 v18, vcc_lo, v18
	v_and_b32_e32 v19, v19, v26
	v_and_b32_e32 v18, v20, v18
	;; [unrolled: 1-line block ×3, first 2 shown]
	v_mbcnt_lo_u32_b32 v20, v18, 0
	v_mbcnt_hi_u32_b32 v26, v19, v20
	v_cmp_eq_u32_e32 vcc, 0, v26
	v_cmp_ne_u64_e64 s[4:5], 0, v[18:19]
	s_and_b64 s[62:63], s[4:5], vcc
	; wave barrier
	s_and_saveexec_b64 s[4:5], s[62:63]
	s_cbranch_execz .LBB215_50
; %bb.49:                               ;   in Loop: Header=BB215_46 Depth=1
	v_bcnt_u32_b32 v18, v18, 0
	v_bcnt_u32_b32 v18, v19, v18
	s_waitcnt lgkmcnt(0)
	v_add_u32_e32 v18, v24, v18
	ds_write_b32 v25, v18
.LBB215_50:                             ;   in Loop: Header=BB215_46 Depth=1
	s_or_b64 exec, exec, s[4:5]
	v_cmp_ne_u32_e32 vcc, s60, v105
	v_cndmask_b32_e32 v18, v92, v105, vcc
	v_lshrrev_b32_e32 v18, s58, v18
	v_and_b32_e32 v18, s61, v18
	v_lshlrev_b32_e32 v19, 3, v18
	v_add_lshl_u32 v19, v19, v94, 2
	; wave barrier
	v_add_u32_e32 v28, 32, v19
	ds_read_b32 v27, v19 offset:32
	v_and_b32_e32 v19, 1, v18
	v_add_co_u32_e32 v20, vcc, -1, v19
	v_addc_co_u32_e64 v21, s[4:5], 0, -1, vcc
	v_cmp_ne_u32_e32 vcc, 0, v19
	v_lshlrev_b32_e32 v59, 30, v18
	v_xor_b32_e32 v19, vcc_hi, v21
	v_not_b32_e32 v21, v59
	v_xor_b32_e32 v20, vcc_lo, v20
	v_cmp_gt_i64_e32 vcc, 0, v[58:59]
	v_ashrrev_i32_e32 v21, 31, v21
	v_and_b32_e32 v20, exec_lo, v20
	v_xor_b32_e32 v29, vcc_hi, v21
	v_xor_b32_e32 v21, vcc_lo, v21
	v_lshlrev_b32_e32 v59, 29, v18
	v_and_b32_e32 v20, v20, v21
	v_not_b32_e32 v21, v59
	v_and_b32_e32 v19, exec_hi, v19
	v_cmp_gt_i64_e32 vcc, 0, v[58:59]
	v_ashrrev_i32_e32 v21, 31, v21
	v_and_b32_e32 v19, v19, v29
	v_xor_b32_e32 v29, vcc_hi, v21
	v_xor_b32_e32 v21, vcc_lo, v21
	v_lshlrev_b32_e32 v59, 28, v18
	v_and_b32_e32 v20, v20, v21
	v_not_b32_e32 v21, v59
	v_cmp_gt_i64_e32 vcc, 0, v[58:59]
	v_ashrrev_i32_e32 v21, 31, v21
	v_and_b32_e32 v19, v19, v29
	v_xor_b32_e32 v29, vcc_hi, v21
	v_xor_b32_e32 v21, vcc_lo, v21
	v_lshlrev_b32_e32 v59, 27, v18
	v_and_b32_e32 v20, v20, v21
	v_not_b32_e32 v21, v59
	;; [unrolled: 8-line block ×3, first 2 shown]
	v_cmp_gt_i64_e32 vcc, 0, v[58:59]
	v_ashrrev_i32_e32 v21, 31, v21
	v_and_b32_e32 v19, v19, v29
	v_xor_b32_e32 v29, vcc_hi, v21
	v_xor_b32_e32 v21, vcc_lo, v21
	v_lshlrev_b32_e32 v59, 25, v18
	v_and_b32_e32 v20, v20, v21
	v_cmp_gt_i64_e32 vcc, 0, v[58:59]
	v_not_b32_e32 v21, v59
	v_lshlrev_b32_e32 v59, 24, v18
	v_ashrrev_i32_e32 v21, 31, v21
	v_not_b32_e32 v18, v59
	v_and_b32_e32 v19, v19, v29
	v_xor_b32_e32 v29, vcc_hi, v21
	v_xor_b32_e32 v21, vcc_lo, v21
	v_cmp_gt_i64_e32 vcc, 0, v[58:59]
	v_ashrrev_i32_e32 v18, 31, v18
	v_and_b32_e32 v20, v20, v21
	v_xor_b32_e32 v21, vcc_hi, v18
	v_xor_b32_e32 v18, vcc_lo, v18
	v_and_b32_e32 v19, v19, v29
	v_and_b32_e32 v18, v20, v18
	;; [unrolled: 1-line block ×3, first 2 shown]
	v_mbcnt_lo_u32_b32 v20, v18, 0
	v_mbcnt_hi_u32_b32 v29, v19, v20
	v_cmp_eq_u32_e32 vcc, 0, v29
	v_cmp_ne_u64_e64 s[4:5], 0, v[18:19]
	s_and_b64 s[62:63], s[4:5], vcc
	; wave barrier
	s_and_saveexec_b64 s[4:5], s[62:63]
	s_cbranch_execz .LBB215_52
; %bb.51:                               ;   in Loop: Header=BB215_46 Depth=1
	v_bcnt_u32_b32 v18, v18, 0
	v_bcnt_u32_b32 v18, v19, v18
	s_waitcnt lgkmcnt(0)
	v_add_u32_e32 v18, v27, v18
	ds_write_b32 v28, v18
.LBB215_52:                             ;   in Loop: Header=BB215_46 Depth=1
	s_or_b64 exec, exec, s[4:5]
	v_cmp_ne_u32_e32 vcc, s60, v104
	v_cndmask_b32_e32 v18, v92, v104, vcc
	v_lshrrev_b32_e32 v18, s58, v18
	v_and_b32_e32 v18, s61, v18
	v_lshlrev_b32_e32 v19, 3, v18
	v_add_lshl_u32 v19, v19, v94, 2
	; wave barrier
	v_add_u32_e32 v31, 32, v19
	ds_read_b32 v30, v19 offset:32
	v_and_b32_e32 v19, 1, v18
	v_add_co_u32_e32 v20, vcc, -1, v19
	v_addc_co_u32_e64 v21, s[4:5], 0, -1, vcc
	v_cmp_ne_u32_e32 vcc, 0, v19
	v_lshlrev_b32_e32 v59, 30, v18
	v_xor_b32_e32 v19, vcc_hi, v21
	v_not_b32_e32 v21, v59
	v_xor_b32_e32 v20, vcc_lo, v20
	v_cmp_gt_i64_e32 vcc, 0, v[58:59]
	v_ashrrev_i32_e32 v21, 31, v21
	v_and_b32_e32 v20, exec_lo, v20
	v_xor_b32_e32 v32, vcc_hi, v21
	v_xor_b32_e32 v21, vcc_lo, v21
	v_lshlrev_b32_e32 v59, 29, v18
	v_and_b32_e32 v20, v20, v21
	v_not_b32_e32 v21, v59
	v_and_b32_e32 v19, exec_hi, v19
	v_cmp_gt_i64_e32 vcc, 0, v[58:59]
	v_ashrrev_i32_e32 v21, 31, v21
	v_and_b32_e32 v19, v19, v32
	v_xor_b32_e32 v32, vcc_hi, v21
	v_xor_b32_e32 v21, vcc_lo, v21
	v_lshlrev_b32_e32 v59, 28, v18
	v_and_b32_e32 v20, v20, v21
	v_not_b32_e32 v21, v59
	v_cmp_gt_i64_e32 vcc, 0, v[58:59]
	v_ashrrev_i32_e32 v21, 31, v21
	v_and_b32_e32 v19, v19, v32
	v_xor_b32_e32 v32, vcc_hi, v21
	v_xor_b32_e32 v21, vcc_lo, v21
	v_lshlrev_b32_e32 v59, 27, v18
	v_and_b32_e32 v20, v20, v21
	v_not_b32_e32 v21, v59
	;; [unrolled: 8-line block ×3, first 2 shown]
	v_cmp_gt_i64_e32 vcc, 0, v[58:59]
	v_ashrrev_i32_e32 v21, 31, v21
	v_and_b32_e32 v19, v19, v32
	v_xor_b32_e32 v32, vcc_hi, v21
	v_xor_b32_e32 v21, vcc_lo, v21
	v_lshlrev_b32_e32 v59, 25, v18
	v_and_b32_e32 v20, v20, v21
	v_cmp_gt_i64_e32 vcc, 0, v[58:59]
	v_not_b32_e32 v21, v59
	v_lshlrev_b32_e32 v59, 24, v18
	v_ashrrev_i32_e32 v21, 31, v21
	v_not_b32_e32 v18, v59
	v_and_b32_e32 v19, v19, v32
	v_xor_b32_e32 v32, vcc_hi, v21
	v_xor_b32_e32 v21, vcc_lo, v21
	v_cmp_gt_i64_e32 vcc, 0, v[58:59]
	v_ashrrev_i32_e32 v18, 31, v18
	v_and_b32_e32 v20, v20, v21
	v_xor_b32_e32 v21, vcc_hi, v18
	v_xor_b32_e32 v18, vcc_lo, v18
	v_and_b32_e32 v19, v19, v32
	v_and_b32_e32 v18, v20, v18
	;; [unrolled: 1-line block ×3, first 2 shown]
	v_mbcnt_lo_u32_b32 v20, v18, 0
	v_mbcnt_hi_u32_b32 v32, v19, v20
	v_cmp_eq_u32_e32 vcc, 0, v32
	v_cmp_ne_u64_e64 s[4:5], 0, v[18:19]
	s_and_b64 s[62:63], s[4:5], vcc
	; wave barrier
	s_and_saveexec_b64 s[4:5], s[62:63]
	s_cbranch_execz .LBB215_54
; %bb.53:                               ;   in Loop: Header=BB215_46 Depth=1
	v_bcnt_u32_b32 v18, v18, 0
	v_bcnt_u32_b32 v18, v19, v18
	s_waitcnt lgkmcnt(0)
	v_add_u32_e32 v18, v30, v18
	ds_write_b32 v31, v18
.LBB215_54:                             ;   in Loop: Header=BB215_46 Depth=1
	s_or_b64 exec, exec, s[4:5]
	v_cmp_ne_u32_e32 vcc, s60, v103
	v_cndmask_b32_e32 v18, v92, v103, vcc
	v_lshrrev_b32_e32 v18, s58, v18
	v_and_b32_e32 v18, s61, v18
	v_lshlrev_b32_e32 v19, 3, v18
	v_add_lshl_u32 v19, v19, v94, 2
	; wave barrier
	v_add_u32_e32 v60, 32, v19
	ds_read_b32 v33, v19 offset:32
	v_and_b32_e32 v19, 1, v18
	v_add_co_u32_e32 v20, vcc, -1, v19
	v_addc_co_u32_e64 v21, s[4:5], 0, -1, vcc
	v_cmp_ne_u32_e32 vcc, 0, v19
	v_lshlrev_b32_e32 v59, 30, v18
	v_xor_b32_e32 v19, vcc_hi, v21
	v_not_b32_e32 v21, v59
	v_xor_b32_e32 v20, vcc_lo, v20
	v_cmp_gt_i64_e32 vcc, 0, v[58:59]
	v_ashrrev_i32_e32 v21, 31, v21
	v_and_b32_e32 v19, exec_hi, v19
	v_xor_b32_e32 v59, vcc_hi, v21
	v_and_b32_e32 v20, exec_lo, v20
	v_xor_b32_e32 v21, vcc_lo, v21
	v_and_b32_e32 v19, v19, v59
	v_lshlrev_b32_e32 v59, 29, v18
	v_and_b32_e32 v20, v20, v21
	v_not_b32_e32 v21, v59
	v_cmp_gt_i64_e32 vcc, 0, v[58:59]
	v_ashrrev_i32_e32 v21, 31, v21
	v_xor_b32_e32 v59, vcc_hi, v21
	v_xor_b32_e32 v21, vcc_lo, v21
	v_and_b32_e32 v19, v19, v59
	v_lshlrev_b32_e32 v59, 28, v18
	v_and_b32_e32 v20, v20, v21
	v_not_b32_e32 v21, v59
	v_cmp_gt_i64_e32 vcc, 0, v[58:59]
	v_ashrrev_i32_e32 v21, 31, v21
	v_xor_b32_e32 v59, vcc_hi, v21
	;; [unrolled: 8-line block ×5, first 2 shown]
	v_and_b32_e32 v19, v19, v59
	v_lshlrev_b32_e32 v59, 24, v18
	v_not_b32_e32 v18, v59
	v_xor_b32_e32 v21, vcc_lo, v21
	v_cmp_gt_i64_e32 vcc, 0, v[58:59]
	v_ashrrev_i32_e32 v18, 31, v18
	v_and_b32_e32 v20, v20, v21
	v_xor_b32_e32 v21, vcc_hi, v18
	v_xor_b32_e32 v18, vcc_lo, v18
	v_and_b32_e32 v18, v20, v18
	v_and_b32_e32 v19, v19, v21
	v_mbcnt_lo_u32_b32 v20, v18, 0
	v_mbcnt_hi_u32_b32 v61, v19, v20
	v_cmp_eq_u32_e32 vcc, 0, v61
	v_cmp_ne_u64_e64 s[4:5], 0, v[18:19]
	s_and_b64 s[62:63], s[4:5], vcc
	; wave barrier
	s_and_saveexec_b64 s[4:5], s[62:63]
	s_cbranch_execz .LBB215_56
; %bb.55:                               ;   in Loop: Header=BB215_46 Depth=1
	v_bcnt_u32_b32 v18, v18, 0
	v_bcnt_u32_b32 v18, v19, v18
	s_waitcnt lgkmcnt(0)
	v_add_u32_e32 v18, v33, v18
	ds_write_b32 v60, v18
.LBB215_56:                             ;   in Loop: Header=BB215_46 Depth=1
	s_or_b64 exec, exec, s[4:5]
	v_cmp_ne_u32_e32 vcc, s60, v102
	v_cndmask_b32_e32 v18, v92, v102, vcc
	v_lshrrev_b32_e32 v18, s58, v18
	v_and_b32_e32 v18, s61, v18
	v_lshlrev_b32_e32 v19, 3, v18
	v_add_lshl_u32 v19, v19, v94, 2
	; wave barrier
	v_add_u32_e32 v63, 32, v19
	ds_read_b32 v62, v19 offset:32
	v_and_b32_e32 v19, 1, v18
	v_add_co_u32_e32 v20, vcc, -1, v19
	v_addc_co_u32_e64 v21, s[4:5], 0, -1, vcc
	v_cmp_ne_u32_e32 vcc, 0, v19
	v_lshlrev_b32_e32 v59, 30, v18
	v_xor_b32_e32 v19, vcc_hi, v21
	v_not_b32_e32 v21, v59
	v_xor_b32_e32 v20, vcc_lo, v20
	v_cmp_gt_i64_e32 vcc, 0, v[58:59]
	v_ashrrev_i32_e32 v21, 31, v21
	v_and_b32_e32 v19, exec_hi, v19
	v_xor_b32_e32 v59, vcc_hi, v21
	v_and_b32_e32 v20, exec_lo, v20
	v_xor_b32_e32 v21, vcc_lo, v21
	v_and_b32_e32 v19, v19, v59
	v_lshlrev_b32_e32 v59, 29, v18
	v_and_b32_e32 v20, v20, v21
	v_not_b32_e32 v21, v59
	v_cmp_gt_i64_e32 vcc, 0, v[58:59]
	v_ashrrev_i32_e32 v21, 31, v21
	v_xor_b32_e32 v59, vcc_hi, v21
	v_xor_b32_e32 v21, vcc_lo, v21
	v_and_b32_e32 v19, v19, v59
	v_lshlrev_b32_e32 v59, 28, v18
	v_and_b32_e32 v20, v20, v21
	v_not_b32_e32 v21, v59
	v_cmp_gt_i64_e32 vcc, 0, v[58:59]
	v_ashrrev_i32_e32 v21, 31, v21
	v_xor_b32_e32 v59, vcc_hi, v21
	;; [unrolled: 8-line block ×5, first 2 shown]
	v_and_b32_e32 v19, v19, v59
	v_lshlrev_b32_e32 v59, 24, v18
	v_not_b32_e32 v18, v59
	v_xor_b32_e32 v21, vcc_lo, v21
	v_cmp_gt_i64_e32 vcc, 0, v[58:59]
	v_ashrrev_i32_e32 v18, 31, v18
	v_and_b32_e32 v20, v20, v21
	v_xor_b32_e32 v21, vcc_hi, v18
	v_xor_b32_e32 v18, vcc_lo, v18
	v_and_b32_e32 v18, v20, v18
	v_and_b32_e32 v19, v19, v21
	v_mbcnt_lo_u32_b32 v20, v18, 0
	v_mbcnt_hi_u32_b32 v64, v19, v20
	v_cmp_eq_u32_e32 vcc, 0, v64
	v_cmp_ne_u64_e64 s[4:5], 0, v[18:19]
	s_and_b64 s[62:63], s[4:5], vcc
	; wave barrier
	s_and_saveexec_b64 s[4:5], s[62:63]
	s_cbranch_execz .LBB215_58
; %bb.57:                               ;   in Loop: Header=BB215_46 Depth=1
	v_bcnt_u32_b32 v18, v18, 0
	v_bcnt_u32_b32 v18, v19, v18
	s_waitcnt lgkmcnt(0)
	v_add_u32_e32 v18, v62, v18
	ds_write_b32 v63, v18
.LBB215_58:                             ;   in Loop: Header=BB215_46 Depth=1
	s_or_b64 exec, exec, s[4:5]
	v_cmp_ne_u32_e32 vcc, s60, v101
	v_cndmask_b32_e32 v18, v92, v101, vcc
	v_lshrrev_b32_e32 v18, s58, v18
	v_and_b32_e32 v18, s61, v18
	v_lshlrev_b32_e32 v19, 3, v18
	v_add_lshl_u32 v19, v19, v94, 2
	; wave barrier
	v_add_u32_e32 v66, 32, v19
	ds_read_b32 v65, v19 offset:32
	v_and_b32_e32 v19, 1, v18
	v_add_co_u32_e32 v20, vcc, -1, v19
	v_addc_co_u32_e64 v21, s[4:5], 0, -1, vcc
	v_cmp_ne_u32_e32 vcc, 0, v19
	v_lshlrev_b32_e32 v59, 30, v18
	v_xor_b32_e32 v19, vcc_hi, v21
	v_not_b32_e32 v21, v59
	v_xor_b32_e32 v20, vcc_lo, v20
	v_cmp_gt_i64_e32 vcc, 0, v[58:59]
	v_ashrrev_i32_e32 v21, 31, v21
	v_and_b32_e32 v19, exec_hi, v19
	v_xor_b32_e32 v59, vcc_hi, v21
	v_and_b32_e32 v20, exec_lo, v20
	v_xor_b32_e32 v21, vcc_lo, v21
	v_and_b32_e32 v19, v19, v59
	v_lshlrev_b32_e32 v59, 29, v18
	v_and_b32_e32 v20, v20, v21
	v_not_b32_e32 v21, v59
	v_cmp_gt_i64_e32 vcc, 0, v[58:59]
	v_ashrrev_i32_e32 v21, 31, v21
	v_xor_b32_e32 v59, vcc_hi, v21
	v_xor_b32_e32 v21, vcc_lo, v21
	v_and_b32_e32 v19, v19, v59
	v_lshlrev_b32_e32 v59, 28, v18
	v_and_b32_e32 v20, v20, v21
	v_not_b32_e32 v21, v59
	v_cmp_gt_i64_e32 vcc, 0, v[58:59]
	v_ashrrev_i32_e32 v21, 31, v21
	v_xor_b32_e32 v59, vcc_hi, v21
	;; [unrolled: 8-line block ×5, first 2 shown]
	v_and_b32_e32 v19, v19, v59
	v_lshlrev_b32_e32 v59, 24, v18
	v_not_b32_e32 v18, v59
	v_xor_b32_e32 v21, vcc_lo, v21
	v_cmp_gt_i64_e32 vcc, 0, v[58:59]
	v_ashrrev_i32_e32 v18, 31, v18
	v_and_b32_e32 v20, v20, v21
	v_xor_b32_e32 v21, vcc_hi, v18
	v_xor_b32_e32 v18, vcc_lo, v18
	v_and_b32_e32 v18, v20, v18
	v_and_b32_e32 v19, v19, v21
	v_mbcnt_lo_u32_b32 v20, v18, 0
	v_mbcnt_hi_u32_b32 v67, v19, v20
	v_cmp_eq_u32_e32 vcc, 0, v67
	v_cmp_ne_u64_e64 s[4:5], 0, v[18:19]
	s_and_b64 s[62:63], s[4:5], vcc
	; wave barrier
	s_and_saveexec_b64 s[4:5], s[62:63]
	s_cbranch_execz .LBB215_60
; %bb.59:                               ;   in Loop: Header=BB215_46 Depth=1
	v_bcnt_u32_b32 v18, v18, 0
	v_bcnt_u32_b32 v18, v19, v18
	s_waitcnt lgkmcnt(0)
	v_add_u32_e32 v18, v65, v18
	ds_write_b32 v66, v18
.LBB215_60:                             ;   in Loop: Header=BB215_46 Depth=1
	s_or_b64 exec, exec, s[4:5]
	v_cmp_ne_u32_e32 vcc, s60, v100
	v_cndmask_b32_e32 v18, v92, v100, vcc
	v_lshrrev_b32_e32 v18, s58, v18
	v_and_b32_e32 v18, s61, v18
	v_lshlrev_b32_e32 v19, 3, v18
	v_add_lshl_u32 v19, v19, v94, 2
	; wave barrier
	v_add_u32_e32 v109, 32, v19
	ds_read_b32 v108, v19 offset:32
	v_and_b32_e32 v19, 1, v18
	v_add_co_u32_e32 v20, vcc, -1, v19
	v_addc_co_u32_e64 v21, s[4:5], 0, -1, vcc
	v_cmp_ne_u32_e32 vcc, 0, v19
	v_lshlrev_b32_e32 v59, 30, v18
	v_xor_b32_e32 v19, vcc_hi, v21
	v_not_b32_e32 v21, v59
	v_xor_b32_e32 v20, vcc_lo, v20
	v_cmp_gt_i64_e32 vcc, 0, v[58:59]
	v_ashrrev_i32_e32 v21, 31, v21
	v_and_b32_e32 v19, exec_hi, v19
	v_xor_b32_e32 v59, vcc_hi, v21
	v_and_b32_e32 v20, exec_lo, v20
	v_xor_b32_e32 v21, vcc_lo, v21
	v_and_b32_e32 v19, v19, v59
	v_lshlrev_b32_e32 v59, 29, v18
	v_and_b32_e32 v20, v20, v21
	v_not_b32_e32 v21, v59
	v_cmp_gt_i64_e32 vcc, 0, v[58:59]
	v_ashrrev_i32_e32 v21, 31, v21
	v_xor_b32_e32 v59, vcc_hi, v21
	v_xor_b32_e32 v21, vcc_lo, v21
	v_and_b32_e32 v19, v19, v59
	v_lshlrev_b32_e32 v59, 28, v18
	v_and_b32_e32 v20, v20, v21
	v_not_b32_e32 v21, v59
	v_cmp_gt_i64_e32 vcc, 0, v[58:59]
	v_ashrrev_i32_e32 v21, 31, v21
	v_xor_b32_e32 v59, vcc_hi, v21
	;; [unrolled: 8-line block ×5, first 2 shown]
	v_and_b32_e32 v19, v19, v59
	v_lshlrev_b32_e32 v59, 24, v18
	v_not_b32_e32 v18, v59
	v_xor_b32_e32 v21, vcc_lo, v21
	v_cmp_gt_i64_e32 vcc, 0, v[58:59]
	v_ashrrev_i32_e32 v18, 31, v18
	v_and_b32_e32 v20, v20, v21
	v_xor_b32_e32 v21, vcc_hi, v18
	v_xor_b32_e32 v18, vcc_lo, v18
	v_and_b32_e32 v18, v20, v18
	v_and_b32_e32 v19, v19, v21
	v_mbcnt_lo_u32_b32 v20, v18, 0
	v_mbcnt_hi_u32_b32 v115, v19, v20
	v_cmp_eq_u32_e32 vcc, 0, v115
	v_cmp_ne_u64_e64 s[4:5], 0, v[18:19]
	s_and_b64 s[62:63], s[4:5], vcc
	; wave barrier
	s_and_saveexec_b64 s[4:5], s[62:63]
	s_cbranch_execz .LBB215_62
; %bb.61:                               ;   in Loop: Header=BB215_46 Depth=1
	v_bcnt_u32_b32 v18, v18, 0
	v_bcnt_u32_b32 v18, v19, v18
	s_waitcnt lgkmcnt(0)
	v_add_u32_e32 v18, v108, v18
	ds_write_b32 v109, v18
.LBB215_62:                             ;   in Loop: Header=BB215_46 Depth=1
	s_or_b64 exec, exec, s[4:5]
	; wave barrier
	s_waitcnt lgkmcnt(0)
	s_barrier
	ds_read2_b32 v[20:21], v87 offset0:8 offset1:9
	ds_read2_b32 v[18:19], v93 offset0:2 offset1:3
	s_waitcnt lgkmcnt(1)
	v_add_u32_e32 v59, v21, v20
	s_waitcnt lgkmcnt(0)
	v_add3_u32 v19, v59, v18, v19
	s_nop 1
	v_mov_b32_dpp v59, v19 row_shr:1 row_mask:0xf bank_mask:0xf
	v_cndmask_b32_e64 v59, v59, 0, s[22:23]
	v_add_u32_e32 v19, v59, v19
	s_nop 1
	v_mov_b32_dpp v59, v19 row_shr:2 row_mask:0xf bank_mask:0xf
	v_cndmask_b32_e64 v59, 0, v59, s[24:25]
	v_add_u32_e32 v19, v19, v59
	;; [unrolled: 4-line block ×4, first 2 shown]
	s_nop 1
	v_mov_b32_dpp v59, v19 row_bcast:15 row_mask:0xf bank_mask:0xf
	v_cndmask_b32_e64 v59, v59, 0, s[30:31]
	v_add_u32_e32 v19, v19, v59
	s_nop 1
	v_mov_b32_dpp v59, v19 row_bcast:31 row_mask:0xf bank_mask:0xf
	v_cndmask_b32_e64 v59, 0, v59, s[34:35]
	v_add_u32_e32 v19, v19, v59
	s_and_saveexec_b64 s[4:5], s[36:37]
	s_cbranch_execz .LBB215_64
; %bb.63:                               ;   in Loop: Header=BB215_46 Depth=1
	ds_write_b32 v96, v19
.LBB215_64:                             ;   in Loop: Header=BB215_46 Depth=1
	s_or_b64 exec, exec, s[4:5]
	s_waitcnt lgkmcnt(0)
	s_barrier
	s_and_saveexec_b64 s[4:5], s[16:17]
	s_cbranch_execz .LBB215_66
; %bb.65:                               ;   in Loop: Header=BB215_46 Depth=1
	ds_read_b32 v59, v86
	s_waitcnt lgkmcnt(0)
	s_nop 0
	v_mov_b32_dpp v110, v59 row_shr:1 row_mask:0xf bank_mask:0xf
	v_cndmask_b32_e64 v110, v110, 0, s[40:41]
	v_add_u32_e32 v59, v110, v59
	s_nop 1
	v_mov_b32_dpp v110, v59 row_shr:2 row_mask:0xf bank_mask:0xf
	v_cndmask_b32_e64 v110, 0, v110, s[42:43]
	v_add_u32_e32 v59, v59, v110
	;; [unrolled: 4-line block ×3, first 2 shown]
	ds_write_b32 v86, v59
.LBB215_66:                             ;   in Loop: Header=BB215_46 Depth=1
	s_or_b64 exec, exec, s[4:5]
	v_mov_b32_e32 v59, 0
	s_waitcnt lgkmcnt(0)
	s_barrier
	s_and_saveexec_b64 s[4:5], s[18:19]
	s_cbranch_execz .LBB215_68
; %bb.67:                               ;   in Loop: Header=BB215_46 Depth=1
	ds_read_b32 v59, v97
.LBB215_68:                             ;   in Loop: Header=BB215_46 Depth=1
	s_or_b64 exec, exec, s[4:5]
	s_waitcnt lgkmcnt(0)
	v_add_u32_e32 v19, v59, v19
	ds_bpermute_b32 v19, v95, v19
	s_cmp_gt_u32 s58, 23
	s_waitcnt lgkmcnt(0)
	v_cndmask_b32_e64 v19, v19, v59, s[38:39]
	v_cndmask_b32_e64 v19, v19, 0, s[20:21]
	v_add_u32_e32 v20, v19, v20
	v_add_u32_e32 v21, v20, v21
	;; [unrolled: 1-line block ×3, first 2 shown]
	ds_write2_b32 v87, v19, v20 offset0:8 offset1:9
	ds_write2_b32 v93, v21, v18 offset0:2 offset1:3
	s_waitcnt lgkmcnt(0)
	s_barrier
	ds_read_b32 v18, v22
	ds_read_b32 v19, v25
	;; [unrolled: 1-line block ×8, first 2 shown]
	s_waitcnt lgkmcnt(7)
	v_add_u32_e32 v59, v18, v23
	s_waitcnt lgkmcnt(6)
	v_add3_u32 v109, v26, v24, v19
	s_waitcnt lgkmcnt(5)
	v_add3_u32 v110, v29, v27, v20
	;; [unrolled: 2-line block ×7, first 2 shown]
	s_cbranch_scc0 .LBB215_45
; %bb.69:
                                        ; implicit-def: $vgpr67
                                        ; implicit-def: $vgpr65
                                        ; implicit-def: $vgpr63
                                        ; implicit-def: $vgpr61
                                        ; implicit-def: $vgpr32_vgpr33
                                        ; implicit-def: $vgpr28_vgpr29
                                        ; implicit-def: $vgpr24_vgpr25
                                        ; implicit-def: $vgpr20_vgpr21
                                        ; implicit-def: $sgpr58
                                        ; implicit-def: $sgpr59
.LBB215_70:
	v_lshlrev_b32_e32 v18, 2, v59
	s_barrier
	ds_write_b32 v18, v107
	v_lshlrev_b32_e32 v18, 2, v109
	ds_write_b32 v18, v106
	v_lshlrev_b32_e32 v18, 2, v110
	;; [unrolled: 2-line block ×7, first 2 shown]
	v_lshlrev_b32_e32 v24, 2, v84
	ds_write_b32 v18, v100
	s_waitcnt lgkmcnt(0)
	s_barrier
	ds_read2_b32 v[18:19], v24 offset1:1
	ds_read2_b32 v[20:21], v24 offset0:2 offset1:3
	ds_read2_b32 v[22:23], v24 offset0:4 offset1:5
	;; [unrolled: 1-line block ×3, first 2 shown]
	v_bfrev_b32_e32 v66, 1
	v_lshlrev_b32_e32 v25, 3, v59
	v_lshlrev_b32_e32 v26, 3, v109
	s_waitcnt lgkmcnt(3)
	v_cmp_lt_i32_e32 vcc, -1, v19
	v_cndmask_b32_e64 v24, v66, -1, vcc
	v_cmp_lt_i32_e32 vcc, -1, v18
	v_cndmask_b32_e64 v58, v66, -1, vcc
	s_waitcnt lgkmcnt(2)
	v_cmp_lt_i32_e32 vcc, -1, v21
	v_xor_b32_e32 v58, v58, v18
	v_cndmask_b32_e64 v18, v66, -1, vcc
	v_cmp_lt_i32_e32 vcc, -1, v20
	v_xor_b32_e32 v59, v24, v19
	v_cndmask_b32_e64 v19, v66, -1, vcc
	s_waitcnt lgkmcnt(1)
	v_cmp_lt_i32_e32 vcc, -1, v23
	v_xor_b32_e32 v61, v18, v21
	v_cndmask_b32_e64 v18, v66, -1, vcc
	v_cmp_lt_i32_e32 vcc, -1, v22
	v_lshlrev_b32_e32 v27, 3, v110
	v_lshlrev_b32_e32 v28, 3, v111
	;; [unrolled: 1-line block ×7, first 2 shown]
	v_xor_b32_e32 v60, v19, v20
	v_cndmask_b32_e64 v19, v66, -1, vcc
	v_xor_b32_e32 v62, v19, v22
	v_xor_b32_e32 v63, v18, v23
	s_waitcnt lgkmcnt(0)
	s_barrier
	ds_write_b64 v25, v[56:57]
	ds_write_b64 v26, v[54:55]
	;; [unrolled: 1-line block ×8, first 2 shown]
	s_waitcnt lgkmcnt(0)
	s_barrier
	ds_read2_b64 v[18:21], v33 offset1:1
	ds_read2_b64 v[22:25], v33 offset0:2 offset1:3
	ds_read2_b64 v[26:29], v33 offset0:4 offset1:5
	;; [unrolled: 1-line block ×3, first 2 shown]
	v_cmp_lt_i32_e32 vcc, -1, v65
	v_cndmask_b32_e64 v1, v66, -1, vcc
	v_cmp_lt_i32_e32 vcc, -1, v64
	v_cndmask_b32_e64 v0, v66, -1, vcc
	v_xor_b32_e32 v0, v0, v64
	v_xor_b32_e32 v1, v1, v65
	s_branch .LBB215_106
.LBB215_71:
	v_mad_u64_u32 v[2:3], s[16:17], v34, s50, 0
	v_mov_b32_e32 v4, v3
	v_mad_u64_u32 v[4:5], s[16:17], v34, s51, v[4:5]
	v_mov_b32_e32 v3, v4
	v_lshlrev_b64 v[2:3], 3, v[2:3]
	v_mov_b32_e32 v4, s56
	v_add_co_u32_e32 v2, vcc, s55, v2
	v_addc_co_u32_e32 v3, vcc, v4, v3, vcc
	global_load_dwordx2 v[2:3], v[2:3], off
	v_mov_b32_e32 v4, 0
	v_mov_b32_e32 v5, v4
	;; [unrolled: 1-line block ×14, first 2 shown]
	s_or_b64 exec, exec, s[4:5]
	s_and_saveexec_b64 s[4:5], s[2:3]
	s_cbranch_execz .LBB215_36
.LBB215_72:
	v_mad_u64_u32 v[4:5], s[16:17], v24, s50, 0
	v_mov_b32_e32 v44, v5
	v_mad_u64_u32 v[44:45], s[16:17], v24, s51, v[44:45]
	v_mov_b32_e32 v5, v44
	v_lshlrev_b64 v[4:5], 3, v[4:5]
	v_mov_b32_e32 v24, s56
	v_add_co_u32_e32 v4, vcc, s55, v4
	v_addc_co_u32_e32 v5, vcc, v24, v5, vcc
	global_load_dwordx2 v[4:5], v[4:5], off
	s_or_b64 exec, exec, s[4:5]
	s_and_saveexec_b64 s[4:5], s[46:47]
	s_cbranch_execz .LBB215_37
.LBB215_73:
	v_mad_u64_u32 v[6:7], s[16:17], v23, s50, 0
	v_mov_b32_e32 v24, v7
	v_mad_u64_u32 v[44:45], s[16:17], v23, s51, v[24:25]
	v_mov_b32_e32 v7, v44
	v_lshlrev_b64 v[6:7], 3, v[6:7]
	v_mov_b32_e32 v23, s56
	v_add_co_u32_e32 v6, vcc, s55, v6
	v_addc_co_u32_e32 v7, vcc, v23, v7, vcc
	global_load_dwordx2 v[6:7], v[6:7], off
	s_or_b64 exec, exec, s[4:5]
	s_and_saveexec_b64 s[4:5], s[6:7]
	s_cbranch_execz .LBB215_38
.LBB215_74:
	v_mad_u64_u32 v[8:9], s[16:17], v22, s50, 0
	v_mov_b32_e32 v24, v9
	v_mad_u64_u32 v[22:23], s[16:17], v22, s51, v[24:25]
	v_mov_b32_e32 v9, v22
	v_lshlrev_b64 v[8:9], 3, v[8:9]
	v_mov_b32_e32 v22, s56
	v_add_co_u32_e32 v8, vcc, s55, v8
	v_addc_co_u32_e32 v9, vcc, v22, v9, vcc
	global_load_dwordx2 v[8:9], v[8:9], off
	s_or_b64 exec, exec, s[4:5]
	s_and_saveexec_b64 s[4:5], s[8:9]
	s_cbranch_execz .LBB215_39
.LBB215_75:
	v_mad_u64_u32 v[10:11], s[16:17], v21, s50, 0
	v_mov_b32_e32 v22, v11
	v_mad_u64_u32 v[22:23], s[16:17], v21, s51, v[22:23]
	v_mov_b32_e32 v11, v22
	v_lshlrev_b64 v[10:11], 3, v[10:11]
	v_mov_b32_e32 v21, s56
	v_add_co_u32_e32 v10, vcc, s55, v10
	v_addc_co_u32_e32 v11, vcc, v21, v11, vcc
	global_load_dwordx2 v[10:11], v[10:11], off
	s_or_b64 exec, exec, s[4:5]
	s_and_saveexec_b64 s[4:5], s[10:11]
	s_cbranch_execz .LBB215_40
.LBB215_76:
	v_mad_u64_u32 v[12:13], s[16:17], v19, s50, 0
	v_mov_b32_e32 v22, v13
	v_mad_u64_u32 v[22:23], s[16:17], v19, s51, v[22:23]
	v_mov_b32_e32 v13, v22
	v_lshlrev_b64 v[12:13], 3, v[12:13]
	v_mov_b32_e32 v19, s56
	v_add_co_u32_e32 v12, vcc, s55, v12
	v_addc_co_u32_e32 v13, vcc, v19, v13, vcc
	global_load_dwordx2 v[12:13], v[12:13], off
	s_or_b64 exec, exec, s[4:5]
	s_and_saveexec_b64 s[4:5], s[12:13]
	s_cbranch_execz .LBB215_41
.LBB215_77:
	v_mad_u64_u32 v[14:15], s[16:17], v20, s50, 0
	v_mov_b32_e32 v22, v15
	v_mad_u64_u32 v[20:21], s[16:17], v20, s51, v[22:23]
	v_mov_b32_e32 v15, v20
	v_lshlrev_b64 v[14:15], 3, v[14:15]
	v_mov_b32_e32 v19, s56
	v_add_co_u32_e32 v14, vcc, s55, v14
	v_addc_co_u32_e32 v15, vcc, v19, v15, vcc
	global_load_dwordx2 v[14:15], v[14:15], off
	s_or_b64 exec, exec, s[4:5]
	s_xor_b64 s[4:5], s[34:35], -1
	s_and_saveexec_b64 s[16:17], s[14:15]
	s_cbranch_execnz .LBB215_42
	s_branch .LBB215_43
.LBB215_78:
                                        ; implicit-def: $vgpr1
                                        ; implicit-def: $vgpr0
                                        ; implicit-def: $vgpr63
                                        ; implicit-def: $vgpr62
                                        ; implicit-def: $vgpr61
                                        ; implicit-def: $vgpr60
                                        ; implicit-def: $vgpr59
                                        ; implicit-def: $vgpr58
                                        ; implicit-def: $vgpr32_vgpr33
                                        ; implicit-def: $vgpr28_vgpr29
                                        ; implicit-def: $vgpr24_vgpr25
                                        ; implicit-def: $vgpr20_vgpr21
	s_cbranch_execz .LBB215_106
; %bb.79:
	v_bfrev_b32_e32 v44, -2
	v_cmp_gt_i32_e32 vcc, 0, v42
	s_waitcnt lgkmcnt(3)
	v_mbcnt_hi_u32_b32 v18, -1, v91
	v_and_b32_e32 v19, 0x3c0, v34
	v_cndmask_b32_e64 v20, v44, 0, vcc
	v_cmp_gt_i32_e32 vcc, 0, v43
	v_add_u32_e32 v0, v18, v19
	v_cndmask_b32_e64 v21, v44, 0, vcc
	v_lshlrev_b32_e32 v1, 5, v0
	v_xor_b32_e32 v21, v21, v43
	v_xor_b32_e32 v20, v20, v42
	v_cmp_gt_i32_e32 vcc, 0, v40
	ds_write2_b32 v1, v20, v21 offset1:1
	v_cndmask_b32_e64 v20, v44, 0, vcc
	v_cmp_gt_i32_e32 vcc, 0, v41
	v_cndmask_b32_e64 v21, v44, 0, vcc
	v_xor_b32_e32 v21, v21, v41
	v_xor_b32_e32 v20, v20, v40
	v_cmp_gt_i32_e32 vcc, 0, v38
	ds_write2_b32 v1, v20, v21 offset0:2 offset1:3
	v_cndmask_b32_e64 v20, v44, 0, vcc
	v_cmp_gt_i32_e32 vcc, 0, v39
	v_cndmask_b32_e64 v21, v44, 0, vcc
	v_xor_b32_e32 v21, v21, v39
	v_xor_b32_e32 v20, v20, v38
	v_cmp_gt_i32_e32 vcc, 0, v36
	ds_write2_b32 v1, v20, v21 offset0:4 offset1:5
	v_cndmask_b32_e64 v20, v44, 0, vcc
	v_cmp_gt_i32_e32 vcc, 0, v37
	v_cndmask_b32_e64 v21, v44, 0, vcc
	v_xor_b32_e32 v21, v21, v37
	v_xor_b32_e32 v20, v20, v36
	ds_write2_b32 v1, v20, v21 offset0:6 offset1:7
	v_and_b32_e32 v20, 0x1e00, v84
	v_or_b32_e32 v1, v18, v20
	v_lshlrev_b32_e32 v21, 2, v1
	v_lshlrev_b32_e32 v0, 6, v0
	; wave barrier
	ds_read2st64_b32 v[36:37], v21 offset1:1
	ds_read2st64_b32 v[38:39], v21 offset0:2 offset1:3
	ds_read2st64_b32 v[40:41], v21 offset0:4 offset1:5
	;; [unrolled: 1-line block ×3, first 2 shown]
	s_waitcnt lgkmcnt(0)
	s_barrier
	ds_write2_b64 v0, v[14:15], v[16:17] offset1:1
	ds_write2_b64 v0, v[10:11], v[12:13] offset0:2 offset1:3
	ds_write2_b64 v0, v[6:7], v[8:9] offset0:4 offset1:5
	;; [unrolled: 1-line block ×3, first 2 shown]
	v_lshlrev_b32_e32 v12, 3, v1
	; wave barrier
	ds_read2st64_b64 v[0:3], v12 offset1:1
	ds_read2st64_b64 v[4:7], v12 offset0:2 offset1:3
	ds_read2st64_b64 v[8:11], v12 offset0:4 offset1:5
	;; [unrolled: 1-line block ×3, first 2 shown]
	s_waitcnt lgkmcnt(0)
	s_barrier
	s_load_dword s16, s[52:53], 0xc
	s_getpc_b64 s[4:5]
	s_add_u32 s4, s4, _ZN7rocprim17ROCPRIM_400000_NS16block_radix_sortIfLj512ELj8ElLj1ELj1ELj0ELNS0_26block_radix_rank_algorithmE1ELNS0_18block_padding_hintE2ELNS0_4arch9wavefront6targetE1EE19radix_bits_per_passE@rel32@lo+4
	s_addc_u32 s5, s5, _ZN7rocprim17ROCPRIM_400000_NS16block_radix_sortIfLj512ELj8ElLj1ELj1ELj0ELNS0_26block_radix_rank_algorithmE1ELNS0_18block_padding_hintE2ELNS0_4arch9wavefront6targetE1EE19radix_bits_per_passE@rel32@hi+12
	s_load_dword s52, s[4:5], 0x0
	v_and_b32_e32 v48, 60, v88
	s_mov_b32 s53, 0
	s_waitcnt lgkmcnt(0)
	s_lshr_b32 s4, s16, 16
	s_and_b32 s5, s16, 0xffff
	v_mad_u32_u24 v16, v90, s4, v89
	v_mad_u64_u32 v[16:17], s[4:5], v16, s5, v[34:35]
	v_lshrrev_b32_e32 v46, 6, v16
	v_and_b32_e32 v16, 15, v18
	v_cmp_eq_u32_e64 s[16:17], 0, v16
	v_cmp_lt_u32_e64 s[18:19], 1, v16
	v_cmp_lt_u32_e64 s[20:21], 3, v16
	;; [unrolled: 1-line block ×3, first 2 shown]
	v_and_b32_e32 v16, 16, v18
	v_cmp_eq_u32_e64 s[24:25], 0, v16
	v_min_u32_e32 v16, 0x1c0, v19
	v_or_b32_e32 v16, 63, v16
	v_cmp_eq_u32_e64 s[28:29], v16, v34
	v_add_u32_e32 v16, -1, v18
	v_and_b32_e32 v17, 64, v18
	v_cmp_lt_i32_e32 vcc, v16, v17
	v_cndmask_b32_e32 v16, v16, v18, vcc
	v_lshlrev_b32_e32 v47, 2, v16
	v_and_b32_e32 v16, 7, v18
	v_cmp_eq_u32_e64 s[40:41], 0, v16
	v_cmp_lt_u32_e64 s[42:43], 1, v16
	v_cmp_lt_u32_e64 s[44:45], 3, v16
	v_and_or_b32 v16, v18, 63, v20
	s_mov_b32 s57, 32
	v_add_u32_e32 v45, 32, v87
	v_cmp_lt_u32_e64 s[26:27], 31, v18
	v_cmp_gt_u32_e64 s[30:31], 8, v34
	v_cmp_lt_u32_e64 s[34:35], 63, v34
	v_cmp_eq_u32_e64 s[36:37], 0, v18
	v_cmp_eq_u32_e64 s[38:39], 0, v34
	v_add_u32_e32 v49, -4, v48
	v_lshlrev_b32_e32 v50, 2, v16
	v_lshlrev_b32_e32 v51, 3, v16
	v_mov_b32_e32 v32, 0
	s_brev_b32 s58, 1
	s_branch .LBB215_81
.LBB215_80:                             ;   in Loop: Header=BB215_81 Depth=1
	v_lshlrev_b32_e32 v0, 2, v33
	s_barrier
	ds_write_b32 v0, v59
	v_lshlrev_b32_e32 v0, 2, v61
	ds_write_b32 v0, v58
	v_lshlrev_b32_e32 v0, 2, v62
	;; [unrolled: 2-line block ×8, first 2 shown]
	s_waitcnt lgkmcnt(0)
	s_barrier
	ds_read2st64_b32 v[36:37], v50 offset1:1
	ds_read2st64_b32 v[38:39], v50 offset0:2 offset1:3
	ds_read2st64_b32 v[40:41], v50 offset0:4 offset1:5
	;; [unrolled: 1-line block ×3, first 2 shown]
	s_waitcnt lgkmcnt(0)
	s_barrier
	ds_write_b64 v0, v[30:31]
	v_lshlrev_b32_e32 v0, 3, v61
	ds_write_b64 v0, v[28:29]
	v_lshlrev_b32_e32 v0, 3, v62
	;; [unrolled: 2-line block ×7, first 2 shown]
	ds_write_b64 v0, v[16:17]
	s_waitcnt lgkmcnt(0)
	s_barrier
	ds_read2st64_b64 v[0:3], v51 offset1:1
	ds_read2st64_b64 v[4:7], v51 offset0:2 offset1:3
	ds_read2st64_b64 v[8:11], v51 offset0:4 offset1:5
	;; [unrolled: 1-line block ×3, first 2 shown]
	s_add_i32 s53, s53, 8
	s_add_i32 s57, s57, -8
	s_waitcnt lgkmcnt(0)
	s_barrier
	s_cbranch_execz .LBB215_105
.LBB215_81:                             ; =>This Inner Loop Header: Depth=1
	v_mov_b32_e32 v59, v36
	s_min_u32 s4, s52, s57
	v_cmp_ne_u32_e32 vcc, s58, v59
	v_pk_mov_b32 v[30:31], v[0:1], v[0:1] op_sel:[0,1]
	s_lshl_b32 s4, -1, s4
	v_cndmask_b32_e32 v0, v44, v59, vcc
	s_not_b32 s59, s4
	v_lshrrev_b32_e32 v0, s53, v0
	v_and_b32_e32 v0, s59, v0
	v_lshl_add_u32 v1, v0, 3, v46
	v_pk_mov_b32 v[26:27], v[4:5], v[4:5] op_sel:[0,1]
	v_lshl_add_u32 v4, v1, 2, 32
	v_and_b32_e32 v1, 1, v0
	v_pk_mov_b32 v[28:29], v[2:3], v[2:3] op_sel:[0,1]
	v_add_co_u32_e32 v2, vcc, -1, v1
	v_addc_co_u32_e64 v3, s[4:5], 0, -1, vcc
	v_cmp_ne_u32_e32 vcc, 0, v1
	v_lshlrev_b32_e32 v33, 30, v0
	v_xor_b32_e32 v1, vcc_hi, v3
	v_not_b32_e32 v3, v33
	v_xor_b32_e32 v2, vcc_lo, v2
	v_cmp_gt_i64_e32 vcc, 0, v[32:33]
	v_ashrrev_i32_e32 v3, 31, v3
	v_and_b32_e32 v2, exec_lo, v2
	v_xor_b32_e32 v5, vcc_hi, v3
	v_xor_b32_e32 v3, vcc_lo, v3
	v_lshlrev_b32_e32 v33, 29, v0
	v_and_b32_e32 v2, v2, v3
	v_not_b32_e32 v3, v33
	v_and_b32_e32 v1, exec_hi, v1
	v_cmp_gt_i64_e32 vcc, 0, v[32:33]
	v_ashrrev_i32_e32 v3, 31, v3
	v_and_b32_e32 v1, v1, v5
	v_xor_b32_e32 v5, vcc_hi, v3
	v_xor_b32_e32 v3, vcc_lo, v3
	v_lshlrev_b32_e32 v33, 28, v0
	v_and_b32_e32 v2, v2, v3
	v_not_b32_e32 v3, v33
	v_cmp_gt_i64_e32 vcc, 0, v[32:33]
	v_ashrrev_i32_e32 v3, 31, v3
	v_and_b32_e32 v1, v1, v5
	v_xor_b32_e32 v5, vcc_hi, v3
	v_xor_b32_e32 v3, vcc_lo, v3
	v_lshlrev_b32_e32 v33, 27, v0
	v_and_b32_e32 v2, v2, v3
	v_not_b32_e32 v3, v33
	;; [unrolled: 8-line block ×3, first 2 shown]
	v_cmp_gt_i64_e32 vcc, 0, v[32:33]
	v_ashrrev_i32_e32 v3, 31, v3
	v_and_b32_e32 v1, v1, v5
	v_xor_b32_e32 v5, vcc_hi, v3
	v_xor_b32_e32 v3, vcc_lo, v3
	v_lshlrev_b32_e32 v33, 25, v0
	v_and_b32_e32 v2, v2, v3
	v_cmp_gt_i64_e32 vcc, 0, v[32:33]
	v_not_b32_e32 v3, v33
	v_lshlrev_b32_e32 v33, 24, v0
	v_ashrrev_i32_e32 v3, 31, v3
	v_not_b32_e32 v0, v33
	v_and_b32_e32 v1, v1, v5
	v_xor_b32_e32 v5, vcc_hi, v3
	v_xor_b32_e32 v3, vcc_lo, v3
	v_cmp_gt_i64_e32 vcc, 0, v[32:33]
	v_ashrrev_i32_e32 v0, 31, v0
	v_and_b32_e32 v2, v2, v3
	v_xor_b32_e32 v3, vcc_hi, v0
	v_xor_b32_e32 v0, vcc_lo, v0
	v_and_b32_e32 v1, v1, v5
	v_and_b32_e32 v0, v2, v0
	;; [unrolled: 1-line block ×3, first 2 shown]
	v_mbcnt_lo_u32_b32 v2, v0, 0
	v_mbcnt_hi_u32_b32 v5, v1, v2
	v_cmp_eq_u32_e32 vcc, 0, v5
	v_cmp_ne_u64_e64 s[4:5], 0, v[0:1]
	v_mov_b32_e32 v52, v43
	v_mov_b32_e32 v53, v42
	v_mov_b32_e32 v54, v41
	v_mov_b32_e32 v55, v40
	v_mov_b32_e32 v56, v39
	v_mov_b32_e32 v57, v38
	v_mov_b32_e32 v58, v37
	v_pk_mov_b32 v[16:17], v[14:15], v[14:15] op_sel:[0,1]
	v_pk_mov_b32 v[18:19], v[12:13], v[12:13] op_sel:[0,1]
	;; [unrolled: 1-line block ×5, first 2 shown]
	s_and_b64 s[60:61], s[4:5], vcc
	ds_write2_b32 v87, v32, v32 offset0:8 offset1:9
	ds_write2_b32 v45, v32, v32 offset0:2 offset1:3
	s_waitcnt lgkmcnt(0)
	s_barrier
	s_waitcnt lgkmcnt(0)
	; wave barrier
	s_and_saveexec_b64 s[4:5], s[60:61]
	s_cbranch_execz .LBB215_83
; %bb.82:                               ;   in Loop: Header=BB215_81 Depth=1
	v_bcnt_u32_b32 v0, v0, 0
	v_bcnt_u32_b32 v0, v1, v0
	ds_write_b32 v4, v0
.LBB215_83:                             ;   in Loop: Header=BB215_81 Depth=1
	s_or_b64 exec, exec, s[4:5]
	v_cmp_ne_u32_e32 vcc, s58, v58
	v_cndmask_b32_e32 v0, v44, v58, vcc
	v_lshrrev_b32_e32 v0, s53, v0
	v_and_b32_e32 v0, s59, v0
	v_lshlrev_b32_e32 v1, 3, v0
	v_add_lshl_u32 v1, v1, v46, 2
	; wave barrier
	v_add_u32_e32 v7, 32, v1
	ds_read_b32 v6, v1 offset:32
	v_and_b32_e32 v1, 1, v0
	v_add_co_u32_e32 v2, vcc, -1, v1
	v_addc_co_u32_e64 v3, s[4:5], 0, -1, vcc
	v_cmp_ne_u32_e32 vcc, 0, v1
	v_lshlrev_b32_e32 v33, 30, v0
	v_xor_b32_e32 v1, vcc_hi, v3
	v_not_b32_e32 v3, v33
	v_xor_b32_e32 v2, vcc_lo, v2
	v_cmp_gt_i64_e32 vcc, 0, v[32:33]
	v_ashrrev_i32_e32 v3, 31, v3
	v_and_b32_e32 v2, exec_lo, v2
	v_xor_b32_e32 v8, vcc_hi, v3
	v_xor_b32_e32 v3, vcc_lo, v3
	v_lshlrev_b32_e32 v33, 29, v0
	v_and_b32_e32 v2, v2, v3
	v_not_b32_e32 v3, v33
	v_and_b32_e32 v1, exec_hi, v1
	v_cmp_gt_i64_e32 vcc, 0, v[32:33]
	v_ashrrev_i32_e32 v3, 31, v3
	v_and_b32_e32 v1, v1, v8
	v_xor_b32_e32 v8, vcc_hi, v3
	v_xor_b32_e32 v3, vcc_lo, v3
	v_lshlrev_b32_e32 v33, 28, v0
	v_and_b32_e32 v2, v2, v3
	v_not_b32_e32 v3, v33
	v_cmp_gt_i64_e32 vcc, 0, v[32:33]
	v_ashrrev_i32_e32 v3, 31, v3
	v_and_b32_e32 v1, v1, v8
	v_xor_b32_e32 v8, vcc_hi, v3
	v_xor_b32_e32 v3, vcc_lo, v3
	v_lshlrev_b32_e32 v33, 27, v0
	v_and_b32_e32 v2, v2, v3
	v_not_b32_e32 v3, v33
	;; [unrolled: 8-line block ×3, first 2 shown]
	v_cmp_gt_i64_e32 vcc, 0, v[32:33]
	v_ashrrev_i32_e32 v3, 31, v3
	v_and_b32_e32 v1, v1, v8
	v_xor_b32_e32 v8, vcc_hi, v3
	v_xor_b32_e32 v3, vcc_lo, v3
	v_lshlrev_b32_e32 v33, 25, v0
	v_and_b32_e32 v2, v2, v3
	v_cmp_gt_i64_e32 vcc, 0, v[32:33]
	v_not_b32_e32 v3, v33
	v_lshlrev_b32_e32 v33, 24, v0
	v_ashrrev_i32_e32 v3, 31, v3
	v_not_b32_e32 v0, v33
	v_and_b32_e32 v1, v1, v8
	v_xor_b32_e32 v8, vcc_hi, v3
	v_xor_b32_e32 v3, vcc_lo, v3
	v_cmp_gt_i64_e32 vcc, 0, v[32:33]
	v_ashrrev_i32_e32 v0, 31, v0
	v_and_b32_e32 v2, v2, v3
	v_xor_b32_e32 v3, vcc_hi, v0
	v_xor_b32_e32 v0, vcc_lo, v0
	v_and_b32_e32 v1, v1, v8
	v_and_b32_e32 v0, v2, v0
	;; [unrolled: 1-line block ×3, first 2 shown]
	v_mbcnt_lo_u32_b32 v2, v0, 0
	v_mbcnt_hi_u32_b32 v8, v1, v2
	v_cmp_eq_u32_e32 vcc, 0, v8
	v_cmp_ne_u64_e64 s[4:5], 0, v[0:1]
	s_and_b64 s[60:61], s[4:5], vcc
	; wave barrier
	s_and_saveexec_b64 s[4:5], s[60:61]
	s_cbranch_execz .LBB215_85
; %bb.84:                               ;   in Loop: Header=BB215_81 Depth=1
	v_bcnt_u32_b32 v0, v0, 0
	v_bcnt_u32_b32 v0, v1, v0
	s_waitcnt lgkmcnt(0)
	v_add_u32_e32 v0, v6, v0
	ds_write_b32 v7, v0
.LBB215_85:                             ;   in Loop: Header=BB215_81 Depth=1
	s_or_b64 exec, exec, s[4:5]
	v_cmp_ne_u32_e32 vcc, s58, v57
	v_cndmask_b32_e32 v0, v44, v57, vcc
	v_lshrrev_b32_e32 v0, s53, v0
	v_and_b32_e32 v0, s59, v0
	v_lshlrev_b32_e32 v1, 3, v0
	v_add_lshl_u32 v1, v1, v46, 2
	; wave barrier
	v_add_u32_e32 v10, 32, v1
	ds_read_b32 v9, v1 offset:32
	v_and_b32_e32 v1, 1, v0
	v_add_co_u32_e32 v2, vcc, -1, v1
	v_addc_co_u32_e64 v3, s[4:5], 0, -1, vcc
	v_cmp_ne_u32_e32 vcc, 0, v1
	v_lshlrev_b32_e32 v33, 30, v0
	v_xor_b32_e32 v1, vcc_hi, v3
	v_not_b32_e32 v3, v33
	v_xor_b32_e32 v2, vcc_lo, v2
	v_cmp_gt_i64_e32 vcc, 0, v[32:33]
	v_ashrrev_i32_e32 v3, 31, v3
	v_and_b32_e32 v2, exec_lo, v2
	v_xor_b32_e32 v11, vcc_hi, v3
	v_xor_b32_e32 v3, vcc_lo, v3
	v_lshlrev_b32_e32 v33, 29, v0
	v_and_b32_e32 v2, v2, v3
	v_not_b32_e32 v3, v33
	v_and_b32_e32 v1, exec_hi, v1
	v_cmp_gt_i64_e32 vcc, 0, v[32:33]
	v_ashrrev_i32_e32 v3, 31, v3
	v_and_b32_e32 v1, v1, v11
	v_xor_b32_e32 v11, vcc_hi, v3
	v_xor_b32_e32 v3, vcc_lo, v3
	v_lshlrev_b32_e32 v33, 28, v0
	v_and_b32_e32 v2, v2, v3
	v_not_b32_e32 v3, v33
	v_cmp_gt_i64_e32 vcc, 0, v[32:33]
	v_ashrrev_i32_e32 v3, 31, v3
	v_and_b32_e32 v1, v1, v11
	v_xor_b32_e32 v11, vcc_hi, v3
	v_xor_b32_e32 v3, vcc_lo, v3
	v_lshlrev_b32_e32 v33, 27, v0
	v_and_b32_e32 v2, v2, v3
	v_not_b32_e32 v3, v33
	;; [unrolled: 8-line block ×3, first 2 shown]
	v_cmp_gt_i64_e32 vcc, 0, v[32:33]
	v_ashrrev_i32_e32 v3, 31, v3
	v_and_b32_e32 v1, v1, v11
	v_xor_b32_e32 v11, vcc_hi, v3
	v_xor_b32_e32 v3, vcc_lo, v3
	v_lshlrev_b32_e32 v33, 25, v0
	v_and_b32_e32 v2, v2, v3
	v_cmp_gt_i64_e32 vcc, 0, v[32:33]
	v_not_b32_e32 v3, v33
	v_lshlrev_b32_e32 v33, 24, v0
	v_ashrrev_i32_e32 v3, 31, v3
	v_not_b32_e32 v0, v33
	v_and_b32_e32 v1, v1, v11
	v_xor_b32_e32 v11, vcc_hi, v3
	v_xor_b32_e32 v3, vcc_lo, v3
	v_cmp_gt_i64_e32 vcc, 0, v[32:33]
	v_ashrrev_i32_e32 v0, 31, v0
	v_and_b32_e32 v2, v2, v3
	v_xor_b32_e32 v3, vcc_hi, v0
	v_xor_b32_e32 v0, vcc_lo, v0
	v_and_b32_e32 v1, v1, v11
	v_and_b32_e32 v0, v2, v0
	;; [unrolled: 1-line block ×3, first 2 shown]
	v_mbcnt_lo_u32_b32 v2, v0, 0
	v_mbcnt_hi_u32_b32 v11, v1, v2
	v_cmp_eq_u32_e32 vcc, 0, v11
	v_cmp_ne_u64_e64 s[4:5], 0, v[0:1]
	s_and_b64 s[60:61], s[4:5], vcc
	; wave barrier
	s_and_saveexec_b64 s[4:5], s[60:61]
	s_cbranch_execz .LBB215_87
; %bb.86:                               ;   in Loop: Header=BB215_81 Depth=1
	v_bcnt_u32_b32 v0, v0, 0
	v_bcnt_u32_b32 v0, v1, v0
	s_waitcnt lgkmcnt(0)
	v_add_u32_e32 v0, v9, v0
	ds_write_b32 v10, v0
.LBB215_87:                             ;   in Loop: Header=BB215_81 Depth=1
	s_or_b64 exec, exec, s[4:5]
	v_cmp_ne_u32_e32 vcc, s58, v56
	v_cndmask_b32_e32 v0, v44, v56, vcc
	v_lshrrev_b32_e32 v0, s53, v0
	v_and_b32_e32 v0, s59, v0
	v_lshlrev_b32_e32 v1, 3, v0
	v_add_lshl_u32 v1, v1, v46, 2
	; wave barrier
	v_add_u32_e32 v13, 32, v1
	ds_read_b32 v12, v1 offset:32
	v_and_b32_e32 v1, 1, v0
	v_add_co_u32_e32 v2, vcc, -1, v1
	v_addc_co_u32_e64 v3, s[4:5], 0, -1, vcc
	v_cmp_ne_u32_e32 vcc, 0, v1
	v_lshlrev_b32_e32 v33, 30, v0
	v_xor_b32_e32 v1, vcc_hi, v3
	v_not_b32_e32 v3, v33
	v_xor_b32_e32 v2, vcc_lo, v2
	v_cmp_gt_i64_e32 vcc, 0, v[32:33]
	v_ashrrev_i32_e32 v3, 31, v3
	v_and_b32_e32 v2, exec_lo, v2
	v_xor_b32_e32 v14, vcc_hi, v3
	v_xor_b32_e32 v3, vcc_lo, v3
	v_lshlrev_b32_e32 v33, 29, v0
	v_and_b32_e32 v2, v2, v3
	v_not_b32_e32 v3, v33
	v_and_b32_e32 v1, exec_hi, v1
	v_cmp_gt_i64_e32 vcc, 0, v[32:33]
	v_ashrrev_i32_e32 v3, 31, v3
	v_and_b32_e32 v1, v1, v14
	v_xor_b32_e32 v14, vcc_hi, v3
	v_xor_b32_e32 v3, vcc_lo, v3
	v_lshlrev_b32_e32 v33, 28, v0
	v_and_b32_e32 v2, v2, v3
	v_not_b32_e32 v3, v33
	v_cmp_gt_i64_e32 vcc, 0, v[32:33]
	v_ashrrev_i32_e32 v3, 31, v3
	v_and_b32_e32 v1, v1, v14
	v_xor_b32_e32 v14, vcc_hi, v3
	v_xor_b32_e32 v3, vcc_lo, v3
	v_lshlrev_b32_e32 v33, 27, v0
	v_and_b32_e32 v2, v2, v3
	v_not_b32_e32 v3, v33
	;; [unrolled: 8-line block ×3, first 2 shown]
	v_cmp_gt_i64_e32 vcc, 0, v[32:33]
	v_ashrrev_i32_e32 v3, 31, v3
	v_and_b32_e32 v1, v1, v14
	v_xor_b32_e32 v14, vcc_hi, v3
	v_xor_b32_e32 v3, vcc_lo, v3
	v_lshlrev_b32_e32 v33, 25, v0
	v_and_b32_e32 v2, v2, v3
	v_cmp_gt_i64_e32 vcc, 0, v[32:33]
	v_not_b32_e32 v3, v33
	v_lshlrev_b32_e32 v33, 24, v0
	v_ashrrev_i32_e32 v3, 31, v3
	v_not_b32_e32 v0, v33
	v_and_b32_e32 v1, v1, v14
	v_xor_b32_e32 v14, vcc_hi, v3
	v_xor_b32_e32 v3, vcc_lo, v3
	v_cmp_gt_i64_e32 vcc, 0, v[32:33]
	v_ashrrev_i32_e32 v0, 31, v0
	v_and_b32_e32 v2, v2, v3
	v_xor_b32_e32 v3, vcc_hi, v0
	v_xor_b32_e32 v0, vcc_lo, v0
	v_and_b32_e32 v1, v1, v14
	v_and_b32_e32 v0, v2, v0
	v_and_b32_e32 v1, v1, v3
	v_mbcnt_lo_u32_b32 v2, v0, 0
	v_mbcnt_hi_u32_b32 v14, v1, v2
	v_cmp_eq_u32_e32 vcc, 0, v14
	v_cmp_ne_u64_e64 s[4:5], 0, v[0:1]
	s_and_b64 s[60:61], s[4:5], vcc
	; wave barrier
	s_and_saveexec_b64 s[4:5], s[60:61]
	s_cbranch_execz .LBB215_89
; %bb.88:                               ;   in Loop: Header=BB215_81 Depth=1
	v_bcnt_u32_b32 v0, v0, 0
	v_bcnt_u32_b32 v0, v1, v0
	s_waitcnt lgkmcnt(0)
	v_add_u32_e32 v0, v12, v0
	ds_write_b32 v13, v0
.LBB215_89:                             ;   in Loop: Header=BB215_81 Depth=1
	s_or_b64 exec, exec, s[4:5]
	v_cmp_ne_u32_e32 vcc, s58, v55
	v_cndmask_b32_e32 v0, v44, v55, vcc
	v_lshrrev_b32_e32 v0, s53, v0
	v_and_b32_e32 v0, s59, v0
	v_lshlrev_b32_e32 v1, 3, v0
	v_add_lshl_u32 v1, v1, v46, 2
	; wave barrier
	v_add_u32_e32 v36, 32, v1
	ds_read_b32 v15, v1 offset:32
	v_and_b32_e32 v1, 1, v0
	v_add_co_u32_e32 v2, vcc, -1, v1
	v_addc_co_u32_e64 v3, s[4:5], 0, -1, vcc
	v_cmp_ne_u32_e32 vcc, 0, v1
	v_lshlrev_b32_e32 v33, 30, v0
	v_xor_b32_e32 v1, vcc_hi, v3
	v_not_b32_e32 v3, v33
	v_xor_b32_e32 v2, vcc_lo, v2
	v_cmp_gt_i64_e32 vcc, 0, v[32:33]
	v_ashrrev_i32_e32 v3, 31, v3
	v_and_b32_e32 v1, exec_hi, v1
	v_xor_b32_e32 v33, vcc_hi, v3
	v_and_b32_e32 v2, exec_lo, v2
	v_xor_b32_e32 v3, vcc_lo, v3
	v_and_b32_e32 v1, v1, v33
	v_lshlrev_b32_e32 v33, 29, v0
	v_and_b32_e32 v2, v2, v3
	v_not_b32_e32 v3, v33
	v_cmp_gt_i64_e32 vcc, 0, v[32:33]
	v_ashrrev_i32_e32 v3, 31, v3
	v_xor_b32_e32 v33, vcc_hi, v3
	v_xor_b32_e32 v3, vcc_lo, v3
	v_and_b32_e32 v1, v1, v33
	v_lshlrev_b32_e32 v33, 28, v0
	v_and_b32_e32 v2, v2, v3
	v_not_b32_e32 v3, v33
	v_cmp_gt_i64_e32 vcc, 0, v[32:33]
	v_ashrrev_i32_e32 v3, 31, v3
	v_xor_b32_e32 v33, vcc_hi, v3
	;; [unrolled: 8-line block ×5, first 2 shown]
	v_and_b32_e32 v1, v1, v33
	v_lshlrev_b32_e32 v33, 24, v0
	v_not_b32_e32 v0, v33
	v_xor_b32_e32 v3, vcc_lo, v3
	v_cmp_gt_i64_e32 vcc, 0, v[32:33]
	v_ashrrev_i32_e32 v0, 31, v0
	v_and_b32_e32 v2, v2, v3
	v_xor_b32_e32 v3, vcc_hi, v0
	v_xor_b32_e32 v0, vcc_lo, v0
	v_and_b32_e32 v0, v2, v0
	v_and_b32_e32 v1, v1, v3
	v_mbcnt_lo_u32_b32 v2, v0, 0
	v_mbcnt_hi_u32_b32 v37, v1, v2
	v_cmp_eq_u32_e32 vcc, 0, v37
	v_cmp_ne_u64_e64 s[4:5], 0, v[0:1]
	s_and_b64 s[60:61], s[4:5], vcc
	; wave barrier
	s_and_saveexec_b64 s[4:5], s[60:61]
	s_cbranch_execz .LBB215_91
; %bb.90:                               ;   in Loop: Header=BB215_81 Depth=1
	v_bcnt_u32_b32 v0, v0, 0
	v_bcnt_u32_b32 v0, v1, v0
	s_waitcnt lgkmcnt(0)
	v_add_u32_e32 v0, v15, v0
	ds_write_b32 v36, v0
.LBB215_91:                             ;   in Loop: Header=BB215_81 Depth=1
	s_or_b64 exec, exec, s[4:5]
	v_cmp_ne_u32_e32 vcc, s58, v54
	v_cndmask_b32_e32 v0, v44, v54, vcc
	v_lshrrev_b32_e32 v0, s53, v0
	v_and_b32_e32 v0, s59, v0
	v_lshlrev_b32_e32 v1, 3, v0
	v_add_lshl_u32 v1, v1, v46, 2
	; wave barrier
	v_add_u32_e32 v39, 32, v1
	ds_read_b32 v38, v1 offset:32
	v_and_b32_e32 v1, 1, v0
	v_add_co_u32_e32 v2, vcc, -1, v1
	v_addc_co_u32_e64 v3, s[4:5], 0, -1, vcc
	v_cmp_ne_u32_e32 vcc, 0, v1
	v_lshlrev_b32_e32 v33, 30, v0
	v_xor_b32_e32 v1, vcc_hi, v3
	v_not_b32_e32 v3, v33
	v_xor_b32_e32 v2, vcc_lo, v2
	v_cmp_gt_i64_e32 vcc, 0, v[32:33]
	v_ashrrev_i32_e32 v3, 31, v3
	v_and_b32_e32 v1, exec_hi, v1
	v_xor_b32_e32 v33, vcc_hi, v3
	v_and_b32_e32 v2, exec_lo, v2
	v_xor_b32_e32 v3, vcc_lo, v3
	v_and_b32_e32 v1, v1, v33
	v_lshlrev_b32_e32 v33, 29, v0
	v_and_b32_e32 v2, v2, v3
	v_not_b32_e32 v3, v33
	v_cmp_gt_i64_e32 vcc, 0, v[32:33]
	v_ashrrev_i32_e32 v3, 31, v3
	v_xor_b32_e32 v33, vcc_hi, v3
	v_xor_b32_e32 v3, vcc_lo, v3
	v_and_b32_e32 v1, v1, v33
	v_lshlrev_b32_e32 v33, 28, v0
	v_and_b32_e32 v2, v2, v3
	v_not_b32_e32 v3, v33
	v_cmp_gt_i64_e32 vcc, 0, v[32:33]
	v_ashrrev_i32_e32 v3, 31, v3
	v_xor_b32_e32 v33, vcc_hi, v3
	;; [unrolled: 8-line block ×5, first 2 shown]
	v_and_b32_e32 v1, v1, v33
	v_lshlrev_b32_e32 v33, 24, v0
	v_not_b32_e32 v0, v33
	v_xor_b32_e32 v3, vcc_lo, v3
	v_cmp_gt_i64_e32 vcc, 0, v[32:33]
	v_ashrrev_i32_e32 v0, 31, v0
	v_and_b32_e32 v2, v2, v3
	v_xor_b32_e32 v3, vcc_hi, v0
	v_xor_b32_e32 v0, vcc_lo, v0
	v_and_b32_e32 v0, v2, v0
	v_and_b32_e32 v1, v1, v3
	v_mbcnt_lo_u32_b32 v2, v0, 0
	v_mbcnt_hi_u32_b32 v40, v1, v2
	v_cmp_eq_u32_e32 vcc, 0, v40
	v_cmp_ne_u64_e64 s[4:5], 0, v[0:1]
	s_and_b64 s[60:61], s[4:5], vcc
	; wave barrier
	s_and_saveexec_b64 s[4:5], s[60:61]
	s_cbranch_execz .LBB215_93
; %bb.92:                               ;   in Loop: Header=BB215_81 Depth=1
	v_bcnt_u32_b32 v0, v0, 0
	v_bcnt_u32_b32 v0, v1, v0
	s_waitcnt lgkmcnt(0)
	v_add_u32_e32 v0, v38, v0
	ds_write_b32 v39, v0
.LBB215_93:                             ;   in Loop: Header=BB215_81 Depth=1
	s_or_b64 exec, exec, s[4:5]
	v_cmp_ne_u32_e32 vcc, s58, v53
	v_cndmask_b32_e32 v0, v44, v53, vcc
	v_lshrrev_b32_e32 v0, s53, v0
	v_and_b32_e32 v0, s59, v0
	v_lshlrev_b32_e32 v1, 3, v0
	v_add_lshl_u32 v1, v1, v46, 2
	; wave barrier
	v_add_u32_e32 v42, 32, v1
	ds_read_b32 v41, v1 offset:32
	v_and_b32_e32 v1, 1, v0
	v_add_co_u32_e32 v2, vcc, -1, v1
	v_addc_co_u32_e64 v3, s[4:5], 0, -1, vcc
	v_cmp_ne_u32_e32 vcc, 0, v1
	v_lshlrev_b32_e32 v33, 30, v0
	v_xor_b32_e32 v1, vcc_hi, v3
	v_not_b32_e32 v3, v33
	v_xor_b32_e32 v2, vcc_lo, v2
	v_cmp_gt_i64_e32 vcc, 0, v[32:33]
	v_ashrrev_i32_e32 v3, 31, v3
	v_and_b32_e32 v1, exec_hi, v1
	v_xor_b32_e32 v33, vcc_hi, v3
	v_and_b32_e32 v2, exec_lo, v2
	v_xor_b32_e32 v3, vcc_lo, v3
	v_and_b32_e32 v1, v1, v33
	v_lshlrev_b32_e32 v33, 29, v0
	v_and_b32_e32 v2, v2, v3
	v_not_b32_e32 v3, v33
	v_cmp_gt_i64_e32 vcc, 0, v[32:33]
	v_ashrrev_i32_e32 v3, 31, v3
	v_xor_b32_e32 v33, vcc_hi, v3
	v_xor_b32_e32 v3, vcc_lo, v3
	v_and_b32_e32 v1, v1, v33
	v_lshlrev_b32_e32 v33, 28, v0
	v_and_b32_e32 v2, v2, v3
	v_not_b32_e32 v3, v33
	v_cmp_gt_i64_e32 vcc, 0, v[32:33]
	v_ashrrev_i32_e32 v3, 31, v3
	v_xor_b32_e32 v33, vcc_hi, v3
	;; [unrolled: 8-line block ×5, first 2 shown]
	v_and_b32_e32 v1, v1, v33
	v_lshlrev_b32_e32 v33, 24, v0
	v_not_b32_e32 v0, v33
	v_xor_b32_e32 v3, vcc_lo, v3
	v_cmp_gt_i64_e32 vcc, 0, v[32:33]
	v_ashrrev_i32_e32 v0, 31, v0
	v_and_b32_e32 v2, v2, v3
	v_xor_b32_e32 v3, vcc_hi, v0
	v_xor_b32_e32 v0, vcc_lo, v0
	v_and_b32_e32 v0, v2, v0
	v_and_b32_e32 v1, v1, v3
	v_mbcnt_lo_u32_b32 v2, v0, 0
	v_mbcnt_hi_u32_b32 v43, v1, v2
	v_cmp_eq_u32_e32 vcc, 0, v43
	v_cmp_ne_u64_e64 s[4:5], 0, v[0:1]
	s_and_b64 s[60:61], s[4:5], vcc
	; wave barrier
	s_and_saveexec_b64 s[4:5], s[60:61]
	s_cbranch_execz .LBB215_95
; %bb.94:                               ;   in Loop: Header=BB215_81 Depth=1
	v_bcnt_u32_b32 v0, v0, 0
	v_bcnt_u32_b32 v0, v1, v0
	s_waitcnt lgkmcnt(0)
	v_add_u32_e32 v0, v41, v0
	ds_write_b32 v42, v0
.LBB215_95:                             ;   in Loop: Header=BB215_81 Depth=1
	s_or_b64 exec, exec, s[4:5]
	v_cmp_ne_u32_e32 vcc, s58, v52
	v_cndmask_b32_e32 v0, v44, v52, vcc
	v_lshrrev_b32_e32 v0, s53, v0
	v_and_b32_e32 v0, s59, v0
	v_lshlrev_b32_e32 v1, 3, v0
	v_add_lshl_u32 v1, v1, v46, 2
	; wave barrier
	v_add_u32_e32 v61, 32, v1
	ds_read_b32 v60, v1 offset:32
	v_and_b32_e32 v1, 1, v0
	v_add_co_u32_e32 v2, vcc, -1, v1
	v_addc_co_u32_e64 v3, s[4:5], 0, -1, vcc
	v_cmp_ne_u32_e32 vcc, 0, v1
	v_lshlrev_b32_e32 v33, 30, v0
	v_xor_b32_e32 v1, vcc_hi, v3
	v_not_b32_e32 v3, v33
	v_xor_b32_e32 v2, vcc_lo, v2
	v_cmp_gt_i64_e32 vcc, 0, v[32:33]
	v_ashrrev_i32_e32 v3, 31, v3
	v_and_b32_e32 v1, exec_hi, v1
	v_xor_b32_e32 v33, vcc_hi, v3
	v_and_b32_e32 v2, exec_lo, v2
	v_xor_b32_e32 v3, vcc_lo, v3
	v_and_b32_e32 v1, v1, v33
	v_lshlrev_b32_e32 v33, 29, v0
	v_and_b32_e32 v2, v2, v3
	v_not_b32_e32 v3, v33
	v_cmp_gt_i64_e32 vcc, 0, v[32:33]
	v_ashrrev_i32_e32 v3, 31, v3
	v_xor_b32_e32 v33, vcc_hi, v3
	v_xor_b32_e32 v3, vcc_lo, v3
	v_and_b32_e32 v1, v1, v33
	v_lshlrev_b32_e32 v33, 28, v0
	v_and_b32_e32 v2, v2, v3
	v_not_b32_e32 v3, v33
	v_cmp_gt_i64_e32 vcc, 0, v[32:33]
	v_ashrrev_i32_e32 v3, 31, v3
	v_xor_b32_e32 v33, vcc_hi, v3
	;; [unrolled: 8-line block ×5, first 2 shown]
	v_and_b32_e32 v1, v1, v33
	v_lshlrev_b32_e32 v33, 24, v0
	v_not_b32_e32 v0, v33
	v_xor_b32_e32 v3, vcc_lo, v3
	v_cmp_gt_i64_e32 vcc, 0, v[32:33]
	v_ashrrev_i32_e32 v0, 31, v0
	v_and_b32_e32 v2, v2, v3
	v_xor_b32_e32 v3, vcc_hi, v0
	v_xor_b32_e32 v0, vcc_lo, v0
	v_and_b32_e32 v0, v2, v0
	v_and_b32_e32 v1, v1, v3
	v_mbcnt_lo_u32_b32 v2, v0, 0
	v_mbcnt_hi_u32_b32 v67, v1, v2
	v_cmp_eq_u32_e32 vcc, 0, v67
	v_cmp_ne_u64_e64 s[4:5], 0, v[0:1]
	s_and_b64 s[60:61], s[4:5], vcc
	; wave barrier
	s_and_saveexec_b64 s[4:5], s[60:61]
	s_cbranch_execz .LBB215_97
; %bb.96:                               ;   in Loop: Header=BB215_81 Depth=1
	v_bcnt_u32_b32 v0, v0, 0
	v_bcnt_u32_b32 v0, v1, v0
	s_waitcnt lgkmcnt(0)
	v_add_u32_e32 v0, v60, v0
	ds_write_b32 v61, v0
.LBB215_97:                             ;   in Loop: Header=BB215_81 Depth=1
	s_or_b64 exec, exec, s[4:5]
	; wave barrier
	s_waitcnt lgkmcnt(0)
	s_barrier
	ds_read2_b32 v[2:3], v87 offset0:8 offset1:9
	ds_read2_b32 v[0:1], v45 offset0:2 offset1:3
	s_waitcnt lgkmcnt(1)
	v_add_u32_e32 v33, v3, v2
	s_waitcnt lgkmcnt(0)
	v_add3_u32 v1, v33, v0, v1
	s_nop 1
	v_mov_b32_dpp v33, v1 row_shr:1 row_mask:0xf bank_mask:0xf
	v_cndmask_b32_e64 v33, v33, 0, s[16:17]
	v_add_u32_e32 v1, v33, v1
	s_nop 1
	v_mov_b32_dpp v33, v1 row_shr:2 row_mask:0xf bank_mask:0xf
	v_cndmask_b32_e64 v33, 0, v33, s[18:19]
	v_add_u32_e32 v1, v1, v33
	;; [unrolled: 4-line block ×4, first 2 shown]
	s_nop 1
	v_mov_b32_dpp v33, v1 row_bcast:15 row_mask:0xf bank_mask:0xf
	v_cndmask_b32_e64 v33, v33, 0, s[24:25]
	v_add_u32_e32 v1, v1, v33
	s_nop 1
	v_mov_b32_dpp v33, v1 row_bcast:31 row_mask:0xf bank_mask:0xf
	v_cndmask_b32_e64 v33, 0, v33, s[26:27]
	v_add_u32_e32 v1, v1, v33
	s_and_saveexec_b64 s[4:5], s[28:29]
	s_cbranch_execz .LBB215_99
; %bb.98:                               ;   in Loop: Header=BB215_81 Depth=1
	ds_write_b32 v48, v1
.LBB215_99:                             ;   in Loop: Header=BB215_81 Depth=1
	s_or_b64 exec, exec, s[4:5]
	s_waitcnt lgkmcnt(0)
	s_barrier
	s_and_saveexec_b64 s[4:5], s[30:31]
	s_cbranch_execz .LBB215_101
; %bb.100:                              ;   in Loop: Header=BB215_81 Depth=1
	ds_read_b32 v33, v86
	s_waitcnt lgkmcnt(0)
	s_nop 0
	v_mov_b32_dpp v62, v33 row_shr:1 row_mask:0xf bank_mask:0xf
	v_cndmask_b32_e64 v62, v62, 0, s[40:41]
	v_add_u32_e32 v33, v62, v33
	s_nop 1
	v_mov_b32_dpp v62, v33 row_shr:2 row_mask:0xf bank_mask:0xf
	v_cndmask_b32_e64 v62, 0, v62, s[42:43]
	v_add_u32_e32 v33, v33, v62
	;; [unrolled: 4-line block ×3, first 2 shown]
	ds_write_b32 v86, v33
.LBB215_101:                            ;   in Loop: Header=BB215_81 Depth=1
	s_or_b64 exec, exec, s[4:5]
	v_mov_b32_e32 v33, 0
	s_waitcnt lgkmcnt(0)
	s_barrier
	s_and_saveexec_b64 s[4:5], s[34:35]
	s_cbranch_execz .LBB215_103
; %bb.102:                              ;   in Loop: Header=BB215_81 Depth=1
	ds_read_b32 v33, v49
.LBB215_103:                            ;   in Loop: Header=BB215_81 Depth=1
	s_or_b64 exec, exec, s[4:5]
	s_waitcnt lgkmcnt(0)
	v_add_u32_e32 v1, v33, v1
	ds_bpermute_b32 v1, v47, v1
	s_cmp_gt_u32 s53, 23
	s_waitcnt lgkmcnt(0)
	v_cndmask_b32_e64 v1, v1, v33, s[36:37]
	v_cndmask_b32_e64 v1, v1, 0, s[38:39]
	v_add_u32_e32 v2, v1, v2
	v_add_u32_e32 v3, v2, v3
	;; [unrolled: 1-line block ×3, first 2 shown]
	ds_write2_b32 v87, v1, v2 offset0:8 offset1:9
	ds_write2_b32 v45, v3, v0 offset0:2 offset1:3
	s_waitcnt lgkmcnt(0)
	s_barrier
	ds_read_b32 v0, v4
	ds_read_b32 v1, v7
	;; [unrolled: 1-line block ×8, first 2 shown]
	s_waitcnt lgkmcnt(7)
	v_add_u32_e32 v33, v0, v5
	s_waitcnt lgkmcnt(6)
	v_add3_u32 v61, v8, v6, v1
	s_waitcnt lgkmcnt(5)
	v_add3_u32 v62, v11, v9, v2
	;; [unrolled: 2-line block ×7, first 2 shown]
	s_cbranch_scc0 .LBB215_80
; %bb.104:
                                        ; implicit-def: $vgpr43
                                        ; implicit-def: $vgpr41
                                        ; implicit-def: $vgpr39
                                        ; implicit-def: $vgpr37
                                        ; implicit-def: $vgpr14_vgpr15
                                        ; implicit-def: $vgpr10_vgpr11
                                        ; implicit-def: $vgpr6_vgpr7
                                        ; implicit-def: $vgpr2_vgpr3
                                        ; implicit-def: $sgpr53
                                        ; implicit-def: $sgpr57
.LBB215_105:
	v_lshlrev_b32_e32 v0, 2, v33
	s_barrier
	ds_write_b32 v0, v59
	v_lshlrev_b32_e32 v0, 2, v61
	ds_write_b32 v0, v58
	v_lshlrev_b32_e32 v0, 2, v62
	;; [unrolled: 2-line block ×7, first 2 shown]
	v_lshlrev_b32_e32 v6, 2, v84
	ds_write_b32 v0, v52
	s_waitcnt lgkmcnt(0)
	s_barrier
	ds_read2_b32 v[0:1], v6 offset1:1
	ds_read2_b32 v[2:3], v6 offset0:2 offset1:3
	ds_read2_b32 v[4:5], v6 offset0:4 offset1:5
	;; [unrolled: 1-line block ×3, first 2 shown]
	v_bfrev_b32_e32 v36, -2
	v_lshlrev_b32_e32 v8, 3, v33
	v_lshlrev_b32_e32 v32, 3, v84
	s_waitcnt lgkmcnt(3)
	v_cmp_gt_i32_e32 vcc, 0, v1
	v_cndmask_b32_e64 v33, v36, 0, vcc
	v_cmp_gt_i32_e32 vcc, 0, v0
	v_lshlrev_b32_e32 v9, 3, v61
	v_lshlrev_b32_e32 v10, 3, v62
	;; [unrolled: 1-line block ×7, first 2 shown]
	v_cndmask_b32_e64 v37, v36, 0, vcc
	v_xor_b32_e32 v59, v33, v1
	s_waitcnt lgkmcnt(2)
	v_cmp_gt_i32_e32 vcc, 0, v3
	s_waitcnt lgkmcnt(0)
	s_barrier
	ds_write_b64 v8, v[30:31]
	ds_write_b64 v9, v[28:29]
	;; [unrolled: 1-line block ×8, first 2 shown]
	s_waitcnt lgkmcnt(0)
	s_barrier
	ds_read2_b64 v[18:21], v32 offset1:1
	ds_read2_b64 v[22:25], v32 offset0:2 offset1:3
	ds_read2_b64 v[26:29], v32 offset0:4 offset1:5
	;; [unrolled: 1-line block ×3, first 2 shown]
	v_xor_b32_e32 v58, v37, v0
	v_cndmask_b32_e64 v0, v36, 0, vcc
	v_cmp_gt_i32_e32 vcc, 0, v2
	v_cndmask_b32_e64 v1, v36, 0, vcc
	v_cmp_gt_i32_e32 vcc, 0, v5
	v_xor_b32_e32 v61, v0, v3
	v_cndmask_b32_e64 v0, v36, 0, vcc
	v_cmp_gt_i32_e32 vcc, 0, v4
	v_xor_b32_e32 v60, v1, v2
	;; [unrolled: 3-line block ×4, first 2 shown]
	v_cndmask_b32_e64 v0, v36, 0, vcc
	v_xor_b32_e32 v0, v0, v6
	v_xor_b32_e32 v1, v1, v7
.LBB215_106:
	s_waitcnt lgkmcnt(0)
	s_barrier
	ds_write2_b32 v75, v58, v59 offset1:1
	ds_write2_b32 v75, v60, v61 offset0:2 offset1:3
	ds_write2_b32 v75, v62, v63 offset0:4 offset1:5
	;; [unrolled: 1-line block ×3, first 2 shown]
	s_waitcnt lgkmcnt(0)
	s_barrier
	ds_read_b32 v8, v68 offset:2048
	ds_read_b32 v7, v69 offset:4096
	;; [unrolled: 1-line block ×7, first 2 shown]
	v_mad_u64_u32 v[0:1], s[4:5], v34, s48, 0
	v_mov_b32_e32 v10, v1
	v_mad_u64_u32 v[10:11], s[4:5], v34, s49, v[10:11]
	v_mov_b32_e32 v1, v10
	v_lshlrev_b64 v[0:1], 2, v[0:1]
	v_mov_b32_e32 v9, s54
	v_add_co_u32_e32 v0, vcc, s33, v0
	v_addc_co_u32_e32 v1, vcc, v9, v1, vcc
	s_and_saveexec_b64 s[4:5], s[0:1]
	s_cbranch_execnz .LBB215_125
; %bb.107:
	s_or_b64 exec, exec, s[4:5]
	s_and_saveexec_b64 s[4:5], s[2:3]
	s_cbranch_execnz .LBB215_126
.LBB215_108:
	s_or_b64 exec, exec, s[4:5]
	s_and_saveexec_b64 s[4:5], s[46:47]
	s_cbranch_execnz .LBB215_127
.LBB215_109:
	s_or_b64 exec, exec, s[4:5]
	s_and_saveexec_b64 s[4:5], s[6:7]
	s_cbranch_execnz .LBB215_128
.LBB215_110:
	s_or_b64 exec, exec, s[4:5]
	s_and_saveexec_b64 s[4:5], s[8:9]
	s_cbranch_execnz .LBB215_129
.LBB215_111:
	s_or_b64 exec, exec, s[4:5]
	s_and_saveexec_b64 s[4:5], s[10:11]
	s_cbranch_execnz .LBB215_130
.LBB215_112:
	s_or_b64 exec, exec, s[4:5]
	s_and_saveexec_b64 s[4:5], s[12:13]
	s_cbranch_execnz .LBB215_131
.LBB215_113:
	s_or_b64 exec, exec, s[4:5]
	s_and_saveexec_b64 s[4:5], s[14:15]
	s_cbranch_execz .LBB215_115
.LBB215_114:
	s_waitcnt lgkmcnt(1)
	v_mov_b32_e32 v3, 0x3800
	v_mad_u64_u32 v[0:1], s[16:17], s48, v3, v[0:1]
	s_mul_i32 s16, s49, 0x3800
	v_add_u32_e32 v1, s16, v1
	s_waitcnt lgkmcnt(0)
	global_store_dword v[0:1], v2, off
.LBB215_115:
	s_or_b64 exec, exec, s[4:5]
	s_waitcnt lgkmcnt(0)
	s_barrier
	ds_write2_b64 v85, v[18:19], v[20:21] offset1:1
	ds_write2_b64 v85, v[22:23], v[24:25] offset0:2 offset1:3
	ds_write2_b64 v85, v[26:27], v[28:29] offset0:4 offset1:5
	;; [unrolled: 1-line block ×3, first 2 shown]
	s_waitcnt lgkmcnt(0)
	s_barrier
	ds_read_b64 v[14:15], v77 offset:4096
	ds_read_b64 v[12:13], v78 offset:8192
	;; [unrolled: 1-line block ×7, first 2 shown]
	v_mad_u64_u32 v[4:5], s[4:5], v34, s50, 0
	v_mov_b32_e32 v16, v5
	v_mad_u64_u32 v[16:17], s[4:5], v34, s51, v[16:17]
	v_mov_b32_e32 v5, v16
	v_lshlrev_b64 v[4:5], 3, v[4:5]
	v_mov_b32_e32 v16, s56
	v_add_co_u32_e32 v4, vcc, s55, v4
	v_addc_co_u32_e32 v5, vcc, v16, v5, vcc
	s_and_saveexec_b64 s[4:5], s[0:1]
	s_cbranch_execnz .LBB215_132
; %bb.116:
	s_or_b64 exec, exec, s[4:5]
	s_and_saveexec_b64 s[0:1], s[2:3]
	s_cbranch_execnz .LBB215_133
.LBB215_117:
	s_or_b64 exec, exec, s[0:1]
	s_and_saveexec_b64 s[0:1], s[46:47]
	s_cbranch_execnz .LBB215_134
.LBB215_118:
	s_or_b64 exec, exec, s[0:1]
	s_and_saveexec_b64 s[0:1], s[6:7]
	s_cbranch_execnz .LBB215_135
.LBB215_119:
	s_or_b64 exec, exec, s[0:1]
	s_and_saveexec_b64 s[0:1], s[8:9]
	s_cbranch_execnz .LBB215_136
.LBB215_120:
	s_or_b64 exec, exec, s[0:1]
	s_and_saveexec_b64 s[0:1], s[10:11]
	s_cbranch_execnz .LBB215_137
.LBB215_121:
	s_or_b64 exec, exec, s[0:1]
	s_and_saveexec_b64 s[0:1], s[12:13]
	s_cbranch_execnz .LBB215_138
.LBB215_122:
	s_or_b64 exec, exec, s[0:1]
	s_and_saveexec_b64 s[0:1], s[14:15]
	s_cbranch_execz .LBB215_124
.LBB215_123:
	s_waitcnt lgkmcnt(1)
	v_mov_b32_e32 v2, 0x7000
	v_mad_u64_u32 v[2:3], s[0:1], s50, v2, v[4:5]
	s_mul_i32 s0, s51, 0x7000
	v_add_u32_e32 v3, s0, v3
	s_waitcnt lgkmcnt(0)
	global_store_dwordx2 v[2:3], v[0:1], off
.LBB215_124:
	s_endpgm
.LBB215_125:
	ds_read_b32 v9, v35
	s_waitcnt lgkmcnt(0)
	global_store_dword v[0:1], v9, off
	s_or_b64 exec, exec, s[4:5]
	s_and_saveexec_b64 s[4:5], s[2:3]
	s_cbranch_execz .LBB215_108
.LBB215_126:
	s_lshl_b64 s[16:17], s[48:49], 11
	v_mov_b32_e32 v9, s17
	v_add_co_u32_e32 v10, vcc, s16, v0
	v_addc_co_u32_e32 v11, vcc, v1, v9, vcc
	s_waitcnt lgkmcnt(6)
	global_store_dword v[10:11], v8, off
	s_or_b64 exec, exec, s[4:5]
	s_and_saveexec_b64 s[4:5], s[46:47]
	s_cbranch_execz .LBB215_109
.LBB215_127:
	s_lshl_b64 s[16:17], s[48:49], 12
	v_mov_b32_e32 v9, s17
	s_waitcnt lgkmcnt(6)
	v_add_co_u32_e32 v8, vcc, s16, v0
	v_addc_co_u32_e32 v9, vcc, v1, v9, vcc
	s_waitcnt lgkmcnt(5)
	global_store_dword v[8:9], v7, off
	s_or_b64 exec, exec, s[4:5]
	s_and_saveexec_b64 s[4:5], s[6:7]
	s_cbranch_execz .LBB215_110
.LBB215_128:
	s_waitcnt lgkmcnt(5)
	v_mov_b32_e32 v7, 0x1800
	v_mad_u64_u32 v[8:9], s[16:17], s48, v7, v[0:1]
	s_mul_i32 s16, s49, 0x1800
	v_add_u32_e32 v9, s16, v9
	s_waitcnt lgkmcnt(4)
	global_store_dword v[8:9], v6, off
	s_or_b64 exec, exec, s[4:5]
	s_and_saveexec_b64 s[4:5], s[8:9]
	s_cbranch_execz .LBB215_111
.LBB215_129:
	s_lshl_b64 s[16:17], s[48:49], 13
	s_waitcnt lgkmcnt(5)
	v_mov_b32_e32 v7, s17
	s_waitcnt lgkmcnt(4)
	v_add_co_u32_e32 v6, vcc, s16, v0
	v_addc_co_u32_e32 v7, vcc, v1, v7, vcc
	s_waitcnt lgkmcnt(3)
	global_store_dword v[6:7], v5, off
	s_or_b64 exec, exec, s[4:5]
	s_and_saveexec_b64 s[4:5], s[10:11]
	s_cbranch_execz .LBB215_112
.LBB215_130:
	s_waitcnt lgkmcnt(3)
	v_mov_b32_e32 v5, 0x2800
	v_mad_u64_u32 v[6:7], s[16:17], s48, v5, v[0:1]
	s_mul_i32 s16, s49, 0x2800
	v_add_u32_e32 v7, s16, v7
	s_waitcnt lgkmcnt(2)
	global_store_dword v[6:7], v4, off
	s_or_b64 exec, exec, s[4:5]
	s_and_saveexec_b64 s[4:5], s[12:13]
	s_cbranch_execz .LBB215_113
.LBB215_131:
	s_waitcnt lgkmcnt(2)
	v_mov_b32_e32 v4, 0x3000
	v_mad_u64_u32 v[4:5], s[16:17], s48, v4, v[0:1]
	s_mul_i32 s16, s49, 0x3000
	v_add_u32_e32 v5, s16, v5
	s_waitcnt lgkmcnt(1)
	global_store_dword v[4:5], v3, off
	s_or_b64 exec, exec, s[4:5]
	s_and_saveexec_b64 s[4:5], s[14:15]
	s_cbranch_execnz .LBB215_114
	s_branch .LBB215_115
.LBB215_132:
	ds_read_b64 v[16:17], v76
	s_waitcnt lgkmcnt(0)
	global_store_dwordx2 v[4:5], v[16:17], off
	s_or_b64 exec, exec, s[4:5]
	s_and_saveexec_b64 s[0:1], s[2:3]
	s_cbranch_execz .LBB215_117
.LBB215_133:
	s_lshl_b64 s[2:3], s[50:51], 12
	v_mov_b32_e32 v17, s3
	v_add_co_u32_e32 v16, vcc, s2, v4
	v_addc_co_u32_e32 v17, vcc, v5, v17, vcc
	s_waitcnt lgkmcnt(6)
	global_store_dwordx2 v[16:17], v[14:15], off
	s_or_b64 exec, exec, s[0:1]
	s_and_saveexec_b64 s[0:1], s[46:47]
	s_cbranch_execz .LBB215_118
.LBB215_134:
	s_lshl_b64 s[2:3], s[50:51], 13
	s_waitcnt lgkmcnt(6)
	v_mov_b32_e32 v15, s3
	v_add_co_u32_e32 v14, vcc, s2, v4
	v_addc_co_u32_e32 v15, vcc, v5, v15, vcc
	s_waitcnt lgkmcnt(5)
	global_store_dwordx2 v[14:15], v[12:13], off
	s_or_b64 exec, exec, s[0:1]
	s_and_saveexec_b64 s[0:1], s[6:7]
	s_cbranch_execz .LBB215_119
.LBB215_135:
	s_waitcnt lgkmcnt(5)
	v_mov_b32_e32 v12, 0x3000
	v_mad_u64_u32 v[12:13], s[2:3], s50, v12, v[4:5]
	s_mul_i32 s2, s51, 0x3000
	v_add_u32_e32 v13, s2, v13
	s_waitcnt lgkmcnt(4)
	global_store_dwordx2 v[12:13], v[10:11], off
	s_or_b64 exec, exec, s[0:1]
	s_and_saveexec_b64 s[0:1], s[8:9]
	s_cbranch_execz .LBB215_120
.LBB215_136:
	s_lshl_b64 s[2:3], s[50:51], 14
	s_waitcnt lgkmcnt(4)
	v_mov_b32_e32 v11, s3
	v_add_co_u32_e32 v10, vcc, s2, v4
	v_addc_co_u32_e32 v11, vcc, v5, v11, vcc
	s_waitcnt lgkmcnt(3)
	global_store_dwordx2 v[10:11], v[8:9], off
	s_or_b64 exec, exec, s[0:1]
	s_and_saveexec_b64 s[0:1], s[10:11]
	s_cbranch_execz .LBB215_121
.LBB215_137:
	s_waitcnt lgkmcnt(3)
	v_mov_b32_e32 v8, 0x5000
	v_mad_u64_u32 v[8:9], s[2:3], s50, v8, v[4:5]
	s_mul_i32 s2, s51, 0x5000
	v_add_u32_e32 v9, s2, v9
	s_waitcnt lgkmcnt(2)
	global_store_dwordx2 v[8:9], v[6:7], off
	s_or_b64 exec, exec, s[0:1]
	s_and_saveexec_b64 s[0:1], s[12:13]
	s_cbranch_execz .LBB215_122
.LBB215_138:
	s_waitcnt lgkmcnt(2)
	v_mov_b32_e32 v6, 0x6000
	v_mad_u64_u32 v[6:7], s[2:3], s50, v6, v[4:5]
	s_mul_i32 s2, s51, 0x6000
	v_add_u32_e32 v7, s2, v7
	s_waitcnt lgkmcnt(1)
	global_store_dwordx2 v[6:7], v[2:3], off
	s_or_b64 exec, exec, s[0:1]
	s_and_saveexec_b64 s[0:1], s[14:15]
	s_cbranch_execnz .LBB215_123
	s_branch .LBB215_124
	.section	.rodata,"a",@progbits
	.p2align	6, 0x0
	.amdhsa_kernel _ZN2at6native18radixSortKVInPlaceILin1ELin1ELi512ELi8EflmEEvNS_4cuda6detail10TensorInfoIT3_T5_EES6_S6_S6_NS4_IT4_S6_EES6_b
		.amdhsa_group_segment_fixed_size 33792
		.amdhsa_private_segment_fixed_size 0
		.amdhsa_kernarg_size 1128
		.amdhsa_user_sgpr_count 6
		.amdhsa_user_sgpr_private_segment_buffer 1
		.amdhsa_user_sgpr_dispatch_ptr 0
		.amdhsa_user_sgpr_queue_ptr 0
		.amdhsa_user_sgpr_kernarg_segment_ptr 1
		.amdhsa_user_sgpr_dispatch_id 0
		.amdhsa_user_sgpr_flat_scratch_init 0
		.amdhsa_user_sgpr_kernarg_preload_length 0
		.amdhsa_user_sgpr_kernarg_preload_offset 0
		.amdhsa_user_sgpr_private_segment_size 0
		.amdhsa_uses_dynamic_stack 0
		.amdhsa_system_sgpr_private_segment_wavefront_offset 0
		.amdhsa_system_sgpr_workgroup_id_x 1
		.amdhsa_system_sgpr_workgroup_id_y 1
		.amdhsa_system_sgpr_workgroup_id_z 1
		.amdhsa_system_sgpr_workgroup_info 0
		.amdhsa_system_vgpr_workitem_id 2
		.amdhsa_next_free_vgpr 116
		.amdhsa_next_free_sgpr 64
		.amdhsa_accum_offset 116
		.amdhsa_reserve_vcc 1
		.amdhsa_reserve_flat_scratch 0
		.amdhsa_float_round_mode_32 0
		.amdhsa_float_round_mode_16_64 0
		.amdhsa_float_denorm_mode_32 3
		.amdhsa_float_denorm_mode_16_64 3
		.amdhsa_dx10_clamp 1
		.amdhsa_ieee_mode 1
		.amdhsa_fp16_overflow 0
		.amdhsa_tg_split 0
		.amdhsa_exception_fp_ieee_invalid_op 0
		.amdhsa_exception_fp_denorm_src 0
		.amdhsa_exception_fp_ieee_div_zero 0
		.amdhsa_exception_fp_ieee_overflow 0
		.amdhsa_exception_fp_ieee_underflow 0
		.amdhsa_exception_fp_ieee_inexact 0
		.amdhsa_exception_int_div_zero 0
	.end_amdhsa_kernel
	.section	.text._ZN2at6native18radixSortKVInPlaceILin1ELin1ELi512ELi8EflmEEvNS_4cuda6detail10TensorInfoIT3_T5_EES6_S6_S6_NS4_IT4_S6_EES6_b,"axG",@progbits,_ZN2at6native18radixSortKVInPlaceILin1ELin1ELi512ELi8EflmEEvNS_4cuda6detail10TensorInfoIT3_T5_EES6_S6_S6_NS4_IT4_S6_EES6_b,comdat
.Lfunc_end215:
	.size	_ZN2at6native18radixSortKVInPlaceILin1ELin1ELi512ELi8EflmEEvNS_4cuda6detail10TensorInfoIT3_T5_EES6_S6_S6_NS4_IT4_S6_EES6_b, .Lfunc_end215-_ZN2at6native18radixSortKVInPlaceILin1ELin1ELi512ELi8EflmEEvNS_4cuda6detail10TensorInfoIT3_T5_EES6_S6_S6_NS4_IT4_S6_EES6_b
                                        ; -- End function
	.section	.AMDGPU.csdata,"",@progbits
; Kernel info:
; codeLenInByte = 15032
; NumSgprs: 68
; NumVgprs: 116
; NumAgprs: 0
; TotalNumVgprs: 116
; ScratchSize: 0
; MemoryBound: 0
; FloatMode: 240
; IeeeMode: 1
; LDSByteSize: 33792 bytes/workgroup (compile time only)
; SGPRBlocks: 8
; VGPRBlocks: 14
; NumSGPRsForWavesPerEU: 68
; NumVGPRsForWavesPerEU: 116
; AccumOffset: 116
; Occupancy: 2
; WaveLimiterHint : 1
; COMPUTE_PGM_RSRC2:SCRATCH_EN: 0
; COMPUTE_PGM_RSRC2:USER_SGPR: 6
; COMPUTE_PGM_RSRC2:TRAP_HANDLER: 0
; COMPUTE_PGM_RSRC2:TGID_X_EN: 1
; COMPUTE_PGM_RSRC2:TGID_Y_EN: 1
; COMPUTE_PGM_RSRC2:TGID_Z_EN: 1
; COMPUTE_PGM_RSRC2:TIDIG_COMP_CNT: 2
; COMPUTE_PGM_RSRC3_GFX90A:ACCUM_OFFSET: 28
; COMPUTE_PGM_RSRC3_GFX90A:TG_SPLIT: 0
	.section	.text._ZN2at6native18radixSortKVInPlaceILin1ELin1ELi256ELi8EflmEEvNS_4cuda6detail10TensorInfoIT3_T5_EES6_S6_S6_NS4_IT4_S6_EES6_b,"axG",@progbits,_ZN2at6native18radixSortKVInPlaceILin1ELin1ELi256ELi8EflmEEvNS_4cuda6detail10TensorInfoIT3_T5_EES6_S6_S6_NS4_IT4_S6_EES6_b,comdat
	.protected	_ZN2at6native18radixSortKVInPlaceILin1ELin1ELi256ELi8EflmEEvNS_4cuda6detail10TensorInfoIT3_T5_EES6_S6_S6_NS4_IT4_S6_EES6_b ; -- Begin function _ZN2at6native18radixSortKVInPlaceILin1ELin1ELi256ELi8EflmEEvNS_4cuda6detail10TensorInfoIT3_T5_EES6_S6_S6_NS4_IT4_S6_EES6_b
	.globl	_ZN2at6native18radixSortKVInPlaceILin1ELin1ELi256ELi8EflmEEvNS_4cuda6detail10TensorInfoIT3_T5_EES6_S6_S6_NS4_IT4_S6_EES6_b
	.p2align	8
	.type	_ZN2at6native18radixSortKVInPlaceILin1ELin1ELi256ELi8EflmEEvNS_4cuda6detail10TensorInfoIT3_T5_EES6_S6_S6_NS4_IT4_S6_EES6_b,@function
_ZN2at6native18radixSortKVInPlaceILin1ELin1ELi256ELi8EflmEEvNS_4cuda6detail10TensorInfoIT3_T5_EES6_S6_S6_NS4_IT4_S6_EES6_b: ; @_ZN2at6native18radixSortKVInPlaceILin1ELin1ELi256ELi8EflmEEvNS_4cuda6detail10TensorInfoIT3_T5_EES6_S6_S6_NS4_IT4_S6_EES6_b
; %bb.0:
	s_load_dwordx4 s[12:15], s[4:5], 0x1a0
	s_load_dwordx2 s[0:1], s[4:5], 0x368
	s_add_u32 s50, s4, 0x368
	s_addc_u32 s51, s5, 0
	s_waitcnt lgkmcnt(0)
	v_mov_b32_e32 v2, s12
	s_mul_i32 s1, s1, s8
	s_add_i32 s1, s1, s7
	s_mul_i32 s0, s1, s0
	v_mov_b32_e32 v3, s13
	s_add_i32 s6, s0, s6
	s_mov_b32 s7, 0
	v_cmp_ge_u64_e32 vcc, s[6:7], v[2:3]
	s_cbranch_vccnz .LBB216_124
; %bb.1:
	s_load_dword s0, s[4:5], 0x198
	s_load_dwordx2 s[46:47], s[4:5], 0x1b0
	s_mov_b64 s[2:3], 0
	s_mov_b64 s[8:9], s[6:7]
	s_waitcnt lgkmcnt(0)
	s_cmp_lt_i32 s0, 2
	s_cbranch_scc1 .LBB216_9
; %bb.2:
	s_mov_b32 s10, 0
	s_add_i32 s15, s0, 1
	s_add_i32 s0, s0, -1
	s_mov_b32 s1, s10
	s_lshl_b64 s[0:1], s[0:1], 3
	s_add_u32 s0, s0, s4
	s_addc_u32 s1, s1, s5
	s_add_u32 s12, s0, 8
	s_addc_u32 s13, s1, 0
	s_mov_b64 s[16:17], s[6:7]
.LBB216_3:                              ; =>This Inner Loop Header: Depth=1
	s_load_dwordx2 s[18:19], s[12:13], 0x0
	s_waitcnt lgkmcnt(0)
	s_or_b64 s[0:1], s[16:17], s[18:19]
	s_mov_b32 s11, s1
	s_cmp_lg_u64 s[10:11], 0
	s_cbranch_scc0 .LBB216_8
; %bb.4:                                ;   in Loop: Header=BB216_3 Depth=1
	v_cvt_f32_u32_e32 v1, s18
	v_cvt_f32_u32_e32 v2, s19
	s_sub_u32 s0, 0, s18
	s_subb_u32 s1, 0, s19
	v_mac_f32_e32 v1, 0x4f800000, v2
	v_rcp_f32_e32 v1, v1
	v_mul_f32_e32 v1, 0x5f7ffffc, v1
	v_mul_f32_e32 v2, 0x2f800000, v1
	v_trunc_f32_e32 v2, v2
	v_mac_f32_e32 v1, 0xcf800000, v2
	v_cvt_u32_f32_e32 v2, v2
	v_cvt_u32_f32_e32 v1, v1
	v_readfirstlane_b32 s8, v2
	v_readfirstlane_b32 s9, v1
	s_mul_i32 s11, s0, s8
	s_mul_hi_u32 s21, s0, s9
	s_mul_i32 s20, s1, s9
	s_add_i32 s11, s21, s11
	s_mul_i32 s22, s0, s9
	s_add_i32 s11, s11, s20
	s_mul_hi_u32 s20, s9, s11
	s_mul_i32 s21, s9, s11
	s_mul_hi_u32 s9, s9, s22
	s_add_u32 s9, s9, s21
	s_addc_u32 s20, 0, s20
	s_mul_hi_u32 s23, s8, s22
	s_mul_i32 s22, s8, s22
	s_add_u32 s9, s9, s22
	s_mul_hi_u32 s21, s8, s11
	s_addc_u32 s9, s20, s23
	s_addc_u32 s20, s21, 0
	s_mul_i32 s11, s8, s11
	s_add_u32 s9, s9, s11
	s_addc_u32 s11, 0, s20
	v_add_co_u32_e32 v1, vcc, s9, v1
	s_cmp_lg_u64 vcc, 0
	s_addc_u32 s8, s8, s11
	v_readfirstlane_b32 s11, v1
	s_mul_i32 s9, s0, s8
	s_mul_hi_u32 s20, s0, s11
	s_add_i32 s9, s20, s9
	s_mul_i32 s1, s1, s11
	s_add_i32 s9, s9, s1
	s_mul_i32 s0, s0, s11
	s_mul_hi_u32 s20, s8, s0
	s_mul_i32 s21, s8, s0
	s_mul_i32 s23, s11, s9
	s_mul_hi_u32 s0, s11, s0
	s_mul_hi_u32 s22, s11, s9
	s_add_u32 s0, s0, s23
	s_addc_u32 s11, 0, s22
	s_add_u32 s0, s0, s21
	s_mul_hi_u32 s1, s8, s9
	s_addc_u32 s0, s11, s20
	s_addc_u32 s1, s1, 0
	s_mul_i32 s9, s8, s9
	s_add_u32 s0, s0, s9
	s_addc_u32 s1, 0, s1
	v_add_co_u32_e32 v1, vcc, s0, v1
	s_cmp_lg_u64 vcc, 0
	s_addc_u32 s0, s8, s1
	v_readfirstlane_b32 s9, v1
	s_mul_i32 s8, s16, s0
	s_mul_hi_u32 s11, s16, s9
	s_mul_hi_u32 s1, s16, s0
	s_add_u32 s8, s11, s8
	s_addc_u32 s1, 0, s1
	s_mul_hi_u32 s20, s17, s9
	s_mul_i32 s9, s17, s9
	s_add_u32 s8, s8, s9
	s_mul_hi_u32 s11, s17, s0
	s_addc_u32 s1, s1, s20
	s_addc_u32 s8, s11, 0
	s_mul_i32 s0, s17, s0
	s_add_u32 s11, s1, s0
	s_addc_u32 s8, 0, s8
	s_mul_i32 s0, s18, s8
	s_mul_hi_u32 s1, s18, s11
	s_add_i32 s0, s1, s0
	s_mul_i32 s1, s19, s11
	s_add_i32 s9, s0, s1
	s_mul_i32 s1, s18, s11
	v_mov_b32_e32 v1, s1
	s_sub_i32 s0, s17, s9
	v_sub_co_u32_e32 v1, vcc, s16, v1
	s_cmp_lg_u64 vcc, 0
	s_subb_u32 s20, s0, s19
	v_subrev_co_u32_e64 v2, s[0:1], s18, v1
	s_cmp_lg_u64 s[0:1], 0
	s_subb_u32 s0, s20, 0
	s_cmp_ge_u32 s0, s19
	v_readfirstlane_b32 s20, v2
	s_cselect_b32 s1, -1, 0
	s_cmp_ge_u32 s20, s18
	s_cselect_b32 s20, -1, 0
	s_cmp_eq_u32 s0, s19
	s_cselect_b32 s0, s20, s1
	s_add_u32 s1, s11, 1
	s_addc_u32 s20, s8, 0
	s_add_u32 s21, s11, 2
	s_addc_u32 s22, s8, 0
	s_cmp_lg_u32 s0, 0
	s_cselect_b32 s0, s21, s1
	s_cselect_b32 s1, s22, s20
	s_cmp_lg_u64 vcc, 0
	s_subb_u32 s9, s17, s9
	s_cmp_ge_u32 s9, s19
	v_readfirstlane_b32 s21, v1
	s_cselect_b32 s20, -1, 0
	s_cmp_ge_u32 s21, s18
	s_cselect_b32 s21, -1, 0
	s_cmp_eq_u32 s9, s19
	s_cselect_b32 s9, s21, s20
	s_cmp_lg_u32 s9, 0
	s_cselect_b32 s9, s1, s8
	s_cselect_b32 s8, s0, s11
	s_cbranch_execnz .LBB216_6
.LBB216_5:                              ;   in Loop: Header=BB216_3 Depth=1
	v_cvt_f32_u32_e32 v1, s18
	s_sub_i32 s0, 0, s18
	v_rcp_iflag_f32_e32 v1, v1
	v_mul_f32_e32 v1, 0x4f7ffffe, v1
	v_cvt_u32_f32_e32 v1, v1
	v_readfirstlane_b32 s1, v1
	s_mul_i32 s0, s0, s1
	s_mul_hi_u32 s0, s1, s0
	s_add_i32 s1, s1, s0
	s_mul_hi_u32 s0, s16, s1
	s_mul_i32 s8, s0, s18
	s_sub_i32 s8, s16, s8
	s_add_i32 s1, s0, 1
	s_sub_i32 s9, s8, s18
	s_cmp_ge_u32 s8, s18
	s_cselect_b32 s0, s1, s0
	s_cselect_b32 s8, s9, s8
	s_add_i32 s1, s0, 1
	s_cmp_ge_u32 s8, s18
	s_cselect_b32 s8, s1, s0
	s_mov_b32 s9, s10
.LBB216_6:                              ;   in Loop: Header=BB216_3 Depth=1
	s_mul_i32 s0, s8, s19
	s_mul_hi_u32 s1, s8, s18
	s_add_i32 s11, s1, s0
	s_load_dwordx2 s[0:1], s[12:13], 0xc8
	s_mul_i32 s19, s9, s18
	s_add_i32 s11, s11, s19
	s_mul_i32 s18, s8, s18
	s_sub_u32 s16, s16, s18
	s_subb_u32 s11, s17, s11
	s_waitcnt lgkmcnt(0)
	s_mul_i32 s11, s0, s11
	s_mul_hi_u32 s17, s0, s16
	s_add_i32 s11, s17, s11
	s_mul_i32 s1, s1, s16
	s_add_i32 s11, s11, s1
	s_mul_i32 s0, s0, s16
	s_add_u32 s2, s0, s2
	s_addc_u32 s3, s11, s3
	s_add_i32 s15, s15, -1
	s_add_u32 s12, s12, -8
	s_addc_u32 s13, s13, -1
	s_cmp_gt_u32 s15, 2
	s_cbranch_scc0 .LBB216_9
; %bb.7:                                ;   in Loop: Header=BB216_3 Depth=1
	s_mov_b64 s[16:17], s[8:9]
	s_branch .LBB216_3
.LBB216_8:                              ;   in Loop: Header=BB216_3 Depth=1
                                        ; implicit-def: $sgpr8_sgpr9
	s_branch .LBB216_5
.LBB216_9:
	s_load_dword s0, s[4:5], 0x350
	s_load_dwordx2 s[10:11], s[4:5], 0xd0
	s_mov_b64 s[16:17], 0
	s_waitcnt lgkmcnt(0)
	s_cmp_lt_i32 s0, 2
	s_cbranch_scc1 .LBB216_17
; %bb.10:
	s_mov_b32 s12, 0
	s_add_i32 s15, s0, 1
	s_add_i32 s0, s0, -1
	s_mov_b32 s1, s12
	s_lshl_b64 s[0:1], s[0:1], 3
	s_add_u32 s0, s0, s4
	s_addc_u32 s1, s1, s5
	s_add_u32 s20, s0, 0x1c0
	s_addc_u32 s21, s1, 0
.LBB216_11:                             ; =>This Inner Loop Header: Depth=1
	s_load_dwordx2 s[22:23], s[20:21], 0x0
	s_waitcnt lgkmcnt(0)
	s_or_b64 s[0:1], s[6:7], s[22:23]
	s_mov_b32 s13, s1
	s_cmp_lg_u64 s[12:13], 0
	s_cbranch_scc0 .LBB216_16
; %bb.12:                               ;   in Loop: Header=BB216_11 Depth=1
	v_cvt_f32_u32_e32 v1, s22
	v_cvt_f32_u32_e32 v2, s23
	s_sub_u32 s0, 0, s22
	s_subb_u32 s1, 0, s23
	v_mac_f32_e32 v1, 0x4f800000, v2
	v_rcp_f32_e32 v1, v1
	v_mul_f32_e32 v1, 0x5f7ffffc, v1
	v_mul_f32_e32 v2, 0x2f800000, v1
	v_trunc_f32_e32 v2, v2
	v_mac_f32_e32 v1, 0xcf800000, v2
	v_cvt_u32_f32_e32 v2, v2
	v_cvt_u32_f32_e32 v1, v1
	v_readfirstlane_b32 s13, v2
	v_readfirstlane_b32 s18, v1
	s_mul_i32 s19, s0, s13
	s_mul_hi_u32 s25, s0, s18
	s_mul_i32 s24, s1, s18
	s_add_i32 s19, s25, s19
	s_mul_i32 s26, s0, s18
	s_add_i32 s19, s19, s24
	s_mul_hi_u32 s24, s18, s19
	s_mul_i32 s25, s18, s19
	s_mul_hi_u32 s18, s18, s26
	s_add_u32 s18, s18, s25
	s_addc_u32 s24, 0, s24
	s_mul_hi_u32 s27, s13, s26
	s_mul_i32 s26, s13, s26
	s_add_u32 s18, s18, s26
	s_mul_hi_u32 s25, s13, s19
	s_addc_u32 s18, s24, s27
	s_addc_u32 s24, s25, 0
	s_mul_i32 s19, s13, s19
	s_add_u32 s18, s18, s19
	s_addc_u32 s19, 0, s24
	v_add_co_u32_e32 v1, vcc, s18, v1
	s_cmp_lg_u64 vcc, 0
	s_addc_u32 s13, s13, s19
	v_readfirstlane_b32 s19, v1
	s_mul_i32 s18, s0, s13
	s_mul_hi_u32 s24, s0, s19
	s_add_i32 s18, s24, s18
	s_mul_i32 s1, s1, s19
	s_add_i32 s18, s18, s1
	s_mul_i32 s0, s0, s19
	s_mul_hi_u32 s24, s13, s0
	s_mul_i32 s25, s13, s0
	s_mul_i32 s27, s19, s18
	s_mul_hi_u32 s0, s19, s0
	s_mul_hi_u32 s26, s19, s18
	s_add_u32 s0, s0, s27
	s_addc_u32 s19, 0, s26
	s_add_u32 s0, s0, s25
	s_mul_hi_u32 s1, s13, s18
	s_addc_u32 s0, s19, s24
	s_addc_u32 s1, s1, 0
	s_mul_i32 s18, s13, s18
	s_add_u32 s0, s0, s18
	s_addc_u32 s1, 0, s1
	v_add_co_u32_e32 v1, vcc, s0, v1
	s_cmp_lg_u64 vcc, 0
	s_addc_u32 s0, s13, s1
	v_readfirstlane_b32 s18, v1
	s_mul_i32 s13, s6, s0
	s_mul_hi_u32 s19, s6, s18
	s_mul_hi_u32 s1, s6, s0
	s_add_u32 s13, s19, s13
	s_addc_u32 s1, 0, s1
	s_mul_hi_u32 s24, s7, s18
	s_mul_i32 s18, s7, s18
	s_add_u32 s13, s13, s18
	s_mul_hi_u32 s19, s7, s0
	s_addc_u32 s1, s1, s24
	s_addc_u32 s13, s19, 0
	s_mul_i32 s0, s7, s0
	s_add_u32 s18, s1, s0
	s_addc_u32 s13, 0, s13
	s_mul_i32 s0, s22, s13
	s_mul_hi_u32 s1, s22, s18
	s_add_i32 s0, s1, s0
	s_mul_i32 s1, s23, s18
	s_add_i32 s19, s0, s1
	s_mul_i32 s1, s22, s18
	v_mov_b32_e32 v1, s1
	s_sub_i32 s0, s7, s19
	v_sub_co_u32_e32 v1, vcc, s6, v1
	s_cmp_lg_u64 vcc, 0
	s_subb_u32 s24, s0, s23
	v_subrev_co_u32_e64 v2, s[0:1], s22, v1
	s_cmp_lg_u64 s[0:1], 0
	s_subb_u32 s0, s24, 0
	s_cmp_ge_u32 s0, s23
	v_readfirstlane_b32 s24, v2
	s_cselect_b32 s1, -1, 0
	s_cmp_ge_u32 s24, s22
	s_cselect_b32 s24, -1, 0
	s_cmp_eq_u32 s0, s23
	s_cselect_b32 s0, s24, s1
	s_add_u32 s1, s18, 1
	s_addc_u32 s24, s13, 0
	s_add_u32 s25, s18, 2
	s_addc_u32 s26, s13, 0
	s_cmp_lg_u32 s0, 0
	s_cselect_b32 s0, s25, s1
	s_cselect_b32 s1, s26, s24
	s_cmp_lg_u64 vcc, 0
	s_subb_u32 s19, s7, s19
	s_cmp_ge_u32 s19, s23
	v_readfirstlane_b32 s25, v1
	s_cselect_b32 s24, -1, 0
	s_cmp_ge_u32 s25, s22
	s_cselect_b32 s25, -1, 0
	s_cmp_eq_u32 s19, s23
	s_cselect_b32 s19, s25, s24
	s_cmp_lg_u32 s19, 0
	s_cselect_b32 s19, s1, s13
	s_cselect_b32 s18, s0, s18
	s_cbranch_execnz .LBB216_14
.LBB216_13:                             ;   in Loop: Header=BB216_11 Depth=1
	v_cvt_f32_u32_e32 v1, s22
	s_sub_i32 s0, 0, s22
	s_mov_b32 s19, s12
	v_rcp_iflag_f32_e32 v1, v1
	v_mul_f32_e32 v1, 0x4f7ffffe, v1
	v_cvt_u32_f32_e32 v1, v1
	v_readfirstlane_b32 s1, v1
	s_mul_i32 s0, s0, s1
	s_mul_hi_u32 s0, s1, s0
	s_add_i32 s1, s1, s0
	s_mul_hi_u32 s0, s6, s1
	s_mul_i32 s13, s0, s22
	s_sub_i32 s13, s6, s13
	s_add_i32 s1, s0, 1
	s_sub_i32 s18, s13, s22
	s_cmp_ge_u32 s13, s22
	s_cselect_b32 s0, s1, s0
	s_cselect_b32 s13, s18, s13
	s_add_i32 s1, s0, 1
	s_cmp_ge_u32 s13, s22
	s_cselect_b32 s18, s1, s0
.LBB216_14:                             ;   in Loop: Header=BB216_11 Depth=1
	s_mul_i32 s0, s18, s23
	s_mul_hi_u32 s1, s18, s22
	s_add_i32 s13, s1, s0
	s_load_dwordx2 s[0:1], s[20:21], 0xc8
	s_mul_i32 s23, s19, s22
	s_add_i32 s13, s13, s23
	s_mul_i32 s22, s18, s22
	s_sub_u32 s6, s6, s22
	s_subb_u32 s7, s7, s13
	s_waitcnt lgkmcnt(0)
	s_mul_i32 s7, s0, s7
	s_mul_hi_u32 s13, s0, s6
	s_add_i32 s7, s13, s7
	s_mul_i32 s1, s1, s6
	s_add_i32 s7, s7, s1
	s_mul_i32 s0, s0, s6
	s_add_u32 s16, s0, s16
	s_addc_u32 s17, s7, s17
	s_add_i32 s15, s15, -1
	s_add_u32 s20, s20, -8
	s_addc_u32 s21, s21, -1
	s_cmp_gt_u32 s15, 2
	s_cbranch_scc0 .LBB216_18
; %bb.15:                               ;   in Loop: Header=BB216_11 Depth=1
	s_mov_b64 s[6:7], s[18:19]
	s_branch .LBB216_11
.LBB216_16:                             ;   in Loop: Header=BB216_11 Depth=1
                                        ; implicit-def: $sgpr18_sgpr19
	s_branch .LBB216_13
.LBB216_17:
	s_mov_b64 s[18:19], s[6:7]
.LBB216_18:
	s_mul_i32 s0, s10, s9
	s_load_dword s9, s[4:5], 0x360
	s_load_dwordx2 s[6:7], s[4:5], 0x0
	s_mul_hi_u32 s1, s10, s8
	s_add_i32 s0, s1, s0
	s_mul_i32 s1, s11, s8
	s_add_i32 s1, s0, s1
	s_mul_i32 s0, s10, s8
	s_waitcnt lgkmcnt(0)
	s_bitcmp1_b32 s9, 0
	s_cselect_b64 s[34:35], -1, 0
	s_lshl_b64 s[0:1], s[0:1], 2
	s_add_u32 s6, s6, s0
	v_bfrev_b32_e32 v1, -2
	s_addc_u32 s7, s7, s1
	s_lshl_b64 s[0:1], s[2:3], 2
	s_add_u32 s33, s6, s0
	v_cndmask_b32_e64 v1, v1, -1, s[34:35]
	v_and_b32_e32 v34, 0x3ff, v0
	s_addc_u32 s52, s7, s1
	v_mov_b32_e32 v2, v1
	v_mov_b32_e32 v3, v1
	;; [unrolled: 1-line block ×6, first 2 shown]
	v_cmp_gt_u32_e64 s[0:1], s14, v34
	v_mov_b32_e32 v8, v1
	s_and_saveexec_b64 s[2:3], s[0:1]
	s_cbranch_execz .LBB216_20
; %bb.19:
	v_mad_u64_u32 v[8:9], s[6:7], v34, s46, 0
	v_mov_b32_e32 v10, v9
	v_mad_u64_u32 v[10:11], s[6:7], v34, s47, v[10:11]
	v_mov_b32_e32 v9, v10
	v_lshlrev_b64 v[8:9], 2, v[8:9]
	v_mov_b32_e32 v10, s52
	v_add_co_u32_e32 v8, vcc, s33, v8
	v_addc_co_u32_e32 v9, vcc, v10, v9, vcc
	global_load_dword v8, v[8:9], off
.LBB216_20:
	s_or_b64 exec, exec, s[2:3]
	v_add_u32_e32 v24, 0x100, v34
	v_cmp_gt_u32_e64 s[2:3], s14, v24
	s_and_saveexec_b64 s[6:7], s[2:3]
	s_cbranch_execz .LBB216_22
; %bb.21:
	v_mad_u64_u32 v[10:11], s[8:9], v24, s46, 0
	v_mov_b32_e32 v12, v11
	v_mad_u64_u32 v[12:13], s[8:9], v24, s47, v[12:13]
	v_mov_b32_e32 v11, v12
	v_lshlrev_b64 v[10:11], 2, v[10:11]
	v_mov_b32_e32 v1, s52
	v_add_co_u32_e32 v10, vcc, s33, v10
	v_addc_co_u32_e32 v11, vcc, v1, v11, vcc
	global_load_dword v1, v[10:11], off
.LBB216_22:
	s_or_b64 exec, exec, s[6:7]
	v_add_u32_e32 v23, 0x200, v34
	v_cmp_gt_u32_e64 s[44:45], s14, v23
	;; [unrolled: 16-line block ×3, first 2 shown]
	s_and_saveexec_b64 s[8:9], s[6:7]
	s_cbranch_execz .LBB216_26
; %bb.25:
	v_mad_u64_u32 v[10:11], s[10:11], v22, s46, 0
	v_mov_b32_e32 v12, v11
	v_mad_u64_u32 v[12:13], s[10:11], v22, s47, v[12:13]
	v_mov_b32_e32 v11, v12
	v_lshlrev_b64 v[10:11], 2, v[10:11]
	v_mov_b32_e32 v3, s52
	v_add_co_u32_e32 v10, vcc, s33, v10
	v_addc_co_u32_e32 v11, vcc, v3, v11, vcc
	global_load_dword v3, v[10:11], off
.LBB216_26:
	s_or_b64 exec, exec, s[8:9]
	v_or_b32_e32 v21, 0x400, v34
	v_cmp_gt_u32_e64 s[8:9], s14, v21
	s_and_saveexec_b64 s[10:11], s[8:9]
	s_cbranch_execz .LBB216_28
; %bb.27:
	v_mad_u64_u32 v[10:11], s[12:13], v21, s46, 0
	v_mov_b32_e32 v4, v11
	v_mad_u64_u32 v[12:13], s[12:13], v21, s47, v[4:5]
	v_mov_b32_e32 v11, v12
	v_lshlrev_b64 v[10:11], 2, v[10:11]
	v_mov_b32_e32 v4, s52
	v_add_co_u32_e32 v10, vcc, s33, v10
	v_addc_co_u32_e32 v11, vcc, v4, v11, vcc
	global_load_dword v4, v[10:11], off
.LBB216_28:
	s_or_b64 exec, exec, s[10:11]
	v_add_u32_e32 v19, 0x500, v34
	v_cmp_gt_u32_e64 s[10:11], s14, v19
	s_and_saveexec_b64 s[12:13], s[10:11]
	s_cbranch_execz .LBB216_30
; %bb.29:
	v_mad_u64_u32 v[10:11], s[20:21], v19, s46, 0
	v_mov_b32_e32 v12, v11
	v_mad_u64_u32 v[12:13], s[20:21], v19, s47, v[12:13]
	v_mov_b32_e32 v11, v12
	v_lshlrev_b64 v[10:11], 2, v[10:11]
	v_mov_b32_e32 v5, s52
	v_add_co_u32_e32 v10, vcc, s33, v10
	v_addc_co_u32_e32 v11, vcc, v5, v11, vcc
	global_load_dword v5, v[10:11], off
.LBB216_30:
	s_or_b64 exec, exec, s[12:13]
	s_load_dwordx2 s[22:23], s[4:5], 0x288
	s_load_dwordx2 s[20:21], s[4:5], 0x1b8
	v_add_u32_e32 v20, 0x600, v34
	v_cmp_gt_u32_e64 s[12:13], s14, v20
	s_and_saveexec_b64 s[24:25], s[12:13]
	s_cbranch_execz .LBB216_32
; %bb.31:
	v_mad_u64_u32 v[10:11], s[26:27], v20, s46, 0
	v_mov_b32_e32 v6, v11
	v_mad_u64_u32 v[12:13], s[26:27], v20, s47, v[6:7]
	v_mov_b32_e32 v11, v12
	v_lshlrev_b64 v[10:11], 2, v[10:11]
	v_mov_b32_e32 v6, s52
	v_add_co_u32_e32 v10, vcc, s33, v10
	v_addc_co_u32_e32 v11, vcc, v6, v11, vcc
	global_load_dword v6, v[10:11], off
.LBB216_32:
	s_or_b64 exec, exec, s[24:25]
	v_add_u32_e32 v18, 0x700, v34
	v_cmp_gt_u32_e64 s[14:15], s14, v18
	s_and_saveexec_b64 s[24:25], s[14:15]
	s_cbranch_execz .LBB216_34
; %bb.33:
	v_mad_u64_u32 v[10:11], s[26:27], v18, s46, 0
	v_mov_b32_e32 v12, v11
	v_mad_u64_u32 v[12:13], s[26:27], v18, s47, v[12:13]
	v_mov_b32_e32 v11, v12
	v_lshlrev_b64 v[10:11], 2, v[10:11]
	v_mov_b32_e32 v7, s52
	v_add_co_u32_e32 v10, vcc, s33, v10
	v_addc_co_u32_e32 v11, vcc, v7, v11, vcc
	global_load_dword v7, v[10:11], off
.LBB216_34:
	s_or_b64 exec, exec, s[24:25]
	v_lshrrev_b32_e32 v9, 5, v34
	v_add_u32_e32 v32, v9, v34
	v_lshlrev_b32_e32 v35, 2, v32
	s_waitcnt vmcnt(0)
	ds_write_b32 v35, v8
	v_lshrrev_b32_e32 v8, 5, v24
	v_add_u32_e32 v31, v8, v34
	v_lshlrev_b32_e32 v68, 2, v31
	ds_write_b32 v68, v1 offset:1024
	v_lshrrev_b32_e32 v1, 5, v23
	v_add_u32_e32 v30, v1, v34
	v_lshrrev_b32_e32 v1, 5, v22
	v_add_u32_e32 v29, v1, v34
	;; [unrolled: 2-line block ×3, first 2 shown]
	v_lshrrev_b32_e32 v1, 5, v19
	v_lshlrev_b32_e32 v69, 2, v30
	v_add_u32_e32 v27, v1, v34
	v_lshrrev_b32_e32 v1, 5, v20
	s_waitcnt lgkmcnt(0)
	s_mul_i32 s19, s22, s19
	s_mul_hi_u32 s24, s22, s18
	ds_write_b32 v69, v2 offset:2048
	v_add_u32_e32 v25, v1, v34
	v_lshrrev_b32_e32 v1, 5, v18
	v_lshlrev_b32_e32 v84, 3, v34
	v_lshrrev_b32_e32 v2, 2, v34
	s_add_i32 s19, s24, s19
	s_mul_i32 s23, s23, s18
	v_add_u32_e32 v1, v1, v34
	v_add_u32_e32 v26, v2, v84
	s_add_i32 s19, s19, s23
	s_mul_i32 s18, s22, s18
	v_lshlrev_b32_e32 v70, 2, v29
	v_lshlrev_b32_e32 v71, 2, v28
	;; [unrolled: 1-line block ×6, first 2 shown]
	s_lshl_b64 s[18:19], s[18:19], 3
	ds_write_b32 v70, v3 offset:3072
	ds_write_b32 v71, v4 offset:4096
	;; [unrolled: 1-line block ×5, first 2 shown]
	s_waitcnt lgkmcnt(0)
	s_barrier
	ds_read2_b32 v[42:43], v75 offset1:1
	ds_read2_b32 v[40:41], v75 offset0:2 offset1:3
	ds_read2_b32 v[38:39], v75 offset0:4 offset1:5
	;; [unrolled: 1-line block ×3, first 2 shown]
	s_add_u32 s18, s20, s18
	s_addc_u32 s19, s21, s19
	s_lshl_b64 s[16:17], s[16:17], 3
	s_load_dwordx2 s[48:49], s[4:5], 0x358
	s_add_u32 s53, s18, s16
	s_mov_b32 s16, 0
	s_addc_u32 s54, s19, s17
	s_mov_b32 s17, s16
	s_mov_b32 s18, s16
	;; [unrolled: 1-line block ×15, first 2 shown]
	v_pk_mov_b32 v[2:3], s[16:17], s[16:17] op_sel:[0,1]
	v_pk_mov_b32 v[4:5], s[18:19], s[18:19] op_sel:[0,1]
	;; [unrolled: 1-line block ×8, first 2 shown]
	v_pk_mov_b32 v[2:3], 0, 0
	s_waitcnt lgkmcnt(0)
	s_barrier
	s_and_saveexec_b64 s[4:5], s[0:1]
	s_cbranch_execnz .LBB216_71
; %bb.35:
	s_or_b64 exec, exec, s[4:5]
	s_and_saveexec_b64 s[4:5], s[2:3]
	s_cbranch_execnz .LBB216_72
.LBB216_36:
	s_or_b64 exec, exec, s[4:5]
	s_and_saveexec_b64 s[4:5], s[44:45]
	s_cbranch_execnz .LBB216_73
.LBB216_37:
	s_or_b64 exec, exec, s[4:5]
	s_and_saveexec_b64 s[4:5], s[6:7]
	s_cbranch_execnz .LBB216_74
.LBB216_38:
	s_or_b64 exec, exec, s[4:5]
	s_and_saveexec_b64 s[4:5], s[8:9]
	s_cbranch_execnz .LBB216_75
.LBB216_39:
	s_or_b64 exec, exec, s[4:5]
	s_and_saveexec_b64 s[4:5], s[10:11]
	s_cbranch_execnz .LBB216_76
.LBB216_40:
	s_or_b64 exec, exec, s[4:5]
	s_and_saveexec_b64 s[4:5], s[12:13]
	s_cbranch_execnz .LBB216_77
.LBB216_41:
	s_or_b64 exec, exec, s[4:5]
	s_xor_b64 s[4:5], s[34:35], -1
	s_and_saveexec_b64 s[16:17], s[14:15]
	s_cbranch_execz .LBB216_43
.LBB216_42:
	v_mad_u64_u32 v[16:17], s[18:19], v18, s48, 0
	v_mov_b32_e32 v20, v17
	v_mad_u64_u32 v[18:19], s[18:19], v18, s49, v[20:21]
	v_mov_b32_e32 v17, v18
	v_lshlrev_b64 v[16:17], 3, v[16:17]
	v_mov_b32_e32 v18, s54
	v_add_co_u32_e32 v16, vcc, s53, v16
	v_addc_co_u32_e32 v17, vcc, v18, v17, vcc
	global_load_dwordx2 v[16:17], v[16:17], off
.LBB216_43:
	s_or_b64 exec, exec, s[16:17]
	v_lshlrev_b32_e32 v76, 3, v32
	v_lshlrev_b32_e32 v77, 3, v31
	;; [unrolled: 1-line block ×9, first 2 shown]
	s_waitcnt vmcnt(0)
	ds_write_b64 v76, v[2:3]
	ds_write_b64 v77, v[4:5] offset:2048
	ds_write_b64 v78, v[6:7] offset:4096
	;; [unrolled: 1-line block ×7, first 2 shown]
	s_waitcnt lgkmcnt(0)
	s_barrier
	ds_read2_b64 v[14:17], v85 offset1:1
	ds_read2_b64 v[10:13], v85 offset0:2 offset1:3
	ds_read2_b64 v[6:9], v85 offset0:4 offset1:5
	;; [unrolled: 1-line block ×3, first 2 shown]
	s_and_b64 vcc, exec, s[4:5]
	v_bfe_u32 v89, v0, 10, 10
	v_bfe_u32 v90, v0, 20, 10
	v_mbcnt_lo_u32_b32 v91, -1, 0
	v_lshlrev_b32_e32 v86, 2, v34
	v_lshlrev_b32_e32 v87, 4, v34
	v_cmp_gt_u32_e64 s[16:17], 4, v34
	v_cmp_lt_u32_e64 s[18:19], 63, v34
	v_cmp_eq_u32_e64 s[20:21], 0, v34
	v_lshrrev_b32_e32 v88, 4, v34
	s_waitcnt lgkmcnt(0)
	s_barrier
	s_cbranch_vccz .LBB216_78
; %bb.44:
	v_bfrev_b32_e32 v92, 1
	v_cmp_lt_i32_e32 vcc, -1, v42
	v_mbcnt_hi_u32_b32 v44, -1, v91
	v_and_b32_e32 v45, 0x3c0, v34
	v_cndmask_b32_e32 v18, -1, v92, vcc
	v_cmp_lt_i32_e32 vcc, -1, v43
	v_add_u32_e32 v0, v44, v45
	v_cndmask_b32_e32 v19, -1, v92, vcc
	v_lshlrev_b32_e32 v1, 5, v0
	v_xor_b32_e32 v19, v19, v43
	v_xor_b32_e32 v18, v18, v42
	v_cmp_lt_i32_e32 vcc, -1, v40
	ds_write2_b32 v1, v18, v19 offset1:1
	v_cndmask_b32_e32 v18, -1, v92, vcc
	v_cmp_lt_i32_e32 vcc, -1, v41
	v_cndmask_b32_e32 v19, -1, v92, vcc
	v_xor_b32_e32 v19, v19, v41
	v_xor_b32_e32 v18, v18, v40
	v_cmp_lt_i32_e32 vcc, -1, v38
	ds_write2_b32 v1, v18, v19 offset0:2 offset1:3
	v_cndmask_b32_e32 v18, -1, v92, vcc
	v_cmp_lt_i32_e32 vcc, -1, v39
	v_cndmask_b32_e32 v19, -1, v92, vcc
	v_xor_b32_e32 v19, v19, v39
	v_xor_b32_e32 v18, v18, v38
	v_cmp_lt_i32_e32 vcc, -1, v36
	ds_write2_b32 v1, v18, v19 offset0:4 offset1:5
	v_cndmask_b32_e32 v18, -1, v92, vcc
	v_cmp_lt_i32_e32 vcc, -1, v37
	v_cndmask_b32_e32 v19, -1, v92, vcc
	v_xor_b32_e32 v19, v19, v37
	v_xor_b32_e32 v18, v18, v36
	v_and_b32_e32 v46, 0x1e00, v84
	ds_write2_b32 v1, v18, v19 offset0:6 offset1:7
	v_or_b32_e32 v1, v44, v46
	v_lshlrev_b32_e32 v18, 2, v1
	v_lshlrev_b32_e32 v0, 6, v0
	; wave barrier
	ds_read2st64_b32 v[60:61], v18 offset1:1
	ds_read2st64_b32 v[62:63], v18 offset0:2 offset1:3
	ds_read2st64_b32 v[64:65], v18 offset0:4 offset1:5
	;; [unrolled: 1-line block ×3, first 2 shown]
	s_waitcnt lgkmcnt(0)
	s_barrier
	ds_write2_b64 v0, v[14:15], v[16:17] offset1:1
	ds_write2_b64 v0, v[10:11], v[12:13] offset0:2 offset1:3
	ds_write2_b64 v0, v[6:7], v[8:9] offset0:4 offset1:5
	;; [unrolled: 1-line block ×3, first 2 shown]
	v_lshlrev_b32_e32 v0, 3, v1
	; wave barrier
	ds_read2st64_b64 v[18:21], v0 offset1:1
	ds_read2st64_b64 v[22:25], v0 offset0:2 offset1:3
	ds_read2st64_b64 v[26:29], v0 offset0:4 offset1:5
	;; [unrolled: 1-line block ×3, first 2 shown]
	s_waitcnt lgkmcnt(0)
	s_barrier
	s_load_dword s22, s[50:51], 0xc
	s_getpc_b64 s[4:5]
	s_add_u32 s4, s4, _ZN7rocprim17ROCPRIM_400000_NS16block_radix_sortIfLj256ELj8ElLj1ELj1ELj0ELNS0_26block_radix_rank_algorithmE1ELNS0_18block_padding_hintE2ELNS0_4arch9wavefront6targetE1EE19radix_bits_per_passE@rel32@lo+4
	s_addc_u32 s5, s5, _ZN7rocprim17ROCPRIM_400000_NS16block_radix_sortIfLj256ELj8ElLj1ELj1ELj0ELNS0_26block_radix_rank_algorithmE1ELNS0_18block_padding_hintE2ELNS0_4arch9wavefront6targetE1EE19radix_bits_per_passE@rel32@hi+12
	s_load_dword s55, s[4:5], 0x0
	v_and_b32_e32 v96, 60, v88
	s_mov_b32 s56, 0
	s_waitcnt lgkmcnt(0)
	s_lshr_b32 s4, s22, 16
	s_and_b32 s5, s22, 0xffff
	v_mad_u32_u24 v0, v90, s4, v89
	v_mad_u64_u32 v[0:1], s[4:5], v0, s5, v[34:35]
	v_lshrrev_b32_e32 v94, 6, v0
	v_and_b32_e32 v0, 15, v44
	v_cmp_eq_u32_e64 s[22:23], 0, v0
	v_cmp_lt_u32_e64 s[24:25], 1, v0
	v_cmp_lt_u32_e64 s[26:27], 3, v0
	;; [unrolled: 1-line block ×3, first 2 shown]
	v_and_b32_e32 v0, 16, v44
	v_cmp_eq_u32_e64 s[30:31], 0, v0
	v_min_u32_e32 v0, 0xc0, v45
	v_or_b32_e32 v0, 63, v0
	v_cmp_eq_u32_e64 s[36:37], v0, v34
	v_add_u32_e32 v0, -1, v44
	v_and_b32_e32 v1, 64, v44
	v_cmp_lt_i32_e32 vcc, v0, v1
	v_cndmask_b32_e32 v0, v0, v44, vcc
	v_lshlrev_b32_e32 v95, 2, v0
	v_and_b32_e32 v0, 3, v44
	v_cmp_eq_u32_e64 s[40:41], 0, v0
	v_cmp_lt_u32_e64 s[42:43], 1, v0
	v_and_or_b32 v0, v44, 63, v46
	v_add_u32_e32 v93, 16, v87
	v_cmp_lt_u32_e64 s[34:35], 31, v44
	v_cmp_eq_u32_e64 s[38:39], 0, v44
	v_add_u32_e32 v97, -4, v96
	v_lshlrev_b32_e32 v98, 2, v0
	v_lshlrev_b32_e32 v99, 3, v0
	s_mov_b32 s58, 32
	s_brev_b32 s57, -2
	v_mov_b32_e32 v58, 0
	s_branch .LBB216_46
.LBB216_45:                             ;   in Loop: Header=BB216_46 Depth=1
	v_lshlrev_b32_e32 v18, 2, v59
	s_barrier
	ds_write_b32 v18, v107
	v_lshlrev_b32_e32 v18, 2, v109
	ds_write_b32 v18, v106
	v_lshlrev_b32_e32 v18, 2, v110
	;; [unrolled: 2-line block ×8, first 2 shown]
	s_waitcnt lgkmcnt(0)
	s_barrier
	ds_read2st64_b32 v[60:61], v98 offset1:1
	ds_read2st64_b32 v[62:63], v98 offset0:2 offset1:3
	ds_read2st64_b32 v[64:65], v98 offset0:4 offset1:5
	;; [unrolled: 1-line block ×3, first 2 shown]
	s_waitcnt lgkmcnt(0)
	s_barrier
	ds_write_b64 v18, v[56:57]
	v_lshlrev_b32_e32 v18, 3, v109
	ds_write_b64 v18, v[54:55]
	v_lshlrev_b32_e32 v18, 3, v110
	;; [unrolled: 2-line block ×7, first 2 shown]
	ds_write_b64 v18, v[0:1]
	s_waitcnt lgkmcnt(0)
	s_barrier
	ds_read2st64_b64 v[18:21], v99 offset1:1
	ds_read2st64_b64 v[22:25], v99 offset0:2 offset1:3
	ds_read2st64_b64 v[26:29], v99 offset0:4 offset1:5
	;; [unrolled: 1-line block ×3, first 2 shown]
	s_add_i32 s56, s56, 8
	s_add_i32 s58, s58, -8
	s_waitcnt lgkmcnt(0)
	s_barrier
	s_cbranch_execz .LBB216_70
.LBB216_46:                             ; =>This Inner Loop Header: Depth=1
	v_mov_b32_e32 v107, v60
	s_min_u32 s4, s55, s58
	v_cmp_ne_u32_e32 vcc, s57, v107
	v_pk_mov_b32 v[56:57], v[18:19], v[18:19] op_sel:[0,1]
	s_lshl_b32 s4, -1, s4
	v_cndmask_b32_e32 v18, v92, v107, vcc
	s_not_b32 s59, s4
	v_lshrrev_b32_e32 v18, s56, v18
	v_and_b32_e32 v18, s59, v18
	v_lshl_add_u32 v19, v18, 2, v94
	v_pk_mov_b32 v[52:53], v[22:23], v[22:23] op_sel:[0,1]
	v_lshl_add_u32 v22, v19, 2, 16
	v_and_b32_e32 v19, 1, v18
	v_pk_mov_b32 v[54:55], v[20:21], v[20:21] op_sel:[0,1]
	v_add_co_u32_e32 v20, vcc, -1, v19
	v_addc_co_u32_e64 v21, s[4:5], 0, -1, vcc
	v_cmp_ne_u32_e32 vcc, 0, v19
	v_lshlrev_b32_e32 v59, 30, v18
	v_xor_b32_e32 v19, vcc_hi, v21
	v_not_b32_e32 v21, v59
	v_xor_b32_e32 v20, vcc_lo, v20
	v_cmp_gt_i64_e32 vcc, 0, v[58:59]
	v_ashrrev_i32_e32 v21, 31, v21
	v_and_b32_e32 v20, exec_lo, v20
	v_xor_b32_e32 v23, vcc_hi, v21
	v_xor_b32_e32 v21, vcc_lo, v21
	v_lshlrev_b32_e32 v59, 29, v18
	v_and_b32_e32 v20, v20, v21
	v_not_b32_e32 v21, v59
	v_and_b32_e32 v19, exec_hi, v19
	v_cmp_gt_i64_e32 vcc, 0, v[58:59]
	v_ashrrev_i32_e32 v21, 31, v21
	v_and_b32_e32 v19, v19, v23
	v_xor_b32_e32 v23, vcc_hi, v21
	v_xor_b32_e32 v21, vcc_lo, v21
	v_lshlrev_b32_e32 v59, 28, v18
	v_and_b32_e32 v20, v20, v21
	v_not_b32_e32 v21, v59
	v_cmp_gt_i64_e32 vcc, 0, v[58:59]
	v_ashrrev_i32_e32 v21, 31, v21
	v_and_b32_e32 v19, v19, v23
	v_xor_b32_e32 v23, vcc_hi, v21
	v_xor_b32_e32 v21, vcc_lo, v21
	v_lshlrev_b32_e32 v59, 27, v18
	v_and_b32_e32 v20, v20, v21
	v_not_b32_e32 v21, v59
	;; [unrolled: 8-line block ×3, first 2 shown]
	v_cmp_gt_i64_e32 vcc, 0, v[58:59]
	v_ashrrev_i32_e32 v21, 31, v21
	v_and_b32_e32 v19, v19, v23
	v_xor_b32_e32 v23, vcc_hi, v21
	v_xor_b32_e32 v21, vcc_lo, v21
	v_lshlrev_b32_e32 v59, 25, v18
	v_and_b32_e32 v20, v20, v21
	v_cmp_gt_i64_e32 vcc, 0, v[58:59]
	v_not_b32_e32 v21, v59
	v_lshlrev_b32_e32 v59, 24, v18
	v_ashrrev_i32_e32 v21, 31, v21
	v_not_b32_e32 v18, v59
	v_and_b32_e32 v19, v19, v23
	v_xor_b32_e32 v23, vcc_hi, v21
	v_xor_b32_e32 v21, vcc_lo, v21
	v_cmp_gt_i64_e32 vcc, 0, v[58:59]
	v_ashrrev_i32_e32 v18, 31, v18
	v_and_b32_e32 v20, v20, v21
	v_xor_b32_e32 v21, vcc_hi, v18
	v_xor_b32_e32 v18, vcc_lo, v18
	v_and_b32_e32 v19, v19, v23
	v_and_b32_e32 v18, v20, v18
	;; [unrolled: 1-line block ×3, first 2 shown]
	v_mbcnt_lo_u32_b32 v20, v18, 0
	v_mbcnt_hi_u32_b32 v23, v19, v20
	v_cmp_eq_u32_e32 vcc, 0, v23
	v_cmp_ne_u64_e64 s[4:5], 0, v[18:19]
	v_mov_b32_e32 v100, v67
	v_mov_b32_e32 v101, v66
	;; [unrolled: 1-line block ×7, first 2 shown]
	v_pk_mov_b32 v[0:1], v[32:33], v[32:33] op_sel:[0,1]
	v_pk_mov_b32 v[44:45], v[30:31], v[30:31] op_sel:[0,1]
	;; [unrolled: 1-line block ×5, first 2 shown]
	s_and_b64 s[60:61], s[4:5], vcc
	ds_write2_b32 v87, v58, v58 offset0:4 offset1:5
	ds_write2_b32 v93, v58, v58 offset0:2 offset1:3
	s_waitcnt lgkmcnt(0)
	s_barrier
	s_waitcnt lgkmcnt(0)
	; wave barrier
	s_and_saveexec_b64 s[4:5], s[60:61]
	s_cbranch_execz .LBB216_48
; %bb.47:                               ;   in Loop: Header=BB216_46 Depth=1
	v_bcnt_u32_b32 v18, v18, 0
	v_bcnt_u32_b32 v18, v19, v18
	ds_write_b32 v22, v18
.LBB216_48:                             ;   in Loop: Header=BB216_46 Depth=1
	s_or_b64 exec, exec, s[4:5]
	v_cmp_ne_u32_e32 vcc, s57, v106
	v_cndmask_b32_e32 v18, v92, v106, vcc
	v_lshrrev_b32_e32 v18, s56, v18
	v_and_b32_e32 v18, s59, v18
	v_lshlrev_b32_e32 v19, 2, v18
	v_add_lshl_u32 v19, v19, v94, 2
	; wave barrier
	v_add_u32_e32 v25, 16, v19
	ds_read_b32 v24, v19 offset:16
	v_and_b32_e32 v19, 1, v18
	v_add_co_u32_e32 v20, vcc, -1, v19
	v_addc_co_u32_e64 v21, s[4:5], 0, -1, vcc
	v_cmp_ne_u32_e32 vcc, 0, v19
	v_lshlrev_b32_e32 v59, 30, v18
	v_xor_b32_e32 v19, vcc_hi, v21
	v_not_b32_e32 v21, v59
	v_xor_b32_e32 v20, vcc_lo, v20
	v_cmp_gt_i64_e32 vcc, 0, v[58:59]
	v_ashrrev_i32_e32 v21, 31, v21
	v_and_b32_e32 v20, exec_lo, v20
	v_xor_b32_e32 v26, vcc_hi, v21
	v_xor_b32_e32 v21, vcc_lo, v21
	v_lshlrev_b32_e32 v59, 29, v18
	v_and_b32_e32 v20, v20, v21
	v_not_b32_e32 v21, v59
	v_and_b32_e32 v19, exec_hi, v19
	v_cmp_gt_i64_e32 vcc, 0, v[58:59]
	v_ashrrev_i32_e32 v21, 31, v21
	v_and_b32_e32 v19, v19, v26
	v_xor_b32_e32 v26, vcc_hi, v21
	v_xor_b32_e32 v21, vcc_lo, v21
	v_lshlrev_b32_e32 v59, 28, v18
	v_and_b32_e32 v20, v20, v21
	v_not_b32_e32 v21, v59
	v_cmp_gt_i64_e32 vcc, 0, v[58:59]
	v_ashrrev_i32_e32 v21, 31, v21
	v_and_b32_e32 v19, v19, v26
	v_xor_b32_e32 v26, vcc_hi, v21
	v_xor_b32_e32 v21, vcc_lo, v21
	v_lshlrev_b32_e32 v59, 27, v18
	v_and_b32_e32 v20, v20, v21
	v_not_b32_e32 v21, v59
	v_cmp_gt_i64_e32 vcc, 0, v[58:59]
	v_ashrrev_i32_e32 v21, 31, v21
	v_and_b32_e32 v19, v19, v26
	v_xor_b32_e32 v26, vcc_hi, v21
	v_xor_b32_e32 v21, vcc_lo, v21
	v_lshlrev_b32_e32 v59, 26, v18
	v_and_b32_e32 v20, v20, v21
	v_not_b32_e32 v21, v59
	v_cmp_gt_i64_e32 vcc, 0, v[58:59]
	v_ashrrev_i32_e32 v21, 31, v21
	v_and_b32_e32 v19, v19, v26
	v_xor_b32_e32 v26, vcc_hi, v21
	v_xor_b32_e32 v21, vcc_lo, v21
	v_lshlrev_b32_e32 v59, 25, v18
	v_and_b32_e32 v20, v20, v21
	v_cmp_gt_i64_e32 vcc, 0, v[58:59]
	v_not_b32_e32 v21, v59
	v_lshlrev_b32_e32 v59, 24, v18
	v_ashrrev_i32_e32 v21, 31, v21
	v_not_b32_e32 v18, v59
	v_and_b32_e32 v19, v19, v26
	v_xor_b32_e32 v26, vcc_hi, v21
	v_xor_b32_e32 v21, vcc_lo, v21
	v_cmp_gt_i64_e32 vcc, 0, v[58:59]
	v_ashrrev_i32_e32 v18, 31, v18
	v_and_b32_e32 v20, v20, v21
	v_xor_b32_e32 v21, vcc_hi, v18
	v_xor_b32_e32 v18, vcc_lo, v18
	v_and_b32_e32 v19, v19, v26
	v_and_b32_e32 v18, v20, v18
	;; [unrolled: 1-line block ×3, first 2 shown]
	v_mbcnt_lo_u32_b32 v20, v18, 0
	v_mbcnt_hi_u32_b32 v26, v19, v20
	v_cmp_eq_u32_e32 vcc, 0, v26
	v_cmp_ne_u64_e64 s[4:5], 0, v[18:19]
	s_and_b64 s[60:61], s[4:5], vcc
	; wave barrier
	s_and_saveexec_b64 s[4:5], s[60:61]
	s_cbranch_execz .LBB216_50
; %bb.49:                               ;   in Loop: Header=BB216_46 Depth=1
	v_bcnt_u32_b32 v18, v18, 0
	v_bcnt_u32_b32 v18, v19, v18
	s_waitcnt lgkmcnt(0)
	v_add_u32_e32 v18, v24, v18
	ds_write_b32 v25, v18
.LBB216_50:                             ;   in Loop: Header=BB216_46 Depth=1
	s_or_b64 exec, exec, s[4:5]
	v_cmp_ne_u32_e32 vcc, s57, v105
	v_cndmask_b32_e32 v18, v92, v105, vcc
	v_lshrrev_b32_e32 v18, s56, v18
	v_and_b32_e32 v18, s59, v18
	v_lshlrev_b32_e32 v19, 2, v18
	v_add_lshl_u32 v19, v19, v94, 2
	; wave barrier
	v_add_u32_e32 v28, 16, v19
	ds_read_b32 v27, v19 offset:16
	v_and_b32_e32 v19, 1, v18
	v_add_co_u32_e32 v20, vcc, -1, v19
	v_addc_co_u32_e64 v21, s[4:5], 0, -1, vcc
	v_cmp_ne_u32_e32 vcc, 0, v19
	v_lshlrev_b32_e32 v59, 30, v18
	v_xor_b32_e32 v19, vcc_hi, v21
	v_not_b32_e32 v21, v59
	v_xor_b32_e32 v20, vcc_lo, v20
	v_cmp_gt_i64_e32 vcc, 0, v[58:59]
	v_ashrrev_i32_e32 v21, 31, v21
	v_and_b32_e32 v20, exec_lo, v20
	v_xor_b32_e32 v29, vcc_hi, v21
	v_xor_b32_e32 v21, vcc_lo, v21
	v_lshlrev_b32_e32 v59, 29, v18
	v_and_b32_e32 v20, v20, v21
	v_not_b32_e32 v21, v59
	v_and_b32_e32 v19, exec_hi, v19
	v_cmp_gt_i64_e32 vcc, 0, v[58:59]
	v_ashrrev_i32_e32 v21, 31, v21
	v_and_b32_e32 v19, v19, v29
	v_xor_b32_e32 v29, vcc_hi, v21
	v_xor_b32_e32 v21, vcc_lo, v21
	v_lshlrev_b32_e32 v59, 28, v18
	v_and_b32_e32 v20, v20, v21
	v_not_b32_e32 v21, v59
	v_cmp_gt_i64_e32 vcc, 0, v[58:59]
	v_ashrrev_i32_e32 v21, 31, v21
	v_and_b32_e32 v19, v19, v29
	v_xor_b32_e32 v29, vcc_hi, v21
	v_xor_b32_e32 v21, vcc_lo, v21
	v_lshlrev_b32_e32 v59, 27, v18
	v_and_b32_e32 v20, v20, v21
	v_not_b32_e32 v21, v59
	;; [unrolled: 8-line block ×3, first 2 shown]
	v_cmp_gt_i64_e32 vcc, 0, v[58:59]
	v_ashrrev_i32_e32 v21, 31, v21
	v_and_b32_e32 v19, v19, v29
	v_xor_b32_e32 v29, vcc_hi, v21
	v_xor_b32_e32 v21, vcc_lo, v21
	v_lshlrev_b32_e32 v59, 25, v18
	v_and_b32_e32 v20, v20, v21
	v_cmp_gt_i64_e32 vcc, 0, v[58:59]
	v_not_b32_e32 v21, v59
	v_lshlrev_b32_e32 v59, 24, v18
	v_ashrrev_i32_e32 v21, 31, v21
	v_not_b32_e32 v18, v59
	v_and_b32_e32 v19, v19, v29
	v_xor_b32_e32 v29, vcc_hi, v21
	v_xor_b32_e32 v21, vcc_lo, v21
	v_cmp_gt_i64_e32 vcc, 0, v[58:59]
	v_ashrrev_i32_e32 v18, 31, v18
	v_and_b32_e32 v20, v20, v21
	v_xor_b32_e32 v21, vcc_hi, v18
	v_xor_b32_e32 v18, vcc_lo, v18
	v_and_b32_e32 v19, v19, v29
	v_and_b32_e32 v18, v20, v18
	;; [unrolled: 1-line block ×3, first 2 shown]
	v_mbcnt_lo_u32_b32 v20, v18, 0
	v_mbcnt_hi_u32_b32 v29, v19, v20
	v_cmp_eq_u32_e32 vcc, 0, v29
	v_cmp_ne_u64_e64 s[4:5], 0, v[18:19]
	s_and_b64 s[60:61], s[4:5], vcc
	; wave barrier
	s_and_saveexec_b64 s[4:5], s[60:61]
	s_cbranch_execz .LBB216_52
; %bb.51:                               ;   in Loop: Header=BB216_46 Depth=1
	v_bcnt_u32_b32 v18, v18, 0
	v_bcnt_u32_b32 v18, v19, v18
	s_waitcnt lgkmcnt(0)
	v_add_u32_e32 v18, v27, v18
	ds_write_b32 v28, v18
.LBB216_52:                             ;   in Loop: Header=BB216_46 Depth=1
	s_or_b64 exec, exec, s[4:5]
	v_cmp_ne_u32_e32 vcc, s57, v104
	v_cndmask_b32_e32 v18, v92, v104, vcc
	v_lshrrev_b32_e32 v18, s56, v18
	v_and_b32_e32 v18, s59, v18
	v_lshlrev_b32_e32 v19, 2, v18
	v_add_lshl_u32 v19, v19, v94, 2
	; wave barrier
	v_add_u32_e32 v31, 16, v19
	ds_read_b32 v30, v19 offset:16
	v_and_b32_e32 v19, 1, v18
	v_add_co_u32_e32 v20, vcc, -1, v19
	v_addc_co_u32_e64 v21, s[4:5], 0, -1, vcc
	v_cmp_ne_u32_e32 vcc, 0, v19
	v_lshlrev_b32_e32 v59, 30, v18
	v_xor_b32_e32 v19, vcc_hi, v21
	v_not_b32_e32 v21, v59
	v_xor_b32_e32 v20, vcc_lo, v20
	v_cmp_gt_i64_e32 vcc, 0, v[58:59]
	v_ashrrev_i32_e32 v21, 31, v21
	v_and_b32_e32 v20, exec_lo, v20
	v_xor_b32_e32 v32, vcc_hi, v21
	v_xor_b32_e32 v21, vcc_lo, v21
	v_lshlrev_b32_e32 v59, 29, v18
	v_and_b32_e32 v20, v20, v21
	v_not_b32_e32 v21, v59
	v_and_b32_e32 v19, exec_hi, v19
	v_cmp_gt_i64_e32 vcc, 0, v[58:59]
	v_ashrrev_i32_e32 v21, 31, v21
	v_and_b32_e32 v19, v19, v32
	v_xor_b32_e32 v32, vcc_hi, v21
	v_xor_b32_e32 v21, vcc_lo, v21
	v_lshlrev_b32_e32 v59, 28, v18
	v_and_b32_e32 v20, v20, v21
	v_not_b32_e32 v21, v59
	v_cmp_gt_i64_e32 vcc, 0, v[58:59]
	v_ashrrev_i32_e32 v21, 31, v21
	v_and_b32_e32 v19, v19, v32
	v_xor_b32_e32 v32, vcc_hi, v21
	v_xor_b32_e32 v21, vcc_lo, v21
	v_lshlrev_b32_e32 v59, 27, v18
	v_and_b32_e32 v20, v20, v21
	v_not_b32_e32 v21, v59
	;; [unrolled: 8-line block ×3, first 2 shown]
	v_cmp_gt_i64_e32 vcc, 0, v[58:59]
	v_ashrrev_i32_e32 v21, 31, v21
	v_and_b32_e32 v19, v19, v32
	v_xor_b32_e32 v32, vcc_hi, v21
	v_xor_b32_e32 v21, vcc_lo, v21
	v_lshlrev_b32_e32 v59, 25, v18
	v_and_b32_e32 v20, v20, v21
	v_cmp_gt_i64_e32 vcc, 0, v[58:59]
	v_not_b32_e32 v21, v59
	v_lshlrev_b32_e32 v59, 24, v18
	v_ashrrev_i32_e32 v21, 31, v21
	v_not_b32_e32 v18, v59
	v_and_b32_e32 v19, v19, v32
	v_xor_b32_e32 v32, vcc_hi, v21
	v_xor_b32_e32 v21, vcc_lo, v21
	v_cmp_gt_i64_e32 vcc, 0, v[58:59]
	v_ashrrev_i32_e32 v18, 31, v18
	v_and_b32_e32 v20, v20, v21
	v_xor_b32_e32 v21, vcc_hi, v18
	v_xor_b32_e32 v18, vcc_lo, v18
	v_and_b32_e32 v19, v19, v32
	v_and_b32_e32 v18, v20, v18
	;; [unrolled: 1-line block ×3, first 2 shown]
	v_mbcnt_lo_u32_b32 v20, v18, 0
	v_mbcnt_hi_u32_b32 v32, v19, v20
	v_cmp_eq_u32_e32 vcc, 0, v32
	v_cmp_ne_u64_e64 s[4:5], 0, v[18:19]
	s_and_b64 s[60:61], s[4:5], vcc
	; wave barrier
	s_and_saveexec_b64 s[4:5], s[60:61]
	s_cbranch_execz .LBB216_54
; %bb.53:                               ;   in Loop: Header=BB216_46 Depth=1
	v_bcnt_u32_b32 v18, v18, 0
	v_bcnt_u32_b32 v18, v19, v18
	s_waitcnt lgkmcnt(0)
	v_add_u32_e32 v18, v30, v18
	ds_write_b32 v31, v18
.LBB216_54:                             ;   in Loop: Header=BB216_46 Depth=1
	s_or_b64 exec, exec, s[4:5]
	v_cmp_ne_u32_e32 vcc, s57, v103
	v_cndmask_b32_e32 v18, v92, v103, vcc
	v_lshrrev_b32_e32 v18, s56, v18
	v_and_b32_e32 v18, s59, v18
	v_lshlrev_b32_e32 v19, 2, v18
	v_add_lshl_u32 v19, v19, v94, 2
	; wave barrier
	v_add_u32_e32 v60, 16, v19
	ds_read_b32 v33, v19 offset:16
	v_and_b32_e32 v19, 1, v18
	v_add_co_u32_e32 v20, vcc, -1, v19
	v_addc_co_u32_e64 v21, s[4:5], 0, -1, vcc
	v_cmp_ne_u32_e32 vcc, 0, v19
	v_lshlrev_b32_e32 v59, 30, v18
	v_xor_b32_e32 v19, vcc_hi, v21
	v_not_b32_e32 v21, v59
	v_xor_b32_e32 v20, vcc_lo, v20
	v_cmp_gt_i64_e32 vcc, 0, v[58:59]
	v_ashrrev_i32_e32 v21, 31, v21
	v_and_b32_e32 v19, exec_hi, v19
	v_xor_b32_e32 v59, vcc_hi, v21
	v_and_b32_e32 v20, exec_lo, v20
	v_xor_b32_e32 v21, vcc_lo, v21
	v_and_b32_e32 v19, v19, v59
	v_lshlrev_b32_e32 v59, 29, v18
	v_and_b32_e32 v20, v20, v21
	v_not_b32_e32 v21, v59
	v_cmp_gt_i64_e32 vcc, 0, v[58:59]
	v_ashrrev_i32_e32 v21, 31, v21
	v_xor_b32_e32 v59, vcc_hi, v21
	v_xor_b32_e32 v21, vcc_lo, v21
	v_and_b32_e32 v19, v19, v59
	v_lshlrev_b32_e32 v59, 28, v18
	v_and_b32_e32 v20, v20, v21
	v_not_b32_e32 v21, v59
	v_cmp_gt_i64_e32 vcc, 0, v[58:59]
	v_ashrrev_i32_e32 v21, 31, v21
	v_xor_b32_e32 v59, vcc_hi, v21
	;; [unrolled: 8-line block ×5, first 2 shown]
	v_and_b32_e32 v19, v19, v59
	v_lshlrev_b32_e32 v59, 24, v18
	v_not_b32_e32 v18, v59
	v_xor_b32_e32 v21, vcc_lo, v21
	v_cmp_gt_i64_e32 vcc, 0, v[58:59]
	v_ashrrev_i32_e32 v18, 31, v18
	v_and_b32_e32 v20, v20, v21
	v_xor_b32_e32 v21, vcc_hi, v18
	v_xor_b32_e32 v18, vcc_lo, v18
	v_and_b32_e32 v18, v20, v18
	v_and_b32_e32 v19, v19, v21
	v_mbcnt_lo_u32_b32 v20, v18, 0
	v_mbcnt_hi_u32_b32 v61, v19, v20
	v_cmp_eq_u32_e32 vcc, 0, v61
	v_cmp_ne_u64_e64 s[4:5], 0, v[18:19]
	s_and_b64 s[60:61], s[4:5], vcc
	; wave barrier
	s_and_saveexec_b64 s[4:5], s[60:61]
	s_cbranch_execz .LBB216_56
; %bb.55:                               ;   in Loop: Header=BB216_46 Depth=1
	v_bcnt_u32_b32 v18, v18, 0
	v_bcnt_u32_b32 v18, v19, v18
	s_waitcnt lgkmcnt(0)
	v_add_u32_e32 v18, v33, v18
	ds_write_b32 v60, v18
.LBB216_56:                             ;   in Loop: Header=BB216_46 Depth=1
	s_or_b64 exec, exec, s[4:5]
	v_cmp_ne_u32_e32 vcc, s57, v102
	v_cndmask_b32_e32 v18, v92, v102, vcc
	v_lshrrev_b32_e32 v18, s56, v18
	v_and_b32_e32 v18, s59, v18
	v_lshlrev_b32_e32 v19, 2, v18
	v_add_lshl_u32 v19, v19, v94, 2
	; wave barrier
	v_add_u32_e32 v63, 16, v19
	ds_read_b32 v62, v19 offset:16
	v_and_b32_e32 v19, 1, v18
	v_add_co_u32_e32 v20, vcc, -1, v19
	v_addc_co_u32_e64 v21, s[4:5], 0, -1, vcc
	v_cmp_ne_u32_e32 vcc, 0, v19
	v_lshlrev_b32_e32 v59, 30, v18
	v_xor_b32_e32 v19, vcc_hi, v21
	v_not_b32_e32 v21, v59
	v_xor_b32_e32 v20, vcc_lo, v20
	v_cmp_gt_i64_e32 vcc, 0, v[58:59]
	v_ashrrev_i32_e32 v21, 31, v21
	v_and_b32_e32 v19, exec_hi, v19
	v_xor_b32_e32 v59, vcc_hi, v21
	v_and_b32_e32 v20, exec_lo, v20
	v_xor_b32_e32 v21, vcc_lo, v21
	v_and_b32_e32 v19, v19, v59
	v_lshlrev_b32_e32 v59, 29, v18
	v_and_b32_e32 v20, v20, v21
	v_not_b32_e32 v21, v59
	v_cmp_gt_i64_e32 vcc, 0, v[58:59]
	v_ashrrev_i32_e32 v21, 31, v21
	v_xor_b32_e32 v59, vcc_hi, v21
	v_xor_b32_e32 v21, vcc_lo, v21
	v_and_b32_e32 v19, v19, v59
	v_lshlrev_b32_e32 v59, 28, v18
	v_and_b32_e32 v20, v20, v21
	v_not_b32_e32 v21, v59
	v_cmp_gt_i64_e32 vcc, 0, v[58:59]
	v_ashrrev_i32_e32 v21, 31, v21
	v_xor_b32_e32 v59, vcc_hi, v21
	;; [unrolled: 8-line block ×5, first 2 shown]
	v_and_b32_e32 v19, v19, v59
	v_lshlrev_b32_e32 v59, 24, v18
	v_not_b32_e32 v18, v59
	v_xor_b32_e32 v21, vcc_lo, v21
	v_cmp_gt_i64_e32 vcc, 0, v[58:59]
	v_ashrrev_i32_e32 v18, 31, v18
	v_and_b32_e32 v20, v20, v21
	v_xor_b32_e32 v21, vcc_hi, v18
	v_xor_b32_e32 v18, vcc_lo, v18
	v_and_b32_e32 v18, v20, v18
	v_and_b32_e32 v19, v19, v21
	v_mbcnt_lo_u32_b32 v20, v18, 0
	v_mbcnt_hi_u32_b32 v64, v19, v20
	v_cmp_eq_u32_e32 vcc, 0, v64
	v_cmp_ne_u64_e64 s[4:5], 0, v[18:19]
	s_and_b64 s[60:61], s[4:5], vcc
	; wave barrier
	s_and_saveexec_b64 s[4:5], s[60:61]
	s_cbranch_execz .LBB216_58
; %bb.57:                               ;   in Loop: Header=BB216_46 Depth=1
	v_bcnt_u32_b32 v18, v18, 0
	v_bcnt_u32_b32 v18, v19, v18
	s_waitcnt lgkmcnt(0)
	v_add_u32_e32 v18, v62, v18
	ds_write_b32 v63, v18
.LBB216_58:                             ;   in Loop: Header=BB216_46 Depth=1
	s_or_b64 exec, exec, s[4:5]
	v_cmp_ne_u32_e32 vcc, s57, v101
	v_cndmask_b32_e32 v18, v92, v101, vcc
	v_lshrrev_b32_e32 v18, s56, v18
	v_and_b32_e32 v18, s59, v18
	v_lshlrev_b32_e32 v19, 2, v18
	v_add_lshl_u32 v19, v19, v94, 2
	; wave barrier
	v_add_u32_e32 v66, 16, v19
	ds_read_b32 v65, v19 offset:16
	v_and_b32_e32 v19, 1, v18
	v_add_co_u32_e32 v20, vcc, -1, v19
	v_addc_co_u32_e64 v21, s[4:5], 0, -1, vcc
	v_cmp_ne_u32_e32 vcc, 0, v19
	v_lshlrev_b32_e32 v59, 30, v18
	v_xor_b32_e32 v19, vcc_hi, v21
	v_not_b32_e32 v21, v59
	v_xor_b32_e32 v20, vcc_lo, v20
	v_cmp_gt_i64_e32 vcc, 0, v[58:59]
	v_ashrrev_i32_e32 v21, 31, v21
	v_and_b32_e32 v19, exec_hi, v19
	v_xor_b32_e32 v59, vcc_hi, v21
	v_and_b32_e32 v20, exec_lo, v20
	v_xor_b32_e32 v21, vcc_lo, v21
	v_and_b32_e32 v19, v19, v59
	v_lshlrev_b32_e32 v59, 29, v18
	v_and_b32_e32 v20, v20, v21
	v_not_b32_e32 v21, v59
	v_cmp_gt_i64_e32 vcc, 0, v[58:59]
	v_ashrrev_i32_e32 v21, 31, v21
	v_xor_b32_e32 v59, vcc_hi, v21
	v_xor_b32_e32 v21, vcc_lo, v21
	v_and_b32_e32 v19, v19, v59
	v_lshlrev_b32_e32 v59, 28, v18
	v_and_b32_e32 v20, v20, v21
	v_not_b32_e32 v21, v59
	v_cmp_gt_i64_e32 vcc, 0, v[58:59]
	v_ashrrev_i32_e32 v21, 31, v21
	v_xor_b32_e32 v59, vcc_hi, v21
	;; [unrolled: 8-line block ×5, first 2 shown]
	v_and_b32_e32 v19, v19, v59
	v_lshlrev_b32_e32 v59, 24, v18
	v_not_b32_e32 v18, v59
	v_xor_b32_e32 v21, vcc_lo, v21
	v_cmp_gt_i64_e32 vcc, 0, v[58:59]
	v_ashrrev_i32_e32 v18, 31, v18
	v_and_b32_e32 v20, v20, v21
	v_xor_b32_e32 v21, vcc_hi, v18
	v_xor_b32_e32 v18, vcc_lo, v18
	v_and_b32_e32 v18, v20, v18
	v_and_b32_e32 v19, v19, v21
	v_mbcnt_lo_u32_b32 v20, v18, 0
	v_mbcnt_hi_u32_b32 v67, v19, v20
	v_cmp_eq_u32_e32 vcc, 0, v67
	v_cmp_ne_u64_e64 s[4:5], 0, v[18:19]
	s_and_b64 s[60:61], s[4:5], vcc
	; wave barrier
	s_and_saveexec_b64 s[4:5], s[60:61]
	s_cbranch_execz .LBB216_60
; %bb.59:                               ;   in Loop: Header=BB216_46 Depth=1
	v_bcnt_u32_b32 v18, v18, 0
	v_bcnt_u32_b32 v18, v19, v18
	s_waitcnt lgkmcnt(0)
	v_add_u32_e32 v18, v65, v18
	ds_write_b32 v66, v18
.LBB216_60:                             ;   in Loop: Header=BB216_46 Depth=1
	s_or_b64 exec, exec, s[4:5]
	v_cmp_ne_u32_e32 vcc, s57, v100
	v_cndmask_b32_e32 v18, v92, v100, vcc
	v_lshrrev_b32_e32 v18, s56, v18
	v_and_b32_e32 v18, s59, v18
	v_lshlrev_b32_e32 v19, 2, v18
	v_add_lshl_u32 v19, v19, v94, 2
	; wave barrier
	v_add_u32_e32 v109, 16, v19
	ds_read_b32 v108, v19 offset:16
	v_and_b32_e32 v19, 1, v18
	v_add_co_u32_e32 v20, vcc, -1, v19
	v_addc_co_u32_e64 v21, s[4:5], 0, -1, vcc
	v_cmp_ne_u32_e32 vcc, 0, v19
	v_lshlrev_b32_e32 v59, 30, v18
	v_xor_b32_e32 v19, vcc_hi, v21
	v_not_b32_e32 v21, v59
	v_xor_b32_e32 v20, vcc_lo, v20
	v_cmp_gt_i64_e32 vcc, 0, v[58:59]
	v_ashrrev_i32_e32 v21, 31, v21
	v_and_b32_e32 v19, exec_hi, v19
	v_xor_b32_e32 v59, vcc_hi, v21
	v_and_b32_e32 v20, exec_lo, v20
	v_xor_b32_e32 v21, vcc_lo, v21
	v_and_b32_e32 v19, v19, v59
	v_lshlrev_b32_e32 v59, 29, v18
	v_and_b32_e32 v20, v20, v21
	v_not_b32_e32 v21, v59
	v_cmp_gt_i64_e32 vcc, 0, v[58:59]
	v_ashrrev_i32_e32 v21, 31, v21
	v_xor_b32_e32 v59, vcc_hi, v21
	v_xor_b32_e32 v21, vcc_lo, v21
	v_and_b32_e32 v19, v19, v59
	v_lshlrev_b32_e32 v59, 28, v18
	v_and_b32_e32 v20, v20, v21
	v_not_b32_e32 v21, v59
	v_cmp_gt_i64_e32 vcc, 0, v[58:59]
	v_ashrrev_i32_e32 v21, 31, v21
	v_xor_b32_e32 v59, vcc_hi, v21
	;; [unrolled: 8-line block ×5, first 2 shown]
	v_and_b32_e32 v19, v19, v59
	v_lshlrev_b32_e32 v59, 24, v18
	v_not_b32_e32 v18, v59
	v_xor_b32_e32 v21, vcc_lo, v21
	v_cmp_gt_i64_e32 vcc, 0, v[58:59]
	v_ashrrev_i32_e32 v18, 31, v18
	v_and_b32_e32 v20, v20, v21
	v_xor_b32_e32 v21, vcc_hi, v18
	v_xor_b32_e32 v18, vcc_lo, v18
	v_and_b32_e32 v18, v20, v18
	v_and_b32_e32 v19, v19, v21
	v_mbcnt_lo_u32_b32 v20, v18, 0
	v_mbcnt_hi_u32_b32 v115, v19, v20
	v_cmp_eq_u32_e32 vcc, 0, v115
	v_cmp_ne_u64_e64 s[4:5], 0, v[18:19]
	s_and_b64 s[60:61], s[4:5], vcc
	; wave barrier
	s_and_saveexec_b64 s[4:5], s[60:61]
	s_cbranch_execz .LBB216_62
; %bb.61:                               ;   in Loop: Header=BB216_46 Depth=1
	v_bcnt_u32_b32 v18, v18, 0
	v_bcnt_u32_b32 v18, v19, v18
	s_waitcnt lgkmcnt(0)
	v_add_u32_e32 v18, v108, v18
	ds_write_b32 v109, v18
.LBB216_62:                             ;   in Loop: Header=BB216_46 Depth=1
	s_or_b64 exec, exec, s[4:5]
	; wave barrier
	s_waitcnt lgkmcnt(0)
	s_barrier
	ds_read2_b32 v[20:21], v87 offset0:4 offset1:5
	ds_read2_b32 v[18:19], v93 offset0:2 offset1:3
	s_waitcnt lgkmcnt(1)
	v_add_u32_e32 v59, v21, v20
	s_waitcnt lgkmcnt(0)
	v_add3_u32 v19, v59, v18, v19
	s_nop 1
	v_mov_b32_dpp v59, v19 row_shr:1 row_mask:0xf bank_mask:0xf
	v_cndmask_b32_e64 v59, v59, 0, s[22:23]
	v_add_u32_e32 v19, v59, v19
	s_nop 1
	v_mov_b32_dpp v59, v19 row_shr:2 row_mask:0xf bank_mask:0xf
	v_cndmask_b32_e64 v59, 0, v59, s[24:25]
	v_add_u32_e32 v19, v19, v59
	;; [unrolled: 4-line block ×4, first 2 shown]
	s_nop 1
	v_mov_b32_dpp v59, v19 row_bcast:15 row_mask:0xf bank_mask:0xf
	v_cndmask_b32_e64 v59, v59, 0, s[30:31]
	v_add_u32_e32 v19, v19, v59
	s_nop 1
	v_mov_b32_dpp v59, v19 row_bcast:31 row_mask:0xf bank_mask:0xf
	v_cndmask_b32_e64 v59, 0, v59, s[34:35]
	v_add_u32_e32 v19, v19, v59
	s_and_saveexec_b64 s[4:5], s[36:37]
	s_cbranch_execz .LBB216_64
; %bb.63:                               ;   in Loop: Header=BB216_46 Depth=1
	ds_write_b32 v96, v19
.LBB216_64:                             ;   in Loop: Header=BB216_46 Depth=1
	s_or_b64 exec, exec, s[4:5]
	s_waitcnt lgkmcnt(0)
	s_barrier
	s_and_saveexec_b64 s[4:5], s[16:17]
	s_cbranch_execz .LBB216_66
; %bb.65:                               ;   in Loop: Header=BB216_46 Depth=1
	ds_read_b32 v59, v86
	s_waitcnt lgkmcnt(0)
	s_nop 0
	v_mov_b32_dpp v110, v59 row_shr:1 row_mask:0xf bank_mask:0xf
	v_cndmask_b32_e64 v110, v110, 0, s[40:41]
	v_add_u32_e32 v59, v110, v59
	s_nop 1
	v_mov_b32_dpp v110, v59 row_shr:2 row_mask:0xf bank_mask:0xf
	v_cndmask_b32_e64 v110, 0, v110, s[42:43]
	v_add_u32_e32 v59, v59, v110
	ds_write_b32 v86, v59
.LBB216_66:                             ;   in Loop: Header=BB216_46 Depth=1
	s_or_b64 exec, exec, s[4:5]
	v_mov_b32_e32 v59, 0
	s_waitcnt lgkmcnt(0)
	s_barrier
	s_and_saveexec_b64 s[4:5], s[18:19]
	s_cbranch_execz .LBB216_68
; %bb.67:                               ;   in Loop: Header=BB216_46 Depth=1
	ds_read_b32 v59, v97
.LBB216_68:                             ;   in Loop: Header=BB216_46 Depth=1
	s_or_b64 exec, exec, s[4:5]
	s_waitcnt lgkmcnt(0)
	v_add_u32_e32 v19, v59, v19
	ds_bpermute_b32 v19, v95, v19
	s_cmp_gt_u32 s56, 23
	s_waitcnt lgkmcnt(0)
	v_cndmask_b32_e64 v19, v19, v59, s[38:39]
	v_cndmask_b32_e64 v19, v19, 0, s[20:21]
	v_add_u32_e32 v20, v19, v20
	v_add_u32_e32 v21, v20, v21
	;; [unrolled: 1-line block ×3, first 2 shown]
	ds_write2_b32 v87, v19, v20 offset0:4 offset1:5
	ds_write2_b32 v93, v21, v18 offset0:2 offset1:3
	s_waitcnt lgkmcnt(0)
	s_barrier
	ds_read_b32 v18, v22
	ds_read_b32 v19, v25
	;; [unrolled: 1-line block ×8, first 2 shown]
	s_waitcnt lgkmcnt(7)
	v_add_u32_e32 v59, v18, v23
	s_waitcnt lgkmcnt(6)
	v_add3_u32 v109, v26, v24, v19
	s_waitcnt lgkmcnt(5)
	v_add3_u32 v110, v29, v27, v20
	;; [unrolled: 2-line block ×7, first 2 shown]
	s_cbranch_scc0 .LBB216_45
; %bb.69:
                                        ; implicit-def: $vgpr67
                                        ; implicit-def: $vgpr65
                                        ; implicit-def: $vgpr63
                                        ; implicit-def: $vgpr61
                                        ; implicit-def: $vgpr32_vgpr33
                                        ; implicit-def: $vgpr28_vgpr29
                                        ; implicit-def: $vgpr24_vgpr25
                                        ; implicit-def: $vgpr20_vgpr21
                                        ; implicit-def: $sgpr56
                                        ; implicit-def: $sgpr58
.LBB216_70:
	v_lshlrev_b32_e32 v18, 2, v59
	s_barrier
	ds_write_b32 v18, v107
	v_lshlrev_b32_e32 v18, 2, v109
	ds_write_b32 v18, v106
	v_lshlrev_b32_e32 v18, 2, v110
	;; [unrolled: 2-line block ×7, first 2 shown]
	v_lshlrev_b32_e32 v24, 2, v84
	ds_write_b32 v18, v100
	s_waitcnt lgkmcnt(0)
	s_barrier
	ds_read2_b32 v[18:19], v24 offset1:1
	ds_read2_b32 v[20:21], v24 offset0:2 offset1:3
	ds_read2_b32 v[22:23], v24 offset0:4 offset1:5
	;; [unrolled: 1-line block ×3, first 2 shown]
	v_bfrev_b32_e32 v66, 1
	v_lshlrev_b32_e32 v25, 3, v59
	v_lshlrev_b32_e32 v26, 3, v109
	s_waitcnt lgkmcnt(3)
	v_cmp_lt_i32_e32 vcc, -1, v19
	v_cndmask_b32_e64 v24, v66, -1, vcc
	v_cmp_lt_i32_e32 vcc, -1, v18
	v_cndmask_b32_e64 v58, v66, -1, vcc
	s_waitcnt lgkmcnt(2)
	v_cmp_lt_i32_e32 vcc, -1, v21
	v_xor_b32_e32 v58, v58, v18
	v_cndmask_b32_e64 v18, v66, -1, vcc
	v_cmp_lt_i32_e32 vcc, -1, v20
	v_xor_b32_e32 v59, v24, v19
	v_cndmask_b32_e64 v19, v66, -1, vcc
	s_waitcnt lgkmcnt(1)
	v_cmp_lt_i32_e32 vcc, -1, v23
	v_xor_b32_e32 v61, v18, v21
	v_cndmask_b32_e64 v18, v66, -1, vcc
	v_cmp_lt_i32_e32 vcc, -1, v22
	v_lshlrev_b32_e32 v27, 3, v110
	v_lshlrev_b32_e32 v28, 3, v111
	;; [unrolled: 1-line block ×7, first 2 shown]
	v_xor_b32_e32 v60, v19, v20
	v_cndmask_b32_e64 v19, v66, -1, vcc
	v_xor_b32_e32 v62, v19, v22
	v_xor_b32_e32 v63, v18, v23
	s_waitcnt lgkmcnt(0)
	s_barrier
	ds_write_b64 v25, v[56:57]
	ds_write_b64 v26, v[54:55]
	;; [unrolled: 1-line block ×8, first 2 shown]
	s_waitcnt lgkmcnt(0)
	s_barrier
	ds_read2_b64 v[18:21], v33 offset1:1
	ds_read2_b64 v[22:25], v33 offset0:2 offset1:3
	ds_read2_b64 v[26:29], v33 offset0:4 offset1:5
	;; [unrolled: 1-line block ×3, first 2 shown]
	v_cmp_lt_i32_e32 vcc, -1, v65
	v_cndmask_b32_e64 v1, v66, -1, vcc
	v_cmp_lt_i32_e32 vcc, -1, v64
	v_cndmask_b32_e64 v0, v66, -1, vcc
	v_xor_b32_e32 v0, v0, v64
	v_xor_b32_e32 v1, v1, v65
	s_branch .LBB216_106
.LBB216_71:
	v_mad_u64_u32 v[2:3], s[16:17], v34, s48, 0
	v_mov_b32_e32 v4, v3
	v_mad_u64_u32 v[4:5], s[16:17], v34, s49, v[4:5]
	v_mov_b32_e32 v3, v4
	v_lshlrev_b64 v[2:3], 3, v[2:3]
	v_mov_b32_e32 v4, s54
	v_add_co_u32_e32 v2, vcc, s53, v2
	v_addc_co_u32_e32 v3, vcc, v4, v3, vcc
	global_load_dwordx2 v[2:3], v[2:3], off
	v_mov_b32_e32 v4, 0
	v_mov_b32_e32 v5, v4
	;; [unrolled: 1-line block ×14, first 2 shown]
	s_or_b64 exec, exec, s[4:5]
	s_and_saveexec_b64 s[4:5], s[2:3]
	s_cbranch_execz .LBB216_36
.LBB216_72:
	v_mad_u64_u32 v[4:5], s[16:17], v24, s48, 0
	v_mov_b32_e32 v44, v5
	v_mad_u64_u32 v[44:45], s[16:17], v24, s49, v[44:45]
	v_mov_b32_e32 v5, v44
	v_lshlrev_b64 v[4:5], 3, v[4:5]
	v_mov_b32_e32 v24, s54
	v_add_co_u32_e32 v4, vcc, s53, v4
	v_addc_co_u32_e32 v5, vcc, v24, v5, vcc
	global_load_dwordx2 v[4:5], v[4:5], off
	s_or_b64 exec, exec, s[4:5]
	s_and_saveexec_b64 s[4:5], s[44:45]
	s_cbranch_execz .LBB216_37
.LBB216_73:
	v_mad_u64_u32 v[6:7], s[16:17], v23, s48, 0
	v_mov_b32_e32 v24, v7
	v_mad_u64_u32 v[44:45], s[16:17], v23, s49, v[24:25]
	v_mov_b32_e32 v7, v44
	v_lshlrev_b64 v[6:7], 3, v[6:7]
	v_mov_b32_e32 v23, s54
	v_add_co_u32_e32 v6, vcc, s53, v6
	v_addc_co_u32_e32 v7, vcc, v23, v7, vcc
	global_load_dwordx2 v[6:7], v[6:7], off
	s_or_b64 exec, exec, s[4:5]
	s_and_saveexec_b64 s[4:5], s[6:7]
	s_cbranch_execz .LBB216_38
.LBB216_74:
	v_mad_u64_u32 v[8:9], s[16:17], v22, s48, 0
	v_mov_b32_e32 v24, v9
	v_mad_u64_u32 v[22:23], s[16:17], v22, s49, v[24:25]
	v_mov_b32_e32 v9, v22
	v_lshlrev_b64 v[8:9], 3, v[8:9]
	v_mov_b32_e32 v22, s54
	v_add_co_u32_e32 v8, vcc, s53, v8
	v_addc_co_u32_e32 v9, vcc, v22, v9, vcc
	global_load_dwordx2 v[8:9], v[8:9], off
	s_or_b64 exec, exec, s[4:5]
	s_and_saveexec_b64 s[4:5], s[8:9]
	s_cbranch_execz .LBB216_39
.LBB216_75:
	v_mad_u64_u32 v[10:11], s[16:17], v21, s48, 0
	v_mov_b32_e32 v22, v11
	v_mad_u64_u32 v[22:23], s[16:17], v21, s49, v[22:23]
	v_mov_b32_e32 v11, v22
	v_lshlrev_b64 v[10:11], 3, v[10:11]
	v_mov_b32_e32 v21, s54
	v_add_co_u32_e32 v10, vcc, s53, v10
	v_addc_co_u32_e32 v11, vcc, v21, v11, vcc
	global_load_dwordx2 v[10:11], v[10:11], off
	s_or_b64 exec, exec, s[4:5]
	s_and_saveexec_b64 s[4:5], s[10:11]
	s_cbranch_execz .LBB216_40
.LBB216_76:
	v_mad_u64_u32 v[12:13], s[16:17], v19, s48, 0
	v_mov_b32_e32 v22, v13
	v_mad_u64_u32 v[22:23], s[16:17], v19, s49, v[22:23]
	v_mov_b32_e32 v13, v22
	v_lshlrev_b64 v[12:13], 3, v[12:13]
	v_mov_b32_e32 v19, s54
	v_add_co_u32_e32 v12, vcc, s53, v12
	v_addc_co_u32_e32 v13, vcc, v19, v13, vcc
	global_load_dwordx2 v[12:13], v[12:13], off
	s_or_b64 exec, exec, s[4:5]
	s_and_saveexec_b64 s[4:5], s[12:13]
	s_cbranch_execz .LBB216_41
.LBB216_77:
	v_mad_u64_u32 v[14:15], s[16:17], v20, s48, 0
	v_mov_b32_e32 v22, v15
	v_mad_u64_u32 v[20:21], s[16:17], v20, s49, v[22:23]
	v_mov_b32_e32 v15, v20
	v_lshlrev_b64 v[14:15], 3, v[14:15]
	v_mov_b32_e32 v19, s54
	v_add_co_u32_e32 v14, vcc, s53, v14
	v_addc_co_u32_e32 v15, vcc, v19, v15, vcc
	global_load_dwordx2 v[14:15], v[14:15], off
	s_or_b64 exec, exec, s[4:5]
	s_xor_b64 s[4:5], s[34:35], -1
	s_and_saveexec_b64 s[16:17], s[14:15]
	s_cbranch_execnz .LBB216_42
	s_branch .LBB216_43
.LBB216_78:
                                        ; implicit-def: $vgpr1
                                        ; implicit-def: $vgpr0
                                        ; implicit-def: $vgpr63
                                        ; implicit-def: $vgpr62
                                        ; implicit-def: $vgpr61
                                        ; implicit-def: $vgpr60
                                        ; implicit-def: $vgpr59
                                        ; implicit-def: $vgpr58
                                        ; implicit-def: $vgpr32_vgpr33
                                        ; implicit-def: $vgpr28_vgpr29
                                        ; implicit-def: $vgpr24_vgpr25
                                        ; implicit-def: $vgpr20_vgpr21
	s_cbranch_execz .LBB216_106
; %bb.79:
	v_bfrev_b32_e32 v44, -2
	v_cmp_gt_i32_e32 vcc, 0, v42
	s_waitcnt lgkmcnt(3)
	v_mbcnt_hi_u32_b32 v18, -1, v91
	v_and_b32_e32 v19, 0x3c0, v34
	v_cndmask_b32_e64 v20, v44, 0, vcc
	v_cmp_gt_i32_e32 vcc, 0, v43
	v_add_u32_e32 v0, v18, v19
	v_cndmask_b32_e64 v21, v44, 0, vcc
	v_lshlrev_b32_e32 v1, 5, v0
	v_xor_b32_e32 v21, v21, v43
	v_xor_b32_e32 v20, v20, v42
	v_cmp_gt_i32_e32 vcc, 0, v40
	ds_write2_b32 v1, v20, v21 offset1:1
	v_cndmask_b32_e64 v20, v44, 0, vcc
	v_cmp_gt_i32_e32 vcc, 0, v41
	v_cndmask_b32_e64 v21, v44, 0, vcc
	v_xor_b32_e32 v21, v21, v41
	v_xor_b32_e32 v20, v20, v40
	v_cmp_gt_i32_e32 vcc, 0, v38
	ds_write2_b32 v1, v20, v21 offset0:2 offset1:3
	v_cndmask_b32_e64 v20, v44, 0, vcc
	v_cmp_gt_i32_e32 vcc, 0, v39
	v_cndmask_b32_e64 v21, v44, 0, vcc
	v_xor_b32_e32 v21, v21, v39
	v_xor_b32_e32 v20, v20, v38
	v_cmp_gt_i32_e32 vcc, 0, v36
	ds_write2_b32 v1, v20, v21 offset0:4 offset1:5
	v_cndmask_b32_e64 v20, v44, 0, vcc
	v_cmp_gt_i32_e32 vcc, 0, v37
	v_cndmask_b32_e64 v21, v44, 0, vcc
	v_xor_b32_e32 v21, v21, v37
	v_xor_b32_e32 v20, v20, v36
	ds_write2_b32 v1, v20, v21 offset0:6 offset1:7
	v_and_b32_e32 v20, 0x1e00, v84
	v_or_b32_e32 v1, v18, v20
	v_lshlrev_b32_e32 v21, 2, v1
	v_lshlrev_b32_e32 v0, 6, v0
	; wave barrier
	ds_read2st64_b32 v[36:37], v21 offset1:1
	ds_read2st64_b32 v[38:39], v21 offset0:2 offset1:3
	ds_read2st64_b32 v[40:41], v21 offset0:4 offset1:5
	;; [unrolled: 1-line block ×3, first 2 shown]
	s_waitcnt lgkmcnt(0)
	s_barrier
	ds_write2_b64 v0, v[14:15], v[16:17] offset1:1
	ds_write2_b64 v0, v[10:11], v[12:13] offset0:2 offset1:3
	ds_write2_b64 v0, v[6:7], v[8:9] offset0:4 offset1:5
	;; [unrolled: 1-line block ×3, first 2 shown]
	v_lshlrev_b32_e32 v12, 3, v1
	; wave barrier
	ds_read2st64_b64 v[0:3], v12 offset1:1
	ds_read2st64_b64 v[4:7], v12 offset0:2 offset1:3
	ds_read2st64_b64 v[8:11], v12 offset0:4 offset1:5
	;; [unrolled: 1-line block ×3, first 2 shown]
	s_waitcnt lgkmcnt(0)
	s_barrier
	s_load_dword s16, s[50:51], 0xc
	s_getpc_b64 s[4:5]
	s_add_u32 s4, s4, _ZN7rocprim17ROCPRIM_400000_NS16block_radix_sortIfLj256ELj8ElLj1ELj1ELj0ELNS0_26block_radix_rank_algorithmE1ELNS0_18block_padding_hintE2ELNS0_4arch9wavefront6targetE1EE19radix_bits_per_passE@rel32@lo+4
	s_addc_u32 s5, s5, _ZN7rocprim17ROCPRIM_400000_NS16block_radix_sortIfLj256ELj8ElLj1ELj1ELj0ELNS0_26block_radix_rank_algorithmE1ELNS0_18block_padding_hintE2ELNS0_4arch9wavefront6targetE1EE19radix_bits_per_passE@rel32@hi+12
	s_load_dword s50, s[4:5], 0x0
	v_and_b32_e32 v48, 60, v88
	s_mov_b32 s51, 0
	s_waitcnt lgkmcnt(0)
	s_lshr_b32 s4, s16, 16
	s_and_b32 s5, s16, 0xffff
	v_mad_u32_u24 v16, v90, s4, v89
	v_mad_u64_u32 v[16:17], s[4:5], v16, s5, v[34:35]
	v_lshrrev_b32_e32 v46, 6, v16
	v_and_b32_e32 v16, 15, v18
	v_cmp_eq_u32_e64 s[16:17], 0, v16
	v_cmp_lt_u32_e64 s[18:19], 1, v16
	v_cmp_lt_u32_e64 s[20:21], 3, v16
	;; [unrolled: 1-line block ×3, first 2 shown]
	v_and_b32_e32 v16, 16, v18
	v_cmp_eq_u32_e64 s[24:25], 0, v16
	v_min_u32_e32 v16, 0xc0, v19
	v_or_b32_e32 v16, 63, v16
	v_cmp_eq_u32_e64 s[28:29], v16, v34
	v_add_u32_e32 v16, -1, v18
	v_and_b32_e32 v17, 64, v18
	v_cmp_lt_i32_e32 vcc, v16, v17
	v_cndmask_b32_e32 v16, v16, v18, vcc
	v_lshlrev_b32_e32 v47, 2, v16
	v_and_b32_e32 v16, 3, v18
	v_cmp_eq_u32_e64 s[40:41], 0, v16
	v_cmp_lt_u32_e64 s[42:43], 1, v16
	v_and_or_b32 v16, v18, 63, v20
	v_add_u32_e32 v45, 16, v87
	v_cmp_lt_u32_e64 s[26:27], 31, v18
	v_cmp_gt_u32_e64 s[30:31], 4, v34
	v_cmp_lt_u32_e64 s[34:35], 63, v34
	v_cmp_eq_u32_e64 s[36:37], 0, v18
	v_cmp_eq_u32_e64 s[38:39], 0, v34
	v_add_u32_e32 v49, -4, v48
	v_lshlrev_b32_e32 v50, 2, v16
	v_lshlrev_b32_e32 v51, 3, v16
	s_mov_b32 s56, 32
	v_mov_b32_e32 v32, 0
	s_brev_b32 s55, 1
	s_branch .LBB216_81
.LBB216_80:                             ;   in Loop: Header=BB216_81 Depth=1
	v_lshlrev_b32_e32 v0, 2, v33
	s_barrier
	ds_write_b32 v0, v59
	v_lshlrev_b32_e32 v0, 2, v61
	ds_write_b32 v0, v58
	v_lshlrev_b32_e32 v0, 2, v62
	;; [unrolled: 2-line block ×8, first 2 shown]
	s_waitcnt lgkmcnt(0)
	s_barrier
	ds_read2st64_b32 v[36:37], v50 offset1:1
	ds_read2st64_b32 v[38:39], v50 offset0:2 offset1:3
	ds_read2st64_b32 v[40:41], v50 offset0:4 offset1:5
	;; [unrolled: 1-line block ×3, first 2 shown]
	s_waitcnt lgkmcnt(0)
	s_barrier
	ds_write_b64 v0, v[30:31]
	v_lshlrev_b32_e32 v0, 3, v61
	ds_write_b64 v0, v[28:29]
	v_lshlrev_b32_e32 v0, 3, v62
	;; [unrolled: 2-line block ×7, first 2 shown]
	ds_write_b64 v0, v[16:17]
	s_waitcnt lgkmcnt(0)
	s_barrier
	ds_read2st64_b64 v[0:3], v51 offset1:1
	ds_read2st64_b64 v[4:7], v51 offset0:2 offset1:3
	ds_read2st64_b64 v[8:11], v51 offset0:4 offset1:5
	;; [unrolled: 1-line block ×3, first 2 shown]
	s_add_i32 s51, s51, 8
	s_add_i32 s56, s56, -8
	s_waitcnt lgkmcnt(0)
	s_barrier
	s_cbranch_execz .LBB216_105
.LBB216_81:                             ; =>This Inner Loop Header: Depth=1
	v_mov_b32_e32 v59, v36
	s_min_u32 s4, s50, s56
	v_cmp_ne_u32_e32 vcc, s55, v59
	v_pk_mov_b32 v[30:31], v[0:1], v[0:1] op_sel:[0,1]
	s_lshl_b32 s4, -1, s4
	v_cndmask_b32_e32 v0, v44, v59, vcc
	s_not_b32 s57, s4
	v_lshrrev_b32_e32 v0, s51, v0
	v_and_b32_e32 v0, s57, v0
	v_lshl_add_u32 v1, v0, 2, v46
	v_pk_mov_b32 v[26:27], v[4:5], v[4:5] op_sel:[0,1]
	v_lshl_add_u32 v4, v1, 2, 16
	v_and_b32_e32 v1, 1, v0
	v_pk_mov_b32 v[28:29], v[2:3], v[2:3] op_sel:[0,1]
	v_add_co_u32_e32 v2, vcc, -1, v1
	v_addc_co_u32_e64 v3, s[4:5], 0, -1, vcc
	v_cmp_ne_u32_e32 vcc, 0, v1
	v_lshlrev_b32_e32 v33, 30, v0
	v_xor_b32_e32 v1, vcc_hi, v3
	v_not_b32_e32 v3, v33
	v_xor_b32_e32 v2, vcc_lo, v2
	v_cmp_gt_i64_e32 vcc, 0, v[32:33]
	v_ashrrev_i32_e32 v3, 31, v3
	v_and_b32_e32 v2, exec_lo, v2
	v_xor_b32_e32 v5, vcc_hi, v3
	v_xor_b32_e32 v3, vcc_lo, v3
	v_lshlrev_b32_e32 v33, 29, v0
	v_and_b32_e32 v2, v2, v3
	v_not_b32_e32 v3, v33
	v_and_b32_e32 v1, exec_hi, v1
	v_cmp_gt_i64_e32 vcc, 0, v[32:33]
	v_ashrrev_i32_e32 v3, 31, v3
	v_and_b32_e32 v1, v1, v5
	v_xor_b32_e32 v5, vcc_hi, v3
	v_xor_b32_e32 v3, vcc_lo, v3
	v_lshlrev_b32_e32 v33, 28, v0
	v_and_b32_e32 v2, v2, v3
	v_not_b32_e32 v3, v33
	v_cmp_gt_i64_e32 vcc, 0, v[32:33]
	v_ashrrev_i32_e32 v3, 31, v3
	v_and_b32_e32 v1, v1, v5
	v_xor_b32_e32 v5, vcc_hi, v3
	v_xor_b32_e32 v3, vcc_lo, v3
	v_lshlrev_b32_e32 v33, 27, v0
	v_and_b32_e32 v2, v2, v3
	v_not_b32_e32 v3, v33
	;; [unrolled: 8-line block ×3, first 2 shown]
	v_cmp_gt_i64_e32 vcc, 0, v[32:33]
	v_ashrrev_i32_e32 v3, 31, v3
	v_and_b32_e32 v1, v1, v5
	v_xor_b32_e32 v5, vcc_hi, v3
	v_xor_b32_e32 v3, vcc_lo, v3
	v_lshlrev_b32_e32 v33, 25, v0
	v_and_b32_e32 v2, v2, v3
	v_cmp_gt_i64_e32 vcc, 0, v[32:33]
	v_not_b32_e32 v3, v33
	v_lshlrev_b32_e32 v33, 24, v0
	v_ashrrev_i32_e32 v3, 31, v3
	v_not_b32_e32 v0, v33
	v_and_b32_e32 v1, v1, v5
	v_xor_b32_e32 v5, vcc_hi, v3
	v_xor_b32_e32 v3, vcc_lo, v3
	v_cmp_gt_i64_e32 vcc, 0, v[32:33]
	v_ashrrev_i32_e32 v0, 31, v0
	v_and_b32_e32 v2, v2, v3
	v_xor_b32_e32 v3, vcc_hi, v0
	v_xor_b32_e32 v0, vcc_lo, v0
	v_and_b32_e32 v1, v1, v5
	v_and_b32_e32 v0, v2, v0
	;; [unrolled: 1-line block ×3, first 2 shown]
	v_mbcnt_lo_u32_b32 v2, v0, 0
	v_mbcnt_hi_u32_b32 v5, v1, v2
	v_cmp_eq_u32_e32 vcc, 0, v5
	v_cmp_ne_u64_e64 s[4:5], 0, v[0:1]
	v_mov_b32_e32 v52, v43
	v_mov_b32_e32 v53, v42
	;; [unrolled: 1-line block ×7, first 2 shown]
	v_pk_mov_b32 v[16:17], v[14:15], v[14:15] op_sel:[0,1]
	v_pk_mov_b32 v[18:19], v[12:13], v[12:13] op_sel:[0,1]
	;; [unrolled: 1-line block ×5, first 2 shown]
	s_and_b64 s[58:59], s[4:5], vcc
	ds_write2_b32 v87, v32, v32 offset0:4 offset1:5
	ds_write2_b32 v45, v32, v32 offset0:2 offset1:3
	s_waitcnt lgkmcnt(0)
	s_barrier
	s_waitcnt lgkmcnt(0)
	; wave barrier
	s_and_saveexec_b64 s[4:5], s[58:59]
	s_cbranch_execz .LBB216_83
; %bb.82:                               ;   in Loop: Header=BB216_81 Depth=1
	v_bcnt_u32_b32 v0, v0, 0
	v_bcnt_u32_b32 v0, v1, v0
	ds_write_b32 v4, v0
.LBB216_83:                             ;   in Loop: Header=BB216_81 Depth=1
	s_or_b64 exec, exec, s[4:5]
	v_cmp_ne_u32_e32 vcc, s55, v58
	v_cndmask_b32_e32 v0, v44, v58, vcc
	v_lshrrev_b32_e32 v0, s51, v0
	v_and_b32_e32 v0, s57, v0
	v_lshlrev_b32_e32 v1, 2, v0
	v_add_lshl_u32 v1, v1, v46, 2
	; wave barrier
	v_add_u32_e32 v7, 16, v1
	ds_read_b32 v6, v1 offset:16
	v_and_b32_e32 v1, 1, v0
	v_add_co_u32_e32 v2, vcc, -1, v1
	v_addc_co_u32_e64 v3, s[4:5], 0, -1, vcc
	v_cmp_ne_u32_e32 vcc, 0, v1
	v_lshlrev_b32_e32 v33, 30, v0
	v_xor_b32_e32 v1, vcc_hi, v3
	v_not_b32_e32 v3, v33
	v_xor_b32_e32 v2, vcc_lo, v2
	v_cmp_gt_i64_e32 vcc, 0, v[32:33]
	v_ashrrev_i32_e32 v3, 31, v3
	v_and_b32_e32 v2, exec_lo, v2
	v_xor_b32_e32 v8, vcc_hi, v3
	v_xor_b32_e32 v3, vcc_lo, v3
	v_lshlrev_b32_e32 v33, 29, v0
	v_and_b32_e32 v2, v2, v3
	v_not_b32_e32 v3, v33
	v_and_b32_e32 v1, exec_hi, v1
	v_cmp_gt_i64_e32 vcc, 0, v[32:33]
	v_ashrrev_i32_e32 v3, 31, v3
	v_and_b32_e32 v1, v1, v8
	v_xor_b32_e32 v8, vcc_hi, v3
	v_xor_b32_e32 v3, vcc_lo, v3
	v_lshlrev_b32_e32 v33, 28, v0
	v_and_b32_e32 v2, v2, v3
	v_not_b32_e32 v3, v33
	v_cmp_gt_i64_e32 vcc, 0, v[32:33]
	v_ashrrev_i32_e32 v3, 31, v3
	v_and_b32_e32 v1, v1, v8
	v_xor_b32_e32 v8, vcc_hi, v3
	v_xor_b32_e32 v3, vcc_lo, v3
	v_lshlrev_b32_e32 v33, 27, v0
	v_and_b32_e32 v2, v2, v3
	v_not_b32_e32 v3, v33
	;; [unrolled: 8-line block ×3, first 2 shown]
	v_cmp_gt_i64_e32 vcc, 0, v[32:33]
	v_ashrrev_i32_e32 v3, 31, v3
	v_and_b32_e32 v1, v1, v8
	v_xor_b32_e32 v8, vcc_hi, v3
	v_xor_b32_e32 v3, vcc_lo, v3
	v_lshlrev_b32_e32 v33, 25, v0
	v_and_b32_e32 v2, v2, v3
	v_cmp_gt_i64_e32 vcc, 0, v[32:33]
	v_not_b32_e32 v3, v33
	v_lshlrev_b32_e32 v33, 24, v0
	v_ashrrev_i32_e32 v3, 31, v3
	v_not_b32_e32 v0, v33
	v_and_b32_e32 v1, v1, v8
	v_xor_b32_e32 v8, vcc_hi, v3
	v_xor_b32_e32 v3, vcc_lo, v3
	v_cmp_gt_i64_e32 vcc, 0, v[32:33]
	v_ashrrev_i32_e32 v0, 31, v0
	v_and_b32_e32 v2, v2, v3
	v_xor_b32_e32 v3, vcc_hi, v0
	v_xor_b32_e32 v0, vcc_lo, v0
	v_and_b32_e32 v1, v1, v8
	v_and_b32_e32 v0, v2, v0
	;; [unrolled: 1-line block ×3, first 2 shown]
	v_mbcnt_lo_u32_b32 v2, v0, 0
	v_mbcnt_hi_u32_b32 v8, v1, v2
	v_cmp_eq_u32_e32 vcc, 0, v8
	v_cmp_ne_u64_e64 s[4:5], 0, v[0:1]
	s_and_b64 s[58:59], s[4:5], vcc
	; wave barrier
	s_and_saveexec_b64 s[4:5], s[58:59]
	s_cbranch_execz .LBB216_85
; %bb.84:                               ;   in Loop: Header=BB216_81 Depth=1
	v_bcnt_u32_b32 v0, v0, 0
	v_bcnt_u32_b32 v0, v1, v0
	s_waitcnt lgkmcnt(0)
	v_add_u32_e32 v0, v6, v0
	ds_write_b32 v7, v0
.LBB216_85:                             ;   in Loop: Header=BB216_81 Depth=1
	s_or_b64 exec, exec, s[4:5]
	v_cmp_ne_u32_e32 vcc, s55, v57
	v_cndmask_b32_e32 v0, v44, v57, vcc
	v_lshrrev_b32_e32 v0, s51, v0
	v_and_b32_e32 v0, s57, v0
	v_lshlrev_b32_e32 v1, 2, v0
	v_add_lshl_u32 v1, v1, v46, 2
	; wave barrier
	v_add_u32_e32 v10, 16, v1
	ds_read_b32 v9, v1 offset:16
	v_and_b32_e32 v1, 1, v0
	v_add_co_u32_e32 v2, vcc, -1, v1
	v_addc_co_u32_e64 v3, s[4:5], 0, -1, vcc
	v_cmp_ne_u32_e32 vcc, 0, v1
	v_lshlrev_b32_e32 v33, 30, v0
	v_xor_b32_e32 v1, vcc_hi, v3
	v_not_b32_e32 v3, v33
	v_xor_b32_e32 v2, vcc_lo, v2
	v_cmp_gt_i64_e32 vcc, 0, v[32:33]
	v_ashrrev_i32_e32 v3, 31, v3
	v_and_b32_e32 v2, exec_lo, v2
	v_xor_b32_e32 v11, vcc_hi, v3
	v_xor_b32_e32 v3, vcc_lo, v3
	v_lshlrev_b32_e32 v33, 29, v0
	v_and_b32_e32 v2, v2, v3
	v_not_b32_e32 v3, v33
	v_and_b32_e32 v1, exec_hi, v1
	v_cmp_gt_i64_e32 vcc, 0, v[32:33]
	v_ashrrev_i32_e32 v3, 31, v3
	v_and_b32_e32 v1, v1, v11
	v_xor_b32_e32 v11, vcc_hi, v3
	v_xor_b32_e32 v3, vcc_lo, v3
	v_lshlrev_b32_e32 v33, 28, v0
	v_and_b32_e32 v2, v2, v3
	v_not_b32_e32 v3, v33
	v_cmp_gt_i64_e32 vcc, 0, v[32:33]
	v_ashrrev_i32_e32 v3, 31, v3
	v_and_b32_e32 v1, v1, v11
	v_xor_b32_e32 v11, vcc_hi, v3
	v_xor_b32_e32 v3, vcc_lo, v3
	v_lshlrev_b32_e32 v33, 27, v0
	v_and_b32_e32 v2, v2, v3
	v_not_b32_e32 v3, v33
	;; [unrolled: 8-line block ×3, first 2 shown]
	v_cmp_gt_i64_e32 vcc, 0, v[32:33]
	v_ashrrev_i32_e32 v3, 31, v3
	v_and_b32_e32 v1, v1, v11
	v_xor_b32_e32 v11, vcc_hi, v3
	v_xor_b32_e32 v3, vcc_lo, v3
	v_lshlrev_b32_e32 v33, 25, v0
	v_and_b32_e32 v2, v2, v3
	v_cmp_gt_i64_e32 vcc, 0, v[32:33]
	v_not_b32_e32 v3, v33
	v_lshlrev_b32_e32 v33, 24, v0
	v_ashrrev_i32_e32 v3, 31, v3
	v_not_b32_e32 v0, v33
	v_and_b32_e32 v1, v1, v11
	v_xor_b32_e32 v11, vcc_hi, v3
	v_xor_b32_e32 v3, vcc_lo, v3
	v_cmp_gt_i64_e32 vcc, 0, v[32:33]
	v_ashrrev_i32_e32 v0, 31, v0
	v_and_b32_e32 v2, v2, v3
	v_xor_b32_e32 v3, vcc_hi, v0
	v_xor_b32_e32 v0, vcc_lo, v0
	v_and_b32_e32 v1, v1, v11
	v_and_b32_e32 v0, v2, v0
	;; [unrolled: 1-line block ×3, first 2 shown]
	v_mbcnt_lo_u32_b32 v2, v0, 0
	v_mbcnt_hi_u32_b32 v11, v1, v2
	v_cmp_eq_u32_e32 vcc, 0, v11
	v_cmp_ne_u64_e64 s[4:5], 0, v[0:1]
	s_and_b64 s[58:59], s[4:5], vcc
	; wave barrier
	s_and_saveexec_b64 s[4:5], s[58:59]
	s_cbranch_execz .LBB216_87
; %bb.86:                               ;   in Loop: Header=BB216_81 Depth=1
	v_bcnt_u32_b32 v0, v0, 0
	v_bcnt_u32_b32 v0, v1, v0
	s_waitcnt lgkmcnt(0)
	v_add_u32_e32 v0, v9, v0
	ds_write_b32 v10, v0
.LBB216_87:                             ;   in Loop: Header=BB216_81 Depth=1
	s_or_b64 exec, exec, s[4:5]
	v_cmp_ne_u32_e32 vcc, s55, v56
	v_cndmask_b32_e32 v0, v44, v56, vcc
	v_lshrrev_b32_e32 v0, s51, v0
	v_and_b32_e32 v0, s57, v0
	v_lshlrev_b32_e32 v1, 2, v0
	v_add_lshl_u32 v1, v1, v46, 2
	; wave barrier
	v_add_u32_e32 v13, 16, v1
	ds_read_b32 v12, v1 offset:16
	v_and_b32_e32 v1, 1, v0
	v_add_co_u32_e32 v2, vcc, -1, v1
	v_addc_co_u32_e64 v3, s[4:5], 0, -1, vcc
	v_cmp_ne_u32_e32 vcc, 0, v1
	v_lshlrev_b32_e32 v33, 30, v0
	v_xor_b32_e32 v1, vcc_hi, v3
	v_not_b32_e32 v3, v33
	v_xor_b32_e32 v2, vcc_lo, v2
	v_cmp_gt_i64_e32 vcc, 0, v[32:33]
	v_ashrrev_i32_e32 v3, 31, v3
	v_and_b32_e32 v2, exec_lo, v2
	v_xor_b32_e32 v14, vcc_hi, v3
	v_xor_b32_e32 v3, vcc_lo, v3
	v_lshlrev_b32_e32 v33, 29, v0
	v_and_b32_e32 v2, v2, v3
	v_not_b32_e32 v3, v33
	v_and_b32_e32 v1, exec_hi, v1
	v_cmp_gt_i64_e32 vcc, 0, v[32:33]
	v_ashrrev_i32_e32 v3, 31, v3
	v_and_b32_e32 v1, v1, v14
	v_xor_b32_e32 v14, vcc_hi, v3
	v_xor_b32_e32 v3, vcc_lo, v3
	v_lshlrev_b32_e32 v33, 28, v0
	v_and_b32_e32 v2, v2, v3
	v_not_b32_e32 v3, v33
	v_cmp_gt_i64_e32 vcc, 0, v[32:33]
	v_ashrrev_i32_e32 v3, 31, v3
	v_and_b32_e32 v1, v1, v14
	v_xor_b32_e32 v14, vcc_hi, v3
	v_xor_b32_e32 v3, vcc_lo, v3
	v_lshlrev_b32_e32 v33, 27, v0
	v_and_b32_e32 v2, v2, v3
	v_not_b32_e32 v3, v33
	;; [unrolled: 8-line block ×3, first 2 shown]
	v_cmp_gt_i64_e32 vcc, 0, v[32:33]
	v_ashrrev_i32_e32 v3, 31, v3
	v_and_b32_e32 v1, v1, v14
	v_xor_b32_e32 v14, vcc_hi, v3
	v_xor_b32_e32 v3, vcc_lo, v3
	v_lshlrev_b32_e32 v33, 25, v0
	v_and_b32_e32 v2, v2, v3
	v_cmp_gt_i64_e32 vcc, 0, v[32:33]
	v_not_b32_e32 v3, v33
	v_lshlrev_b32_e32 v33, 24, v0
	v_ashrrev_i32_e32 v3, 31, v3
	v_not_b32_e32 v0, v33
	v_and_b32_e32 v1, v1, v14
	v_xor_b32_e32 v14, vcc_hi, v3
	v_xor_b32_e32 v3, vcc_lo, v3
	v_cmp_gt_i64_e32 vcc, 0, v[32:33]
	v_ashrrev_i32_e32 v0, 31, v0
	v_and_b32_e32 v2, v2, v3
	v_xor_b32_e32 v3, vcc_hi, v0
	v_xor_b32_e32 v0, vcc_lo, v0
	v_and_b32_e32 v1, v1, v14
	v_and_b32_e32 v0, v2, v0
	;; [unrolled: 1-line block ×3, first 2 shown]
	v_mbcnt_lo_u32_b32 v2, v0, 0
	v_mbcnt_hi_u32_b32 v14, v1, v2
	v_cmp_eq_u32_e32 vcc, 0, v14
	v_cmp_ne_u64_e64 s[4:5], 0, v[0:1]
	s_and_b64 s[58:59], s[4:5], vcc
	; wave barrier
	s_and_saveexec_b64 s[4:5], s[58:59]
	s_cbranch_execz .LBB216_89
; %bb.88:                               ;   in Loop: Header=BB216_81 Depth=1
	v_bcnt_u32_b32 v0, v0, 0
	v_bcnt_u32_b32 v0, v1, v0
	s_waitcnt lgkmcnt(0)
	v_add_u32_e32 v0, v12, v0
	ds_write_b32 v13, v0
.LBB216_89:                             ;   in Loop: Header=BB216_81 Depth=1
	s_or_b64 exec, exec, s[4:5]
	v_cmp_ne_u32_e32 vcc, s55, v55
	v_cndmask_b32_e32 v0, v44, v55, vcc
	v_lshrrev_b32_e32 v0, s51, v0
	v_and_b32_e32 v0, s57, v0
	v_lshlrev_b32_e32 v1, 2, v0
	v_add_lshl_u32 v1, v1, v46, 2
	; wave barrier
	v_add_u32_e32 v36, 16, v1
	ds_read_b32 v15, v1 offset:16
	v_and_b32_e32 v1, 1, v0
	v_add_co_u32_e32 v2, vcc, -1, v1
	v_addc_co_u32_e64 v3, s[4:5], 0, -1, vcc
	v_cmp_ne_u32_e32 vcc, 0, v1
	v_lshlrev_b32_e32 v33, 30, v0
	v_xor_b32_e32 v1, vcc_hi, v3
	v_not_b32_e32 v3, v33
	v_xor_b32_e32 v2, vcc_lo, v2
	v_cmp_gt_i64_e32 vcc, 0, v[32:33]
	v_ashrrev_i32_e32 v3, 31, v3
	v_and_b32_e32 v1, exec_hi, v1
	v_xor_b32_e32 v33, vcc_hi, v3
	v_and_b32_e32 v2, exec_lo, v2
	v_xor_b32_e32 v3, vcc_lo, v3
	v_and_b32_e32 v1, v1, v33
	v_lshlrev_b32_e32 v33, 29, v0
	v_and_b32_e32 v2, v2, v3
	v_not_b32_e32 v3, v33
	v_cmp_gt_i64_e32 vcc, 0, v[32:33]
	v_ashrrev_i32_e32 v3, 31, v3
	v_xor_b32_e32 v33, vcc_hi, v3
	v_xor_b32_e32 v3, vcc_lo, v3
	v_and_b32_e32 v1, v1, v33
	v_lshlrev_b32_e32 v33, 28, v0
	v_and_b32_e32 v2, v2, v3
	v_not_b32_e32 v3, v33
	v_cmp_gt_i64_e32 vcc, 0, v[32:33]
	v_ashrrev_i32_e32 v3, 31, v3
	v_xor_b32_e32 v33, vcc_hi, v3
	v_xor_b32_e32 v3, vcc_lo, v3
	v_and_b32_e32 v1, v1, v33
	v_lshlrev_b32_e32 v33, 27, v0
	v_and_b32_e32 v2, v2, v3
	v_not_b32_e32 v3, v33
	v_cmp_gt_i64_e32 vcc, 0, v[32:33]
	v_ashrrev_i32_e32 v3, 31, v3
	v_xor_b32_e32 v33, vcc_hi, v3
	v_xor_b32_e32 v3, vcc_lo, v3
	v_and_b32_e32 v1, v1, v33
	v_lshlrev_b32_e32 v33, 26, v0
	v_and_b32_e32 v2, v2, v3
	v_not_b32_e32 v3, v33
	v_cmp_gt_i64_e32 vcc, 0, v[32:33]
	v_ashrrev_i32_e32 v3, 31, v3
	v_xor_b32_e32 v33, vcc_hi, v3
	v_xor_b32_e32 v3, vcc_lo, v3
	v_and_b32_e32 v1, v1, v33
	v_lshlrev_b32_e32 v33, 25, v0
	v_and_b32_e32 v2, v2, v3
	v_not_b32_e32 v3, v33
	v_cmp_gt_i64_e32 vcc, 0, v[32:33]
	v_ashrrev_i32_e32 v3, 31, v3
	v_xor_b32_e32 v33, vcc_hi, v3
	v_and_b32_e32 v1, v1, v33
	v_lshlrev_b32_e32 v33, 24, v0
	v_not_b32_e32 v0, v33
	v_xor_b32_e32 v3, vcc_lo, v3
	v_cmp_gt_i64_e32 vcc, 0, v[32:33]
	v_ashrrev_i32_e32 v0, 31, v0
	v_and_b32_e32 v2, v2, v3
	v_xor_b32_e32 v3, vcc_hi, v0
	v_xor_b32_e32 v0, vcc_lo, v0
	v_and_b32_e32 v0, v2, v0
	v_and_b32_e32 v1, v1, v3
	v_mbcnt_lo_u32_b32 v2, v0, 0
	v_mbcnt_hi_u32_b32 v37, v1, v2
	v_cmp_eq_u32_e32 vcc, 0, v37
	v_cmp_ne_u64_e64 s[4:5], 0, v[0:1]
	s_and_b64 s[58:59], s[4:5], vcc
	; wave barrier
	s_and_saveexec_b64 s[4:5], s[58:59]
	s_cbranch_execz .LBB216_91
; %bb.90:                               ;   in Loop: Header=BB216_81 Depth=1
	v_bcnt_u32_b32 v0, v0, 0
	v_bcnt_u32_b32 v0, v1, v0
	s_waitcnt lgkmcnt(0)
	v_add_u32_e32 v0, v15, v0
	ds_write_b32 v36, v0
.LBB216_91:                             ;   in Loop: Header=BB216_81 Depth=1
	s_or_b64 exec, exec, s[4:5]
	v_cmp_ne_u32_e32 vcc, s55, v54
	v_cndmask_b32_e32 v0, v44, v54, vcc
	v_lshrrev_b32_e32 v0, s51, v0
	v_and_b32_e32 v0, s57, v0
	v_lshlrev_b32_e32 v1, 2, v0
	v_add_lshl_u32 v1, v1, v46, 2
	; wave barrier
	v_add_u32_e32 v39, 16, v1
	ds_read_b32 v38, v1 offset:16
	v_and_b32_e32 v1, 1, v0
	v_add_co_u32_e32 v2, vcc, -1, v1
	v_addc_co_u32_e64 v3, s[4:5], 0, -1, vcc
	v_cmp_ne_u32_e32 vcc, 0, v1
	v_lshlrev_b32_e32 v33, 30, v0
	v_xor_b32_e32 v1, vcc_hi, v3
	v_not_b32_e32 v3, v33
	v_xor_b32_e32 v2, vcc_lo, v2
	v_cmp_gt_i64_e32 vcc, 0, v[32:33]
	v_ashrrev_i32_e32 v3, 31, v3
	v_and_b32_e32 v1, exec_hi, v1
	v_xor_b32_e32 v33, vcc_hi, v3
	v_and_b32_e32 v2, exec_lo, v2
	v_xor_b32_e32 v3, vcc_lo, v3
	v_and_b32_e32 v1, v1, v33
	v_lshlrev_b32_e32 v33, 29, v0
	v_and_b32_e32 v2, v2, v3
	v_not_b32_e32 v3, v33
	v_cmp_gt_i64_e32 vcc, 0, v[32:33]
	v_ashrrev_i32_e32 v3, 31, v3
	v_xor_b32_e32 v33, vcc_hi, v3
	v_xor_b32_e32 v3, vcc_lo, v3
	v_and_b32_e32 v1, v1, v33
	v_lshlrev_b32_e32 v33, 28, v0
	v_and_b32_e32 v2, v2, v3
	v_not_b32_e32 v3, v33
	v_cmp_gt_i64_e32 vcc, 0, v[32:33]
	v_ashrrev_i32_e32 v3, 31, v3
	v_xor_b32_e32 v33, vcc_hi, v3
	;; [unrolled: 8-line block ×5, first 2 shown]
	v_and_b32_e32 v1, v1, v33
	v_lshlrev_b32_e32 v33, 24, v0
	v_not_b32_e32 v0, v33
	v_xor_b32_e32 v3, vcc_lo, v3
	v_cmp_gt_i64_e32 vcc, 0, v[32:33]
	v_ashrrev_i32_e32 v0, 31, v0
	v_and_b32_e32 v2, v2, v3
	v_xor_b32_e32 v3, vcc_hi, v0
	v_xor_b32_e32 v0, vcc_lo, v0
	v_and_b32_e32 v0, v2, v0
	v_and_b32_e32 v1, v1, v3
	v_mbcnt_lo_u32_b32 v2, v0, 0
	v_mbcnt_hi_u32_b32 v40, v1, v2
	v_cmp_eq_u32_e32 vcc, 0, v40
	v_cmp_ne_u64_e64 s[4:5], 0, v[0:1]
	s_and_b64 s[58:59], s[4:5], vcc
	; wave barrier
	s_and_saveexec_b64 s[4:5], s[58:59]
	s_cbranch_execz .LBB216_93
; %bb.92:                               ;   in Loop: Header=BB216_81 Depth=1
	v_bcnt_u32_b32 v0, v0, 0
	v_bcnt_u32_b32 v0, v1, v0
	s_waitcnt lgkmcnt(0)
	v_add_u32_e32 v0, v38, v0
	ds_write_b32 v39, v0
.LBB216_93:                             ;   in Loop: Header=BB216_81 Depth=1
	s_or_b64 exec, exec, s[4:5]
	v_cmp_ne_u32_e32 vcc, s55, v53
	v_cndmask_b32_e32 v0, v44, v53, vcc
	v_lshrrev_b32_e32 v0, s51, v0
	v_and_b32_e32 v0, s57, v0
	v_lshlrev_b32_e32 v1, 2, v0
	v_add_lshl_u32 v1, v1, v46, 2
	; wave barrier
	v_add_u32_e32 v42, 16, v1
	ds_read_b32 v41, v1 offset:16
	v_and_b32_e32 v1, 1, v0
	v_add_co_u32_e32 v2, vcc, -1, v1
	v_addc_co_u32_e64 v3, s[4:5], 0, -1, vcc
	v_cmp_ne_u32_e32 vcc, 0, v1
	v_lshlrev_b32_e32 v33, 30, v0
	v_xor_b32_e32 v1, vcc_hi, v3
	v_not_b32_e32 v3, v33
	v_xor_b32_e32 v2, vcc_lo, v2
	v_cmp_gt_i64_e32 vcc, 0, v[32:33]
	v_ashrrev_i32_e32 v3, 31, v3
	v_and_b32_e32 v1, exec_hi, v1
	v_xor_b32_e32 v33, vcc_hi, v3
	v_and_b32_e32 v2, exec_lo, v2
	v_xor_b32_e32 v3, vcc_lo, v3
	v_and_b32_e32 v1, v1, v33
	v_lshlrev_b32_e32 v33, 29, v0
	v_and_b32_e32 v2, v2, v3
	v_not_b32_e32 v3, v33
	v_cmp_gt_i64_e32 vcc, 0, v[32:33]
	v_ashrrev_i32_e32 v3, 31, v3
	v_xor_b32_e32 v33, vcc_hi, v3
	v_xor_b32_e32 v3, vcc_lo, v3
	v_and_b32_e32 v1, v1, v33
	v_lshlrev_b32_e32 v33, 28, v0
	v_and_b32_e32 v2, v2, v3
	v_not_b32_e32 v3, v33
	v_cmp_gt_i64_e32 vcc, 0, v[32:33]
	v_ashrrev_i32_e32 v3, 31, v3
	v_xor_b32_e32 v33, vcc_hi, v3
	v_xor_b32_e32 v3, vcc_lo, v3
	v_and_b32_e32 v1, v1, v33
	v_lshlrev_b32_e32 v33, 27, v0
	v_and_b32_e32 v2, v2, v3
	v_not_b32_e32 v3, v33
	v_cmp_gt_i64_e32 vcc, 0, v[32:33]
	v_ashrrev_i32_e32 v3, 31, v3
	v_xor_b32_e32 v33, vcc_hi, v3
	v_xor_b32_e32 v3, vcc_lo, v3
	v_and_b32_e32 v1, v1, v33
	v_lshlrev_b32_e32 v33, 26, v0
	v_and_b32_e32 v2, v2, v3
	v_not_b32_e32 v3, v33
	v_cmp_gt_i64_e32 vcc, 0, v[32:33]
	v_ashrrev_i32_e32 v3, 31, v3
	v_xor_b32_e32 v33, vcc_hi, v3
	v_xor_b32_e32 v3, vcc_lo, v3
	v_and_b32_e32 v1, v1, v33
	v_lshlrev_b32_e32 v33, 25, v0
	v_and_b32_e32 v2, v2, v3
	v_not_b32_e32 v3, v33
	v_cmp_gt_i64_e32 vcc, 0, v[32:33]
	v_ashrrev_i32_e32 v3, 31, v3
	v_xor_b32_e32 v33, vcc_hi, v3
	v_and_b32_e32 v1, v1, v33
	v_lshlrev_b32_e32 v33, 24, v0
	v_not_b32_e32 v0, v33
	v_xor_b32_e32 v3, vcc_lo, v3
	v_cmp_gt_i64_e32 vcc, 0, v[32:33]
	v_ashrrev_i32_e32 v0, 31, v0
	v_and_b32_e32 v2, v2, v3
	v_xor_b32_e32 v3, vcc_hi, v0
	v_xor_b32_e32 v0, vcc_lo, v0
	v_and_b32_e32 v0, v2, v0
	v_and_b32_e32 v1, v1, v3
	v_mbcnt_lo_u32_b32 v2, v0, 0
	v_mbcnt_hi_u32_b32 v43, v1, v2
	v_cmp_eq_u32_e32 vcc, 0, v43
	v_cmp_ne_u64_e64 s[4:5], 0, v[0:1]
	s_and_b64 s[58:59], s[4:5], vcc
	; wave barrier
	s_and_saveexec_b64 s[4:5], s[58:59]
	s_cbranch_execz .LBB216_95
; %bb.94:                               ;   in Loop: Header=BB216_81 Depth=1
	v_bcnt_u32_b32 v0, v0, 0
	v_bcnt_u32_b32 v0, v1, v0
	s_waitcnt lgkmcnt(0)
	v_add_u32_e32 v0, v41, v0
	ds_write_b32 v42, v0
.LBB216_95:                             ;   in Loop: Header=BB216_81 Depth=1
	s_or_b64 exec, exec, s[4:5]
	v_cmp_ne_u32_e32 vcc, s55, v52
	v_cndmask_b32_e32 v0, v44, v52, vcc
	v_lshrrev_b32_e32 v0, s51, v0
	v_and_b32_e32 v0, s57, v0
	v_lshlrev_b32_e32 v1, 2, v0
	v_add_lshl_u32 v1, v1, v46, 2
	; wave barrier
	v_add_u32_e32 v61, 16, v1
	ds_read_b32 v60, v1 offset:16
	v_and_b32_e32 v1, 1, v0
	v_add_co_u32_e32 v2, vcc, -1, v1
	v_addc_co_u32_e64 v3, s[4:5], 0, -1, vcc
	v_cmp_ne_u32_e32 vcc, 0, v1
	v_lshlrev_b32_e32 v33, 30, v0
	v_xor_b32_e32 v1, vcc_hi, v3
	v_not_b32_e32 v3, v33
	v_xor_b32_e32 v2, vcc_lo, v2
	v_cmp_gt_i64_e32 vcc, 0, v[32:33]
	v_ashrrev_i32_e32 v3, 31, v3
	v_and_b32_e32 v1, exec_hi, v1
	v_xor_b32_e32 v33, vcc_hi, v3
	v_and_b32_e32 v2, exec_lo, v2
	v_xor_b32_e32 v3, vcc_lo, v3
	v_and_b32_e32 v1, v1, v33
	v_lshlrev_b32_e32 v33, 29, v0
	v_and_b32_e32 v2, v2, v3
	v_not_b32_e32 v3, v33
	v_cmp_gt_i64_e32 vcc, 0, v[32:33]
	v_ashrrev_i32_e32 v3, 31, v3
	v_xor_b32_e32 v33, vcc_hi, v3
	v_xor_b32_e32 v3, vcc_lo, v3
	v_and_b32_e32 v1, v1, v33
	v_lshlrev_b32_e32 v33, 28, v0
	v_and_b32_e32 v2, v2, v3
	v_not_b32_e32 v3, v33
	v_cmp_gt_i64_e32 vcc, 0, v[32:33]
	v_ashrrev_i32_e32 v3, 31, v3
	v_xor_b32_e32 v33, vcc_hi, v3
	;; [unrolled: 8-line block ×5, first 2 shown]
	v_and_b32_e32 v1, v1, v33
	v_lshlrev_b32_e32 v33, 24, v0
	v_not_b32_e32 v0, v33
	v_xor_b32_e32 v3, vcc_lo, v3
	v_cmp_gt_i64_e32 vcc, 0, v[32:33]
	v_ashrrev_i32_e32 v0, 31, v0
	v_and_b32_e32 v2, v2, v3
	v_xor_b32_e32 v3, vcc_hi, v0
	v_xor_b32_e32 v0, vcc_lo, v0
	v_and_b32_e32 v0, v2, v0
	v_and_b32_e32 v1, v1, v3
	v_mbcnt_lo_u32_b32 v2, v0, 0
	v_mbcnt_hi_u32_b32 v67, v1, v2
	v_cmp_eq_u32_e32 vcc, 0, v67
	v_cmp_ne_u64_e64 s[4:5], 0, v[0:1]
	s_and_b64 s[58:59], s[4:5], vcc
	; wave barrier
	s_and_saveexec_b64 s[4:5], s[58:59]
	s_cbranch_execz .LBB216_97
; %bb.96:                               ;   in Loop: Header=BB216_81 Depth=1
	v_bcnt_u32_b32 v0, v0, 0
	v_bcnt_u32_b32 v0, v1, v0
	s_waitcnt lgkmcnt(0)
	v_add_u32_e32 v0, v60, v0
	ds_write_b32 v61, v0
.LBB216_97:                             ;   in Loop: Header=BB216_81 Depth=1
	s_or_b64 exec, exec, s[4:5]
	; wave barrier
	s_waitcnt lgkmcnt(0)
	s_barrier
	ds_read2_b32 v[2:3], v87 offset0:4 offset1:5
	ds_read2_b32 v[0:1], v45 offset0:2 offset1:3
	s_waitcnt lgkmcnt(1)
	v_add_u32_e32 v33, v3, v2
	s_waitcnt lgkmcnt(0)
	v_add3_u32 v1, v33, v0, v1
	s_nop 1
	v_mov_b32_dpp v33, v1 row_shr:1 row_mask:0xf bank_mask:0xf
	v_cndmask_b32_e64 v33, v33, 0, s[16:17]
	v_add_u32_e32 v1, v33, v1
	s_nop 1
	v_mov_b32_dpp v33, v1 row_shr:2 row_mask:0xf bank_mask:0xf
	v_cndmask_b32_e64 v33, 0, v33, s[18:19]
	v_add_u32_e32 v1, v1, v33
	s_nop 1
	v_mov_b32_dpp v33, v1 row_shr:4 row_mask:0xf bank_mask:0xf
	v_cndmask_b32_e64 v33, 0, v33, s[20:21]
	v_add_u32_e32 v1, v1, v33
	s_nop 1
	v_mov_b32_dpp v33, v1 row_shr:8 row_mask:0xf bank_mask:0xf
	v_cndmask_b32_e64 v33, 0, v33, s[22:23]
	v_add_u32_e32 v1, v1, v33
	s_nop 1
	v_mov_b32_dpp v33, v1 row_bcast:15 row_mask:0xf bank_mask:0xf
	v_cndmask_b32_e64 v33, v33, 0, s[24:25]
	v_add_u32_e32 v1, v1, v33
	s_nop 1
	v_mov_b32_dpp v33, v1 row_bcast:31 row_mask:0xf bank_mask:0xf
	v_cndmask_b32_e64 v33, 0, v33, s[26:27]
	v_add_u32_e32 v1, v1, v33
	s_and_saveexec_b64 s[4:5], s[28:29]
	s_cbranch_execz .LBB216_99
; %bb.98:                               ;   in Loop: Header=BB216_81 Depth=1
	ds_write_b32 v48, v1
.LBB216_99:                             ;   in Loop: Header=BB216_81 Depth=1
	s_or_b64 exec, exec, s[4:5]
	s_waitcnt lgkmcnt(0)
	s_barrier
	s_and_saveexec_b64 s[4:5], s[30:31]
	s_cbranch_execz .LBB216_101
; %bb.100:                              ;   in Loop: Header=BB216_81 Depth=1
	ds_read_b32 v33, v86
	s_waitcnt lgkmcnt(0)
	s_nop 0
	v_mov_b32_dpp v62, v33 row_shr:1 row_mask:0xf bank_mask:0xf
	v_cndmask_b32_e64 v62, v62, 0, s[40:41]
	v_add_u32_e32 v33, v62, v33
	s_nop 1
	v_mov_b32_dpp v62, v33 row_shr:2 row_mask:0xf bank_mask:0xf
	v_cndmask_b32_e64 v62, 0, v62, s[42:43]
	v_add_u32_e32 v33, v33, v62
	ds_write_b32 v86, v33
.LBB216_101:                            ;   in Loop: Header=BB216_81 Depth=1
	s_or_b64 exec, exec, s[4:5]
	v_mov_b32_e32 v33, 0
	s_waitcnt lgkmcnt(0)
	s_barrier
	s_and_saveexec_b64 s[4:5], s[34:35]
	s_cbranch_execz .LBB216_103
; %bb.102:                              ;   in Loop: Header=BB216_81 Depth=1
	ds_read_b32 v33, v49
.LBB216_103:                            ;   in Loop: Header=BB216_81 Depth=1
	s_or_b64 exec, exec, s[4:5]
	s_waitcnt lgkmcnt(0)
	v_add_u32_e32 v1, v33, v1
	ds_bpermute_b32 v1, v47, v1
	s_cmp_gt_u32 s51, 23
	s_waitcnt lgkmcnt(0)
	v_cndmask_b32_e64 v1, v1, v33, s[36:37]
	v_cndmask_b32_e64 v1, v1, 0, s[38:39]
	v_add_u32_e32 v2, v1, v2
	v_add_u32_e32 v3, v2, v3
	;; [unrolled: 1-line block ×3, first 2 shown]
	ds_write2_b32 v87, v1, v2 offset0:4 offset1:5
	ds_write2_b32 v45, v3, v0 offset0:2 offset1:3
	s_waitcnt lgkmcnt(0)
	s_barrier
	ds_read_b32 v0, v4
	ds_read_b32 v1, v7
	;; [unrolled: 1-line block ×8, first 2 shown]
	s_waitcnt lgkmcnt(7)
	v_add_u32_e32 v33, v0, v5
	s_waitcnt lgkmcnt(6)
	v_add3_u32 v61, v8, v6, v1
	s_waitcnt lgkmcnt(5)
	v_add3_u32 v62, v11, v9, v2
	;; [unrolled: 2-line block ×7, first 2 shown]
	s_cbranch_scc0 .LBB216_80
; %bb.104:
                                        ; implicit-def: $vgpr43
                                        ; implicit-def: $vgpr41
                                        ; implicit-def: $vgpr39
                                        ; implicit-def: $vgpr37
                                        ; implicit-def: $vgpr14_vgpr15
                                        ; implicit-def: $vgpr10_vgpr11
                                        ; implicit-def: $vgpr6_vgpr7
                                        ; implicit-def: $vgpr2_vgpr3
                                        ; implicit-def: $sgpr51
                                        ; implicit-def: $sgpr56
.LBB216_105:
	v_lshlrev_b32_e32 v0, 2, v33
	s_barrier
	ds_write_b32 v0, v59
	v_lshlrev_b32_e32 v0, 2, v61
	ds_write_b32 v0, v58
	v_lshlrev_b32_e32 v0, 2, v62
	;; [unrolled: 2-line block ×7, first 2 shown]
	v_lshlrev_b32_e32 v6, 2, v84
	ds_write_b32 v0, v52
	s_waitcnt lgkmcnt(0)
	s_barrier
	ds_read2_b32 v[0:1], v6 offset1:1
	ds_read2_b32 v[2:3], v6 offset0:2 offset1:3
	ds_read2_b32 v[4:5], v6 offset0:4 offset1:5
	ds_read2_b32 v[6:7], v6 offset0:6 offset1:7
	v_bfrev_b32_e32 v36, -2
	v_lshlrev_b32_e32 v8, 3, v33
	v_lshlrev_b32_e32 v32, 3, v84
	s_waitcnt lgkmcnt(3)
	v_cmp_gt_i32_e32 vcc, 0, v1
	v_cndmask_b32_e64 v33, v36, 0, vcc
	v_cmp_gt_i32_e32 vcc, 0, v0
	v_lshlrev_b32_e32 v9, 3, v61
	v_lshlrev_b32_e32 v10, 3, v62
	;; [unrolled: 1-line block ×7, first 2 shown]
	v_cndmask_b32_e64 v37, v36, 0, vcc
	v_xor_b32_e32 v59, v33, v1
	s_waitcnt lgkmcnt(2)
	v_cmp_gt_i32_e32 vcc, 0, v3
	s_waitcnt lgkmcnt(0)
	s_barrier
	ds_write_b64 v8, v[30:31]
	ds_write_b64 v9, v[28:29]
	;; [unrolled: 1-line block ×8, first 2 shown]
	s_waitcnt lgkmcnt(0)
	s_barrier
	ds_read2_b64 v[18:21], v32 offset1:1
	ds_read2_b64 v[22:25], v32 offset0:2 offset1:3
	ds_read2_b64 v[26:29], v32 offset0:4 offset1:5
	;; [unrolled: 1-line block ×3, first 2 shown]
	v_xor_b32_e32 v58, v37, v0
	v_cndmask_b32_e64 v0, v36, 0, vcc
	v_cmp_gt_i32_e32 vcc, 0, v2
	v_cndmask_b32_e64 v1, v36, 0, vcc
	v_cmp_gt_i32_e32 vcc, 0, v5
	v_xor_b32_e32 v61, v0, v3
	v_cndmask_b32_e64 v0, v36, 0, vcc
	v_cmp_gt_i32_e32 vcc, 0, v4
	v_xor_b32_e32 v60, v1, v2
	;; [unrolled: 3-line block ×4, first 2 shown]
	v_cndmask_b32_e64 v0, v36, 0, vcc
	v_xor_b32_e32 v0, v0, v6
	v_xor_b32_e32 v1, v1, v7
.LBB216_106:
	s_waitcnt lgkmcnt(0)
	s_barrier
	ds_write2_b32 v75, v58, v59 offset1:1
	ds_write2_b32 v75, v60, v61 offset0:2 offset1:3
	ds_write2_b32 v75, v62, v63 offset0:4 offset1:5
	;; [unrolled: 1-line block ×3, first 2 shown]
	s_waitcnt lgkmcnt(0)
	s_barrier
	ds_read_b32 v8, v68 offset:1024
	ds_read_b32 v7, v69 offset:2048
	;; [unrolled: 1-line block ×7, first 2 shown]
	v_mad_u64_u32 v[0:1], s[4:5], v34, s46, 0
	v_mov_b32_e32 v10, v1
	v_mad_u64_u32 v[10:11], s[4:5], v34, s47, v[10:11]
	v_mov_b32_e32 v1, v10
	v_lshlrev_b64 v[0:1], 2, v[0:1]
	v_mov_b32_e32 v9, s52
	v_add_co_u32_e32 v0, vcc, s33, v0
	v_addc_co_u32_e32 v1, vcc, v9, v1, vcc
	s_and_saveexec_b64 s[4:5], s[0:1]
	s_cbranch_execnz .LBB216_125
; %bb.107:
	s_or_b64 exec, exec, s[4:5]
	s_and_saveexec_b64 s[4:5], s[2:3]
	s_cbranch_execnz .LBB216_126
.LBB216_108:
	s_or_b64 exec, exec, s[4:5]
	s_and_saveexec_b64 s[4:5], s[44:45]
	s_cbranch_execnz .LBB216_127
.LBB216_109:
	s_or_b64 exec, exec, s[4:5]
	s_and_saveexec_b64 s[4:5], s[6:7]
	s_cbranch_execnz .LBB216_128
.LBB216_110:
	s_or_b64 exec, exec, s[4:5]
	s_and_saveexec_b64 s[4:5], s[8:9]
	s_cbranch_execnz .LBB216_129
.LBB216_111:
	s_or_b64 exec, exec, s[4:5]
	s_and_saveexec_b64 s[4:5], s[10:11]
	s_cbranch_execnz .LBB216_130
.LBB216_112:
	s_or_b64 exec, exec, s[4:5]
	s_and_saveexec_b64 s[4:5], s[12:13]
	s_cbranch_execnz .LBB216_131
.LBB216_113:
	s_or_b64 exec, exec, s[4:5]
	s_and_saveexec_b64 s[4:5], s[14:15]
	s_cbranch_execz .LBB216_115
.LBB216_114:
	s_waitcnt lgkmcnt(1)
	v_mov_b32_e32 v3, 0x1c00
	v_mad_u64_u32 v[0:1], s[16:17], s46, v3, v[0:1]
	s_mul_i32 s16, s47, 0x1c00
	v_add_u32_e32 v1, s16, v1
	s_waitcnt lgkmcnt(0)
	global_store_dword v[0:1], v2, off
.LBB216_115:
	s_or_b64 exec, exec, s[4:5]
	s_waitcnt lgkmcnt(0)
	s_barrier
	ds_write2_b64 v85, v[18:19], v[20:21] offset1:1
	ds_write2_b64 v85, v[22:23], v[24:25] offset0:2 offset1:3
	ds_write2_b64 v85, v[26:27], v[28:29] offset0:4 offset1:5
	;; [unrolled: 1-line block ×3, first 2 shown]
	s_waitcnt lgkmcnt(0)
	s_barrier
	ds_read_b64 v[14:15], v77 offset:2048
	ds_read_b64 v[12:13], v78 offset:4096
	;; [unrolled: 1-line block ×7, first 2 shown]
	v_mad_u64_u32 v[4:5], s[4:5], v34, s48, 0
	v_mov_b32_e32 v16, v5
	v_mad_u64_u32 v[16:17], s[4:5], v34, s49, v[16:17]
	v_mov_b32_e32 v5, v16
	v_lshlrev_b64 v[4:5], 3, v[4:5]
	v_mov_b32_e32 v16, s54
	v_add_co_u32_e32 v4, vcc, s53, v4
	v_addc_co_u32_e32 v5, vcc, v16, v5, vcc
	s_and_saveexec_b64 s[4:5], s[0:1]
	s_cbranch_execnz .LBB216_132
; %bb.116:
	s_or_b64 exec, exec, s[4:5]
	s_and_saveexec_b64 s[0:1], s[2:3]
	s_cbranch_execnz .LBB216_133
.LBB216_117:
	s_or_b64 exec, exec, s[0:1]
	s_and_saveexec_b64 s[0:1], s[44:45]
	s_cbranch_execnz .LBB216_134
.LBB216_118:
	s_or_b64 exec, exec, s[0:1]
	s_and_saveexec_b64 s[0:1], s[6:7]
	s_cbranch_execnz .LBB216_135
.LBB216_119:
	s_or_b64 exec, exec, s[0:1]
	s_and_saveexec_b64 s[0:1], s[8:9]
	s_cbranch_execnz .LBB216_136
.LBB216_120:
	s_or_b64 exec, exec, s[0:1]
	s_and_saveexec_b64 s[0:1], s[10:11]
	s_cbranch_execnz .LBB216_137
.LBB216_121:
	s_or_b64 exec, exec, s[0:1]
	s_and_saveexec_b64 s[0:1], s[12:13]
	s_cbranch_execnz .LBB216_138
.LBB216_122:
	s_or_b64 exec, exec, s[0:1]
	s_and_saveexec_b64 s[0:1], s[14:15]
	s_cbranch_execz .LBB216_124
.LBB216_123:
	s_waitcnt lgkmcnt(1)
	v_mov_b32_e32 v2, 0x3800
	v_mad_u64_u32 v[2:3], s[0:1], s48, v2, v[4:5]
	s_mul_i32 s0, s49, 0x3800
	v_add_u32_e32 v3, s0, v3
	s_waitcnt lgkmcnt(0)
	global_store_dwordx2 v[2:3], v[0:1], off
.LBB216_124:
	s_endpgm
.LBB216_125:
	ds_read_b32 v9, v35
	s_waitcnt lgkmcnt(0)
	global_store_dword v[0:1], v9, off
	s_or_b64 exec, exec, s[4:5]
	s_and_saveexec_b64 s[4:5], s[2:3]
	s_cbranch_execz .LBB216_108
.LBB216_126:
	s_lshl_b64 s[16:17], s[46:47], 10
	v_mov_b32_e32 v9, s17
	v_add_co_u32_e32 v10, vcc, s16, v0
	v_addc_co_u32_e32 v11, vcc, v1, v9, vcc
	s_waitcnt lgkmcnt(6)
	global_store_dword v[10:11], v8, off
	s_or_b64 exec, exec, s[4:5]
	s_and_saveexec_b64 s[4:5], s[44:45]
	s_cbranch_execz .LBB216_109
.LBB216_127:
	s_lshl_b64 s[16:17], s[46:47], 11
	v_mov_b32_e32 v9, s17
	s_waitcnt lgkmcnt(6)
	v_add_co_u32_e32 v8, vcc, s16, v0
	v_addc_co_u32_e32 v9, vcc, v1, v9, vcc
	s_waitcnt lgkmcnt(5)
	global_store_dword v[8:9], v7, off
	s_or_b64 exec, exec, s[4:5]
	s_and_saveexec_b64 s[4:5], s[6:7]
	s_cbranch_execz .LBB216_110
.LBB216_128:
	s_waitcnt lgkmcnt(5)
	v_mov_b32_e32 v7, 0xc00
	v_mad_u64_u32 v[8:9], s[16:17], s46, v7, v[0:1]
	s_mul_i32 s16, s47, 0xc00
	v_add_u32_e32 v9, s16, v9
	s_waitcnt lgkmcnt(4)
	global_store_dword v[8:9], v6, off
	s_or_b64 exec, exec, s[4:5]
	s_and_saveexec_b64 s[4:5], s[8:9]
	s_cbranch_execz .LBB216_111
.LBB216_129:
	s_lshl_b64 s[16:17], s[46:47], 12
	s_waitcnt lgkmcnt(5)
	v_mov_b32_e32 v7, s17
	s_waitcnt lgkmcnt(4)
	v_add_co_u32_e32 v6, vcc, s16, v0
	v_addc_co_u32_e32 v7, vcc, v1, v7, vcc
	s_waitcnt lgkmcnt(3)
	global_store_dword v[6:7], v5, off
	s_or_b64 exec, exec, s[4:5]
	s_and_saveexec_b64 s[4:5], s[10:11]
	s_cbranch_execz .LBB216_112
.LBB216_130:
	s_waitcnt lgkmcnt(3)
	v_mov_b32_e32 v5, 0x1400
	v_mad_u64_u32 v[6:7], s[16:17], s46, v5, v[0:1]
	s_mul_i32 s16, s47, 0x1400
	v_add_u32_e32 v7, s16, v7
	s_waitcnt lgkmcnt(2)
	global_store_dword v[6:7], v4, off
	s_or_b64 exec, exec, s[4:5]
	s_and_saveexec_b64 s[4:5], s[12:13]
	s_cbranch_execz .LBB216_113
.LBB216_131:
	s_waitcnt lgkmcnt(2)
	v_mov_b32_e32 v4, 0x1800
	v_mad_u64_u32 v[4:5], s[16:17], s46, v4, v[0:1]
	s_mul_i32 s16, s47, 0x1800
	v_add_u32_e32 v5, s16, v5
	s_waitcnt lgkmcnt(1)
	global_store_dword v[4:5], v3, off
	s_or_b64 exec, exec, s[4:5]
	s_and_saveexec_b64 s[4:5], s[14:15]
	s_cbranch_execnz .LBB216_114
	s_branch .LBB216_115
.LBB216_132:
	ds_read_b64 v[16:17], v76
	s_waitcnt lgkmcnt(0)
	global_store_dwordx2 v[4:5], v[16:17], off
	s_or_b64 exec, exec, s[4:5]
	s_and_saveexec_b64 s[0:1], s[2:3]
	s_cbranch_execz .LBB216_117
.LBB216_133:
	s_lshl_b64 s[2:3], s[48:49], 11
	v_mov_b32_e32 v17, s3
	v_add_co_u32_e32 v16, vcc, s2, v4
	v_addc_co_u32_e32 v17, vcc, v5, v17, vcc
	s_waitcnt lgkmcnt(6)
	global_store_dwordx2 v[16:17], v[14:15], off
	s_or_b64 exec, exec, s[0:1]
	s_and_saveexec_b64 s[0:1], s[44:45]
	s_cbranch_execz .LBB216_118
.LBB216_134:
	s_lshl_b64 s[2:3], s[48:49], 12
	s_waitcnt lgkmcnt(6)
	v_mov_b32_e32 v15, s3
	v_add_co_u32_e32 v14, vcc, s2, v4
	v_addc_co_u32_e32 v15, vcc, v5, v15, vcc
	s_waitcnt lgkmcnt(5)
	global_store_dwordx2 v[14:15], v[12:13], off
	s_or_b64 exec, exec, s[0:1]
	s_and_saveexec_b64 s[0:1], s[6:7]
	s_cbranch_execz .LBB216_119
.LBB216_135:
	s_waitcnt lgkmcnt(5)
	v_mov_b32_e32 v12, 0x1800
	v_mad_u64_u32 v[12:13], s[2:3], s48, v12, v[4:5]
	s_mul_i32 s2, s49, 0x1800
	v_add_u32_e32 v13, s2, v13
	s_waitcnt lgkmcnt(4)
	global_store_dwordx2 v[12:13], v[10:11], off
	s_or_b64 exec, exec, s[0:1]
	s_and_saveexec_b64 s[0:1], s[8:9]
	s_cbranch_execz .LBB216_120
.LBB216_136:
	s_lshl_b64 s[2:3], s[48:49], 13
	s_waitcnt lgkmcnt(4)
	v_mov_b32_e32 v11, s3
	v_add_co_u32_e32 v10, vcc, s2, v4
	v_addc_co_u32_e32 v11, vcc, v5, v11, vcc
	s_waitcnt lgkmcnt(3)
	global_store_dwordx2 v[10:11], v[8:9], off
	s_or_b64 exec, exec, s[0:1]
	s_and_saveexec_b64 s[0:1], s[10:11]
	s_cbranch_execz .LBB216_121
.LBB216_137:
	s_waitcnt lgkmcnt(3)
	v_mov_b32_e32 v8, 0x2800
	v_mad_u64_u32 v[8:9], s[2:3], s48, v8, v[4:5]
	s_mul_i32 s2, s49, 0x2800
	v_add_u32_e32 v9, s2, v9
	s_waitcnt lgkmcnt(2)
	global_store_dwordx2 v[8:9], v[6:7], off
	s_or_b64 exec, exec, s[0:1]
	s_and_saveexec_b64 s[0:1], s[12:13]
	s_cbranch_execz .LBB216_122
.LBB216_138:
	s_waitcnt lgkmcnt(2)
	v_mov_b32_e32 v6, 0x3000
	v_mad_u64_u32 v[6:7], s[2:3], s48, v6, v[4:5]
	s_mul_i32 s2, s49, 0x3000
	v_add_u32_e32 v7, s2, v7
	s_waitcnt lgkmcnt(1)
	global_store_dwordx2 v[6:7], v[2:3], off
	s_or_b64 exec, exec, s[0:1]
	s_and_saveexec_b64 s[0:1], s[14:15]
	s_cbranch_execnz .LBB216_123
	s_branch .LBB216_124
	.section	.rodata,"a",@progbits
	.p2align	6, 0x0
	.amdhsa_kernel _ZN2at6native18radixSortKVInPlaceILin1ELin1ELi256ELi8EflmEEvNS_4cuda6detail10TensorInfoIT3_T5_EES6_S6_S6_NS4_IT4_S6_EES6_b
		.amdhsa_group_segment_fixed_size 16896
		.amdhsa_private_segment_fixed_size 0
		.amdhsa_kernarg_size 1128
		.amdhsa_user_sgpr_count 6
		.amdhsa_user_sgpr_private_segment_buffer 1
		.amdhsa_user_sgpr_dispatch_ptr 0
		.amdhsa_user_sgpr_queue_ptr 0
		.amdhsa_user_sgpr_kernarg_segment_ptr 1
		.amdhsa_user_sgpr_dispatch_id 0
		.amdhsa_user_sgpr_flat_scratch_init 0
		.amdhsa_user_sgpr_kernarg_preload_length 0
		.amdhsa_user_sgpr_kernarg_preload_offset 0
		.amdhsa_user_sgpr_private_segment_size 0
		.amdhsa_uses_dynamic_stack 0
		.amdhsa_system_sgpr_private_segment_wavefront_offset 0
		.amdhsa_system_sgpr_workgroup_id_x 1
		.amdhsa_system_sgpr_workgroup_id_y 1
		.amdhsa_system_sgpr_workgroup_id_z 1
		.amdhsa_system_sgpr_workgroup_info 0
		.amdhsa_system_vgpr_workitem_id 2
		.amdhsa_next_free_vgpr 116
		.amdhsa_next_free_sgpr 62
		.amdhsa_accum_offset 116
		.amdhsa_reserve_vcc 1
		.amdhsa_reserve_flat_scratch 0
		.amdhsa_float_round_mode_32 0
		.amdhsa_float_round_mode_16_64 0
		.amdhsa_float_denorm_mode_32 3
		.amdhsa_float_denorm_mode_16_64 3
		.amdhsa_dx10_clamp 1
		.amdhsa_ieee_mode 1
		.amdhsa_fp16_overflow 0
		.amdhsa_tg_split 0
		.amdhsa_exception_fp_ieee_invalid_op 0
		.amdhsa_exception_fp_denorm_src 0
		.amdhsa_exception_fp_ieee_div_zero 0
		.amdhsa_exception_fp_ieee_overflow 0
		.amdhsa_exception_fp_ieee_underflow 0
		.amdhsa_exception_fp_ieee_inexact 0
		.amdhsa_exception_int_div_zero 0
	.end_amdhsa_kernel
	.section	.text._ZN2at6native18radixSortKVInPlaceILin1ELin1ELi256ELi8EflmEEvNS_4cuda6detail10TensorInfoIT3_T5_EES6_S6_S6_NS4_IT4_S6_EES6_b,"axG",@progbits,_ZN2at6native18radixSortKVInPlaceILin1ELin1ELi256ELi8EflmEEvNS_4cuda6detail10TensorInfoIT3_T5_EES6_S6_S6_NS4_IT4_S6_EES6_b,comdat
.Lfunc_end216:
	.size	_ZN2at6native18radixSortKVInPlaceILin1ELin1ELi256ELi8EflmEEvNS_4cuda6detail10TensorInfoIT3_T5_EES6_S6_S6_NS4_IT4_S6_EES6_b, .Lfunc_end216-_ZN2at6native18radixSortKVInPlaceILin1ELin1ELi256ELi8EflmEEvNS_4cuda6detail10TensorInfoIT3_T5_EES6_S6_S6_NS4_IT4_S6_EES6_b
                                        ; -- End function
	.section	.AMDGPU.csdata,"",@progbits
; Kernel info:
; codeLenInByte = 14968
; NumSgprs: 66
; NumVgprs: 116
; NumAgprs: 0
; TotalNumVgprs: 116
; ScratchSize: 0
; MemoryBound: 0
; FloatMode: 240
; IeeeMode: 1
; LDSByteSize: 16896 bytes/workgroup (compile time only)
; SGPRBlocks: 8
; VGPRBlocks: 14
; NumSGPRsForWavesPerEU: 66
; NumVGPRsForWavesPerEU: 116
; AccumOffset: 116
; Occupancy: 3
; WaveLimiterHint : 1
; COMPUTE_PGM_RSRC2:SCRATCH_EN: 0
; COMPUTE_PGM_RSRC2:USER_SGPR: 6
; COMPUTE_PGM_RSRC2:TRAP_HANDLER: 0
; COMPUTE_PGM_RSRC2:TGID_X_EN: 1
; COMPUTE_PGM_RSRC2:TGID_Y_EN: 1
; COMPUTE_PGM_RSRC2:TGID_Z_EN: 1
; COMPUTE_PGM_RSRC2:TIDIG_COMP_CNT: 2
; COMPUTE_PGM_RSRC3_GFX90A:ACCUM_OFFSET: 28
; COMPUTE_PGM_RSRC3_GFX90A:TG_SPLIT: 0
	.section	.text._ZN2at6native18radixSortKVInPlaceILin1ELin1ELi128ELi8EflmEEvNS_4cuda6detail10TensorInfoIT3_T5_EES6_S6_S6_NS4_IT4_S6_EES6_b,"axG",@progbits,_ZN2at6native18radixSortKVInPlaceILin1ELin1ELi128ELi8EflmEEvNS_4cuda6detail10TensorInfoIT3_T5_EES6_S6_S6_NS4_IT4_S6_EES6_b,comdat
	.protected	_ZN2at6native18radixSortKVInPlaceILin1ELin1ELi128ELi8EflmEEvNS_4cuda6detail10TensorInfoIT3_T5_EES6_S6_S6_NS4_IT4_S6_EES6_b ; -- Begin function _ZN2at6native18radixSortKVInPlaceILin1ELin1ELi128ELi8EflmEEvNS_4cuda6detail10TensorInfoIT3_T5_EES6_S6_S6_NS4_IT4_S6_EES6_b
	.globl	_ZN2at6native18radixSortKVInPlaceILin1ELin1ELi128ELi8EflmEEvNS_4cuda6detail10TensorInfoIT3_T5_EES6_S6_S6_NS4_IT4_S6_EES6_b
	.p2align	8
	.type	_ZN2at6native18radixSortKVInPlaceILin1ELin1ELi128ELi8EflmEEvNS_4cuda6detail10TensorInfoIT3_T5_EES6_S6_S6_NS4_IT4_S6_EES6_b,@function
_ZN2at6native18radixSortKVInPlaceILin1ELin1ELi128ELi8EflmEEvNS_4cuda6detail10TensorInfoIT3_T5_EES6_S6_S6_NS4_IT4_S6_EES6_b: ; @_ZN2at6native18radixSortKVInPlaceILin1ELin1ELi128ELi8EflmEEvNS_4cuda6detail10TensorInfoIT3_T5_EES6_S6_S6_NS4_IT4_S6_EES6_b
; %bb.0:
	s_load_dwordx4 s[12:15], s[4:5], 0x1a0
	s_load_dwordx2 s[0:1], s[4:5], 0x368
	s_add_u32 s48, s4, 0x368
	s_addc_u32 s49, s5, 0
	s_waitcnt lgkmcnt(0)
	v_mov_b32_e32 v2, s12
	s_mul_i32 s1, s1, s8
	s_add_i32 s1, s1, s7
	s_mul_i32 s0, s1, s0
	v_mov_b32_e32 v3, s13
	s_add_i32 s6, s0, s6
	s_mov_b32 s7, 0
	v_cmp_ge_u64_e32 vcc, s[6:7], v[2:3]
	s_cbranch_vccnz .LBB217_124
; %bb.1:
	s_load_dword s0, s[4:5], 0x198
	s_load_dwordx2 s[44:45], s[4:5], 0x1b0
	s_mov_b64 s[2:3], 0
	s_mov_b64 s[8:9], s[6:7]
	s_waitcnt lgkmcnt(0)
	s_cmp_lt_i32 s0, 2
	s_cbranch_scc1 .LBB217_9
; %bb.2:
	s_mov_b32 s10, 0
	s_add_i32 s15, s0, 1
	s_add_i32 s0, s0, -1
	s_mov_b32 s1, s10
	s_lshl_b64 s[0:1], s[0:1], 3
	s_add_u32 s0, s0, s4
	s_addc_u32 s1, s1, s5
	s_add_u32 s12, s0, 8
	s_addc_u32 s13, s1, 0
	s_mov_b64 s[16:17], s[6:7]
.LBB217_3:                              ; =>This Inner Loop Header: Depth=1
	s_load_dwordx2 s[18:19], s[12:13], 0x0
	s_waitcnt lgkmcnt(0)
	s_or_b64 s[0:1], s[16:17], s[18:19]
	s_mov_b32 s11, s1
	s_cmp_lg_u64 s[10:11], 0
	s_cbranch_scc0 .LBB217_8
; %bb.4:                                ;   in Loop: Header=BB217_3 Depth=1
	v_cvt_f32_u32_e32 v1, s18
	v_cvt_f32_u32_e32 v2, s19
	s_sub_u32 s0, 0, s18
	s_subb_u32 s1, 0, s19
	v_mac_f32_e32 v1, 0x4f800000, v2
	v_rcp_f32_e32 v1, v1
	v_mul_f32_e32 v1, 0x5f7ffffc, v1
	v_mul_f32_e32 v2, 0x2f800000, v1
	v_trunc_f32_e32 v2, v2
	v_mac_f32_e32 v1, 0xcf800000, v2
	v_cvt_u32_f32_e32 v2, v2
	v_cvt_u32_f32_e32 v1, v1
	v_readfirstlane_b32 s8, v2
	v_readfirstlane_b32 s9, v1
	s_mul_i32 s11, s0, s8
	s_mul_hi_u32 s21, s0, s9
	s_mul_i32 s20, s1, s9
	s_add_i32 s11, s21, s11
	s_mul_i32 s22, s0, s9
	s_add_i32 s11, s11, s20
	s_mul_hi_u32 s20, s9, s11
	s_mul_i32 s21, s9, s11
	s_mul_hi_u32 s9, s9, s22
	s_add_u32 s9, s9, s21
	s_addc_u32 s20, 0, s20
	s_mul_hi_u32 s23, s8, s22
	s_mul_i32 s22, s8, s22
	s_add_u32 s9, s9, s22
	s_mul_hi_u32 s21, s8, s11
	s_addc_u32 s9, s20, s23
	s_addc_u32 s20, s21, 0
	s_mul_i32 s11, s8, s11
	s_add_u32 s9, s9, s11
	s_addc_u32 s11, 0, s20
	v_add_co_u32_e32 v1, vcc, s9, v1
	s_cmp_lg_u64 vcc, 0
	s_addc_u32 s8, s8, s11
	v_readfirstlane_b32 s11, v1
	s_mul_i32 s9, s0, s8
	s_mul_hi_u32 s20, s0, s11
	s_add_i32 s9, s20, s9
	s_mul_i32 s1, s1, s11
	s_add_i32 s9, s9, s1
	s_mul_i32 s0, s0, s11
	s_mul_hi_u32 s20, s8, s0
	s_mul_i32 s21, s8, s0
	s_mul_i32 s23, s11, s9
	s_mul_hi_u32 s0, s11, s0
	s_mul_hi_u32 s22, s11, s9
	s_add_u32 s0, s0, s23
	s_addc_u32 s11, 0, s22
	s_add_u32 s0, s0, s21
	s_mul_hi_u32 s1, s8, s9
	s_addc_u32 s0, s11, s20
	s_addc_u32 s1, s1, 0
	s_mul_i32 s9, s8, s9
	s_add_u32 s0, s0, s9
	s_addc_u32 s1, 0, s1
	v_add_co_u32_e32 v1, vcc, s0, v1
	s_cmp_lg_u64 vcc, 0
	s_addc_u32 s0, s8, s1
	v_readfirstlane_b32 s9, v1
	s_mul_i32 s8, s16, s0
	s_mul_hi_u32 s11, s16, s9
	s_mul_hi_u32 s1, s16, s0
	s_add_u32 s8, s11, s8
	s_addc_u32 s1, 0, s1
	s_mul_hi_u32 s20, s17, s9
	s_mul_i32 s9, s17, s9
	s_add_u32 s8, s8, s9
	s_mul_hi_u32 s11, s17, s0
	s_addc_u32 s1, s1, s20
	s_addc_u32 s8, s11, 0
	s_mul_i32 s0, s17, s0
	s_add_u32 s11, s1, s0
	s_addc_u32 s8, 0, s8
	s_mul_i32 s0, s18, s8
	s_mul_hi_u32 s1, s18, s11
	s_add_i32 s0, s1, s0
	s_mul_i32 s1, s19, s11
	s_add_i32 s9, s0, s1
	s_mul_i32 s1, s18, s11
	v_mov_b32_e32 v1, s1
	s_sub_i32 s0, s17, s9
	v_sub_co_u32_e32 v1, vcc, s16, v1
	s_cmp_lg_u64 vcc, 0
	s_subb_u32 s20, s0, s19
	v_subrev_co_u32_e64 v2, s[0:1], s18, v1
	s_cmp_lg_u64 s[0:1], 0
	s_subb_u32 s0, s20, 0
	s_cmp_ge_u32 s0, s19
	v_readfirstlane_b32 s20, v2
	s_cselect_b32 s1, -1, 0
	s_cmp_ge_u32 s20, s18
	s_cselect_b32 s20, -1, 0
	s_cmp_eq_u32 s0, s19
	s_cselect_b32 s0, s20, s1
	s_add_u32 s1, s11, 1
	s_addc_u32 s20, s8, 0
	s_add_u32 s21, s11, 2
	s_addc_u32 s22, s8, 0
	s_cmp_lg_u32 s0, 0
	s_cselect_b32 s0, s21, s1
	s_cselect_b32 s1, s22, s20
	s_cmp_lg_u64 vcc, 0
	s_subb_u32 s9, s17, s9
	s_cmp_ge_u32 s9, s19
	v_readfirstlane_b32 s21, v1
	s_cselect_b32 s20, -1, 0
	s_cmp_ge_u32 s21, s18
	s_cselect_b32 s21, -1, 0
	s_cmp_eq_u32 s9, s19
	s_cselect_b32 s9, s21, s20
	s_cmp_lg_u32 s9, 0
	s_cselect_b32 s9, s1, s8
	s_cselect_b32 s8, s0, s11
	s_cbranch_execnz .LBB217_6
.LBB217_5:                              ;   in Loop: Header=BB217_3 Depth=1
	v_cvt_f32_u32_e32 v1, s18
	s_sub_i32 s0, 0, s18
	v_rcp_iflag_f32_e32 v1, v1
	v_mul_f32_e32 v1, 0x4f7ffffe, v1
	v_cvt_u32_f32_e32 v1, v1
	v_readfirstlane_b32 s1, v1
	s_mul_i32 s0, s0, s1
	s_mul_hi_u32 s0, s1, s0
	s_add_i32 s1, s1, s0
	s_mul_hi_u32 s0, s16, s1
	s_mul_i32 s8, s0, s18
	s_sub_i32 s8, s16, s8
	s_add_i32 s1, s0, 1
	s_sub_i32 s9, s8, s18
	s_cmp_ge_u32 s8, s18
	s_cselect_b32 s0, s1, s0
	s_cselect_b32 s8, s9, s8
	s_add_i32 s1, s0, 1
	s_cmp_ge_u32 s8, s18
	s_cselect_b32 s8, s1, s0
	s_mov_b32 s9, s10
.LBB217_6:                              ;   in Loop: Header=BB217_3 Depth=1
	s_mul_i32 s0, s8, s19
	s_mul_hi_u32 s1, s8, s18
	s_add_i32 s11, s1, s0
	s_load_dwordx2 s[0:1], s[12:13], 0xc8
	s_mul_i32 s19, s9, s18
	s_add_i32 s11, s11, s19
	s_mul_i32 s18, s8, s18
	s_sub_u32 s16, s16, s18
	s_subb_u32 s11, s17, s11
	s_waitcnt lgkmcnt(0)
	s_mul_i32 s11, s0, s11
	s_mul_hi_u32 s17, s0, s16
	s_add_i32 s11, s17, s11
	s_mul_i32 s1, s1, s16
	s_add_i32 s11, s11, s1
	s_mul_i32 s0, s0, s16
	s_add_u32 s2, s0, s2
	s_addc_u32 s3, s11, s3
	s_add_i32 s15, s15, -1
	s_add_u32 s12, s12, -8
	s_addc_u32 s13, s13, -1
	s_cmp_gt_u32 s15, 2
	s_cbranch_scc0 .LBB217_9
; %bb.7:                                ;   in Loop: Header=BB217_3 Depth=1
	s_mov_b64 s[16:17], s[8:9]
	s_branch .LBB217_3
.LBB217_8:                              ;   in Loop: Header=BB217_3 Depth=1
                                        ; implicit-def: $sgpr8_sgpr9
	s_branch .LBB217_5
.LBB217_9:
	s_load_dword s0, s[4:5], 0x350
	s_load_dwordx2 s[10:11], s[4:5], 0xd0
	s_mov_b64 s[16:17], 0
	s_waitcnt lgkmcnt(0)
	s_cmp_lt_i32 s0, 2
	s_cbranch_scc1 .LBB217_17
; %bb.10:
	s_mov_b32 s12, 0
	s_add_i32 s15, s0, 1
	s_add_i32 s0, s0, -1
	s_mov_b32 s1, s12
	s_lshl_b64 s[0:1], s[0:1], 3
	s_add_u32 s0, s0, s4
	s_addc_u32 s1, s1, s5
	s_add_u32 s20, s0, 0x1c0
	s_addc_u32 s21, s1, 0
.LBB217_11:                             ; =>This Inner Loop Header: Depth=1
	s_load_dwordx2 s[22:23], s[20:21], 0x0
	s_waitcnt lgkmcnt(0)
	s_or_b64 s[0:1], s[6:7], s[22:23]
	s_mov_b32 s13, s1
	s_cmp_lg_u64 s[12:13], 0
	s_cbranch_scc0 .LBB217_16
; %bb.12:                               ;   in Loop: Header=BB217_11 Depth=1
	v_cvt_f32_u32_e32 v1, s22
	v_cvt_f32_u32_e32 v2, s23
	s_sub_u32 s0, 0, s22
	s_subb_u32 s1, 0, s23
	v_mac_f32_e32 v1, 0x4f800000, v2
	v_rcp_f32_e32 v1, v1
	v_mul_f32_e32 v1, 0x5f7ffffc, v1
	v_mul_f32_e32 v2, 0x2f800000, v1
	v_trunc_f32_e32 v2, v2
	v_mac_f32_e32 v1, 0xcf800000, v2
	v_cvt_u32_f32_e32 v2, v2
	v_cvt_u32_f32_e32 v1, v1
	v_readfirstlane_b32 s13, v2
	v_readfirstlane_b32 s18, v1
	s_mul_i32 s19, s0, s13
	s_mul_hi_u32 s25, s0, s18
	s_mul_i32 s24, s1, s18
	s_add_i32 s19, s25, s19
	s_mul_i32 s26, s0, s18
	s_add_i32 s19, s19, s24
	s_mul_hi_u32 s24, s18, s19
	s_mul_i32 s25, s18, s19
	s_mul_hi_u32 s18, s18, s26
	s_add_u32 s18, s18, s25
	s_addc_u32 s24, 0, s24
	s_mul_hi_u32 s27, s13, s26
	s_mul_i32 s26, s13, s26
	s_add_u32 s18, s18, s26
	s_mul_hi_u32 s25, s13, s19
	s_addc_u32 s18, s24, s27
	s_addc_u32 s24, s25, 0
	s_mul_i32 s19, s13, s19
	s_add_u32 s18, s18, s19
	s_addc_u32 s19, 0, s24
	v_add_co_u32_e32 v1, vcc, s18, v1
	s_cmp_lg_u64 vcc, 0
	s_addc_u32 s13, s13, s19
	v_readfirstlane_b32 s19, v1
	s_mul_i32 s18, s0, s13
	s_mul_hi_u32 s24, s0, s19
	s_add_i32 s18, s24, s18
	s_mul_i32 s1, s1, s19
	s_add_i32 s18, s18, s1
	s_mul_i32 s0, s0, s19
	s_mul_hi_u32 s24, s13, s0
	s_mul_i32 s25, s13, s0
	s_mul_i32 s27, s19, s18
	s_mul_hi_u32 s0, s19, s0
	s_mul_hi_u32 s26, s19, s18
	s_add_u32 s0, s0, s27
	s_addc_u32 s19, 0, s26
	s_add_u32 s0, s0, s25
	s_mul_hi_u32 s1, s13, s18
	s_addc_u32 s0, s19, s24
	s_addc_u32 s1, s1, 0
	s_mul_i32 s18, s13, s18
	s_add_u32 s0, s0, s18
	s_addc_u32 s1, 0, s1
	v_add_co_u32_e32 v1, vcc, s0, v1
	s_cmp_lg_u64 vcc, 0
	s_addc_u32 s0, s13, s1
	v_readfirstlane_b32 s18, v1
	s_mul_i32 s13, s6, s0
	s_mul_hi_u32 s19, s6, s18
	s_mul_hi_u32 s1, s6, s0
	s_add_u32 s13, s19, s13
	s_addc_u32 s1, 0, s1
	s_mul_hi_u32 s24, s7, s18
	s_mul_i32 s18, s7, s18
	s_add_u32 s13, s13, s18
	s_mul_hi_u32 s19, s7, s0
	s_addc_u32 s1, s1, s24
	s_addc_u32 s13, s19, 0
	s_mul_i32 s0, s7, s0
	s_add_u32 s18, s1, s0
	s_addc_u32 s13, 0, s13
	s_mul_i32 s0, s22, s13
	s_mul_hi_u32 s1, s22, s18
	s_add_i32 s0, s1, s0
	s_mul_i32 s1, s23, s18
	s_add_i32 s19, s0, s1
	s_mul_i32 s1, s22, s18
	v_mov_b32_e32 v1, s1
	s_sub_i32 s0, s7, s19
	v_sub_co_u32_e32 v1, vcc, s6, v1
	s_cmp_lg_u64 vcc, 0
	s_subb_u32 s24, s0, s23
	v_subrev_co_u32_e64 v2, s[0:1], s22, v1
	s_cmp_lg_u64 s[0:1], 0
	s_subb_u32 s0, s24, 0
	s_cmp_ge_u32 s0, s23
	v_readfirstlane_b32 s24, v2
	s_cselect_b32 s1, -1, 0
	s_cmp_ge_u32 s24, s22
	s_cselect_b32 s24, -1, 0
	s_cmp_eq_u32 s0, s23
	s_cselect_b32 s0, s24, s1
	s_add_u32 s1, s18, 1
	s_addc_u32 s24, s13, 0
	s_add_u32 s25, s18, 2
	s_addc_u32 s26, s13, 0
	s_cmp_lg_u32 s0, 0
	s_cselect_b32 s0, s25, s1
	s_cselect_b32 s1, s26, s24
	s_cmp_lg_u64 vcc, 0
	s_subb_u32 s19, s7, s19
	s_cmp_ge_u32 s19, s23
	v_readfirstlane_b32 s25, v1
	s_cselect_b32 s24, -1, 0
	s_cmp_ge_u32 s25, s22
	s_cselect_b32 s25, -1, 0
	s_cmp_eq_u32 s19, s23
	s_cselect_b32 s19, s25, s24
	s_cmp_lg_u32 s19, 0
	s_cselect_b32 s19, s1, s13
	s_cselect_b32 s18, s0, s18
	s_cbranch_execnz .LBB217_14
.LBB217_13:                             ;   in Loop: Header=BB217_11 Depth=1
	v_cvt_f32_u32_e32 v1, s22
	s_sub_i32 s0, 0, s22
	s_mov_b32 s19, s12
	v_rcp_iflag_f32_e32 v1, v1
	v_mul_f32_e32 v1, 0x4f7ffffe, v1
	v_cvt_u32_f32_e32 v1, v1
	v_readfirstlane_b32 s1, v1
	s_mul_i32 s0, s0, s1
	s_mul_hi_u32 s0, s1, s0
	s_add_i32 s1, s1, s0
	s_mul_hi_u32 s0, s6, s1
	s_mul_i32 s13, s0, s22
	s_sub_i32 s13, s6, s13
	s_add_i32 s1, s0, 1
	s_sub_i32 s18, s13, s22
	s_cmp_ge_u32 s13, s22
	s_cselect_b32 s0, s1, s0
	s_cselect_b32 s13, s18, s13
	s_add_i32 s1, s0, 1
	s_cmp_ge_u32 s13, s22
	s_cselect_b32 s18, s1, s0
.LBB217_14:                             ;   in Loop: Header=BB217_11 Depth=1
	s_mul_i32 s0, s18, s23
	s_mul_hi_u32 s1, s18, s22
	s_add_i32 s13, s1, s0
	s_load_dwordx2 s[0:1], s[20:21], 0xc8
	s_mul_i32 s23, s19, s22
	s_add_i32 s13, s13, s23
	s_mul_i32 s22, s18, s22
	s_sub_u32 s6, s6, s22
	s_subb_u32 s7, s7, s13
	s_waitcnt lgkmcnt(0)
	s_mul_i32 s7, s0, s7
	s_mul_hi_u32 s13, s0, s6
	s_add_i32 s7, s13, s7
	s_mul_i32 s1, s1, s6
	s_add_i32 s7, s7, s1
	s_mul_i32 s0, s0, s6
	s_add_u32 s16, s0, s16
	s_addc_u32 s17, s7, s17
	s_add_i32 s15, s15, -1
	s_add_u32 s20, s20, -8
	s_addc_u32 s21, s21, -1
	s_cmp_gt_u32 s15, 2
	s_cbranch_scc0 .LBB217_18
; %bb.15:                               ;   in Loop: Header=BB217_11 Depth=1
	s_mov_b64 s[6:7], s[18:19]
	s_branch .LBB217_11
.LBB217_16:                             ;   in Loop: Header=BB217_11 Depth=1
                                        ; implicit-def: $sgpr18_sgpr19
	s_branch .LBB217_13
.LBB217_17:
	s_mov_b64 s[18:19], s[6:7]
.LBB217_18:
	s_mul_i32 s0, s10, s9
	s_load_dword s9, s[4:5], 0x360
	s_load_dwordx2 s[6:7], s[4:5], 0x0
	s_mul_hi_u32 s1, s10, s8
	s_add_i32 s0, s1, s0
	s_mul_i32 s1, s11, s8
	s_add_i32 s1, s0, s1
	s_mul_i32 s0, s10, s8
	s_waitcnt lgkmcnt(0)
	s_bitcmp1_b32 s9, 0
	s_cselect_b64 s[34:35], -1, 0
	s_lshl_b64 s[0:1], s[0:1], 2
	s_add_u32 s6, s6, s0
	v_bfrev_b32_e32 v1, -2
	s_addc_u32 s7, s7, s1
	s_lshl_b64 s[0:1], s[2:3], 2
	s_add_u32 s33, s6, s0
	v_cndmask_b32_e64 v1, v1, -1, s[34:35]
	v_and_b32_e32 v34, 0x3ff, v0
	s_addc_u32 s50, s7, s1
	v_mov_b32_e32 v2, v1
	v_mov_b32_e32 v3, v1
	;; [unrolled: 1-line block ×6, first 2 shown]
	v_cmp_gt_u32_e64 s[0:1], s14, v34
	v_mov_b32_e32 v8, v1
	s_and_saveexec_b64 s[2:3], s[0:1]
	s_cbranch_execz .LBB217_20
; %bb.19:
	v_mad_u64_u32 v[8:9], s[6:7], v34, s44, 0
	v_mov_b32_e32 v10, v9
	v_mad_u64_u32 v[10:11], s[6:7], v34, s45, v[10:11]
	v_mov_b32_e32 v9, v10
	v_lshlrev_b64 v[8:9], 2, v[8:9]
	v_mov_b32_e32 v10, s50
	v_add_co_u32_e32 v8, vcc, s33, v8
	v_addc_co_u32_e32 v9, vcc, v10, v9, vcc
	global_load_dword v8, v[8:9], off
.LBB217_20:
	s_or_b64 exec, exec, s[2:3]
	v_add_u32_e32 v24, 0x80, v34
	v_cmp_gt_u32_e64 s[2:3], s14, v24
	s_and_saveexec_b64 s[6:7], s[2:3]
	s_cbranch_execz .LBB217_22
; %bb.21:
	v_mad_u64_u32 v[10:11], s[8:9], v24, s44, 0
	v_mov_b32_e32 v12, v11
	v_mad_u64_u32 v[12:13], s[8:9], v24, s45, v[12:13]
	v_mov_b32_e32 v11, v12
	v_lshlrev_b64 v[10:11], 2, v[10:11]
	v_mov_b32_e32 v1, s50
	v_add_co_u32_e32 v10, vcc, s33, v10
	v_addc_co_u32_e32 v11, vcc, v1, v11, vcc
	global_load_dword v1, v[10:11], off
.LBB217_22:
	s_or_b64 exec, exec, s[6:7]
	v_add_u32_e32 v23, 0x100, v34
	v_cmp_gt_u32_e64 s[42:43], s14, v23
	;; [unrolled: 16-line block ×5, first 2 shown]
	s_and_saveexec_b64 s[12:13], s[10:11]
	s_cbranch_execz .LBB217_30
; %bb.29:
	v_mad_u64_u32 v[10:11], s[20:21], v19, s44, 0
	v_mov_b32_e32 v12, v11
	v_mad_u64_u32 v[12:13], s[20:21], v19, s45, v[12:13]
	v_mov_b32_e32 v11, v12
	v_lshlrev_b64 v[10:11], 2, v[10:11]
	v_mov_b32_e32 v5, s50
	v_add_co_u32_e32 v10, vcc, s33, v10
	v_addc_co_u32_e32 v11, vcc, v5, v11, vcc
	global_load_dword v5, v[10:11], off
.LBB217_30:
	s_or_b64 exec, exec, s[12:13]
	s_load_dwordx2 s[22:23], s[4:5], 0x288
	s_load_dwordx2 s[20:21], s[4:5], 0x1b8
	v_add_u32_e32 v20, 0x300, v34
	v_cmp_gt_u32_e64 s[12:13], s14, v20
	s_and_saveexec_b64 s[24:25], s[12:13]
	s_cbranch_execz .LBB217_32
; %bb.31:
	v_mad_u64_u32 v[10:11], s[26:27], v20, s44, 0
	v_mov_b32_e32 v6, v11
	v_mad_u64_u32 v[12:13], s[26:27], v20, s45, v[6:7]
	v_mov_b32_e32 v11, v12
	v_lshlrev_b64 v[10:11], 2, v[10:11]
	v_mov_b32_e32 v6, s50
	v_add_co_u32_e32 v10, vcc, s33, v10
	v_addc_co_u32_e32 v11, vcc, v6, v11, vcc
	global_load_dword v6, v[10:11], off
.LBB217_32:
	s_or_b64 exec, exec, s[24:25]
	v_add_u32_e32 v18, 0x380, v34
	v_cmp_gt_u32_e64 s[14:15], s14, v18
	s_and_saveexec_b64 s[24:25], s[14:15]
	s_cbranch_execz .LBB217_34
; %bb.33:
	v_mad_u64_u32 v[10:11], s[26:27], v18, s44, 0
	v_mov_b32_e32 v12, v11
	v_mad_u64_u32 v[12:13], s[26:27], v18, s45, v[12:13]
	v_mov_b32_e32 v11, v12
	v_lshlrev_b64 v[10:11], 2, v[10:11]
	v_mov_b32_e32 v7, s50
	v_add_co_u32_e32 v10, vcc, s33, v10
	v_addc_co_u32_e32 v11, vcc, v7, v11, vcc
	global_load_dword v7, v[10:11], off
.LBB217_34:
	s_or_b64 exec, exec, s[24:25]
	v_lshrrev_b32_e32 v9, 5, v34
	v_add_u32_e32 v32, v9, v34
	v_lshlrev_b32_e32 v35, 2, v32
	s_waitcnt vmcnt(0)
	ds_write_b32 v35, v8
	v_lshrrev_b32_e32 v8, 5, v24
	v_add_u32_e32 v31, v8, v34
	v_lshlrev_b32_e32 v68, 2, v31
	ds_write_b32 v68, v1 offset:512
	v_lshrrev_b32_e32 v1, 5, v23
	v_add_u32_e32 v30, v1, v34
	v_lshrrev_b32_e32 v1, 5, v22
	v_add_u32_e32 v29, v1, v34
	;; [unrolled: 2-line block ×3, first 2 shown]
	v_lshrrev_b32_e32 v1, 5, v19
	v_lshlrev_b32_e32 v69, 2, v30
	v_add_u32_e32 v27, v1, v34
	v_lshrrev_b32_e32 v1, 5, v20
	s_waitcnt lgkmcnt(0)
	s_mul_i32 s19, s22, s19
	s_mul_hi_u32 s24, s22, s18
	ds_write_b32 v69, v2 offset:1024
	v_add_u32_e32 v25, v1, v34
	v_lshrrev_b32_e32 v1, 5, v18
	v_lshlrev_b32_e32 v84, 3, v34
	v_lshrrev_b32_e32 v2, 2, v34
	s_add_i32 s19, s24, s19
	s_mul_i32 s23, s23, s18
	v_add_u32_e32 v1, v1, v34
	v_add_u32_e32 v26, v2, v84
	s_add_i32 s19, s19, s23
	s_mul_i32 s18, s22, s18
	v_lshlrev_b32_e32 v70, 2, v29
	v_lshlrev_b32_e32 v71, 2, v28
	;; [unrolled: 1-line block ×6, first 2 shown]
	s_lshl_b64 s[18:19], s[18:19], 3
	ds_write_b32 v70, v3 offset:1536
	ds_write_b32 v71, v4 offset:2048
	;; [unrolled: 1-line block ×5, first 2 shown]
	s_waitcnt lgkmcnt(0)
	s_barrier
	ds_read2_b32 v[42:43], v75 offset1:1
	ds_read2_b32 v[40:41], v75 offset0:2 offset1:3
	ds_read2_b32 v[38:39], v75 offset0:4 offset1:5
	ds_read2_b32 v[36:37], v75 offset0:6 offset1:7
	s_add_u32 s18, s20, s18
	s_addc_u32 s19, s21, s19
	s_lshl_b64 s[16:17], s[16:17], 3
	s_load_dwordx2 s[46:47], s[4:5], 0x358
	s_add_u32 s51, s18, s16
	s_mov_b32 s16, 0
	s_addc_u32 s52, s19, s17
	s_mov_b32 s17, s16
	s_mov_b32 s18, s16
	;; [unrolled: 1-line block ×15, first 2 shown]
	v_pk_mov_b32 v[2:3], s[16:17], s[16:17] op_sel:[0,1]
	v_pk_mov_b32 v[4:5], s[18:19], s[18:19] op_sel:[0,1]
	;; [unrolled: 1-line block ×8, first 2 shown]
	v_pk_mov_b32 v[2:3], 0, 0
	s_waitcnt lgkmcnt(0)
	s_barrier
	s_and_saveexec_b64 s[4:5], s[0:1]
	s_cbranch_execnz .LBB217_71
; %bb.35:
	s_or_b64 exec, exec, s[4:5]
	s_and_saveexec_b64 s[4:5], s[2:3]
	s_cbranch_execnz .LBB217_72
.LBB217_36:
	s_or_b64 exec, exec, s[4:5]
	s_and_saveexec_b64 s[4:5], s[42:43]
	s_cbranch_execnz .LBB217_73
.LBB217_37:
	s_or_b64 exec, exec, s[4:5]
	s_and_saveexec_b64 s[4:5], s[6:7]
	s_cbranch_execnz .LBB217_74
.LBB217_38:
	s_or_b64 exec, exec, s[4:5]
	s_and_saveexec_b64 s[4:5], s[8:9]
	s_cbranch_execnz .LBB217_75
.LBB217_39:
	s_or_b64 exec, exec, s[4:5]
	s_and_saveexec_b64 s[4:5], s[10:11]
	s_cbranch_execnz .LBB217_76
.LBB217_40:
	s_or_b64 exec, exec, s[4:5]
	s_and_saveexec_b64 s[4:5], s[12:13]
	s_cbranch_execnz .LBB217_77
.LBB217_41:
	s_or_b64 exec, exec, s[4:5]
	s_xor_b64 s[4:5], s[34:35], -1
	s_and_saveexec_b64 s[16:17], s[14:15]
	s_cbranch_execz .LBB217_43
.LBB217_42:
	v_mad_u64_u32 v[16:17], s[18:19], v18, s46, 0
	v_mov_b32_e32 v20, v17
	v_mad_u64_u32 v[18:19], s[18:19], v18, s47, v[20:21]
	v_mov_b32_e32 v17, v18
	v_lshlrev_b64 v[16:17], 3, v[16:17]
	v_mov_b32_e32 v18, s52
	v_add_co_u32_e32 v16, vcc, s51, v16
	v_addc_co_u32_e32 v17, vcc, v18, v17, vcc
	global_load_dwordx2 v[16:17], v[16:17], off
.LBB217_43:
	s_or_b64 exec, exec, s[16:17]
	v_lshlrev_b32_e32 v76, 3, v32
	v_lshlrev_b32_e32 v77, 3, v31
	;; [unrolled: 1-line block ×9, first 2 shown]
	s_waitcnt vmcnt(0)
	ds_write_b64 v76, v[2:3]
	ds_write_b64 v77, v[4:5] offset:1024
	ds_write_b64 v78, v[6:7] offset:2048
	ds_write_b64 v79, v[8:9] offset:3072
	ds_write_b64 v80, v[10:11] offset:4096
	ds_write_b64 v81, v[12:13] offset:5120
	ds_write_b64 v82, v[14:15] offset:6144
	ds_write_b64 v83, v[16:17] offset:7168
	s_waitcnt lgkmcnt(0)
	s_barrier
	ds_read2_b64 v[14:17], v85 offset1:1
	ds_read2_b64 v[10:13], v85 offset0:2 offset1:3
	ds_read2_b64 v[6:9], v85 offset0:4 offset1:5
	;; [unrolled: 1-line block ×3, first 2 shown]
	s_and_b64 vcc, exec, s[4:5]
	v_bfe_u32 v89, v0, 10, 10
	v_bfe_u32 v90, v0, 20, 10
	v_mbcnt_lo_u32_b32 v91, -1, 0
	v_lshlrev_b32_e32 v86, 2, v34
	v_lshlrev_b32_e32 v87, 4, v34
	v_cmp_gt_u32_e64 s[16:17], 2, v34
	v_cmp_lt_u32_e64 s[18:19], 63, v34
	v_cmp_eq_u32_e64 s[20:21], 0, v34
	v_lshrrev_b32_e32 v88, 4, v34
	s_waitcnt lgkmcnt(0)
	s_barrier
	s_cbranch_vccz .LBB217_78
; %bb.44:
	v_bfrev_b32_e32 v92, 1
	v_cmp_lt_i32_e32 vcc, -1, v42
	v_mbcnt_hi_u32_b32 v44, -1, v91
	v_and_b32_e32 v45, 0x3c0, v34
	v_cndmask_b32_e32 v18, -1, v92, vcc
	v_cmp_lt_i32_e32 vcc, -1, v43
	v_add_u32_e32 v0, v44, v45
	v_cndmask_b32_e32 v19, -1, v92, vcc
	v_lshlrev_b32_e32 v1, 5, v0
	v_xor_b32_e32 v19, v19, v43
	v_xor_b32_e32 v18, v18, v42
	v_cmp_lt_i32_e32 vcc, -1, v40
	ds_write2_b32 v1, v18, v19 offset1:1
	v_cndmask_b32_e32 v18, -1, v92, vcc
	v_cmp_lt_i32_e32 vcc, -1, v41
	v_cndmask_b32_e32 v19, -1, v92, vcc
	v_xor_b32_e32 v19, v19, v41
	v_xor_b32_e32 v18, v18, v40
	v_cmp_lt_i32_e32 vcc, -1, v38
	ds_write2_b32 v1, v18, v19 offset0:2 offset1:3
	v_cndmask_b32_e32 v18, -1, v92, vcc
	v_cmp_lt_i32_e32 vcc, -1, v39
	v_cndmask_b32_e32 v19, -1, v92, vcc
	v_xor_b32_e32 v19, v19, v39
	v_xor_b32_e32 v18, v18, v38
	v_cmp_lt_i32_e32 vcc, -1, v36
	ds_write2_b32 v1, v18, v19 offset0:4 offset1:5
	v_cndmask_b32_e32 v18, -1, v92, vcc
	v_cmp_lt_i32_e32 vcc, -1, v37
	v_cndmask_b32_e32 v19, -1, v92, vcc
	v_xor_b32_e32 v19, v19, v37
	v_xor_b32_e32 v18, v18, v36
	v_and_b32_e32 v46, 0x1e00, v84
	ds_write2_b32 v1, v18, v19 offset0:6 offset1:7
	v_or_b32_e32 v1, v44, v46
	v_lshlrev_b32_e32 v18, 2, v1
	v_lshlrev_b32_e32 v0, 6, v0
	; wave barrier
	ds_read2st64_b32 v[60:61], v18 offset1:1
	ds_read2st64_b32 v[62:63], v18 offset0:2 offset1:3
	ds_read2st64_b32 v[64:65], v18 offset0:4 offset1:5
	;; [unrolled: 1-line block ×3, first 2 shown]
	s_waitcnt lgkmcnt(0)
	s_barrier
	ds_write2_b64 v0, v[14:15], v[16:17] offset1:1
	ds_write2_b64 v0, v[10:11], v[12:13] offset0:2 offset1:3
	ds_write2_b64 v0, v[6:7], v[8:9] offset0:4 offset1:5
	;; [unrolled: 1-line block ×3, first 2 shown]
	v_lshlrev_b32_e32 v0, 3, v1
	; wave barrier
	ds_read2st64_b64 v[18:21], v0 offset1:1
	ds_read2st64_b64 v[22:25], v0 offset0:2 offset1:3
	ds_read2st64_b64 v[26:29], v0 offset0:4 offset1:5
	;; [unrolled: 1-line block ×3, first 2 shown]
	s_waitcnt lgkmcnt(0)
	s_barrier
	s_load_dword s22, s[48:49], 0xc
	s_getpc_b64 s[4:5]
	s_add_u32 s4, s4, _ZN7rocprim17ROCPRIM_400000_NS16block_radix_sortIfLj128ELj8ElLj1ELj1ELj0ELNS0_26block_radix_rank_algorithmE1ELNS0_18block_padding_hintE2ELNS0_4arch9wavefront6targetE1EE19radix_bits_per_passE@rel32@lo+4
	s_addc_u32 s5, s5, _ZN7rocprim17ROCPRIM_400000_NS16block_radix_sortIfLj128ELj8ElLj1ELj1ELj0ELNS0_26block_radix_rank_algorithmE1ELNS0_18block_padding_hintE2ELNS0_4arch9wavefront6targetE1EE19radix_bits_per_passE@rel32@hi+12
	s_load_dword s53, s[4:5], 0x0
	v_and_b32_e32 v96, 60, v88
	s_mov_b32 s54, 0
	s_waitcnt lgkmcnt(0)
	s_lshr_b32 s4, s22, 16
	s_and_b32 s5, s22, 0xffff
	v_mad_u32_u24 v0, v90, s4, v89
	v_mad_u64_u32 v[0:1], s[4:5], v0, s5, v[34:35]
	v_lshrrev_b32_e32 v94, 6, v0
	v_and_b32_e32 v0, 15, v44
	v_cmp_eq_u32_e64 s[22:23], 0, v0
	v_cmp_lt_u32_e64 s[24:25], 1, v0
	v_cmp_lt_u32_e64 s[26:27], 3, v0
	;; [unrolled: 1-line block ×3, first 2 shown]
	v_and_b32_e32 v0, 16, v44
	v_cmp_eq_u32_e64 s[30:31], 0, v0
	v_min_u32_e32 v0, 64, v45
	v_or_b32_e32 v0, 63, v0
	v_cmp_eq_u32_e64 s[36:37], v0, v34
	v_add_u32_e32 v0, -1, v44
	v_and_b32_e32 v1, 64, v44
	v_cmp_lt_i32_e32 vcc, v0, v1
	v_cndmask_b32_e32 v0, v0, v44, vcc
	v_lshlrev_b32_e32 v95, 2, v0
	v_and_b32_e32 v0, 1, v44
	v_cmp_eq_u32_e64 s[40:41], 0, v0
	v_and_or_b32 v0, v44, 63, v46
	v_or_b32_e32 v93, 8, v87
	v_cmp_lt_u32_e64 s[34:35], 31, v44
	v_cmp_eq_u32_e64 s[38:39], 0, v44
	v_add_u32_e32 v97, -4, v96
	v_lshlrev_b32_e32 v98, 2, v0
	v_lshlrev_b32_e32 v99, 3, v0
	s_mov_b32 s56, 32
	s_brev_b32 s55, -2
	v_mov_b32_e32 v58, 0
	s_branch .LBB217_46
.LBB217_45:                             ;   in Loop: Header=BB217_46 Depth=1
	v_lshlrev_b32_e32 v18, 2, v59
	s_barrier
	ds_write_b32 v18, v107
	v_lshlrev_b32_e32 v18, 2, v109
	ds_write_b32 v18, v106
	v_lshlrev_b32_e32 v18, 2, v110
	;; [unrolled: 2-line block ×8, first 2 shown]
	s_waitcnt lgkmcnt(0)
	s_barrier
	ds_read2st64_b32 v[60:61], v98 offset1:1
	ds_read2st64_b32 v[62:63], v98 offset0:2 offset1:3
	ds_read2st64_b32 v[64:65], v98 offset0:4 offset1:5
	;; [unrolled: 1-line block ×3, first 2 shown]
	s_waitcnt lgkmcnt(0)
	s_barrier
	ds_write_b64 v18, v[56:57]
	v_lshlrev_b32_e32 v18, 3, v109
	ds_write_b64 v18, v[54:55]
	v_lshlrev_b32_e32 v18, 3, v110
	;; [unrolled: 2-line block ×7, first 2 shown]
	ds_write_b64 v18, v[0:1]
	s_waitcnt lgkmcnt(0)
	s_barrier
	ds_read2st64_b64 v[18:21], v99 offset1:1
	ds_read2st64_b64 v[22:25], v99 offset0:2 offset1:3
	ds_read2st64_b64 v[26:29], v99 offset0:4 offset1:5
	;; [unrolled: 1-line block ×3, first 2 shown]
	s_add_i32 s54, s54, 8
	s_add_i32 s56, s56, -8
	s_waitcnt lgkmcnt(0)
	s_barrier
	s_cbranch_execz .LBB217_70
.LBB217_46:                             ; =>This Inner Loop Header: Depth=1
	v_mov_b32_e32 v107, v60
	s_min_u32 s4, s53, s56
	v_cmp_ne_u32_e32 vcc, s55, v107
	v_pk_mov_b32 v[56:57], v[18:19], v[18:19] op_sel:[0,1]
	s_lshl_b32 s4, -1, s4
	v_cndmask_b32_e32 v18, v92, v107, vcc
	s_not_b32 s57, s4
	v_lshrrev_b32_e32 v18, s54, v18
	v_and_b32_e32 v18, s57, v18
	v_lshl_add_u32 v19, v18, 1, v94
	v_pk_mov_b32 v[52:53], v[22:23], v[22:23] op_sel:[0,1]
	v_lshl_add_u32 v22, v19, 2, 8
	v_and_b32_e32 v19, 1, v18
	v_pk_mov_b32 v[54:55], v[20:21], v[20:21] op_sel:[0,1]
	v_add_co_u32_e32 v20, vcc, -1, v19
	v_addc_co_u32_e64 v21, s[4:5], 0, -1, vcc
	v_cmp_ne_u32_e32 vcc, 0, v19
	v_lshlrev_b32_e32 v59, 30, v18
	v_xor_b32_e32 v19, vcc_hi, v21
	v_not_b32_e32 v21, v59
	v_xor_b32_e32 v20, vcc_lo, v20
	v_cmp_gt_i64_e32 vcc, 0, v[58:59]
	v_ashrrev_i32_e32 v21, 31, v21
	v_and_b32_e32 v20, exec_lo, v20
	v_xor_b32_e32 v23, vcc_hi, v21
	v_xor_b32_e32 v21, vcc_lo, v21
	v_lshlrev_b32_e32 v59, 29, v18
	v_and_b32_e32 v20, v20, v21
	v_not_b32_e32 v21, v59
	v_and_b32_e32 v19, exec_hi, v19
	v_cmp_gt_i64_e32 vcc, 0, v[58:59]
	v_ashrrev_i32_e32 v21, 31, v21
	v_and_b32_e32 v19, v19, v23
	v_xor_b32_e32 v23, vcc_hi, v21
	v_xor_b32_e32 v21, vcc_lo, v21
	v_lshlrev_b32_e32 v59, 28, v18
	v_and_b32_e32 v20, v20, v21
	v_not_b32_e32 v21, v59
	v_cmp_gt_i64_e32 vcc, 0, v[58:59]
	v_ashrrev_i32_e32 v21, 31, v21
	v_and_b32_e32 v19, v19, v23
	v_xor_b32_e32 v23, vcc_hi, v21
	v_xor_b32_e32 v21, vcc_lo, v21
	v_lshlrev_b32_e32 v59, 27, v18
	v_and_b32_e32 v20, v20, v21
	v_not_b32_e32 v21, v59
	v_cmp_gt_i64_e32 vcc, 0, v[58:59]
	v_ashrrev_i32_e32 v21, 31, v21
	v_and_b32_e32 v19, v19, v23
	v_xor_b32_e32 v23, vcc_hi, v21
	v_xor_b32_e32 v21, vcc_lo, v21
	v_lshlrev_b32_e32 v59, 26, v18
	v_and_b32_e32 v20, v20, v21
	v_not_b32_e32 v21, v59
	v_cmp_gt_i64_e32 vcc, 0, v[58:59]
	v_ashrrev_i32_e32 v21, 31, v21
	v_and_b32_e32 v19, v19, v23
	v_xor_b32_e32 v23, vcc_hi, v21
	v_xor_b32_e32 v21, vcc_lo, v21
	v_lshlrev_b32_e32 v59, 25, v18
	v_and_b32_e32 v20, v20, v21
	v_cmp_gt_i64_e32 vcc, 0, v[58:59]
	v_not_b32_e32 v21, v59
	v_lshlrev_b32_e32 v59, 24, v18
	v_ashrrev_i32_e32 v21, 31, v21
	v_not_b32_e32 v18, v59
	v_and_b32_e32 v19, v19, v23
	v_xor_b32_e32 v23, vcc_hi, v21
	v_xor_b32_e32 v21, vcc_lo, v21
	v_cmp_gt_i64_e32 vcc, 0, v[58:59]
	v_ashrrev_i32_e32 v18, 31, v18
	v_and_b32_e32 v20, v20, v21
	v_xor_b32_e32 v21, vcc_hi, v18
	v_xor_b32_e32 v18, vcc_lo, v18
	v_and_b32_e32 v19, v19, v23
	v_and_b32_e32 v18, v20, v18
	;; [unrolled: 1-line block ×3, first 2 shown]
	v_mbcnt_lo_u32_b32 v20, v18, 0
	v_mbcnt_hi_u32_b32 v23, v19, v20
	v_cmp_eq_u32_e32 vcc, 0, v23
	v_cmp_ne_u64_e64 s[4:5], 0, v[18:19]
	v_mov_b32_e32 v100, v67
	v_mov_b32_e32 v101, v66
	v_mov_b32_e32 v102, v65
	v_mov_b32_e32 v103, v64
	v_mov_b32_e32 v104, v63
	v_mov_b32_e32 v105, v62
	v_mov_b32_e32 v106, v61
	v_pk_mov_b32 v[0:1], v[32:33], v[32:33] op_sel:[0,1]
	v_pk_mov_b32 v[44:45], v[30:31], v[30:31] op_sel:[0,1]
	;; [unrolled: 1-line block ×5, first 2 shown]
	s_and_b64 s[58:59], s[4:5], vcc
	ds_write2_b32 v87, v58, v58 offset0:2 offset1:3
	ds_write2_b32 v93, v58, v58 offset0:2 offset1:3
	s_waitcnt lgkmcnt(0)
	s_barrier
	s_waitcnt lgkmcnt(0)
	; wave barrier
	s_and_saveexec_b64 s[4:5], s[58:59]
	s_cbranch_execz .LBB217_48
; %bb.47:                               ;   in Loop: Header=BB217_46 Depth=1
	v_bcnt_u32_b32 v18, v18, 0
	v_bcnt_u32_b32 v18, v19, v18
	ds_write_b32 v22, v18
.LBB217_48:                             ;   in Loop: Header=BB217_46 Depth=1
	s_or_b64 exec, exec, s[4:5]
	v_cmp_ne_u32_e32 vcc, s55, v106
	v_cndmask_b32_e32 v18, v92, v106, vcc
	v_lshrrev_b32_e32 v18, s54, v18
	v_and_b32_e32 v18, s57, v18
	v_lshlrev_b32_e32 v19, 1, v18
	v_add_lshl_u32 v19, v19, v94, 2
	; wave barrier
	v_add_u32_e32 v25, 8, v19
	ds_read_b32 v24, v19 offset:8
	v_and_b32_e32 v19, 1, v18
	v_add_co_u32_e32 v20, vcc, -1, v19
	v_addc_co_u32_e64 v21, s[4:5], 0, -1, vcc
	v_cmp_ne_u32_e32 vcc, 0, v19
	v_lshlrev_b32_e32 v59, 30, v18
	v_xor_b32_e32 v19, vcc_hi, v21
	v_not_b32_e32 v21, v59
	v_xor_b32_e32 v20, vcc_lo, v20
	v_cmp_gt_i64_e32 vcc, 0, v[58:59]
	v_ashrrev_i32_e32 v21, 31, v21
	v_and_b32_e32 v20, exec_lo, v20
	v_xor_b32_e32 v26, vcc_hi, v21
	v_xor_b32_e32 v21, vcc_lo, v21
	v_lshlrev_b32_e32 v59, 29, v18
	v_and_b32_e32 v20, v20, v21
	v_not_b32_e32 v21, v59
	v_and_b32_e32 v19, exec_hi, v19
	v_cmp_gt_i64_e32 vcc, 0, v[58:59]
	v_ashrrev_i32_e32 v21, 31, v21
	v_and_b32_e32 v19, v19, v26
	v_xor_b32_e32 v26, vcc_hi, v21
	v_xor_b32_e32 v21, vcc_lo, v21
	v_lshlrev_b32_e32 v59, 28, v18
	v_and_b32_e32 v20, v20, v21
	v_not_b32_e32 v21, v59
	v_cmp_gt_i64_e32 vcc, 0, v[58:59]
	v_ashrrev_i32_e32 v21, 31, v21
	v_and_b32_e32 v19, v19, v26
	v_xor_b32_e32 v26, vcc_hi, v21
	v_xor_b32_e32 v21, vcc_lo, v21
	v_lshlrev_b32_e32 v59, 27, v18
	v_and_b32_e32 v20, v20, v21
	v_not_b32_e32 v21, v59
	;; [unrolled: 8-line block ×3, first 2 shown]
	v_cmp_gt_i64_e32 vcc, 0, v[58:59]
	v_ashrrev_i32_e32 v21, 31, v21
	v_and_b32_e32 v19, v19, v26
	v_xor_b32_e32 v26, vcc_hi, v21
	v_xor_b32_e32 v21, vcc_lo, v21
	v_lshlrev_b32_e32 v59, 25, v18
	v_and_b32_e32 v20, v20, v21
	v_cmp_gt_i64_e32 vcc, 0, v[58:59]
	v_not_b32_e32 v21, v59
	v_lshlrev_b32_e32 v59, 24, v18
	v_ashrrev_i32_e32 v21, 31, v21
	v_not_b32_e32 v18, v59
	v_and_b32_e32 v19, v19, v26
	v_xor_b32_e32 v26, vcc_hi, v21
	v_xor_b32_e32 v21, vcc_lo, v21
	v_cmp_gt_i64_e32 vcc, 0, v[58:59]
	v_ashrrev_i32_e32 v18, 31, v18
	v_and_b32_e32 v20, v20, v21
	v_xor_b32_e32 v21, vcc_hi, v18
	v_xor_b32_e32 v18, vcc_lo, v18
	v_and_b32_e32 v19, v19, v26
	v_and_b32_e32 v18, v20, v18
	;; [unrolled: 1-line block ×3, first 2 shown]
	v_mbcnt_lo_u32_b32 v20, v18, 0
	v_mbcnt_hi_u32_b32 v26, v19, v20
	v_cmp_eq_u32_e32 vcc, 0, v26
	v_cmp_ne_u64_e64 s[4:5], 0, v[18:19]
	s_and_b64 s[58:59], s[4:5], vcc
	; wave barrier
	s_and_saveexec_b64 s[4:5], s[58:59]
	s_cbranch_execz .LBB217_50
; %bb.49:                               ;   in Loop: Header=BB217_46 Depth=1
	v_bcnt_u32_b32 v18, v18, 0
	v_bcnt_u32_b32 v18, v19, v18
	s_waitcnt lgkmcnt(0)
	v_add_u32_e32 v18, v24, v18
	ds_write_b32 v25, v18
.LBB217_50:                             ;   in Loop: Header=BB217_46 Depth=1
	s_or_b64 exec, exec, s[4:5]
	v_cmp_ne_u32_e32 vcc, s55, v105
	v_cndmask_b32_e32 v18, v92, v105, vcc
	v_lshrrev_b32_e32 v18, s54, v18
	v_and_b32_e32 v18, s57, v18
	v_lshlrev_b32_e32 v19, 1, v18
	v_add_lshl_u32 v19, v19, v94, 2
	; wave barrier
	v_add_u32_e32 v28, 8, v19
	ds_read_b32 v27, v19 offset:8
	v_and_b32_e32 v19, 1, v18
	v_add_co_u32_e32 v20, vcc, -1, v19
	v_addc_co_u32_e64 v21, s[4:5], 0, -1, vcc
	v_cmp_ne_u32_e32 vcc, 0, v19
	v_lshlrev_b32_e32 v59, 30, v18
	v_xor_b32_e32 v19, vcc_hi, v21
	v_not_b32_e32 v21, v59
	v_xor_b32_e32 v20, vcc_lo, v20
	v_cmp_gt_i64_e32 vcc, 0, v[58:59]
	v_ashrrev_i32_e32 v21, 31, v21
	v_and_b32_e32 v20, exec_lo, v20
	v_xor_b32_e32 v29, vcc_hi, v21
	v_xor_b32_e32 v21, vcc_lo, v21
	v_lshlrev_b32_e32 v59, 29, v18
	v_and_b32_e32 v20, v20, v21
	v_not_b32_e32 v21, v59
	v_and_b32_e32 v19, exec_hi, v19
	v_cmp_gt_i64_e32 vcc, 0, v[58:59]
	v_ashrrev_i32_e32 v21, 31, v21
	v_and_b32_e32 v19, v19, v29
	v_xor_b32_e32 v29, vcc_hi, v21
	v_xor_b32_e32 v21, vcc_lo, v21
	v_lshlrev_b32_e32 v59, 28, v18
	v_and_b32_e32 v20, v20, v21
	v_not_b32_e32 v21, v59
	v_cmp_gt_i64_e32 vcc, 0, v[58:59]
	v_ashrrev_i32_e32 v21, 31, v21
	v_and_b32_e32 v19, v19, v29
	v_xor_b32_e32 v29, vcc_hi, v21
	v_xor_b32_e32 v21, vcc_lo, v21
	v_lshlrev_b32_e32 v59, 27, v18
	v_and_b32_e32 v20, v20, v21
	v_not_b32_e32 v21, v59
	;; [unrolled: 8-line block ×3, first 2 shown]
	v_cmp_gt_i64_e32 vcc, 0, v[58:59]
	v_ashrrev_i32_e32 v21, 31, v21
	v_and_b32_e32 v19, v19, v29
	v_xor_b32_e32 v29, vcc_hi, v21
	v_xor_b32_e32 v21, vcc_lo, v21
	v_lshlrev_b32_e32 v59, 25, v18
	v_and_b32_e32 v20, v20, v21
	v_cmp_gt_i64_e32 vcc, 0, v[58:59]
	v_not_b32_e32 v21, v59
	v_lshlrev_b32_e32 v59, 24, v18
	v_ashrrev_i32_e32 v21, 31, v21
	v_not_b32_e32 v18, v59
	v_and_b32_e32 v19, v19, v29
	v_xor_b32_e32 v29, vcc_hi, v21
	v_xor_b32_e32 v21, vcc_lo, v21
	v_cmp_gt_i64_e32 vcc, 0, v[58:59]
	v_ashrrev_i32_e32 v18, 31, v18
	v_and_b32_e32 v20, v20, v21
	v_xor_b32_e32 v21, vcc_hi, v18
	v_xor_b32_e32 v18, vcc_lo, v18
	v_and_b32_e32 v19, v19, v29
	v_and_b32_e32 v18, v20, v18
	v_and_b32_e32 v19, v19, v21
	v_mbcnt_lo_u32_b32 v20, v18, 0
	v_mbcnt_hi_u32_b32 v29, v19, v20
	v_cmp_eq_u32_e32 vcc, 0, v29
	v_cmp_ne_u64_e64 s[4:5], 0, v[18:19]
	s_and_b64 s[58:59], s[4:5], vcc
	; wave barrier
	s_and_saveexec_b64 s[4:5], s[58:59]
	s_cbranch_execz .LBB217_52
; %bb.51:                               ;   in Loop: Header=BB217_46 Depth=1
	v_bcnt_u32_b32 v18, v18, 0
	v_bcnt_u32_b32 v18, v19, v18
	s_waitcnt lgkmcnt(0)
	v_add_u32_e32 v18, v27, v18
	ds_write_b32 v28, v18
.LBB217_52:                             ;   in Loop: Header=BB217_46 Depth=1
	s_or_b64 exec, exec, s[4:5]
	v_cmp_ne_u32_e32 vcc, s55, v104
	v_cndmask_b32_e32 v18, v92, v104, vcc
	v_lshrrev_b32_e32 v18, s54, v18
	v_and_b32_e32 v18, s57, v18
	v_lshlrev_b32_e32 v19, 1, v18
	v_add_lshl_u32 v19, v19, v94, 2
	; wave barrier
	v_add_u32_e32 v31, 8, v19
	ds_read_b32 v30, v19 offset:8
	v_and_b32_e32 v19, 1, v18
	v_add_co_u32_e32 v20, vcc, -1, v19
	v_addc_co_u32_e64 v21, s[4:5], 0, -1, vcc
	v_cmp_ne_u32_e32 vcc, 0, v19
	v_lshlrev_b32_e32 v59, 30, v18
	v_xor_b32_e32 v19, vcc_hi, v21
	v_not_b32_e32 v21, v59
	v_xor_b32_e32 v20, vcc_lo, v20
	v_cmp_gt_i64_e32 vcc, 0, v[58:59]
	v_ashrrev_i32_e32 v21, 31, v21
	v_and_b32_e32 v20, exec_lo, v20
	v_xor_b32_e32 v32, vcc_hi, v21
	v_xor_b32_e32 v21, vcc_lo, v21
	v_lshlrev_b32_e32 v59, 29, v18
	v_and_b32_e32 v20, v20, v21
	v_not_b32_e32 v21, v59
	v_and_b32_e32 v19, exec_hi, v19
	v_cmp_gt_i64_e32 vcc, 0, v[58:59]
	v_ashrrev_i32_e32 v21, 31, v21
	v_and_b32_e32 v19, v19, v32
	v_xor_b32_e32 v32, vcc_hi, v21
	v_xor_b32_e32 v21, vcc_lo, v21
	v_lshlrev_b32_e32 v59, 28, v18
	v_and_b32_e32 v20, v20, v21
	v_not_b32_e32 v21, v59
	v_cmp_gt_i64_e32 vcc, 0, v[58:59]
	v_ashrrev_i32_e32 v21, 31, v21
	v_and_b32_e32 v19, v19, v32
	v_xor_b32_e32 v32, vcc_hi, v21
	v_xor_b32_e32 v21, vcc_lo, v21
	v_lshlrev_b32_e32 v59, 27, v18
	v_and_b32_e32 v20, v20, v21
	v_not_b32_e32 v21, v59
	;; [unrolled: 8-line block ×3, first 2 shown]
	v_cmp_gt_i64_e32 vcc, 0, v[58:59]
	v_ashrrev_i32_e32 v21, 31, v21
	v_and_b32_e32 v19, v19, v32
	v_xor_b32_e32 v32, vcc_hi, v21
	v_xor_b32_e32 v21, vcc_lo, v21
	v_lshlrev_b32_e32 v59, 25, v18
	v_and_b32_e32 v20, v20, v21
	v_cmp_gt_i64_e32 vcc, 0, v[58:59]
	v_not_b32_e32 v21, v59
	v_lshlrev_b32_e32 v59, 24, v18
	v_ashrrev_i32_e32 v21, 31, v21
	v_not_b32_e32 v18, v59
	v_and_b32_e32 v19, v19, v32
	v_xor_b32_e32 v32, vcc_hi, v21
	v_xor_b32_e32 v21, vcc_lo, v21
	v_cmp_gt_i64_e32 vcc, 0, v[58:59]
	v_ashrrev_i32_e32 v18, 31, v18
	v_and_b32_e32 v20, v20, v21
	v_xor_b32_e32 v21, vcc_hi, v18
	v_xor_b32_e32 v18, vcc_lo, v18
	v_and_b32_e32 v19, v19, v32
	v_and_b32_e32 v18, v20, v18
	;; [unrolled: 1-line block ×3, first 2 shown]
	v_mbcnt_lo_u32_b32 v20, v18, 0
	v_mbcnt_hi_u32_b32 v32, v19, v20
	v_cmp_eq_u32_e32 vcc, 0, v32
	v_cmp_ne_u64_e64 s[4:5], 0, v[18:19]
	s_and_b64 s[58:59], s[4:5], vcc
	; wave barrier
	s_and_saveexec_b64 s[4:5], s[58:59]
	s_cbranch_execz .LBB217_54
; %bb.53:                               ;   in Loop: Header=BB217_46 Depth=1
	v_bcnt_u32_b32 v18, v18, 0
	v_bcnt_u32_b32 v18, v19, v18
	s_waitcnt lgkmcnt(0)
	v_add_u32_e32 v18, v30, v18
	ds_write_b32 v31, v18
.LBB217_54:                             ;   in Loop: Header=BB217_46 Depth=1
	s_or_b64 exec, exec, s[4:5]
	v_cmp_ne_u32_e32 vcc, s55, v103
	v_cndmask_b32_e32 v18, v92, v103, vcc
	v_lshrrev_b32_e32 v18, s54, v18
	v_and_b32_e32 v18, s57, v18
	v_lshlrev_b32_e32 v19, 1, v18
	v_add_lshl_u32 v19, v19, v94, 2
	; wave barrier
	v_add_u32_e32 v60, 8, v19
	ds_read_b32 v33, v19 offset:8
	v_and_b32_e32 v19, 1, v18
	v_add_co_u32_e32 v20, vcc, -1, v19
	v_addc_co_u32_e64 v21, s[4:5], 0, -1, vcc
	v_cmp_ne_u32_e32 vcc, 0, v19
	v_lshlrev_b32_e32 v59, 30, v18
	v_xor_b32_e32 v19, vcc_hi, v21
	v_not_b32_e32 v21, v59
	v_xor_b32_e32 v20, vcc_lo, v20
	v_cmp_gt_i64_e32 vcc, 0, v[58:59]
	v_ashrrev_i32_e32 v21, 31, v21
	v_and_b32_e32 v19, exec_hi, v19
	v_xor_b32_e32 v59, vcc_hi, v21
	v_and_b32_e32 v20, exec_lo, v20
	v_xor_b32_e32 v21, vcc_lo, v21
	v_and_b32_e32 v19, v19, v59
	v_lshlrev_b32_e32 v59, 29, v18
	v_and_b32_e32 v20, v20, v21
	v_not_b32_e32 v21, v59
	v_cmp_gt_i64_e32 vcc, 0, v[58:59]
	v_ashrrev_i32_e32 v21, 31, v21
	v_xor_b32_e32 v59, vcc_hi, v21
	v_xor_b32_e32 v21, vcc_lo, v21
	v_and_b32_e32 v19, v19, v59
	v_lshlrev_b32_e32 v59, 28, v18
	v_and_b32_e32 v20, v20, v21
	v_not_b32_e32 v21, v59
	v_cmp_gt_i64_e32 vcc, 0, v[58:59]
	v_ashrrev_i32_e32 v21, 31, v21
	v_xor_b32_e32 v59, vcc_hi, v21
	;; [unrolled: 8-line block ×5, first 2 shown]
	v_and_b32_e32 v19, v19, v59
	v_lshlrev_b32_e32 v59, 24, v18
	v_not_b32_e32 v18, v59
	v_xor_b32_e32 v21, vcc_lo, v21
	v_cmp_gt_i64_e32 vcc, 0, v[58:59]
	v_ashrrev_i32_e32 v18, 31, v18
	v_and_b32_e32 v20, v20, v21
	v_xor_b32_e32 v21, vcc_hi, v18
	v_xor_b32_e32 v18, vcc_lo, v18
	v_and_b32_e32 v18, v20, v18
	v_and_b32_e32 v19, v19, v21
	v_mbcnt_lo_u32_b32 v20, v18, 0
	v_mbcnt_hi_u32_b32 v61, v19, v20
	v_cmp_eq_u32_e32 vcc, 0, v61
	v_cmp_ne_u64_e64 s[4:5], 0, v[18:19]
	s_and_b64 s[58:59], s[4:5], vcc
	; wave barrier
	s_and_saveexec_b64 s[4:5], s[58:59]
	s_cbranch_execz .LBB217_56
; %bb.55:                               ;   in Loop: Header=BB217_46 Depth=1
	v_bcnt_u32_b32 v18, v18, 0
	v_bcnt_u32_b32 v18, v19, v18
	s_waitcnt lgkmcnt(0)
	v_add_u32_e32 v18, v33, v18
	ds_write_b32 v60, v18
.LBB217_56:                             ;   in Loop: Header=BB217_46 Depth=1
	s_or_b64 exec, exec, s[4:5]
	v_cmp_ne_u32_e32 vcc, s55, v102
	v_cndmask_b32_e32 v18, v92, v102, vcc
	v_lshrrev_b32_e32 v18, s54, v18
	v_and_b32_e32 v18, s57, v18
	v_lshlrev_b32_e32 v19, 1, v18
	v_add_lshl_u32 v19, v19, v94, 2
	; wave barrier
	v_add_u32_e32 v63, 8, v19
	ds_read_b32 v62, v19 offset:8
	v_and_b32_e32 v19, 1, v18
	v_add_co_u32_e32 v20, vcc, -1, v19
	v_addc_co_u32_e64 v21, s[4:5], 0, -1, vcc
	v_cmp_ne_u32_e32 vcc, 0, v19
	v_lshlrev_b32_e32 v59, 30, v18
	v_xor_b32_e32 v19, vcc_hi, v21
	v_not_b32_e32 v21, v59
	v_xor_b32_e32 v20, vcc_lo, v20
	v_cmp_gt_i64_e32 vcc, 0, v[58:59]
	v_ashrrev_i32_e32 v21, 31, v21
	v_and_b32_e32 v19, exec_hi, v19
	v_xor_b32_e32 v59, vcc_hi, v21
	v_and_b32_e32 v20, exec_lo, v20
	v_xor_b32_e32 v21, vcc_lo, v21
	v_and_b32_e32 v19, v19, v59
	v_lshlrev_b32_e32 v59, 29, v18
	v_and_b32_e32 v20, v20, v21
	v_not_b32_e32 v21, v59
	v_cmp_gt_i64_e32 vcc, 0, v[58:59]
	v_ashrrev_i32_e32 v21, 31, v21
	v_xor_b32_e32 v59, vcc_hi, v21
	v_xor_b32_e32 v21, vcc_lo, v21
	v_and_b32_e32 v19, v19, v59
	v_lshlrev_b32_e32 v59, 28, v18
	v_and_b32_e32 v20, v20, v21
	v_not_b32_e32 v21, v59
	v_cmp_gt_i64_e32 vcc, 0, v[58:59]
	v_ashrrev_i32_e32 v21, 31, v21
	v_xor_b32_e32 v59, vcc_hi, v21
	;; [unrolled: 8-line block ×5, first 2 shown]
	v_and_b32_e32 v19, v19, v59
	v_lshlrev_b32_e32 v59, 24, v18
	v_not_b32_e32 v18, v59
	v_xor_b32_e32 v21, vcc_lo, v21
	v_cmp_gt_i64_e32 vcc, 0, v[58:59]
	v_ashrrev_i32_e32 v18, 31, v18
	v_and_b32_e32 v20, v20, v21
	v_xor_b32_e32 v21, vcc_hi, v18
	v_xor_b32_e32 v18, vcc_lo, v18
	v_and_b32_e32 v18, v20, v18
	v_and_b32_e32 v19, v19, v21
	v_mbcnt_lo_u32_b32 v20, v18, 0
	v_mbcnt_hi_u32_b32 v64, v19, v20
	v_cmp_eq_u32_e32 vcc, 0, v64
	v_cmp_ne_u64_e64 s[4:5], 0, v[18:19]
	s_and_b64 s[58:59], s[4:5], vcc
	; wave barrier
	s_and_saveexec_b64 s[4:5], s[58:59]
	s_cbranch_execz .LBB217_58
; %bb.57:                               ;   in Loop: Header=BB217_46 Depth=1
	v_bcnt_u32_b32 v18, v18, 0
	v_bcnt_u32_b32 v18, v19, v18
	s_waitcnt lgkmcnt(0)
	v_add_u32_e32 v18, v62, v18
	ds_write_b32 v63, v18
.LBB217_58:                             ;   in Loop: Header=BB217_46 Depth=1
	s_or_b64 exec, exec, s[4:5]
	v_cmp_ne_u32_e32 vcc, s55, v101
	v_cndmask_b32_e32 v18, v92, v101, vcc
	v_lshrrev_b32_e32 v18, s54, v18
	v_and_b32_e32 v18, s57, v18
	v_lshlrev_b32_e32 v19, 1, v18
	v_add_lshl_u32 v19, v19, v94, 2
	; wave barrier
	v_add_u32_e32 v66, 8, v19
	ds_read_b32 v65, v19 offset:8
	v_and_b32_e32 v19, 1, v18
	v_add_co_u32_e32 v20, vcc, -1, v19
	v_addc_co_u32_e64 v21, s[4:5], 0, -1, vcc
	v_cmp_ne_u32_e32 vcc, 0, v19
	v_lshlrev_b32_e32 v59, 30, v18
	v_xor_b32_e32 v19, vcc_hi, v21
	v_not_b32_e32 v21, v59
	v_xor_b32_e32 v20, vcc_lo, v20
	v_cmp_gt_i64_e32 vcc, 0, v[58:59]
	v_ashrrev_i32_e32 v21, 31, v21
	v_and_b32_e32 v19, exec_hi, v19
	v_xor_b32_e32 v59, vcc_hi, v21
	v_and_b32_e32 v20, exec_lo, v20
	v_xor_b32_e32 v21, vcc_lo, v21
	v_and_b32_e32 v19, v19, v59
	v_lshlrev_b32_e32 v59, 29, v18
	v_and_b32_e32 v20, v20, v21
	v_not_b32_e32 v21, v59
	v_cmp_gt_i64_e32 vcc, 0, v[58:59]
	v_ashrrev_i32_e32 v21, 31, v21
	v_xor_b32_e32 v59, vcc_hi, v21
	v_xor_b32_e32 v21, vcc_lo, v21
	v_and_b32_e32 v19, v19, v59
	v_lshlrev_b32_e32 v59, 28, v18
	v_and_b32_e32 v20, v20, v21
	v_not_b32_e32 v21, v59
	v_cmp_gt_i64_e32 vcc, 0, v[58:59]
	v_ashrrev_i32_e32 v21, 31, v21
	v_xor_b32_e32 v59, vcc_hi, v21
	;; [unrolled: 8-line block ×5, first 2 shown]
	v_and_b32_e32 v19, v19, v59
	v_lshlrev_b32_e32 v59, 24, v18
	v_not_b32_e32 v18, v59
	v_xor_b32_e32 v21, vcc_lo, v21
	v_cmp_gt_i64_e32 vcc, 0, v[58:59]
	v_ashrrev_i32_e32 v18, 31, v18
	v_and_b32_e32 v20, v20, v21
	v_xor_b32_e32 v21, vcc_hi, v18
	v_xor_b32_e32 v18, vcc_lo, v18
	v_and_b32_e32 v18, v20, v18
	v_and_b32_e32 v19, v19, v21
	v_mbcnt_lo_u32_b32 v20, v18, 0
	v_mbcnt_hi_u32_b32 v67, v19, v20
	v_cmp_eq_u32_e32 vcc, 0, v67
	v_cmp_ne_u64_e64 s[4:5], 0, v[18:19]
	s_and_b64 s[58:59], s[4:5], vcc
	; wave barrier
	s_and_saveexec_b64 s[4:5], s[58:59]
	s_cbranch_execz .LBB217_60
; %bb.59:                               ;   in Loop: Header=BB217_46 Depth=1
	v_bcnt_u32_b32 v18, v18, 0
	v_bcnt_u32_b32 v18, v19, v18
	s_waitcnt lgkmcnt(0)
	v_add_u32_e32 v18, v65, v18
	ds_write_b32 v66, v18
.LBB217_60:                             ;   in Loop: Header=BB217_46 Depth=1
	s_or_b64 exec, exec, s[4:5]
	v_cmp_ne_u32_e32 vcc, s55, v100
	v_cndmask_b32_e32 v18, v92, v100, vcc
	v_lshrrev_b32_e32 v18, s54, v18
	v_and_b32_e32 v18, s57, v18
	v_lshlrev_b32_e32 v19, 1, v18
	v_add_lshl_u32 v19, v19, v94, 2
	; wave barrier
	v_add_u32_e32 v109, 8, v19
	ds_read_b32 v108, v19 offset:8
	v_and_b32_e32 v19, 1, v18
	v_add_co_u32_e32 v20, vcc, -1, v19
	v_addc_co_u32_e64 v21, s[4:5], 0, -1, vcc
	v_cmp_ne_u32_e32 vcc, 0, v19
	v_lshlrev_b32_e32 v59, 30, v18
	v_xor_b32_e32 v19, vcc_hi, v21
	v_not_b32_e32 v21, v59
	v_xor_b32_e32 v20, vcc_lo, v20
	v_cmp_gt_i64_e32 vcc, 0, v[58:59]
	v_ashrrev_i32_e32 v21, 31, v21
	v_and_b32_e32 v19, exec_hi, v19
	v_xor_b32_e32 v59, vcc_hi, v21
	v_and_b32_e32 v20, exec_lo, v20
	v_xor_b32_e32 v21, vcc_lo, v21
	v_and_b32_e32 v19, v19, v59
	v_lshlrev_b32_e32 v59, 29, v18
	v_and_b32_e32 v20, v20, v21
	v_not_b32_e32 v21, v59
	v_cmp_gt_i64_e32 vcc, 0, v[58:59]
	v_ashrrev_i32_e32 v21, 31, v21
	v_xor_b32_e32 v59, vcc_hi, v21
	v_xor_b32_e32 v21, vcc_lo, v21
	v_and_b32_e32 v19, v19, v59
	v_lshlrev_b32_e32 v59, 28, v18
	v_and_b32_e32 v20, v20, v21
	v_not_b32_e32 v21, v59
	v_cmp_gt_i64_e32 vcc, 0, v[58:59]
	v_ashrrev_i32_e32 v21, 31, v21
	v_xor_b32_e32 v59, vcc_hi, v21
	;; [unrolled: 8-line block ×5, first 2 shown]
	v_and_b32_e32 v19, v19, v59
	v_lshlrev_b32_e32 v59, 24, v18
	v_not_b32_e32 v18, v59
	v_xor_b32_e32 v21, vcc_lo, v21
	v_cmp_gt_i64_e32 vcc, 0, v[58:59]
	v_ashrrev_i32_e32 v18, 31, v18
	v_and_b32_e32 v20, v20, v21
	v_xor_b32_e32 v21, vcc_hi, v18
	v_xor_b32_e32 v18, vcc_lo, v18
	v_and_b32_e32 v18, v20, v18
	v_and_b32_e32 v19, v19, v21
	v_mbcnt_lo_u32_b32 v20, v18, 0
	v_mbcnt_hi_u32_b32 v115, v19, v20
	v_cmp_eq_u32_e32 vcc, 0, v115
	v_cmp_ne_u64_e64 s[4:5], 0, v[18:19]
	s_and_b64 s[58:59], s[4:5], vcc
	; wave barrier
	s_and_saveexec_b64 s[4:5], s[58:59]
	s_cbranch_execz .LBB217_62
; %bb.61:                               ;   in Loop: Header=BB217_46 Depth=1
	v_bcnt_u32_b32 v18, v18, 0
	v_bcnt_u32_b32 v18, v19, v18
	s_waitcnt lgkmcnt(0)
	v_add_u32_e32 v18, v108, v18
	ds_write_b32 v109, v18
.LBB217_62:                             ;   in Loop: Header=BB217_46 Depth=1
	s_or_b64 exec, exec, s[4:5]
	; wave barrier
	s_waitcnt lgkmcnt(0)
	s_barrier
	ds_read2_b32 v[20:21], v87 offset0:2 offset1:3
	ds_read2_b32 v[18:19], v93 offset0:2 offset1:3
	s_waitcnt lgkmcnt(1)
	v_add_u32_e32 v59, v21, v20
	s_waitcnt lgkmcnt(0)
	v_add3_u32 v19, v59, v18, v19
	s_nop 1
	v_mov_b32_dpp v59, v19 row_shr:1 row_mask:0xf bank_mask:0xf
	v_cndmask_b32_e64 v59, v59, 0, s[22:23]
	v_add_u32_e32 v19, v59, v19
	s_nop 1
	v_mov_b32_dpp v59, v19 row_shr:2 row_mask:0xf bank_mask:0xf
	v_cndmask_b32_e64 v59, 0, v59, s[24:25]
	v_add_u32_e32 v19, v19, v59
	;; [unrolled: 4-line block ×4, first 2 shown]
	s_nop 1
	v_mov_b32_dpp v59, v19 row_bcast:15 row_mask:0xf bank_mask:0xf
	v_cndmask_b32_e64 v59, v59, 0, s[30:31]
	v_add_u32_e32 v19, v19, v59
	s_nop 1
	v_mov_b32_dpp v59, v19 row_bcast:31 row_mask:0xf bank_mask:0xf
	v_cndmask_b32_e64 v59, 0, v59, s[34:35]
	v_add_u32_e32 v19, v19, v59
	s_and_saveexec_b64 s[4:5], s[36:37]
	s_cbranch_execz .LBB217_64
; %bb.63:                               ;   in Loop: Header=BB217_46 Depth=1
	ds_write_b32 v96, v19
.LBB217_64:                             ;   in Loop: Header=BB217_46 Depth=1
	s_or_b64 exec, exec, s[4:5]
	s_waitcnt lgkmcnt(0)
	s_barrier
	s_and_saveexec_b64 s[4:5], s[16:17]
	s_cbranch_execz .LBB217_66
; %bb.65:                               ;   in Loop: Header=BB217_46 Depth=1
	ds_read_b32 v59, v86
	s_waitcnt lgkmcnt(0)
	s_nop 0
	v_mov_b32_dpp v110, v59 row_shr:1 row_mask:0xf bank_mask:0xf
	v_cndmask_b32_e64 v110, v110, 0, s[40:41]
	v_add_u32_e32 v59, v110, v59
	ds_write_b32 v86, v59
.LBB217_66:                             ;   in Loop: Header=BB217_46 Depth=1
	s_or_b64 exec, exec, s[4:5]
	v_mov_b32_e32 v59, 0
	s_waitcnt lgkmcnt(0)
	s_barrier
	s_and_saveexec_b64 s[4:5], s[18:19]
	s_cbranch_execz .LBB217_68
; %bb.67:                               ;   in Loop: Header=BB217_46 Depth=1
	ds_read_b32 v59, v97
.LBB217_68:                             ;   in Loop: Header=BB217_46 Depth=1
	s_or_b64 exec, exec, s[4:5]
	s_waitcnt lgkmcnt(0)
	v_add_u32_e32 v19, v59, v19
	ds_bpermute_b32 v19, v95, v19
	s_cmp_gt_u32 s54, 23
	s_waitcnt lgkmcnt(0)
	v_cndmask_b32_e64 v19, v19, v59, s[38:39]
	v_cndmask_b32_e64 v19, v19, 0, s[20:21]
	v_add_u32_e32 v20, v19, v20
	v_add_u32_e32 v21, v20, v21
	;; [unrolled: 1-line block ×3, first 2 shown]
	ds_write2_b32 v87, v19, v20 offset0:2 offset1:3
	ds_write2_b32 v93, v21, v18 offset0:2 offset1:3
	s_waitcnt lgkmcnt(0)
	s_barrier
	ds_read_b32 v18, v22
	ds_read_b32 v19, v25
	;; [unrolled: 1-line block ×8, first 2 shown]
	s_waitcnt lgkmcnt(7)
	v_add_u32_e32 v59, v18, v23
	s_waitcnt lgkmcnt(6)
	v_add3_u32 v109, v26, v24, v19
	s_waitcnt lgkmcnt(5)
	v_add3_u32 v110, v29, v27, v20
	;; [unrolled: 2-line block ×7, first 2 shown]
	s_cbranch_scc0 .LBB217_45
; %bb.69:
                                        ; implicit-def: $vgpr67
                                        ; implicit-def: $vgpr65
                                        ; implicit-def: $vgpr63
                                        ; implicit-def: $vgpr61
                                        ; implicit-def: $vgpr32_vgpr33
                                        ; implicit-def: $vgpr28_vgpr29
                                        ; implicit-def: $vgpr24_vgpr25
                                        ; implicit-def: $vgpr20_vgpr21
                                        ; implicit-def: $sgpr54
                                        ; implicit-def: $sgpr56
.LBB217_70:
	v_lshlrev_b32_e32 v18, 2, v59
	s_barrier
	ds_write_b32 v18, v107
	v_lshlrev_b32_e32 v18, 2, v109
	ds_write_b32 v18, v106
	v_lshlrev_b32_e32 v18, 2, v110
	;; [unrolled: 2-line block ×7, first 2 shown]
	v_lshlrev_b32_e32 v24, 2, v84
	ds_write_b32 v18, v100
	s_waitcnt lgkmcnt(0)
	s_barrier
	ds_read2_b32 v[18:19], v24 offset1:1
	ds_read2_b32 v[20:21], v24 offset0:2 offset1:3
	ds_read2_b32 v[22:23], v24 offset0:4 offset1:5
	;; [unrolled: 1-line block ×3, first 2 shown]
	v_bfrev_b32_e32 v66, 1
	v_lshlrev_b32_e32 v25, 3, v59
	v_lshlrev_b32_e32 v26, 3, v109
	s_waitcnt lgkmcnt(3)
	v_cmp_lt_i32_e32 vcc, -1, v19
	v_cndmask_b32_e64 v24, v66, -1, vcc
	v_cmp_lt_i32_e32 vcc, -1, v18
	v_cndmask_b32_e64 v58, v66, -1, vcc
	s_waitcnt lgkmcnt(2)
	v_cmp_lt_i32_e32 vcc, -1, v21
	v_xor_b32_e32 v58, v58, v18
	v_cndmask_b32_e64 v18, v66, -1, vcc
	v_cmp_lt_i32_e32 vcc, -1, v20
	v_xor_b32_e32 v59, v24, v19
	v_cndmask_b32_e64 v19, v66, -1, vcc
	s_waitcnt lgkmcnt(1)
	v_cmp_lt_i32_e32 vcc, -1, v23
	v_xor_b32_e32 v61, v18, v21
	v_cndmask_b32_e64 v18, v66, -1, vcc
	v_cmp_lt_i32_e32 vcc, -1, v22
	v_lshlrev_b32_e32 v27, 3, v110
	v_lshlrev_b32_e32 v28, 3, v111
	;; [unrolled: 1-line block ×7, first 2 shown]
	v_xor_b32_e32 v60, v19, v20
	v_cndmask_b32_e64 v19, v66, -1, vcc
	v_xor_b32_e32 v62, v19, v22
	v_xor_b32_e32 v63, v18, v23
	s_waitcnt lgkmcnt(0)
	s_barrier
	ds_write_b64 v25, v[56:57]
	ds_write_b64 v26, v[54:55]
	;; [unrolled: 1-line block ×8, first 2 shown]
	s_waitcnt lgkmcnt(0)
	s_barrier
	ds_read2_b64 v[18:21], v33 offset1:1
	ds_read2_b64 v[22:25], v33 offset0:2 offset1:3
	ds_read2_b64 v[26:29], v33 offset0:4 offset1:5
	;; [unrolled: 1-line block ×3, first 2 shown]
	v_cmp_lt_i32_e32 vcc, -1, v65
	v_cndmask_b32_e64 v1, v66, -1, vcc
	v_cmp_lt_i32_e32 vcc, -1, v64
	v_cndmask_b32_e64 v0, v66, -1, vcc
	v_xor_b32_e32 v0, v0, v64
	v_xor_b32_e32 v1, v1, v65
	s_branch .LBB217_106
.LBB217_71:
	v_mad_u64_u32 v[2:3], s[16:17], v34, s46, 0
	v_mov_b32_e32 v4, v3
	v_mad_u64_u32 v[4:5], s[16:17], v34, s47, v[4:5]
	v_mov_b32_e32 v3, v4
	v_lshlrev_b64 v[2:3], 3, v[2:3]
	v_mov_b32_e32 v4, s52
	v_add_co_u32_e32 v2, vcc, s51, v2
	v_addc_co_u32_e32 v3, vcc, v4, v3, vcc
	global_load_dwordx2 v[2:3], v[2:3], off
	v_mov_b32_e32 v4, 0
	v_mov_b32_e32 v5, v4
	;; [unrolled: 1-line block ×14, first 2 shown]
	s_or_b64 exec, exec, s[4:5]
	s_and_saveexec_b64 s[4:5], s[2:3]
	s_cbranch_execz .LBB217_36
.LBB217_72:
	v_mad_u64_u32 v[4:5], s[16:17], v24, s46, 0
	v_mov_b32_e32 v44, v5
	v_mad_u64_u32 v[44:45], s[16:17], v24, s47, v[44:45]
	v_mov_b32_e32 v5, v44
	v_lshlrev_b64 v[4:5], 3, v[4:5]
	v_mov_b32_e32 v24, s52
	v_add_co_u32_e32 v4, vcc, s51, v4
	v_addc_co_u32_e32 v5, vcc, v24, v5, vcc
	global_load_dwordx2 v[4:5], v[4:5], off
	s_or_b64 exec, exec, s[4:5]
	s_and_saveexec_b64 s[4:5], s[42:43]
	s_cbranch_execz .LBB217_37
.LBB217_73:
	v_mad_u64_u32 v[6:7], s[16:17], v23, s46, 0
	v_mov_b32_e32 v24, v7
	v_mad_u64_u32 v[44:45], s[16:17], v23, s47, v[24:25]
	v_mov_b32_e32 v7, v44
	v_lshlrev_b64 v[6:7], 3, v[6:7]
	v_mov_b32_e32 v23, s52
	v_add_co_u32_e32 v6, vcc, s51, v6
	v_addc_co_u32_e32 v7, vcc, v23, v7, vcc
	global_load_dwordx2 v[6:7], v[6:7], off
	s_or_b64 exec, exec, s[4:5]
	s_and_saveexec_b64 s[4:5], s[6:7]
	s_cbranch_execz .LBB217_38
.LBB217_74:
	v_mad_u64_u32 v[8:9], s[16:17], v22, s46, 0
	v_mov_b32_e32 v24, v9
	v_mad_u64_u32 v[22:23], s[16:17], v22, s47, v[24:25]
	v_mov_b32_e32 v9, v22
	v_lshlrev_b64 v[8:9], 3, v[8:9]
	v_mov_b32_e32 v22, s52
	v_add_co_u32_e32 v8, vcc, s51, v8
	v_addc_co_u32_e32 v9, vcc, v22, v9, vcc
	global_load_dwordx2 v[8:9], v[8:9], off
	s_or_b64 exec, exec, s[4:5]
	s_and_saveexec_b64 s[4:5], s[8:9]
	s_cbranch_execz .LBB217_39
.LBB217_75:
	v_mad_u64_u32 v[10:11], s[16:17], v21, s46, 0
	v_mov_b32_e32 v22, v11
	v_mad_u64_u32 v[22:23], s[16:17], v21, s47, v[22:23]
	v_mov_b32_e32 v11, v22
	v_lshlrev_b64 v[10:11], 3, v[10:11]
	v_mov_b32_e32 v21, s52
	v_add_co_u32_e32 v10, vcc, s51, v10
	v_addc_co_u32_e32 v11, vcc, v21, v11, vcc
	global_load_dwordx2 v[10:11], v[10:11], off
	s_or_b64 exec, exec, s[4:5]
	s_and_saveexec_b64 s[4:5], s[10:11]
	s_cbranch_execz .LBB217_40
.LBB217_76:
	v_mad_u64_u32 v[12:13], s[16:17], v19, s46, 0
	v_mov_b32_e32 v22, v13
	v_mad_u64_u32 v[22:23], s[16:17], v19, s47, v[22:23]
	v_mov_b32_e32 v13, v22
	v_lshlrev_b64 v[12:13], 3, v[12:13]
	v_mov_b32_e32 v19, s52
	v_add_co_u32_e32 v12, vcc, s51, v12
	v_addc_co_u32_e32 v13, vcc, v19, v13, vcc
	global_load_dwordx2 v[12:13], v[12:13], off
	s_or_b64 exec, exec, s[4:5]
	s_and_saveexec_b64 s[4:5], s[12:13]
	s_cbranch_execz .LBB217_41
.LBB217_77:
	v_mad_u64_u32 v[14:15], s[16:17], v20, s46, 0
	v_mov_b32_e32 v22, v15
	v_mad_u64_u32 v[20:21], s[16:17], v20, s47, v[22:23]
	v_mov_b32_e32 v15, v20
	v_lshlrev_b64 v[14:15], 3, v[14:15]
	v_mov_b32_e32 v19, s52
	v_add_co_u32_e32 v14, vcc, s51, v14
	v_addc_co_u32_e32 v15, vcc, v19, v15, vcc
	global_load_dwordx2 v[14:15], v[14:15], off
	s_or_b64 exec, exec, s[4:5]
	s_xor_b64 s[4:5], s[34:35], -1
	s_and_saveexec_b64 s[16:17], s[14:15]
	s_cbranch_execnz .LBB217_42
	s_branch .LBB217_43
.LBB217_78:
                                        ; implicit-def: $vgpr1
                                        ; implicit-def: $vgpr0
                                        ; implicit-def: $vgpr63
                                        ; implicit-def: $vgpr62
                                        ; implicit-def: $vgpr61
                                        ; implicit-def: $vgpr60
                                        ; implicit-def: $vgpr59
                                        ; implicit-def: $vgpr58
                                        ; implicit-def: $vgpr32_vgpr33
                                        ; implicit-def: $vgpr28_vgpr29
                                        ; implicit-def: $vgpr24_vgpr25
                                        ; implicit-def: $vgpr20_vgpr21
	s_cbranch_execz .LBB217_106
; %bb.79:
	v_bfrev_b32_e32 v44, -2
	v_cmp_gt_i32_e32 vcc, 0, v42
	s_waitcnt lgkmcnt(3)
	v_mbcnt_hi_u32_b32 v18, -1, v91
	v_and_b32_e32 v19, 0x3c0, v34
	v_cndmask_b32_e64 v20, v44, 0, vcc
	v_cmp_gt_i32_e32 vcc, 0, v43
	v_add_u32_e32 v0, v18, v19
	v_cndmask_b32_e64 v21, v44, 0, vcc
	v_lshlrev_b32_e32 v1, 5, v0
	v_xor_b32_e32 v21, v21, v43
	v_xor_b32_e32 v20, v20, v42
	v_cmp_gt_i32_e32 vcc, 0, v40
	ds_write2_b32 v1, v20, v21 offset1:1
	v_cndmask_b32_e64 v20, v44, 0, vcc
	v_cmp_gt_i32_e32 vcc, 0, v41
	v_cndmask_b32_e64 v21, v44, 0, vcc
	v_xor_b32_e32 v21, v21, v41
	v_xor_b32_e32 v20, v20, v40
	v_cmp_gt_i32_e32 vcc, 0, v38
	ds_write2_b32 v1, v20, v21 offset0:2 offset1:3
	v_cndmask_b32_e64 v20, v44, 0, vcc
	v_cmp_gt_i32_e32 vcc, 0, v39
	v_cndmask_b32_e64 v21, v44, 0, vcc
	v_xor_b32_e32 v21, v21, v39
	v_xor_b32_e32 v20, v20, v38
	v_cmp_gt_i32_e32 vcc, 0, v36
	ds_write2_b32 v1, v20, v21 offset0:4 offset1:5
	v_cndmask_b32_e64 v20, v44, 0, vcc
	v_cmp_gt_i32_e32 vcc, 0, v37
	v_cndmask_b32_e64 v21, v44, 0, vcc
	v_xor_b32_e32 v21, v21, v37
	v_xor_b32_e32 v20, v20, v36
	ds_write2_b32 v1, v20, v21 offset0:6 offset1:7
	v_and_b32_e32 v20, 0x1e00, v84
	v_or_b32_e32 v1, v18, v20
	v_lshlrev_b32_e32 v21, 2, v1
	v_lshlrev_b32_e32 v0, 6, v0
	; wave barrier
	ds_read2st64_b32 v[36:37], v21 offset1:1
	ds_read2st64_b32 v[38:39], v21 offset0:2 offset1:3
	ds_read2st64_b32 v[40:41], v21 offset0:4 offset1:5
	;; [unrolled: 1-line block ×3, first 2 shown]
	s_waitcnt lgkmcnt(0)
	s_barrier
	ds_write2_b64 v0, v[14:15], v[16:17] offset1:1
	ds_write2_b64 v0, v[10:11], v[12:13] offset0:2 offset1:3
	ds_write2_b64 v0, v[6:7], v[8:9] offset0:4 offset1:5
	;; [unrolled: 1-line block ×3, first 2 shown]
	v_lshlrev_b32_e32 v12, 3, v1
	; wave barrier
	ds_read2st64_b64 v[0:3], v12 offset1:1
	ds_read2st64_b64 v[4:7], v12 offset0:2 offset1:3
	ds_read2st64_b64 v[8:11], v12 offset0:4 offset1:5
	;; [unrolled: 1-line block ×3, first 2 shown]
	s_waitcnt lgkmcnt(0)
	s_barrier
	s_load_dword s16, s[48:49], 0xc
	s_getpc_b64 s[4:5]
	s_add_u32 s4, s4, _ZN7rocprim17ROCPRIM_400000_NS16block_radix_sortIfLj128ELj8ElLj1ELj1ELj0ELNS0_26block_radix_rank_algorithmE1ELNS0_18block_padding_hintE2ELNS0_4arch9wavefront6targetE1EE19radix_bits_per_passE@rel32@lo+4
	s_addc_u32 s5, s5, _ZN7rocprim17ROCPRIM_400000_NS16block_radix_sortIfLj128ELj8ElLj1ELj1ELj0ELNS0_26block_radix_rank_algorithmE1ELNS0_18block_padding_hintE2ELNS0_4arch9wavefront6targetE1EE19radix_bits_per_passE@rel32@hi+12
	s_load_dword s48, s[4:5], 0x0
	v_and_b32_e32 v48, 60, v88
	s_mov_b32 s49, 0
	s_waitcnt lgkmcnt(0)
	s_lshr_b32 s4, s16, 16
	s_and_b32 s5, s16, 0xffff
	v_mad_u32_u24 v16, v90, s4, v89
	v_mad_u64_u32 v[16:17], s[4:5], v16, s5, v[34:35]
	v_lshrrev_b32_e32 v46, 6, v16
	v_and_b32_e32 v16, 15, v18
	v_cmp_eq_u32_e64 s[16:17], 0, v16
	v_cmp_lt_u32_e64 s[18:19], 1, v16
	v_cmp_lt_u32_e64 s[20:21], 3, v16
	;; [unrolled: 1-line block ×3, first 2 shown]
	v_and_b32_e32 v16, 16, v18
	v_cmp_eq_u32_e64 s[24:25], 0, v16
	v_min_u32_e32 v16, 64, v19
	v_or_b32_e32 v16, 63, v16
	v_cmp_eq_u32_e64 s[28:29], v16, v34
	v_add_u32_e32 v16, -1, v18
	v_and_b32_e32 v17, 64, v18
	v_cmp_lt_i32_e32 vcc, v16, v17
	v_cndmask_b32_e32 v16, v16, v18, vcc
	v_lshlrev_b32_e32 v47, 2, v16
	v_and_b32_e32 v16, 1, v18
	v_cmp_eq_u32_e64 s[40:41], 0, v16
	v_and_or_b32 v16, v18, 63, v20
	v_or_b32_e32 v45, 8, v87
	v_cmp_lt_u32_e64 s[26:27], 31, v18
	v_cmp_gt_u32_e64 s[30:31], 2, v34
	v_cmp_lt_u32_e64 s[34:35], 63, v34
	v_cmp_eq_u32_e64 s[36:37], 0, v18
	v_cmp_eq_u32_e64 s[38:39], 0, v34
	v_add_u32_e32 v49, -4, v48
	v_lshlrev_b32_e32 v50, 2, v16
	v_lshlrev_b32_e32 v51, 3, v16
	s_mov_b32 s54, 32
	s_brev_b32 s53, 1
	v_mov_b32_e32 v32, 0
	s_branch .LBB217_81
.LBB217_80:                             ;   in Loop: Header=BB217_81 Depth=1
	v_lshlrev_b32_e32 v0, 2, v33
	s_barrier
	ds_write_b32 v0, v59
	v_lshlrev_b32_e32 v0, 2, v61
	ds_write_b32 v0, v58
	v_lshlrev_b32_e32 v0, 2, v62
	;; [unrolled: 2-line block ×8, first 2 shown]
	s_waitcnt lgkmcnt(0)
	s_barrier
	ds_read2st64_b32 v[36:37], v50 offset1:1
	ds_read2st64_b32 v[38:39], v50 offset0:2 offset1:3
	ds_read2st64_b32 v[40:41], v50 offset0:4 offset1:5
	;; [unrolled: 1-line block ×3, first 2 shown]
	s_waitcnt lgkmcnt(0)
	s_barrier
	ds_write_b64 v0, v[30:31]
	v_lshlrev_b32_e32 v0, 3, v61
	ds_write_b64 v0, v[28:29]
	v_lshlrev_b32_e32 v0, 3, v62
	;; [unrolled: 2-line block ×7, first 2 shown]
	ds_write_b64 v0, v[16:17]
	s_waitcnt lgkmcnt(0)
	s_barrier
	ds_read2st64_b64 v[0:3], v51 offset1:1
	ds_read2st64_b64 v[4:7], v51 offset0:2 offset1:3
	ds_read2st64_b64 v[8:11], v51 offset0:4 offset1:5
	;; [unrolled: 1-line block ×3, first 2 shown]
	s_add_i32 s49, s49, 8
	s_add_i32 s54, s54, -8
	s_waitcnt lgkmcnt(0)
	s_barrier
	s_cbranch_execz .LBB217_105
.LBB217_81:                             ; =>This Inner Loop Header: Depth=1
	v_mov_b32_e32 v59, v36
	s_min_u32 s4, s48, s54
	v_cmp_ne_u32_e32 vcc, s53, v59
	v_pk_mov_b32 v[30:31], v[0:1], v[0:1] op_sel:[0,1]
	s_lshl_b32 s4, -1, s4
	v_cndmask_b32_e32 v0, v44, v59, vcc
	s_not_b32 s55, s4
	v_lshrrev_b32_e32 v0, s49, v0
	v_and_b32_e32 v0, s55, v0
	v_lshl_add_u32 v1, v0, 1, v46
	v_pk_mov_b32 v[26:27], v[4:5], v[4:5] op_sel:[0,1]
	v_lshl_add_u32 v4, v1, 2, 8
	v_and_b32_e32 v1, 1, v0
	v_pk_mov_b32 v[28:29], v[2:3], v[2:3] op_sel:[0,1]
	v_add_co_u32_e32 v2, vcc, -1, v1
	v_addc_co_u32_e64 v3, s[4:5], 0, -1, vcc
	v_cmp_ne_u32_e32 vcc, 0, v1
	v_lshlrev_b32_e32 v33, 30, v0
	v_xor_b32_e32 v1, vcc_hi, v3
	v_not_b32_e32 v3, v33
	v_xor_b32_e32 v2, vcc_lo, v2
	v_cmp_gt_i64_e32 vcc, 0, v[32:33]
	v_ashrrev_i32_e32 v3, 31, v3
	v_and_b32_e32 v2, exec_lo, v2
	v_xor_b32_e32 v5, vcc_hi, v3
	v_xor_b32_e32 v3, vcc_lo, v3
	v_lshlrev_b32_e32 v33, 29, v0
	v_and_b32_e32 v2, v2, v3
	v_not_b32_e32 v3, v33
	v_and_b32_e32 v1, exec_hi, v1
	v_cmp_gt_i64_e32 vcc, 0, v[32:33]
	v_ashrrev_i32_e32 v3, 31, v3
	v_and_b32_e32 v1, v1, v5
	v_xor_b32_e32 v5, vcc_hi, v3
	v_xor_b32_e32 v3, vcc_lo, v3
	v_lshlrev_b32_e32 v33, 28, v0
	v_and_b32_e32 v2, v2, v3
	v_not_b32_e32 v3, v33
	v_cmp_gt_i64_e32 vcc, 0, v[32:33]
	v_ashrrev_i32_e32 v3, 31, v3
	v_and_b32_e32 v1, v1, v5
	v_xor_b32_e32 v5, vcc_hi, v3
	v_xor_b32_e32 v3, vcc_lo, v3
	v_lshlrev_b32_e32 v33, 27, v0
	v_and_b32_e32 v2, v2, v3
	v_not_b32_e32 v3, v33
	;; [unrolled: 8-line block ×3, first 2 shown]
	v_cmp_gt_i64_e32 vcc, 0, v[32:33]
	v_ashrrev_i32_e32 v3, 31, v3
	v_and_b32_e32 v1, v1, v5
	v_xor_b32_e32 v5, vcc_hi, v3
	v_xor_b32_e32 v3, vcc_lo, v3
	v_lshlrev_b32_e32 v33, 25, v0
	v_and_b32_e32 v2, v2, v3
	v_cmp_gt_i64_e32 vcc, 0, v[32:33]
	v_not_b32_e32 v3, v33
	v_lshlrev_b32_e32 v33, 24, v0
	v_ashrrev_i32_e32 v3, 31, v3
	v_not_b32_e32 v0, v33
	v_and_b32_e32 v1, v1, v5
	v_xor_b32_e32 v5, vcc_hi, v3
	v_xor_b32_e32 v3, vcc_lo, v3
	v_cmp_gt_i64_e32 vcc, 0, v[32:33]
	v_ashrrev_i32_e32 v0, 31, v0
	v_and_b32_e32 v2, v2, v3
	v_xor_b32_e32 v3, vcc_hi, v0
	v_xor_b32_e32 v0, vcc_lo, v0
	v_and_b32_e32 v1, v1, v5
	v_and_b32_e32 v0, v2, v0
	v_and_b32_e32 v1, v1, v3
	v_mbcnt_lo_u32_b32 v2, v0, 0
	v_mbcnt_hi_u32_b32 v5, v1, v2
	v_cmp_eq_u32_e32 vcc, 0, v5
	v_cmp_ne_u64_e64 s[4:5], 0, v[0:1]
	v_mov_b32_e32 v52, v43
	v_mov_b32_e32 v53, v42
	;; [unrolled: 1-line block ×7, first 2 shown]
	v_pk_mov_b32 v[16:17], v[14:15], v[14:15] op_sel:[0,1]
	v_pk_mov_b32 v[18:19], v[12:13], v[12:13] op_sel:[0,1]
	;; [unrolled: 1-line block ×5, first 2 shown]
	s_and_b64 s[56:57], s[4:5], vcc
	ds_write2_b32 v87, v32, v32 offset0:2 offset1:3
	ds_write2_b32 v45, v32, v32 offset0:2 offset1:3
	s_waitcnt lgkmcnt(0)
	s_barrier
	s_waitcnt lgkmcnt(0)
	; wave barrier
	s_and_saveexec_b64 s[4:5], s[56:57]
	s_cbranch_execz .LBB217_83
; %bb.82:                               ;   in Loop: Header=BB217_81 Depth=1
	v_bcnt_u32_b32 v0, v0, 0
	v_bcnt_u32_b32 v0, v1, v0
	ds_write_b32 v4, v0
.LBB217_83:                             ;   in Loop: Header=BB217_81 Depth=1
	s_or_b64 exec, exec, s[4:5]
	v_cmp_ne_u32_e32 vcc, s53, v58
	v_cndmask_b32_e32 v0, v44, v58, vcc
	v_lshrrev_b32_e32 v0, s49, v0
	v_and_b32_e32 v0, s55, v0
	v_lshlrev_b32_e32 v1, 1, v0
	v_add_lshl_u32 v1, v1, v46, 2
	; wave barrier
	v_add_u32_e32 v7, 8, v1
	ds_read_b32 v6, v1 offset:8
	v_and_b32_e32 v1, 1, v0
	v_add_co_u32_e32 v2, vcc, -1, v1
	v_addc_co_u32_e64 v3, s[4:5], 0, -1, vcc
	v_cmp_ne_u32_e32 vcc, 0, v1
	v_lshlrev_b32_e32 v33, 30, v0
	v_xor_b32_e32 v1, vcc_hi, v3
	v_not_b32_e32 v3, v33
	v_xor_b32_e32 v2, vcc_lo, v2
	v_cmp_gt_i64_e32 vcc, 0, v[32:33]
	v_ashrrev_i32_e32 v3, 31, v3
	v_and_b32_e32 v2, exec_lo, v2
	v_xor_b32_e32 v8, vcc_hi, v3
	v_xor_b32_e32 v3, vcc_lo, v3
	v_lshlrev_b32_e32 v33, 29, v0
	v_and_b32_e32 v2, v2, v3
	v_not_b32_e32 v3, v33
	v_and_b32_e32 v1, exec_hi, v1
	v_cmp_gt_i64_e32 vcc, 0, v[32:33]
	v_ashrrev_i32_e32 v3, 31, v3
	v_and_b32_e32 v1, v1, v8
	v_xor_b32_e32 v8, vcc_hi, v3
	v_xor_b32_e32 v3, vcc_lo, v3
	v_lshlrev_b32_e32 v33, 28, v0
	v_and_b32_e32 v2, v2, v3
	v_not_b32_e32 v3, v33
	v_cmp_gt_i64_e32 vcc, 0, v[32:33]
	v_ashrrev_i32_e32 v3, 31, v3
	v_and_b32_e32 v1, v1, v8
	v_xor_b32_e32 v8, vcc_hi, v3
	v_xor_b32_e32 v3, vcc_lo, v3
	v_lshlrev_b32_e32 v33, 27, v0
	v_and_b32_e32 v2, v2, v3
	v_not_b32_e32 v3, v33
	;; [unrolled: 8-line block ×3, first 2 shown]
	v_cmp_gt_i64_e32 vcc, 0, v[32:33]
	v_ashrrev_i32_e32 v3, 31, v3
	v_and_b32_e32 v1, v1, v8
	v_xor_b32_e32 v8, vcc_hi, v3
	v_xor_b32_e32 v3, vcc_lo, v3
	v_lshlrev_b32_e32 v33, 25, v0
	v_and_b32_e32 v2, v2, v3
	v_cmp_gt_i64_e32 vcc, 0, v[32:33]
	v_not_b32_e32 v3, v33
	v_lshlrev_b32_e32 v33, 24, v0
	v_ashrrev_i32_e32 v3, 31, v3
	v_not_b32_e32 v0, v33
	v_and_b32_e32 v1, v1, v8
	v_xor_b32_e32 v8, vcc_hi, v3
	v_xor_b32_e32 v3, vcc_lo, v3
	v_cmp_gt_i64_e32 vcc, 0, v[32:33]
	v_ashrrev_i32_e32 v0, 31, v0
	v_and_b32_e32 v2, v2, v3
	v_xor_b32_e32 v3, vcc_hi, v0
	v_xor_b32_e32 v0, vcc_lo, v0
	v_and_b32_e32 v1, v1, v8
	v_and_b32_e32 v0, v2, v0
	;; [unrolled: 1-line block ×3, first 2 shown]
	v_mbcnt_lo_u32_b32 v2, v0, 0
	v_mbcnt_hi_u32_b32 v8, v1, v2
	v_cmp_eq_u32_e32 vcc, 0, v8
	v_cmp_ne_u64_e64 s[4:5], 0, v[0:1]
	s_and_b64 s[56:57], s[4:5], vcc
	; wave barrier
	s_and_saveexec_b64 s[4:5], s[56:57]
	s_cbranch_execz .LBB217_85
; %bb.84:                               ;   in Loop: Header=BB217_81 Depth=1
	v_bcnt_u32_b32 v0, v0, 0
	v_bcnt_u32_b32 v0, v1, v0
	s_waitcnt lgkmcnt(0)
	v_add_u32_e32 v0, v6, v0
	ds_write_b32 v7, v0
.LBB217_85:                             ;   in Loop: Header=BB217_81 Depth=1
	s_or_b64 exec, exec, s[4:5]
	v_cmp_ne_u32_e32 vcc, s53, v57
	v_cndmask_b32_e32 v0, v44, v57, vcc
	v_lshrrev_b32_e32 v0, s49, v0
	v_and_b32_e32 v0, s55, v0
	v_lshlrev_b32_e32 v1, 1, v0
	v_add_lshl_u32 v1, v1, v46, 2
	; wave barrier
	v_add_u32_e32 v10, 8, v1
	ds_read_b32 v9, v1 offset:8
	v_and_b32_e32 v1, 1, v0
	v_add_co_u32_e32 v2, vcc, -1, v1
	v_addc_co_u32_e64 v3, s[4:5], 0, -1, vcc
	v_cmp_ne_u32_e32 vcc, 0, v1
	v_lshlrev_b32_e32 v33, 30, v0
	v_xor_b32_e32 v1, vcc_hi, v3
	v_not_b32_e32 v3, v33
	v_xor_b32_e32 v2, vcc_lo, v2
	v_cmp_gt_i64_e32 vcc, 0, v[32:33]
	v_ashrrev_i32_e32 v3, 31, v3
	v_and_b32_e32 v2, exec_lo, v2
	v_xor_b32_e32 v11, vcc_hi, v3
	v_xor_b32_e32 v3, vcc_lo, v3
	v_lshlrev_b32_e32 v33, 29, v0
	v_and_b32_e32 v2, v2, v3
	v_not_b32_e32 v3, v33
	v_and_b32_e32 v1, exec_hi, v1
	v_cmp_gt_i64_e32 vcc, 0, v[32:33]
	v_ashrrev_i32_e32 v3, 31, v3
	v_and_b32_e32 v1, v1, v11
	v_xor_b32_e32 v11, vcc_hi, v3
	v_xor_b32_e32 v3, vcc_lo, v3
	v_lshlrev_b32_e32 v33, 28, v0
	v_and_b32_e32 v2, v2, v3
	v_not_b32_e32 v3, v33
	v_cmp_gt_i64_e32 vcc, 0, v[32:33]
	v_ashrrev_i32_e32 v3, 31, v3
	v_and_b32_e32 v1, v1, v11
	v_xor_b32_e32 v11, vcc_hi, v3
	v_xor_b32_e32 v3, vcc_lo, v3
	v_lshlrev_b32_e32 v33, 27, v0
	v_and_b32_e32 v2, v2, v3
	v_not_b32_e32 v3, v33
	;; [unrolled: 8-line block ×3, first 2 shown]
	v_cmp_gt_i64_e32 vcc, 0, v[32:33]
	v_ashrrev_i32_e32 v3, 31, v3
	v_and_b32_e32 v1, v1, v11
	v_xor_b32_e32 v11, vcc_hi, v3
	v_xor_b32_e32 v3, vcc_lo, v3
	v_lshlrev_b32_e32 v33, 25, v0
	v_and_b32_e32 v2, v2, v3
	v_cmp_gt_i64_e32 vcc, 0, v[32:33]
	v_not_b32_e32 v3, v33
	v_lshlrev_b32_e32 v33, 24, v0
	v_ashrrev_i32_e32 v3, 31, v3
	v_not_b32_e32 v0, v33
	v_and_b32_e32 v1, v1, v11
	v_xor_b32_e32 v11, vcc_hi, v3
	v_xor_b32_e32 v3, vcc_lo, v3
	v_cmp_gt_i64_e32 vcc, 0, v[32:33]
	v_ashrrev_i32_e32 v0, 31, v0
	v_and_b32_e32 v2, v2, v3
	v_xor_b32_e32 v3, vcc_hi, v0
	v_xor_b32_e32 v0, vcc_lo, v0
	v_and_b32_e32 v1, v1, v11
	v_and_b32_e32 v0, v2, v0
	;; [unrolled: 1-line block ×3, first 2 shown]
	v_mbcnt_lo_u32_b32 v2, v0, 0
	v_mbcnt_hi_u32_b32 v11, v1, v2
	v_cmp_eq_u32_e32 vcc, 0, v11
	v_cmp_ne_u64_e64 s[4:5], 0, v[0:1]
	s_and_b64 s[56:57], s[4:5], vcc
	; wave barrier
	s_and_saveexec_b64 s[4:5], s[56:57]
	s_cbranch_execz .LBB217_87
; %bb.86:                               ;   in Loop: Header=BB217_81 Depth=1
	v_bcnt_u32_b32 v0, v0, 0
	v_bcnt_u32_b32 v0, v1, v0
	s_waitcnt lgkmcnt(0)
	v_add_u32_e32 v0, v9, v0
	ds_write_b32 v10, v0
.LBB217_87:                             ;   in Loop: Header=BB217_81 Depth=1
	s_or_b64 exec, exec, s[4:5]
	v_cmp_ne_u32_e32 vcc, s53, v56
	v_cndmask_b32_e32 v0, v44, v56, vcc
	v_lshrrev_b32_e32 v0, s49, v0
	v_and_b32_e32 v0, s55, v0
	v_lshlrev_b32_e32 v1, 1, v0
	v_add_lshl_u32 v1, v1, v46, 2
	; wave barrier
	v_add_u32_e32 v13, 8, v1
	ds_read_b32 v12, v1 offset:8
	v_and_b32_e32 v1, 1, v0
	v_add_co_u32_e32 v2, vcc, -1, v1
	v_addc_co_u32_e64 v3, s[4:5], 0, -1, vcc
	v_cmp_ne_u32_e32 vcc, 0, v1
	v_lshlrev_b32_e32 v33, 30, v0
	v_xor_b32_e32 v1, vcc_hi, v3
	v_not_b32_e32 v3, v33
	v_xor_b32_e32 v2, vcc_lo, v2
	v_cmp_gt_i64_e32 vcc, 0, v[32:33]
	v_ashrrev_i32_e32 v3, 31, v3
	v_and_b32_e32 v2, exec_lo, v2
	v_xor_b32_e32 v14, vcc_hi, v3
	v_xor_b32_e32 v3, vcc_lo, v3
	v_lshlrev_b32_e32 v33, 29, v0
	v_and_b32_e32 v2, v2, v3
	v_not_b32_e32 v3, v33
	v_and_b32_e32 v1, exec_hi, v1
	v_cmp_gt_i64_e32 vcc, 0, v[32:33]
	v_ashrrev_i32_e32 v3, 31, v3
	v_and_b32_e32 v1, v1, v14
	v_xor_b32_e32 v14, vcc_hi, v3
	v_xor_b32_e32 v3, vcc_lo, v3
	v_lshlrev_b32_e32 v33, 28, v0
	v_and_b32_e32 v2, v2, v3
	v_not_b32_e32 v3, v33
	v_cmp_gt_i64_e32 vcc, 0, v[32:33]
	v_ashrrev_i32_e32 v3, 31, v3
	v_and_b32_e32 v1, v1, v14
	v_xor_b32_e32 v14, vcc_hi, v3
	v_xor_b32_e32 v3, vcc_lo, v3
	v_lshlrev_b32_e32 v33, 27, v0
	v_and_b32_e32 v2, v2, v3
	v_not_b32_e32 v3, v33
	;; [unrolled: 8-line block ×3, first 2 shown]
	v_cmp_gt_i64_e32 vcc, 0, v[32:33]
	v_ashrrev_i32_e32 v3, 31, v3
	v_and_b32_e32 v1, v1, v14
	v_xor_b32_e32 v14, vcc_hi, v3
	v_xor_b32_e32 v3, vcc_lo, v3
	v_lshlrev_b32_e32 v33, 25, v0
	v_and_b32_e32 v2, v2, v3
	v_cmp_gt_i64_e32 vcc, 0, v[32:33]
	v_not_b32_e32 v3, v33
	v_lshlrev_b32_e32 v33, 24, v0
	v_ashrrev_i32_e32 v3, 31, v3
	v_not_b32_e32 v0, v33
	v_and_b32_e32 v1, v1, v14
	v_xor_b32_e32 v14, vcc_hi, v3
	v_xor_b32_e32 v3, vcc_lo, v3
	v_cmp_gt_i64_e32 vcc, 0, v[32:33]
	v_ashrrev_i32_e32 v0, 31, v0
	v_and_b32_e32 v2, v2, v3
	v_xor_b32_e32 v3, vcc_hi, v0
	v_xor_b32_e32 v0, vcc_lo, v0
	v_and_b32_e32 v1, v1, v14
	v_and_b32_e32 v0, v2, v0
	;; [unrolled: 1-line block ×3, first 2 shown]
	v_mbcnt_lo_u32_b32 v2, v0, 0
	v_mbcnt_hi_u32_b32 v14, v1, v2
	v_cmp_eq_u32_e32 vcc, 0, v14
	v_cmp_ne_u64_e64 s[4:5], 0, v[0:1]
	s_and_b64 s[56:57], s[4:5], vcc
	; wave barrier
	s_and_saveexec_b64 s[4:5], s[56:57]
	s_cbranch_execz .LBB217_89
; %bb.88:                               ;   in Loop: Header=BB217_81 Depth=1
	v_bcnt_u32_b32 v0, v0, 0
	v_bcnt_u32_b32 v0, v1, v0
	s_waitcnt lgkmcnt(0)
	v_add_u32_e32 v0, v12, v0
	ds_write_b32 v13, v0
.LBB217_89:                             ;   in Loop: Header=BB217_81 Depth=1
	s_or_b64 exec, exec, s[4:5]
	v_cmp_ne_u32_e32 vcc, s53, v55
	v_cndmask_b32_e32 v0, v44, v55, vcc
	v_lshrrev_b32_e32 v0, s49, v0
	v_and_b32_e32 v0, s55, v0
	v_lshlrev_b32_e32 v1, 1, v0
	v_add_lshl_u32 v1, v1, v46, 2
	; wave barrier
	v_add_u32_e32 v36, 8, v1
	ds_read_b32 v15, v1 offset:8
	v_and_b32_e32 v1, 1, v0
	v_add_co_u32_e32 v2, vcc, -1, v1
	v_addc_co_u32_e64 v3, s[4:5], 0, -1, vcc
	v_cmp_ne_u32_e32 vcc, 0, v1
	v_lshlrev_b32_e32 v33, 30, v0
	v_xor_b32_e32 v1, vcc_hi, v3
	v_not_b32_e32 v3, v33
	v_xor_b32_e32 v2, vcc_lo, v2
	v_cmp_gt_i64_e32 vcc, 0, v[32:33]
	v_ashrrev_i32_e32 v3, 31, v3
	v_and_b32_e32 v1, exec_hi, v1
	v_xor_b32_e32 v33, vcc_hi, v3
	v_and_b32_e32 v2, exec_lo, v2
	v_xor_b32_e32 v3, vcc_lo, v3
	v_and_b32_e32 v1, v1, v33
	v_lshlrev_b32_e32 v33, 29, v0
	v_and_b32_e32 v2, v2, v3
	v_not_b32_e32 v3, v33
	v_cmp_gt_i64_e32 vcc, 0, v[32:33]
	v_ashrrev_i32_e32 v3, 31, v3
	v_xor_b32_e32 v33, vcc_hi, v3
	v_xor_b32_e32 v3, vcc_lo, v3
	v_and_b32_e32 v1, v1, v33
	v_lshlrev_b32_e32 v33, 28, v0
	v_and_b32_e32 v2, v2, v3
	v_not_b32_e32 v3, v33
	v_cmp_gt_i64_e32 vcc, 0, v[32:33]
	v_ashrrev_i32_e32 v3, 31, v3
	v_xor_b32_e32 v33, vcc_hi, v3
	;; [unrolled: 8-line block ×5, first 2 shown]
	v_and_b32_e32 v1, v1, v33
	v_lshlrev_b32_e32 v33, 24, v0
	v_not_b32_e32 v0, v33
	v_xor_b32_e32 v3, vcc_lo, v3
	v_cmp_gt_i64_e32 vcc, 0, v[32:33]
	v_ashrrev_i32_e32 v0, 31, v0
	v_and_b32_e32 v2, v2, v3
	v_xor_b32_e32 v3, vcc_hi, v0
	v_xor_b32_e32 v0, vcc_lo, v0
	v_and_b32_e32 v0, v2, v0
	v_and_b32_e32 v1, v1, v3
	v_mbcnt_lo_u32_b32 v2, v0, 0
	v_mbcnt_hi_u32_b32 v37, v1, v2
	v_cmp_eq_u32_e32 vcc, 0, v37
	v_cmp_ne_u64_e64 s[4:5], 0, v[0:1]
	s_and_b64 s[56:57], s[4:5], vcc
	; wave barrier
	s_and_saveexec_b64 s[4:5], s[56:57]
	s_cbranch_execz .LBB217_91
; %bb.90:                               ;   in Loop: Header=BB217_81 Depth=1
	v_bcnt_u32_b32 v0, v0, 0
	v_bcnt_u32_b32 v0, v1, v0
	s_waitcnt lgkmcnt(0)
	v_add_u32_e32 v0, v15, v0
	ds_write_b32 v36, v0
.LBB217_91:                             ;   in Loop: Header=BB217_81 Depth=1
	s_or_b64 exec, exec, s[4:5]
	v_cmp_ne_u32_e32 vcc, s53, v54
	v_cndmask_b32_e32 v0, v44, v54, vcc
	v_lshrrev_b32_e32 v0, s49, v0
	v_and_b32_e32 v0, s55, v0
	v_lshlrev_b32_e32 v1, 1, v0
	v_add_lshl_u32 v1, v1, v46, 2
	; wave barrier
	v_add_u32_e32 v39, 8, v1
	ds_read_b32 v38, v1 offset:8
	v_and_b32_e32 v1, 1, v0
	v_add_co_u32_e32 v2, vcc, -1, v1
	v_addc_co_u32_e64 v3, s[4:5], 0, -1, vcc
	v_cmp_ne_u32_e32 vcc, 0, v1
	v_lshlrev_b32_e32 v33, 30, v0
	v_xor_b32_e32 v1, vcc_hi, v3
	v_not_b32_e32 v3, v33
	v_xor_b32_e32 v2, vcc_lo, v2
	v_cmp_gt_i64_e32 vcc, 0, v[32:33]
	v_ashrrev_i32_e32 v3, 31, v3
	v_and_b32_e32 v1, exec_hi, v1
	v_xor_b32_e32 v33, vcc_hi, v3
	v_and_b32_e32 v2, exec_lo, v2
	v_xor_b32_e32 v3, vcc_lo, v3
	v_and_b32_e32 v1, v1, v33
	v_lshlrev_b32_e32 v33, 29, v0
	v_and_b32_e32 v2, v2, v3
	v_not_b32_e32 v3, v33
	v_cmp_gt_i64_e32 vcc, 0, v[32:33]
	v_ashrrev_i32_e32 v3, 31, v3
	v_xor_b32_e32 v33, vcc_hi, v3
	v_xor_b32_e32 v3, vcc_lo, v3
	v_and_b32_e32 v1, v1, v33
	v_lshlrev_b32_e32 v33, 28, v0
	v_and_b32_e32 v2, v2, v3
	v_not_b32_e32 v3, v33
	v_cmp_gt_i64_e32 vcc, 0, v[32:33]
	v_ashrrev_i32_e32 v3, 31, v3
	v_xor_b32_e32 v33, vcc_hi, v3
	;; [unrolled: 8-line block ×5, first 2 shown]
	v_and_b32_e32 v1, v1, v33
	v_lshlrev_b32_e32 v33, 24, v0
	v_not_b32_e32 v0, v33
	v_xor_b32_e32 v3, vcc_lo, v3
	v_cmp_gt_i64_e32 vcc, 0, v[32:33]
	v_ashrrev_i32_e32 v0, 31, v0
	v_and_b32_e32 v2, v2, v3
	v_xor_b32_e32 v3, vcc_hi, v0
	v_xor_b32_e32 v0, vcc_lo, v0
	v_and_b32_e32 v0, v2, v0
	v_and_b32_e32 v1, v1, v3
	v_mbcnt_lo_u32_b32 v2, v0, 0
	v_mbcnt_hi_u32_b32 v40, v1, v2
	v_cmp_eq_u32_e32 vcc, 0, v40
	v_cmp_ne_u64_e64 s[4:5], 0, v[0:1]
	s_and_b64 s[56:57], s[4:5], vcc
	; wave barrier
	s_and_saveexec_b64 s[4:5], s[56:57]
	s_cbranch_execz .LBB217_93
; %bb.92:                               ;   in Loop: Header=BB217_81 Depth=1
	v_bcnt_u32_b32 v0, v0, 0
	v_bcnt_u32_b32 v0, v1, v0
	s_waitcnt lgkmcnt(0)
	v_add_u32_e32 v0, v38, v0
	ds_write_b32 v39, v0
.LBB217_93:                             ;   in Loop: Header=BB217_81 Depth=1
	s_or_b64 exec, exec, s[4:5]
	v_cmp_ne_u32_e32 vcc, s53, v53
	v_cndmask_b32_e32 v0, v44, v53, vcc
	v_lshrrev_b32_e32 v0, s49, v0
	v_and_b32_e32 v0, s55, v0
	v_lshlrev_b32_e32 v1, 1, v0
	v_add_lshl_u32 v1, v1, v46, 2
	; wave barrier
	v_add_u32_e32 v42, 8, v1
	ds_read_b32 v41, v1 offset:8
	v_and_b32_e32 v1, 1, v0
	v_add_co_u32_e32 v2, vcc, -1, v1
	v_addc_co_u32_e64 v3, s[4:5], 0, -1, vcc
	v_cmp_ne_u32_e32 vcc, 0, v1
	v_lshlrev_b32_e32 v33, 30, v0
	v_xor_b32_e32 v1, vcc_hi, v3
	v_not_b32_e32 v3, v33
	v_xor_b32_e32 v2, vcc_lo, v2
	v_cmp_gt_i64_e32 vcc, 0, v[32:33]
	v_ashrrev_i32_e32 v3, 31, v3
	v_and_b32_e32 v1, exec_hi, v1
	v_xor_b32_e32 v33, vcc_hi, v3
	v_and_b32_e32 v2, exec_lo, v2
	v_xor_b32_e32 v3, vcc_lo, v3
	v_and_b32_e32 v1, v1, v33
	v_lshlrev_b32_e32 v33, 29, v0
	v_and_b32_e32 v2, v2, v3
	v_not_b32_e32 v3, v33
	v_cmp_gt_i64_e32 vcc, 0, v[32:33]
	v_ashrrev_i32_e32 v3, 31, v3
	v_xor_b32_e32 v33, vcc_hi, v3
	v_xor_b32_e32 v3, vcc_lo, v3
	v_and_b32_e32 v1, v1, v33
	v_lshlrev_b32_e32 v33, 28, v0
	v_and_b32_e32 v2, v2, v3
	v_not_b32_e32 v3, v33
	v_cmp_gt_i64_e32 vcc, 0, v[32:33]
	v_ashrrev_i32_e32 v3, 31, v3
	v_xor_b32_e32 v33, vcc_hi, v3
	v_xor_b32_e32 v3, vcc_lo, v3
	v_and_b32_e32 v1, v1, v33
	v_lshlrev_b32_e32 v33, 27, v0
	v_and_b32_e32 v2, v2, v3
	v_not_b32_e32 v3, v33
	v_cmp_gt_i64_e32 vcc, 0, v[32:33]
	v_ashrrev_i32_e32 v3, 31, v3
	v_xor_b32_e32 v33, vcc_hi, v3
	v_xor_b32_e32 v3, vcc_lo, v3
	v_and_b32_e32 v1, v1, v33
	v_lshlrev_b32_e32 v33, 26, v0
	v_and_b32_e32 v2, v2, v3
	v_not_b32_e32 v3, v33
	v_cmp_gt_i64_e32 vcc, 0, v[32:33]
	v_ashrrev_i32_e32 v3, 31, v3
	v_xor_b32_e32 v33, vcc_hi, v3
	v_xor_b32_e32 v3, vcc_lo, v3
	v_and_b32_e32 v1, v1, v33
	v_lshlrev_b32_e32 v33, 25, v0
	v_and_b32_e32 v2, v2, v3
	v_not_b32_e32 v3, v33
	v_cmp_gt_i64_e32 vcc, 0, v[32:33]
	v_ashrrev_i32_e32 v3, 31, v3
	v_xor_b32_e32 v33, vcc_hi, v3
	v_and_b32_e32 v1, v1, v33
	v_lshlrev_b32_e32 v33, 24, v0
	v_not_b32_e32 v0, v33
	v_xor_b32_e32 v3, vcc_lo, v3
	v_cmp_gt_i64_e32 vcc, 0, v[32:33]
	v_ashrrev_i32_e32 v0, 31, v0
	v_and_b32_e32 v2, v2, v3
	v_xor_b32_e32 v3, vcc_hi, v0
	v_xor_b32_e32 v0, vcc_lo, v0
	v_and_b32_e32 v0, v2, v0
	v_and_b32_e32 v1, v1, v3
	v_mbcnt_lo_u32_b32 v2, v0, 0
	v_mbcnt_hi_u32_b32 v43, v1, v2
	v_cmp_eq_u32_e32 vcc, 0, v43
	v_cmp_ne_u64_e64 s[4:5], 0, v[0:1]
	s_and_b64 s[56:57], s[4:5], vcc
	; wave barrier
	s_and_saveexec_b64 s[4:5], s[56:57]
	s_cbranch_execz .LBB217_95
; %bb.94:                               ;   in Loop: Header=BB217_81 Depth=1
	v_bcnt_u32_b32 v0, v0, 0
	v_bcnt_u32_b32 v0, v1, v0
	s_waitcnt lgkmcnt(0)
	v_add_u32_e32 v0, v41, v0
	ds_write_b32 v42, v0
.LBB217_95:                             ;   in Loop: Header=BB217_81 Depth=1
	s_or_b64 exec, exec, s[4:5]
	v_cmp_ne_u32_e32 vcc, s53, v52
	v_cndmask_b32_e32 v0, v44, v52, vcc
	v_lshrrev_b32_e32 v0, s49, v0
	v_and_b32_e32 v0, s55, v0
	v_lshlrev_b32_e32 v1, 1, v0
	v_add_lshl_u32 v1, v1, v46, 2
	; wave barrier
	v_add_u32_e32 v61, 8, v1
	ds_read_b32 v60, v1 offset:8
	v_and_b32_e32 v1, 1, v0
	v_add_co_u32_e32 v2, vcc, -1, v1
	v_addc_co_u32_e64 v3, s[4:5], 0, -1, vcc
	v_cmp_ne_u32_e32 vcc, 0, v1
	v_lshlrev_b32_e32 v33, 30, v0
	v_xor_b32_e32 v1, vcc_hi, v3
	v_not_b32_e32 v3, v33
	v_xor_b32_e32 v2, vcc_lo, v2
	v_cmp_gt_i64_e32 vcc, 0, v[32:33]
	v_ashrrev_i32_e32 v3, 31, v3
	v_and_b32_e32 v1, exec_hi, v1
	v_xor_b32_e32 v33, vcc_hi, v3
	v_and_b32_e32 v2, exec_lo, v2
	v_xor_b32_e32 v3, vcc_lo, v3
	v_and_b32_e32 v1, v1, v33
	v_lshlrev_b32_e32 v33, 29, v0
	v_and_b32_e32 v2, v2, v3
	v_not_b32_e32 v3, v33
	v_cmp_gt_i64_e32 vcc, 0, v[32:33]
	v_ashrrev_i32_e32 v3, 31, v3
	v_xor_b32_e32 v33, vcc_hi, v3
	v_xor_b32_e32 v3, vcc_lo, v3
	v_and_b32_e32 v1, v1, v33
	v_lshlrev_b32_e32 v33, 28, v0
	v_and_b32_e32 v2, v2, v3
	v_not_b32_e32 v3, v33
	v_cmp_gt_i64_e32 vcc, 0, v[32:33]
	v_ashrrev_i32_e32 v3, 31, v3
	v_xor_b32_e32 v33, vcc_hi, v3
	;; [unrolled: 8-line block ×5, first 2 shown]
	v_and_b32_e32 v1, v1, v33
	v_lshlrev_b32_e32 v33, 24, v0
	v_not_b32_e32 v0, v33
	v_xor_b32_e32 v3, vcc_lo, v3
	v_cmp_gt_i64_e32 vcc, 0, v[32:33]
	v_ashrrev_i32_e32 v0, 31, v0
	v_and_b32_e32 v2, v2, v3
	v_xor_b32_e32 v3, vcc_hi, v0
	v_xor_b32_e32 v0, vcc_lo, v0
	v_and_b32_e32 v0, v2, v0
	v_and_b32_e32 v1, v1, v3
	v_mbcnt_lo_u32_b32 v2, v0, 0
	v_mbcnt_hi_u32_b32 v67, v1, v2
	v_cmp_eq_u32_e32 vcc, 0, v67
	v_cmp_ne_u64_e64 s[4:5], 0, v[0:1]
	s_and_b64 s[56:57], s[4:5], vcc
	; wave barrier
	s_and_saveexec_b64 s[4:5], s[56:57]
	s_cbranch_execz .LBB217_97
; %bb.96:                               ;   in Loop: Header=BB217_81 Depth=1
	v_bcnt_u32_b32 v0, v0, 0
	v_bcnt_u32_b32 v0, v1, v0
	s_waitcnt lgkmcnt(0)
	v_add_u32_e32 v0, v60, v0
	ds_write_b32 v61, v0
.LBB217_97:                             ;   in Loop: Header=BB217_81 Depth=1
	s_or_b64 exec, exec, s[4:5]
	; wave barrier
	s_waitcnt lgkmcnt(0)
	s_barrier
	ds_read2_b32 v[2:3], v87 offset0:2 offset1:3
	ds_read2_b32 v[0:1], v45 offset0:2 offset1:3
	s_waitcnt lgkmcnt(1)
	v_add_u32_e32 v33, v3, v2
	s_waitcnt lgkmcnt(0)
	v_add3_u32 v1, v33, v0, v1
	s_nop 1
	v_mov_b32_dpp v33, v1 row_shr:1 row_mask:0xf bank_mask:0xf
	v_cndmask_b32_e64 v33, v33, 0, s[16:17]
	v_add_u32_e32 v1, v33, v1
	s_nop 1
	v_mov_b32_dpp v33, v1 row_shr:2 row_mask:0xf bank_mask:0xf
	v_cndmask_b32_e64 v33, 0, v33, s[18:19]
	v_add_u32_e32 v1, v1, v33
	;; [unrolled: 4-line block ×4, first 2 shown]
	s_nop 1
	v_mov_b32_dpp v33, v1 row_bcast:15 row_mask:0xf bank_mask:0xf
	v_cndmask_b32_e64 v33, v33, 0, s[24:25]
	v_add_u32_e32 v1, v1, v33
	s_nop 1
	v_mov_b32_dpp v33, v1 row_bcast:31 row_mask:0xf bank_mask:0xf
	v_cndmask_b32_e64 v33, 0, v33, s[26:27]
	v_add_u32_e32 v1, v1, v33
	s_and_saveexec_b64 s[4:5], s[28:29]
	s_cbranch_execz .LBB217_99
; %bb.98:                               ;   in Loop: Header=BB217_81 Depth=1
	ds_write_b32 v48, v1
.LBB217_99:                             ;   in Loop: Header=BB217_81 Depth=1
	s_or_b64 exec, exec, s[4:5]
	s_waitcnt lgkmcnt(0)
	s_barrier
	s_and_saveexec_b64 s[4:5], s[30:31]
	s_cbranch_execz .LBB217_101
; %bb.100:                              ;   in Loop: Header=BB217_81 Depth=1
	ds_read_b32 v33, v86
	s_waitcnt lgkmcnt(0)
	s_nop 0
	v_mov_b32_dpp v62, v33 row_shr:1 row_mask:0xf bank_mask:0xf
	v_cndmask_b32_e64 v62, v62, 0, s[40:41]
	v_add_u32_e32 v33, v62, v33
	ds_write_b32 v86, v33
.LBB217_101:                            ;   in Loop: Header=BB217_81 Depth=1
	s_or_b64 exec, exec, s[4:5]
	v_mov_b32_e32 v33, 0
	s_waitcnt lgkmcnt(0)
	s_barrier
	s_and_saveexec_b64 s[4:5], s[34:35]
	s_cbranch_execz .LBB217_103
; %bb.102:                              ;   in Loop: Header=BB217_81 Depth=1
	ds_read_b32 v33, v49
.LBB217_103:                            ;   in Loop: Header=BB217_81 Depth=1
	s_or_b64 exec, exec, s[4:5]
	s_waitcnt lgkmcnt(0)
	v_add_u32_e32 v1, v33, v1
	ds_bpermute_b32 v1, v47, v1
	s_cmp_gt_u32 s49, 23
	s_waitcnt lgkmcnt(0)
	v_cndmask_b32_e64 v1, v1, v33, s[36:37]
	v_cndmask_b32_e64 v1, v1, 0, s[38:39]
	v_add_u32_e32 v2, v1, v2
	v_add_u32_e32 v3, v2, v3
	;; [unrolled: 1-line block ×3, first 2 shown]
	ds_write2_b32 v87, v1, v2 offset0:2 offset1:3
	ds_write2_b32 v45, v3, v0 offset0:2 offset1:3
	s_waitcnt lgkmcnt(0)
	s_barrier
	ds_read_b32 v0, v4
	ds_read_b32 v1, v7
	;; [unrolled: 1-line block ×8, first 2 shown]
	s_waitcnt lgkmcnt(7)
	v_add_u32_e32 v33, v0, v5
	s_waitcnt lgkmcnt(6)
	v_add3_u32 v61, v8, v6, v1
	s_waitcnt lgkmcnt(5)
	v_add3_u32 v62, v11, v9, v2
	;; [unrolled: 2-line block ×7, first 2 shown]
	s_cbranch_scc0 .LBB217_80
; %bb.104:
                                        ; implicit-def: $vgpr43
                                        ; implicit-def: $vgpr41
                                        ; implicit-def: $vgpr39
                                        ; implicit-def: $vgpr37
                                        ; implicit-def: $vgpr14_vgpr15
                                        ; implicit-def: $vgpr10_vgpr11
                                        ; implicit-def: $vgpr6_vgpr7
                                        ; implicit-def: $vgpr2_vgpr3
                                        ; implicit-def: $sgpr49
                                        ; implicit-def: $sgpr54
.LBB217_105:
	v_lshlrev_b32_e32 v0, 2, v33
	s_barrier
	ds_write_b32 v0, v59
	v_lshlrev_b32_e32 v0, 2, v61
	ds_write_b32 v0, v58
	v_lshlrev_b32_e32 v0, 2, v62
	;; [unrolled: 2-line block ×7, first 2 shown]
	v_lshlrev_b32_e32 v6, 2, v84
	ds_write_b32 v0, v52
	s_waitcnt lgkmcnt(0)
	s_barrier
	ds_read2_b32 v[0:1], v6 offset1:1
	ds_read2_b32 v[2:3], v6 offset0:2 offset1:3
	ds_read2_b32 v[4:5], v6 offset0:4 offset1:5
	ds_read2_b32 v[6:7], v6 offset0:6 offset1:7
	v_bfrev_b32_e32 v36, -2
	v_lshlrev_b32_e32 v8, 3, v33
	v_lshlrev_b32_e32 v32, 3, v84
	s_waitcnt lgkmcnt(3)
	v_cmp_gt_i32_e32 vcc, 0, v1
	v_cndmask_b32_e64 v33, v36, 0, vcc
	v_cmp_gt_i32_e32 vcc, 0, v0
	v_lshlrev_b32_e32 v9, 3, v61
	v_lshlrev_b32_e32 v10, 3, v62
	;; [unrolled: 1-line block ×7, first 2 shown]
	v_cndmask_b32_e64 v37, v36, 0, vcc
	v_xor_b32_e32 v59, v33, v1
	s_waitcnt lgkmcnt(2)
	v_cmp_gt_i32_e32 vcc, 0, v3
	s_waitcnt lgkmcnt(0)
	s_barrier
	ds_write_b64 v8, v[30:31]
	ds_write_b64 v9, v[28:29]
	;; [unrolled: 1-line block ×8, first 2 shown]
	s_waitcnt lgkmcnt(0)
	s_barrier
	ds_read2_b64 v[18:21], v32 offset1:1
	ds_read2_b64 v[22:25], v32 offset0:2 offset1:3
	ds_read2_b64 v[26:29], v32 offset0:4 offset1:5
	;; [unrolled: 1-line block ×3, first 2 shown]
	v_xor_b32_e32 v58, v37, v0
	v_cndmask_b32_e64 v0, v36, 0, vcc
	v_cmp_gt_i32_e32 vcc, 0, v2
	v_cndmask_b32_e64 v1, v36, 0, vcc
	v_cmp_gt_i32_e32 vcc, 0, v5
	v_xor_b32_e32 v61, v0, v3
	v_cndmask_b32_e64 v0, v36, 0, vcc
	v_cmp_gt_i32_e32 vcc, 0, v4
	v_xor_b32_e32 v60, v1, v2
	;; [unrolled: 3-line block ×4, first 2 shown]
	v_cndmask_b32_e64 v0, v36, 0, vcc
	v_xor_b32_e32 v0, v0, v6
	v_xor_b32_e32 v1, v1, v7
.LBB217_106:
	s_waitcnt lgkmcnt(0)
	s_barrier
	ds_write2_b32 v75, v58, v59 offset1:1
	ds_write2_b32 v75, v60, v61 offset0:2 offset1:3
	ds_write2_b32 v75, v62, v63 offset0:4 offset1:5
	;; [unrolled: 1-line block ×3, first 2 shown]
	s_waitcnt lgkmcnt(0)
	s_barrier
	ds_read_b32 v8, v68 offset:512
	ds_read_b32 v7, v69 offset:1024
	ds_read_b32 v6, v70 offset:1536
	ds_read_b32 v5, v71 offset:2048
	ds_read_b32 v4, v72 offset:2560
	ds_read_b32 v3, v73 offset:3072
	ds_read_b32 v2, v74 offset:3584
	v_mad_u64_u32 v[0:1], s[4:5], v34, s44, 0
	v_mov_b32_e32 v10, v1
	v_mad_u64_u32 v[10:11], s[4:5], v34, s45, v[10:11]
	v_mov_b32_e32 v1, v10
	v_lshlrev_b64 v[0:1], 2, v[0:1]
	v_mov_b32_e32 v9, s50
	v_add_co_u32_e32 v0, vcc, s33, v0
	v_addc_co_u32_e32 v1, vcc, v9, v1, vcc
	s_and_saveexec_b64 s[4:5], s[0:1]
	s_cbranch_execnz .LBB217_125
; %bb.107:
	s_or_b64 exec, exec, s[4:5]
	s_and_saveexec_b64 s[4:5], s[2:3]
	s_cbranch_execnz .LBB217_126
.LBB217_108:
	s_or_b64 exec, exec, s[4:5]
	s_and_saveexec_b64 s[4:5], s[42:43]
	s_cbranch_execnz .LBB217_127
.LBB217_109:
	s_or_b64 exec, exec, s[4:5]
	s_and_saveexec_b64 s[4:5], s[6:7]
	s_cbranch_execnz .LBB217_128
.LBB217_110:
	s_or_b64 exec, exec, s[4:5]
	s_and_saveexec_b64 s[4:5], s[8:9]
	s_cbranch_execnz .LBB217_129
.LBB217_111:
	s_or_b64 exec, exec, s[4:5]
	s_and_saveexec_b64 s[4:5], s[10:11]
	s_cbranch_execnz .LBB217_130
.LBB217_112:
	s_or_b64 exec, exec, s[4:5]
	s_and_saveexec_b64 s[4:5], s[12:13]
	s_cbranch_execnz .LBB217_131
.LBB217_113:
	s_or_b64 exec, exec, s[4:5]
	s_and_saveexec_b64 s[4:5], s[14:15]
	s_cbranch_execz .LBB217_115
.LBB217_114:
	s_waitcnt lgkmcnt(1)
	v_mov_b32_e32 v3, 0xe00
	v_mad_u64_u32 v[0:1], s[16:17], s44, v3, v[0:1]
	s_mul_i32 s16, s45, 0xe00
	v_add_u32_e32 v1, s16, v1
	s_waitcnt lgkmcnt(0)
	global_store_dword v[0:1], v2, off
.LBB217_115:
	s_or_b64 exec, exec, s[4:5]
	s_waitcnt lgkmcnt(0)
	s_barrier
	ds_write2_b64 v85, v[18:19], v[20:21] offset1:1
	ds_write2_b64 v85, v[22:23], v[24:25] offset0:2 offset1:3
	ds_write2_b64 v85, v[26:27], v[28:29] offset0:4 offset1:5
	;; [unrolled: 1-line block ×3, first 2 shown]
	s_waitcnt lgkmcnt(0)
	s_barrier
	ds_read_b64 v[14:15], v77 offset:1024
	ds_read_b64 v[12:13], v78 offset:2048
	;; [unrolled: 1-line block ×7, first 2 shown]
	v_mad_u64_u32 v[4:5], s[4:5], v34, s46, 0
	v_mov_b32_e32 v16, v5
	v_mad_u64_u32 v[16:17], s[4:5], v34, s47, v[16:17]
	v_mov_b32_e32 v5, v16
	v_lshlrev_b64 v[4:5], 3, v[4:5]
	v_mov_b32_e32 v16, s52
	v_add_co_u32_e32 v4, vcc, s51, v4
	v_addc_co_u32_e32 v5, vcc, v16, v5, vcc
	s_and_saveexec_b64 s[4:5], s[0:1]
	s_cbranch_execnz .LBB217_132
; %bb.116:
	s_or_b64 exec, exec, s[4:5]
	s_and_saveexec_b64 s[0:1], s[2:3]
	s_cbranch_execnz .LBB217_133
.LBB217_117:
	s_or_b64 exec, exec, s[0:1]
	s_and_saveexec_b64 s[0:1], s[42:43]
	s_cbranch_execnz .LBB217_134
.LBB217_118:
	s_or_b64 exec, exec, s[0:1]
	s_and_saveexec_b64 s[0:1], s[6:7]
	s_cbranch_execnz .LBB217_135
.LBB217_119:
	s_or_b64 exec, exec, s[0:1]
	s_and_saveexec_b64 s[0:1], s[8:9]
	s_cbranch_execnz .LBB217_136
.LBB217_120:
	s_or_b64 exec, exec, s[0:1]
	s_and_saveexec_b64 s[0:1], s[10:11]
	s_cbranch_execnz .LBB217_137
.LBB217_121:
	s_or_b64 exec, exec, s[0:1]
	s_and_saveexec_b64 s[0:1], s[12:13]
	s_cbranch_execnz .LBB217_138
.LBB217_122:
	s_or_b64 exec, exec, s[0:1]
	s_and_saveexec_b64 s[0:1], s[14:15]
	s_cbranch_execz .LBB217_124
.LBB217_123:
	s_waitcnt lgkmcnt(1)
	v_mov_b32_e32 v2, 0x1c00
	v_mad_u64_u32 v[2:3], s[0:1], s46, v2, v[4:5]
	s_mul_i32 s0, s47, 0x1c00
	v_add_u32_e32 v3, s0, v3
	s_waitcnt lgkmcnt(0)
	global_store_dwordx2 v[2:3], v[0:1], off
.LBB217_124:
	s_endpgm
.LBB217_125:
	ds_read_b32 v9, v35
	s_waitcnt lgkmcnt(0)
	global_store_dword v[0:1], v9, off
	s_or_b64 exec, exec, s[4:5]
	s_and_saveexec_b64 s[4:5], s[2:3]
	s_cbranch_execz .LBB217_108
.LBB217_126:
	s_lshl_b64 s[16:17], s[44:45], 9
	v_mov_b32_e32 v9, s17
	v_add_co_u32_e32 v10, vcc, s16, v0
	v_addc_co_u32_e32 v11, vcc, v1, v9, vcc
	s_waitcnt lgkmcnt(6)
	global_store_dword v[10:11], v8, off
	s_or_b64 exec, exec, s[4:5]
	s_and_saveexec_b64 s[4:5], s[42:43]
	s_cbranch_execz .LBB217_109
.LBB217_127:
	s_lshl_b64 s[16:17], s[44:45], 10
	v_mov_b32_e32 v9, s17
	s_waitcnt lgkmcnt(6)
	v_add_co_u32_e32 v8, vcc, s16, v0
	v_addc_co_u32_e32 v9, vcc, v1, v9, vcc
	s_waitcnt lgkmcnt(5)
	global_store_dword v[8:9], v7, off
	s_or_b64 exec, exec, s[4:5]
	s_and_saveexec_b64 s[4:5], s[6:7]
	s_cbranch_execz .LBB217_110
.LBB217_128:
	s_waitcnt lgkmcnt(5)
	v_mov_b32_e32 v7, 0x600
	v_mad_u64_u32 v[8:9], s[16:17], s44, v7, v[0:1]
	s_mul_i32 s16, s45, 0x600
	v_add_u32_e32 v9, s16, v9
	s_waitcnt lgkmcnt(4)
	global_store_dword v[8:9], v6, off
	s_or_b64 exec, exec, s[4:5]
	s_and_saveexec_b64 s[4:5], s[8:9]
	s_cbranch_execz .LBB217_111
.LBB217_129:
	s_lshl_b64 s[16:17], s[44:45], 11
	s_waitcnt lgkmcnt(5)
	v_mov_b32_e32 v7, s17
	s_waitcnt lgkmcnt(4)
	v_add_co_u32_e32 v6, vcc, s16, v0
	v_addc_co_u32_e32 v7, vcc, v1, v7, vcc
	s_waitcnt lgkmcnt(3)
	global_store_dword v[6:7], v5, off
	s_or_b64 exec, exec, s[4:5]
	s_and_saveexec_b64 s[4:5], s[10:11]
	s_cbranch_execz .LBB217_112
.LBB217_130:
	s_waitcnt lgkmcnt(3)
	v_mov_b32_e32 v5, 0xa00
	v_mad_u64_u32 v[6:7], s[16:17], s44, v5, v[0:1]
	s_mul_i32 s16, s45, 0xa00
	v_add_u32_e32 v7, s16, v7
	s_waitcnt lgkmcnt(2)
	global_store_dword v[6:7], v4, off
	s_or_b64 exec, exec, s[4:5]
	s_and_saveexec_b64 s[4:5], s[12:13]
	s_cbranch_execz .LBB217_113
.LBB217_131:
	s_waitcnt lgkmcnt(2)
	v_mov_b32_e32 v4, 0xc00
	v_mad_u64_u32 v[4:5], s[16:17], s44, v4, v[0:1]
	s_mul_i32 s16, s45, 0xc00
	v_add_u32_e32 v5, s16, v5
	s_waitcnt lgkmcnt(1)
	global_store_dword v[4:5], v3, off
	s_or_b64 exec, exec, s[4:5]
	s_and_saveexec_b64 s[4:5], s[14:15]
	s_cbranch_execnz .LBB217_114
	s_branch .LBB217_115
.LBB217_132:
	ds_read_b64 v[16:17], v76
	s_waitcnt lgkmcnt(0)
	global_store_dwordx2 v[4:5], v[16:17], off
	s_or_b64 exec, exec, s[4:5]
	s_and_saveexec_b64 s[0:1], s[2:3]
	s_cbranch_execz .LBB217_117
.LBB217_133:
	s_lshl_b64 s[2:3], s[46:47], 10
	v_mov_b32_e32 v17, s3
	v_add_co_u32_e32 v16, vcc, s2, v4
	v_addc_co_u32_e32 v17, vcc, v5, v17, vcc
	s_waitcnt lgkmcnt(6)
	global_store_dwordx2 v[16:17], v[14:15], off
	s_or_b64 exec, exec, s[0:1]
	s_and_saveexec_b64 s[0:1], s[42:43]
	s_cbranch_execz .LBB217_118
.LBB217_134:
	s_lshl_b64 s[2:3], s[46:47], 11
	s_waitcnt lgkmcnt(6)
	v_mov_b32_e32 v15, s3
	v_add_co_u32_e32 v14, vcc, s2, v4
	v_addc_co_u32_e32 v15, vcc, v5, v15, vcc
	s_waitcnt lgkmcnt(5)
	global_store_dwordx2 v[14:15], v[12:13], off
	s_or_b64 exec, exec, s[0:1]
	s_and_saveexec_b64 s[0:1], s[6:7]
	s_cbranch_execz .LBB217_119
.LBB217_135:
	s_waitcnt lgkmcnt(5)
	v_mov_b32_e32 v12, 0xc00
	v_mad_u64_u32 v[12:13], s[2:3], s46, v12, v[4:5]
	s_mul_i32 s2, s47, 0xc00
	v_add_u32_e32 v13, s2, v13
	s_waitcnt lgkmcnt(4)
	global_store_dwordx2 v[12:13], v[10:11], off
	s_or_b64 exec, exec, s[0:1]
	s_and_saveexec_b64 s[0:1], s[8:9]
	s_cbranch_execz .LBB217_120
.LBB217_136:
	s_lshl_b64 s[2:3], s[46:47], 12
	s_waitcnt lgkmcnt(4)
	v_mov_b32_e32 v11, s3
	v_add_co_u32_e32 v10, vcc, s2, v4
	v_addc_co_u32_e32 v11, vcc, v5, v11, vcc
	s_waitcnt lgkmcnt(3)
	global_store_dwordx2 v[10:11], v[8:9], off
	s_or_b64 exec, exec, s[0:1]
	s_and_saveexec_b64 s[0:1], s[10:11]
	s_cbranch_execz .LBB217_121
.LBB217_137:
	s_waitcnt lgkmcnt(3)
	v_mov_b32_e32 v8, 0x1400
	v_mad_u64_u32 v[8:9], s[2:3], s46, v8, v[4:5]
	s_mul_i32 s2, s47, 0x1400
	v_add_u32_e32 v9, s2, v9
	s_waitcnt lgkmcnt(2)
	global_store_dwordx2 v[8:9], v[6:7], off
	s_or_b64 exec, exec, s[0:1]
	s_and_saveexec_b64 s[0:1], s[12:13]
	s_cbranch_execz .LBB217_122
.LBB217_138:
	s_waitcnt lgkmcnt(2)
	v_mov_b32_e32 v6, 0x1800
	v_mad_u64_u32 v[6:7], s[2:3], s46, v6, v[4:5]
	s_mul_i32 s2, s47, 0x1800
	v_add_u32_e32 v7, s2, v7
	s_waitcnt lgkmcnt(1)
	global_store_dwordx2 v[6:7], v[2:3], off
	s_or_b64 exec, exec, s[0:1]
	s_and_saveexec_b64 s[0:1], s[14:15]
	s_cbranch_execnz .LBB217_123
	s_branch .LBB217_124
	.section	.rodata,"a",@progbits
	.p2align	6, 0x0
	.amdhsa_kernel _ZN2at6native18radixSortKVInPlaceILin1ELin1ELi128ELi8EflmEEvNS_4cuda6detail10TensorInfoIT3_T5_EES6_S6_S6_NS4_IT4_S6_EES6_b
		.amdhsa_group_segment_fixed_size 8448
		.amdhsa_private_segment_fixed_size 0
		.amdhsa_kernarg_size 1128
		.amdhsa_user_sgpr_count 6
		.amdhsa_user_sgpr_private_segment_buffer 1
		.amdhsa_user_sgpr_dispatch_ptr 0
		.amdhsa_user_sgpr_queue_ptr 0
		.amdhsa_user_sgpr_kernarg_segment_ptr 1
		.amdhsa_user_sgpr_dispatch_id 0
		.amdhsa_user_sgpr_flat_scratch_init 0
		.amdhsa_user_sgpr_kernarg_preload_length 0
		.amdhsa_user_sgpr_kernarg_preload_offset 0
		.amdhsa_user_sgpr_private_segment_size 0
		.amdhsa_uses_dynamic_stack 0
		.amdhsa_system_sgpr_private_segment_wavefront_offset 0
		.amdhsa_system_sgpr_workgroup_id_x 1
		.amdhsa_system_sgpr_workgroup_id_y 1
		.amdhsa_system_sgpr_workgroup_id_z 1
		.amdhsa_system_sgpr_workgroup_info 0
		.amdhsa_system_vgpr_workitem_id 2
		.amdhsa_next_free_vgpr 116
		.amdhsa_next_free_sgpr 60
		.amdhsa_accum_offset 116
		.amdhsa_reserve_vcc 1
		.amdhsa_reserve_flat_scratch 0
		.amdhsa_float_round_mode_32 0
		.amdhsa_float_round_mode_16_64 0
		.amdhsa_float_denorm_mode_32 3
		.amdhsa_float_denorm_mode_16_64 3
		.amdhsa_dx10_clamp 1
		.amdhsa_ieee_mode 1
		.amdhsa_fp16_overflow 0
		.amdhsa_tg_split 0
		.amdhsa_exception_fp_ieee_invalid_op 0
		.amdhsa_exception_fp_denorm_src 0
		.amdhsa_exception_fp_ieee_div_zero 0
		.amdhsa_exception_fp_ieee_overflow 0
		.amdhsa_exception_fp_ieee_underflow 0
		.amdhsa_exception_fp_ieee_inexact 0
		.amdhsa_exception_int_div_zero 0
	.end_amdhsa_kernel
	.section	.text._ZN2at6native18radixSortKVInPlaceILin1ELin1ELi128ELi8EflmEEvNS_4cuda6detail10TensorInfoIT3_T5_EES6_S6_S6_NS4_IT4_S6_EES6_b,"axG",@progbits,_ZN2at6native18radixSortKVInPlaceILin1ELin1ELi128ELi8EflmEEvNS_4cuda6detail10TensorInfoIT3_T5_EES6_S6_S6_NS4_IT4_S6_EES6_b,comdat
.Lfunc_end217:
	.size	_ZN2at6native18radixSortKVInPlaceILin1ELin1ELi128ELi8EflmEEvNS_4cuda6detail10TensorInfoIT3_T5_EES6_S6_S6_NS4_IT4_S6_EES6_b, .Lfunc_end217-_ZN2at6native18radixSortKVInPlaceILin1ELin1ELi128ELi8EflmEEvNS_4cuda6detail10TensorInfoIT3_T5_EES6_S6_S6_NS4_IT4_S6_EES6_b
                                        ; -- End function
	.section	.AMDGPU.csdata,"",@progbits
; Kernel info:
; codeLenInByte = 14896
; NumSgprs: 64
; NumVgprs: 116
; NumAgprs: 0
; TotalNumVgprs: 116
; ScratchSize: 0
; MemoryBound: 0
; FloatMode: 240
; IeeeMode: 1
; LDSByteSize: 8448 bytes/workgroup (compile time only)
; SGPRBlocks: 7
; VGPRBlocks: 14
; NumSGPRsForWavesPerEU: 64
; NumVGPRsForWavesPerEU: 116
; AccumOffset: 116
; Occupancy: 4
; WaveLimiterHint : 1
; COMPUTE_PGM_RSRC2:SCRATCH_EN: 0
; COMPUTE_PGM_RSRC2:USER_SGPR: 6
; COMPUTE_PGM_RSRC2:TRAP_HANDLER: 0
; COMPUTE_PGM_RSRC2:TGID_X_EN: 1
; COMPUTE_PGM_RSRC2:TGID_Y_EN: 1
; COMPUTE_PGM_RSRC2:TGID_Z_EN: 1
; COMPUTE_PGM_RSRC2:TIDIG_COMP_CNT: 2
; COMPUTE_PGM_RSRC3_GFX90A:ACCUM_OFFSET: 28
; COMPUTE_PGM_RSRC3_GFX90A:TG_SPLIT: 0
	.section	.text._ZN2at6native18radixSortKVInPlaceILin1ELin1ELi32ELi4EflmEEvNS_4cuda6detail10TensorInfoIT3_T5_EES6_S6_S6_NS4_IT4_S6_EES6_b,"axG",@progbits,_ZN2at6native18radixSortKVInPlaceILin1ELin1ELi32ELi4EflmEEvNS_4cuda6detail10TensorInfoIT3_T5_EES6_S6_S6_NS4_IT4_S6_EES6_b,comdat
	.protected	_ZN2at6native18radixSortKVInPlaceILin1ELin1ELi32ELi4EflmEEvNS_4cuda6detail10TensorInfoIT3_T5_EES6_S6_S6_NS4_IT4_S6_EES6_b ; -- Begin function _ZN2at6native18radixSortKVInPlaceILin1ELin1ELi32ELi4EflmEEvNS_4cuda6detail10TensorInfoIT3_T5_EES6_S6_S6_NS4_IT4_S6_EES6_b
	.globl	_ZN2at6native18radixSortKVInPlaceILin1ELin1ELi32ELi4EflmEEvNS_4cuda6detail10TensorInfoIT3_T5_EES6_S6_S6_NS4_IT4_S6_EES6_b
	.p2align	8
	.type	_ZN2at6native18radixSortKVInPlaceILin1ELin1ELi32ELi4EflmEEvNS_4cuda6detail10TensorInfoIT3_T5_EES6_S6_S6_NS4_IT4_S6_EES6_b,@function
_ZN2at6native18radixSortKVInPlaceILin1ELin1ELi32ELi4EflmEEvNS_4cuda6detail10TensorInfoIT3_T5_EES6_S6_S6_NS4_IT4_S6_EES6_b: ; @_ZN2at6native18radixSortKVInPlaceILin1ELin1ELi32ELi4EflmEEvNS_4cuda6detail10TensorInfoIT3_T5_EES6_S6_S6_NS4_IT4_S6_EES6_b
; %bb.0:
	s_load_dwordx4 s[12:15], s[4:5], 0x1a0
	s_load_dwordx2 s[0:1], s[4:5], 0x368
	s_waitcnt lgkmcnt(0)
	v_mov_b32_e32 v2, s12
	s_mul_i32 s1, s1, s8
	s_add_i32 s1, s1, s7
	s_mul_i32 s0, s1, s0
	v_mov_b32_e32 v3, s13
	s_add_i32 s6, s0, s6
	s_mov_b32 s7, 0
	v_cmp_ge_u64_e32 vcc, s[6:7], v[2:3]
	s_cbranch_vccnz .LBB218_74
; %bb.1:
	s_load_dword s0, s[4:5], 0x198
	s_load_dwordx2 s[26:27], s[4:5], 0x1b0
	s_mov_b64 s[2:3], 0
	s_mov_b64 s[10:11], s[6:7]
	s_waitcnt lgkmcnt(0)
	s_cmp_lt_i32 s0, 2
	s_cbranch_scc1 .LBB218_9
; %bb.2:
	s_mov_b32 s8, 0
	s_add_i32 s15, s0, 1
	s_add_i32 s0, s0, -1
	s_mov_b32 s1, s8
	s_lshl_b64 s[0:1], s[0:1], 3
	s_add_u32 s0, s0, s4
	s_addc_u32 s1, s1, s5
	s_add_u32 s12, s0, 8
	s_addc_u32 s13, s1, 0
	s_mov_b64 s[16:17], s[6:7]
.LBB218_3:                              ; =>This Inner Loop Header: Depth=1
	s_load_dwordx2 s[18:19], s[12:13], 0x0
	s_waitcnt lgkmcnt(0)
	s_or_b64 s[0:1], s[16:17], s[18:19]
	s_mov_b32 s9, s1
	s_cmp_lg_u64 s[8:9], 0
	s_cbranch_scc0 .LBB218_8
; %bb.4:                                ;   in Loop: Header=BB218_3 Depth=1
	v_cvt_f32_u32_e32 v1, s18
	v_cvt_f32_u32_e32 v2, s19
	s_sub_u32 s0, 0, s18
	s_subb_u32 s1, 0, s19
	v_mac_f32_e32 v1, 0x4f800000, v2
	v_rcp_f32_e32 v1, v1
	v_mul_f32_e32 v1, 0x5f7ffffc, v1
	v_mul_f32_e32 v2, 0x2f800000, v1
	v_trunc_f32_e32 v2, v2
	v_mac_f32_e32 v1, 0xcf800000, v2
	v_cvt_u32_f32_e32 v2, v2
	v_cvt_u32_f32_e32 v1, v1
	v_readfirstlane_b32 s9, v2
	v_readfirstlane_b32 s10, v1
	s_mul_i32 s11, s0, s9
	s_mul_hi_u32 s21, s0, s10
	s_mul_i32 s20, s1, s10
	s_add_i32 s11, s21, s11
	s_mul_i32 s22, s0, s10
	s_add_i32 s11, s11, s20
	s_mul_hi_u32 s20, s10, s11
	s_mul_i32 s21, s10, s11
	s_mul_hi_u32 s10, s10, s22
	s_add_u32 s10, s10, s21
	s_addc_u32 s20, 0, s20
	s_mul_hi_u32 s23, s9, s22
	s_mul_i32 s22, s9, s22
	s_add_u32 s10, s10, s22
	s_mul_hi_u32 s21, s9, s11
	s_addc_u32 s10, s20, s23
	s_addc_u32 s20, s21, 0
	s_mul_i32 s11, s9, s11
	s_add_u32 s10, s10, s11
	s_addc_u32 s11, 0, s20
	v_add_co_u32_e32 v1, vcc, s10, v1
	s_cmp_lg_u64 vcc, 0
	s_addc_u32 s9, s9, s11
	v_readfirstlane_b32 s11, v1
	s_mul_i32 s10, s0, s9
	s_mul_hi_u32 s20, s0, s11
	s_add_i32 s10, s20, s10
	s_mul_i32 s1, s1, s11
	s_add_i32 s10, s10, s1
	s_mul_i32 s0, s0, s11
	s_mul_hi_u32 s20, s9, s0
	s_mul_i32 s21, s9, s0
	s_mul_i32 s23, s11, s10
	s_mul_hi_u32 s0, s11, s0
	s_mul_hi_u32 s22, s11, s10
	s_add_u32 s0, s0, s23
	s_addc_u32 s11, 0, s22
	s_add_u32 s0, s0, s21
	s_mul_hi_u32 s1, s9, s10
	s_addc_u32 s0, s11, s20
	s_addc_u32 s1, s1, 0
	s_mul_i32 s10, s9, s10
	s_add_u32 s0, s0, s10
	s_addc_u32 s1, 0, s1
	v_add_co_u32_e32 v1, vcc, s0, v1
	s_cmp_lg_u64 vcc, 0
	s_addc_u32 s0, s9, s1
	v_readfirstlane_b32 s10, v1
	s_mul_i32 s9, s16, s0
	s_mul_hi_u32 s11, s16, s10
	s_mul_hi_u32 s1, s16, s0
	s_add_u32 s9, s11, s9
	s_addc_u32 s1, 0, s1
	s_mul_hi_u32 s20, s17, s10
	s_mul_i32 s10, s17, s10
	s_add_u32 s9, s9, s10
	s_mul_hi_u32 s11, s17, s0
	s_addc_u32 s1, s1, s20
	s_addc_u32 s9, s11, 0
	s_mul_i32 s0, s17, s0
	s_add_u32 s10, s1, s0
	s_addc_u32 s9, 0, s9
	s_mul_i32 s0, s18, s9
	s_mul_hi_u32 s1, s18, s10
	s_add_i32 s0, s1, s0
	s_mul_i32 s1, s19, s10
	s_add_i32 s11, s0, s1
	s_mul_i32 s1, s18, s10
	v_mov_b32_e32 v1, s1
	s_sub_i32 s0, s17, s11
	v_sub_co_u32_e32 v1, vcc, s16, v1
	s_cmp_lg_u64 vcc, 0
	s_subb_u32 s20, s0, s19
	v_subrev_co_u32_e64 v2, s[0:1], s18, v1
	s_cmp_lg_u64 s[0:1], 0
	s_subb_u32 s0, s20, 0
	s_cmp_ge_u32 s0, s19
	v_readfirstlane_b32 s20, v2
	s_cselect_b32 s1, -1, 0
	s_cmp_ge_u32 s20, s18
	s_cselect_b32 s20, -1, 0
	s_cmp_eq_u32 s0, s19
	s_cselect_b32 s0, s20, s1
	s_add_u32 s1, s10, 1
	s_addc_u32 s20, s9, 0
	s_add_u32 s21, s10, 2
	s_addc_u32 s22, s9, 0
	s_cmp_lg_u32 s0, 0
	s_cselect_b32 s0, s21, s1
	s_cselect_b32 s1, s22, s20
	s_cmp_lg_u64 vcc, 0
	s_subb_u32 s11, s17, s11
	s_cmp_ge_u32 s11, s19
	v_readfirstlane_b32 s21, v1
	s_cselect_b32 s20, -1, 0
	s_cmp_ge_u32 s21, s18
	s_cselect_b32 s21, -1, 0
	s_cmp_eq_u32 s11, s19
	s_cselect_b32 s11, s21, s20
	s_cmp_lg_u32 s11, 0
	s_cselect_b32 s11, s1, s9
	s_cselect_b32 s10, s0, s10
	s_cbranch_execnz .LBB218_6
.LBB218_5:                              ;   in Loop: Header=BB218_3 Depth=1
	v_cvt_f32_u32_e32 v1, s18
	s_sub_i32 s0, 0, s18
	s_mov_b32 s11, s8
	v_rcp_iflag_f32_e32 v1, v1
	v_mul_f32_e32 v1, 0x4f7ffffe, v1
	v_cvt_u32_f32_e32 v1, v1
	v_readfirstlane_b32 s1, v1
	s_mul_i32 s0, s0, s1
	s_mul_hi_u32 s0, s1, s0
	s_add_i32 s1, s1, s0
	s_mul_hi_u32 s0, s16, s1
	s_mul_i32 s9, s0, s18
	s_sub_i32 s9, s16, s9
	s_add_i32 s1, s0, 1
	s_sub_i32 s10, s9, s18
	s_cmp_ge_u32 s9, s18
	s_cselect_b32 s0, s1, s0
	s_cselect_b32 s9, s10, s9
	s_add_i32 s1, s0, 1
	s_cmp_ge_u32 s9, s18
	s_cselect_b32 s10, s1, s0
.LBB218_6:                              ;   in Loop: Header=BB218_3 Depth=1
	s_mul_i32 s0, s10, s19
	s_mul_hi_u32 s1, s10, s18
	s_add_i32 s9, s1, s0
	s_load_dwordx2 s[0:1], s[12:13], 0xc8
	s_mul_i32 s19, s11, s18
	s_add_i32 s9, s9, s19
	s_mul_i32 s18, s10, s18
	s_sub_u32 s16, s16, s18
	s_subb_u32 s9, s17, s9
	s_waitcnt lgkmcnt(0)
	s_mul_i32 s9, s0, s9
	s_mul_hi_u32 s17, s0, s16
	s_add_i32 s9, s17, s9
	s_mul_i32 s1, s1, s16
	s_add_i32 s9, s9, s1
	s_mul_i32 s0, s0, s16
	s_add_u32 s2, s0, s2
	s_addc_u32 s3, s9, s3
	s_add_i32 s15, s15, -1
	s_add_u32 s12, s12, -8
	s_addc_u32 s13, s13, -1
	s_cmp_gt_u32 s15, 2
	s_cbranch_scc0 .LBB218_9
; %bb.7:                                ;   in Loop: Header=BB218_3 Depth=1
	s_mov_b64 s[16:17], s[10:11]
	s_branch .LBB218_3
.LBB218_8:                              ;   in Loop: Header=BB218_3 Depth=1
                                        ; implicit-def: $sgpr10_sgpr11
	s_branch .LBB218_5
.LBB218_9:
	s_load_dword s0, s[4:5], 0x350
	s_load_dwordx2 s[12:13], s[4:5], 0xd0
	s_mov_b64 s[8:9], 0
	s_waitcnt lgkmcnt(0)
	s_cmp_lt_i32 s0, 2
	s_cbranch_scc1 .LBB218_17
; %bb.10:
	s_mov_b32 s16, 0
	s_add_i32 s15, s0, 1
	s_add_i32 s0, s0, -1
	s_mov_b32 s1, s16
	s_lshl_b64 s[0:1], s[0:1], 3
	s_add_u32 s0, s0, s4
	s_addc_u32 s1, s1, s5
	s_add_u32 s18, s0, 0x1c0
	s_addc_u32 s19, s1, 0
.LBB218_11:                             ; =>This Inner Loop Header: Depth=1
	s_load_dwordx2 s[22:23], s[18:19], 0x0
	s_waitcnt lgkmcnt(0)
	s_or_b64 s[0:1], s[6:7], s[22:23]
	s_mov_b32 s17, s1
	s_cmp_lg_u64 s[16:17], 0
	s_cbranch_scc0 .LBB218_16
; %bb.12:                               ;   in Loop: Header=BB218_11 Depth=1
	v_cvt_f32_u32_e32 v1, s22
	v_cvt_f32_u32_e32 v2, s23
	s_sub_u32 s0, 0, s22
	s_subb_u32 s1, 0, s23
	v_mac_f32_e32 v1, 0x4f800000, v2
	v_rcp_f32_e32 v1, v1
	v_mul_f32_e32 v1, 0x5f7ffffc, v1
	v_mul_f32_e32 v2, 0x2f800000, v1
	v_trunc_f32_e32 v2, v2
	v_mac_f32_e32 v1, 0xcf800000, v2
	v_cvt_u32_f32_e32 v2, v2
	v_cvt_u32_f32_e32 v1, v1
	v_readfirstlane_b32 s17, v2
	v_readfirstlane_b32 s20, v1
	s_mul_i32 s21, s0, s17
	s_mul_hi_u32 s25, s0, s20
	s_mul_i32 s24, s1, s20
	s_add_i32 s21, s25, s21
	s_mul_i32 s28, s0, s20
	s_add_i32 s21, s21, s24
	s_mul_hi_u32 s24, s20, s21
	s_mul_i32 s25, s20, s21
	s_mul_hi_u32 s20, s20, s28
	s_add_u32 s20, s20, s25
	s_addc_u32 s24, 0, s24
	s_mul_hi_u32 s29, s17, s28
	s_mul_i32 s28, s17, s28
	s_add_u32 s20, s20, s28
	s_mul_hi_u32 s25, s17, s21
	s_addc_u32 s20, s24, s29
	s_addc_u32 s24, s25, 0
	s_mul_i32 s21, s17, s21
	s_add_u32 s20, s20, s21
	s_addc_u32 s21, 0, s24
	v_add_co_u32_e32 v1, vcc, s20, v1
	s_cmp_lg_u64 vcc, 0
	s_addc_u32 s17, s17, s21
	v_readfirstlane_b32 s21, v1
	s_mul_i32 s20, s0, s17
	s_mul_hi_u32 s24, s0, s21
	s_add_i32 s20, s24, s20
	s_mul_i32 s1, s1, s21
	s_add_i32 s20, s20, s1
	s_mul_i32 s0, s0, s21
	s_mul_hi_u32 s24, s17, s0
	s_mul_i32 s25, s17, s0
	s_mul_i32 s29, s21, s20
	s_mul_hi_u32 s0, s21, s0
	s_mul_hi_u32 s28, s21, s20
	s_add_u32 s0, s0, s29
	s_addc_u32 s21, 0, s28
	s_add_u32 s0, s0, s25
	s_mul_hi_u32 s1, s17, s20
	s_addc_u32 s0, s21, s24
	s_addc_u32 s1, s1, 0
	s_mul_i32 s20, s17, s20
	s_add_u32 s0, s0, s20
	s_addc_u32 s1, 0, s1
	v_add_co_u32_e32 v1, vcc, s0, v1
	s_cmp_lg_u64 vcc, 0
	s_addc_u32 s0, s17, s1
	v_readfirstlane_b32 s20, v1
	s_mul_i32 s17, s6, s0
	s_mul_hi_u32 s21, s6, s20
	s_mul_hi_u32 s1, s6, s0
	s_add_u32 s17, s21, s17
	s_addc_u32 s1, 0, s1
	s_mul_hi_u32 s24, s7, s20
	s_mul_i32 s20, s7, s20
	s_add_u32 s17, s17, s20
	s_mul_hi_u32 s21, s7, s0
	s_addc_u32 s1, s1, s24
	s_addc_u32 s17, s21, 0
	s_mul_i32 s0, s7, s0
	s_add_u32 s20, s1, s0
	s_addc_u32 s17, 0, s17
	s_mul_i32 s0, s22, s17
	s_mul_hi_u32 s1, s22, s20
	s_add_i32 s0, s1, s0
	s_mul_i32 s1, s23, s20
	s_add_i32 s21, s0, s1
	s_mul_i32 s1, s22, s20
	v_mov_b32_e32 v1, s1
	s_sub_i32 s0, s7, s21
	v_sub_co_u32_e32 v1, vcc, s6, v1
	s_cmp_lg_u64 vcc, 0
	s_subb_u32 s24, s0, s23
	v_subrev_co_u32_e64 v2, s[0:1], s22, v1
	s_cmp_lg_u64 s[0:1], 0
	s_subb_u32 s0, s24, 0
	s_cmp_ge_u32 s0, s23
	v_readfirstlane_b32 s24, v2
	s_cselect_b32 s1, -1, 0
	s_cmp_ge_u32 s24, s22
	s_cselect_b32 s24, -1, 0
	s_cmp_eq_u32 s0, s23
	s_cselect_b32 s0, s24, s1
	s_add_u32 s1, s20, 1
	s_addc_u32 s24, s17, 0
	s_add_u32 s25, s20, 2
	s_addc_u32 s28, s17, 0
	s_cmp_lg_u32 s0, 0
	s_cselect_b32 s0, s25, s1
	s_cselect_b32 s1, s28, s24
	s_cmp_lg_u64 vcc, 0
	s_subb_u32 s21, s7, s21
	s_cmp_ge_u32 s21, s23
	v_readfirstlane_b32 s25, v1
	s_cselect_b32 s24, -1, 0
	s_cmp_ge_u32 s25, s22
	s_cselect_b32 s25, -1, 0
	s_cmp_eq_u32 s21, s23
	s_cselect_b32 s21, s25, s24
	s_cmp_lg_u32 s21, 0
	s_cselect_b32 s21, s1, s17
	s_cselect_b32 s20, s0, s20
	s_cbranch_execnz .LBB218_14
.LBB218_13:                             ;   in Loop: Header=BB218_11 Depth=1
	v_cvt_f32_u32_e32 v1, s22
	s_sub_i32 s0, 0, s22
	s_mov_b32 s21, s16
	v_rcp_iflag_f32_e32 v1, v1
	v_mul_f32_e32 v1, 0x4f7ffffe, v1
	v_cvt_u32_f32_e32 v1, v1
	v_readfirstlane_b32 s1, v1
	s_mul_i32 s0, s0, s1
	s_mul_hi_u32 s0, s1, s0
	s_add_i32 s1, s1, s0
	s_mul_hi_u32 s0, s6, s1
	s_mul_i32 s17, s0, s22
	s_sub_i32 s17, s6, s17
	s_add_i32 s1, s0, 1
	s_sub_i32 s20, s17, s22
	s_cmp_ge_u32 s17, s22
	s_cselect_b32 s0, s1, s0
	s_cselect_b32 s17, s20, s17
	s_add_i32 s1, s0, 1
	s_cmp_ge_u32 s17, s22
	s_cselect_b32 s20, s1, s0
.LBB218_14:                             ;   in Loop: Header=BB218_11 Depth=1
	s_mul_i32 s0, s20, s23
	s_mul_hi_u32 s1, s20, s22
	s_add_i32 s17, s1, s0
	s_load_dwordx2 s[0:1], s[18:19], 0xc8
	s_mul_i32 s23, s21, s22
	s_add_i32 s17, s17, s23
	s_mul_i32 s22, s20, s22
	s_sub_u32 s6, s6, s22
	s_subb_u32 s7, s7, s17
	s_waitcnt lgkmcnt(0)
	s_mul_i32 s7, s0, s7
	s_mul_hi_u32 s17, s0, s6
	s_add_i32 s7, s17, s7
	s_mul_i32 s1, s1, s6
	s_add_i32 s7, s7, s1
	s_mul_i32 s0, s0, s6
	s_add_u32 s8, s0, s8
	s_addc_u32 s9, s7, s9
	s_add_i32 s15, s15, -1
	s_add_u32 s18, s18, -8
	s_addc_u32 s19, s19, -1
	s_cmp_gt_u32 s15, 2
	s_cbranch_scc0 .LBB218_18
; %bb.15:                               ;   in Loop: Header=BB218_11 Depth=1
	s_mov_b64 s[6:7], s[20:21]
	s_branch .LBB218_11
.LBB218_16:                             ;   in Loop: Header=BB218_11 Depth=1
                                        ; implicit-def: $sgpr20_sgpr21
	s_branch .LBB218_13
.LBB218_17:
	s_mov_b64 s[20:21], s[6:7]
.LBB218_18:
	s_mul_i32 s0, s12, s11
	s_load_dword s11, s[4:5], 0x360
	s_load_dwordx2 s[6:7], s[4:5], 0x0
	s_mul_hi_u32 s1, s12, s10
	s_add_i32 s0, s1, s0
	s_mul_i32 s1, s13, s10
	s_add_i32 s1, s0, s1
	s_mul_i32 s0, s12, s10
	s_waitcnt lgkmcnt(0)
	s_bitcmp1_b32 s11, 0
	s_cselect_b64 s[10:11], -1, 0
	s_lshl_b64 s[0:1], s[0:1], 2
	s_add_u32 s6, s6, s0
	v_bfrev_b32_e32 v1, -2
	s_addc_u32 s7, s7, s1
	s_lshl_b64 s[0:1], s[2:3], 2
	s_add_u32 s33, s6, s0
	v_cndmask_b32_e64 v5, v1, -1, s[10:11]
	s_addc_u32 s38, s7, s1
	v_mov_b32_e32 v2, v5
	v_mov_b32_e32 v3, v5
	v_cmp_gt_u32_e64 s[0:1], s14, v0
	v_mov_b32_e32 v4, v5
	s_and_saveexec_b64 s[2:3], s[0:1]
	s_cbranch_execz .LBB218_20
; %bb.19:
	v_mad_u64_u32 v[6:7], s[6:7], v0, s26, 0
	v_mov_b32_e32 v4, v7
	v_mad_u64_u32 v[8:9], s[6:7], v0, s27, v[4:5]
	v_mov_b32_e32 v7, v8
	v_lshlrev_b64 v[6:7], 2, v[6:7]
	v_mov_b32_e32 v1, s38
	v_add_co_u32_e32 v6, vcc, s33, v6
	v_addc_co_u32_e32 v7, vcc, v1, v7, vcc
	global_load_dword v4, v[6:7], off
.LBB218_20:
	s_or_b64 exec, exec, s[2:3]
	v_or_b32_e32 v1, 32, v0
	v_cmp_gt_u32_e64 s[2:3], s14, v1
	s_and_saveexec_b64 s[6:7], s[2:3]
	s_cbranch_execz .LBB218_22
; %bb.21:
	v_mad_u64_u32 v[6:7], s[12:13], v1, s26, 0
	v_mov_b32_e32 v8, v7
	v_mad_u64_u32 v[8:9], s[12:13], v1, s27, v[8:9]
	v_mov_b32_e32 v7, v8
	v_lshlrev_b64 v[6:7], 2, v[6:7]
	v_mov_b32_e32 v5, s38
	v_add_co_u32_e32 v6, vcc, s33, v6
	v_addc_co_u32_e32 v7, vcc, v5, v7, vcc
	global_load_dword v5, v[6:7], off
.LBB218_22:
	s_or_b64 exec, exec, s[6:7]
	s_load_dwordx2 s[16:17], s[4:5], 0x288
	s_load_dwordx2 s[12:13], s[4:5], 0x1b8
	v_or_b32_e32 v11, 64, v0
	v_cmp_gt_u32_e64 s[24:25], s14, v11
	s_and_saveexec_b64 s[6:7], s[24:25]
	s_cbranch_execz .LBB218_24
; %bb.23:
	v_mad_u64_u32 v[6:7], s[18:19], v11, s26, 0
	v_mov_b32_e32 v2, v7
	v_mad_u64_u32 v[8:9], s[18:19], v11, s27, v[2:3]
	v_mov_b32_e32 v7, v8
	v_lshlrev_b64 v[6:7], 2, v[6:7]
	v_mov_b32_e32 v2, s38
	v_add_co_u32_e32 v6, vcc, s33, v6
	v_addc_co_u32_e32 v7, vcc, v2, v7, vcc
	global_load_dword v2, v[6:7], off
.LBB218_24:
	s_or_b64 exec, exec, s[6:7]
	v_or_b32_e32 v10, 0x60, v0
	v_cmp_gt_u32_e64 s[6:7], s14, v10
	s_and_saveexec_b64 s[14:15], s[6:7]
	s_cbranch_execz .LBB218_26
; %bb.25:
	v_mad_u64_u32 v[6:7], s[18:19], v10, s26, 0
	v_mov_b32_e32 v8, v7
	v_mad_u64_u32 v[8:9], s[18:19], v10, s27, v[8:9]
	v_mov_b32_e32 v7, v8
	v_lshlrev_b64 v[6:7], 2, v[6:7]
	v_mov_b32_e32 v3, s38
	v_add_co_u32_e32 v6, vcc, s33, v6
	v_addc_co_u32_e32 v7, vcc, v3, v7, vcc
	global_load_dword v3, v[6:7], off
.LBB218_26:
	s_or_b64 exec, exec, s[14:15]
	v_lshlrev_b32_e32 v34, 2, v0
	s_waitcnt vmcnt(0)
	ds_write_b32 v34, v4
	v_lshrrev_b32_e32 v4, 5, v1
	v_add_u32_e32 v15, v4, v0
	v_lshrrev_b32_e32 v4, 5, v11
	v_add_u32_e32 v13, v4, v0
	s_waitcnt lgkmcnt(0)
	s_mul_i32 s14, s16, s21
	s_mul_hi_u32 s15, s16, s20
	v_lshlrev_b32_e32 v35, 2, v15
	v_lshlrev_b32_e32 v36, 2, v13
	s_add_i32 s14, s15, s14
	s_mul_i32 s15, s17, s20
	ds_write_b32 v35, v5 offset:128
	ds_write_b32 v36, v2 offset:256
	v_lshrrev_b32_e32 v2, 5, v10
	s_add_i32 s15, s14, s15
	s_mul_i32 s14, s16, s20
	v_add_u32_e32 v12, v2, v0
	v_lshrrev_b32_e32 v2, 3, v0
	s_lshl_b64 s[14:15], s[14:15], 3
	v_or_b32_e32 v14, v2, v34
	s_add_u32 s12, s12, s14
	v_lshlrev_b32_e32 v37, 2, v12
	v_lshlrev_b32_e32 v38, 2, v14
	s_addc_u32 s13, s13, s15
	s_lshl_b64 s[8:9], s[8:9], 3
	s_load_dwordx2 s[4:5], s[4:5], 0x358
	ds_write_b32 v37, v3 offset:384
	s_waitcnt lgkmcnt(0)
	; wave barrier
	s_waitcnt lgkmcnt(0)
	ds_read2_b32 v[24:25], v38 offset1:1
	ds_read2_b32 v[22:23], v38 offset0:2 offset1:3
	s_add_u32 s39, s12, s8
	s_mov_b32 s12, 0
	s_addc_u32 s40, s13, s9
	s_mov_b32 s13, s12
	s_mov_b32 s14, s12
	s_mov_b32 s15, s12
	s_mov_b32 s16, s12
	s_mov_b32 s17, s12
	s_mov_b32 s18, s12
	s_mov_b32 s19, s12
	v_pk_mov_b32 v[2:3], s[12:13], s[12:13] op_sel:[0,1]
	v_pk_mov_b32 v[4:5], s[14:15], s[14:15] op_sel:[0,1]
	;; [unrolled: 1-line block ×4, first 2 shown]
	v_pk_mov_b32 v[2:3], 0, 0
	s_waitcnt lgkmcnt(0)
	; wave barrier
	s_waitcnt lgkmcnt(0)
	s_and_saveexec_b64 s[8:9], s[0:1]
	s_cbranch_execnz .LBB218_46
; %bb.27:
	s_or_b64 exec, exec, s[8:9]
	s_and_saveexec_b64 s[8:9], s[2:3]
	s_cbranch_execnz .LBB218_47
.LBB218_28:
	s_or_b64 exec, exec, s[8:9]
	s_and_saveexec_b64 s[8:9], s[24:25]
	s_cbranch_execnz .LBB218_48
.LBB218_29:
	s_or_b64 exec, exec, s[8:9]
	s_xor_b64 s[28:29], s[10:11], -1
	s_and_saveexec_b64 s[8:9], s[6:7]
	s_cbranch_execz .LBB218_31
.LBB218_30:
	v_mad_u64_u32 v[8:9], s[10:11], v10, s4, 0
	v_mov_b32_e32 v16, v9
	v_mad_u64_u32 v[10:11], s[10:11], v10, s5, v[16:17]
	v_mov_b32_e32 v9, v10
	v_lshlrev_b64 v[8:9], 3, v[8:9]
	v_mov_b32_e32 v10, s40
	v_add_co_u32_e32 v8, vcc, s39, v8
	v_addc_co_u32_e32 v9, vcc, v10, v9, vcc
	global_load_dwordx2 v[8:9], v[8:9], off
.LBB218_31:
	s_or_b64 exec, exec, s[8:9]
	v_mbcnt_lo_u32_b32 v10, -1, 0
	v_mbcnt_hi_u32_b32 v10, -1, v10
	v_lshlrev_b32_e32 v39, 3, v0
	v_lshlrev_b32_e32 v40, 3, v15
	;; [unrolled: 1-line block ×5, first 2 shown]
	s_getpc_b64 s[8:9]
	s_add_u32 s8, s8, _ZN7rocprim17ROCPRIM_400000_NS16block_radix_sortIfLj32ELj4ElLj1ELj1ELj0ELNS0_26block_radix_rank_algorithmE1ELNS0_18block_padding_hintE2ELNS0_4arch9wavefront6targetE1EE19radix_bits_per_passE@rel32@lo+4
	s_addc_u32 s9, s9, _ZN7rocprim17ROCPRIM_400000_NS16block_radix_sortIfLj32ELj4ElLj1ELj1ELj0ELNS0_26block_radix_rank_algorithmE1ELNS0_18block_padding_hintE2ELNS0_4arch9wavefront6targetE1EE19radix_bits_per_passE@rel32@hi+12
	v_and_b32_e32 v11, 15, v10
	s_waitcnt vmcnt(0)
	ds_write_b64 v39, v[2:3]
	ds_write_b64 v40, v[4:5] offset:256
	ds_write_b64 v41, v[6:7] offset:512
	;; [unrolled: 1-line block ×3, first 2 shown]
	s_waitcnt lgkmcnt(0)
	; wave barrier
	s_waitcnt lgkmcnt(0)
	ds_read2_b64 v[2:5], v43 offset1:1
	ds_read2_b64 v[6:9], v43 offset0:2 offset1:3
	s_load_dword s41, s[8:9], 0x0
	v_cmp_eq_u32_e64 s[10:11], 0, v11
	v_cmp_lt_u32_e64 s[12:13], 1, v11
	v_cmp_lt_u32_e64 s[14:15], 3, v11
	;; [unrolled: 1-line block ×3, first 2 shown]
	v_and_b32_e32 v11, 16, v10
	v_cmp_eq_u32_e64 s[18:19], 0, v11
	v_add_u32_e32 v11, -1, v10
	v_and_b32_e32 v12, 0x60, v10
	v_cmp_lt_i32_e32 vcc, v11, v12
	s_movk_i32 s8, 0x100
	v_cndmask_b32_e32 v11, v11, v10, vcc
	v_cmp_gt_u32_e64 s[8:9], s8, v0
	v_lshlrev_b32_e32 v46, 5, v0
	s_mov_b32 s42, 0
	v_cmp_eq_u32_e64 s[20:21], 31, v0
	v_lshlrev_b32_e32 v47, 2, v11
	v_cmp_eq_u32_e64 s[22:23], 0, v10
	v_lshlrev_b32_e32 v45, 2, v34
	v_lshlrev_b32_e32 v44, 3, v34
	s_and_b64 vcc, exec, s[28:29]
	v_add_u32_e64 v48, 7, 2
	s_waitcnt lgkmcnt(0)
	; wave barrier
	s_waitcnt lgkmcnt(0)
	s_cbranch_vccz .LBB218_49
; %bb.32:
	v_bfrev_b32_e32 v49, 1
	v_cmp_lt_i32_e32 vcc, -1, v24
	v_cndmask_b32_e32 v10, -1, v49, vcc
	v_cmp_lt_i32_e32 vcc, -1, v25
	v_xor_b32_e32 v30, v10, v24
	v_cndmask_b32_e32 v10, -1, v49, vcc
	v_cmp_lt_i32_e32 vcc, -1, v22
	v_xor_b32_e32 v31, v10, v25
	;; [unrolled: 3-line block ×3, first 2 shown]
	v_cndmask_b32_e32 v10, -1, v49, vcc
	v_xor_b32_e32 v33, v10, v23
	v_and_b32_e32 v50, 14, v48
	v_mov_b32_e32 v51, 0
	s_brev_b32 s43, -2
	s_movk_i32 s44, 0xe0
	v_pk_mov_b32 v[10:11], v[2:3], v[2:3] op_sel:[0,1]
	v_pk_mov_b32 v[12:13], v[4:5], v[4:5] op_sel:[0,1]
	;; [unrolled: 1-line block ×4, first 2 shown]
	s_branch .LBB218_34
.LBB218_33:                             ;   in Loop: Header=BB218_34 Depth=1
	v_lshlrev_b32_e32 v10, 2, v56
	s_waitcnt lgkmcnt(0)
	; wave barrier
	ds_write_b32 v10, v55
	v_lshlrev_b32_e32 v10, 2, v57
	ds_write_b32 v10, v54
	v_lshlrev_b32_e32 v10, 2, v58
	ds_write_b32 v10, v53
	v_lshlrev_b32_e32 v10, 2, v59
	ds_write_b32 v10, v52
	v_lshlrev_b32_e32 v10, 3, v56
	s_waitcnt lgkmcnt(0)
	; wave barrier
	s_waitcnt lgkmcnt(0)
	ds_read2_b32 v[30:31], v45 offset1:1
	ds_read2_b32 v[32:33], v45 offset0:2 offset1:3
	s_waitcnt lgkmcnt(0)
	; wave barrier
	s_waitcnt lgkmcnt(0)
	ds_write_b64 v10, v[28:29]
	v_lshlrev_b32_e32 v10, 3, v57
	ds_write_b64 v10, v[26:27]
	v_lshlrev_b32_e32 v10, 3, v58
	;; [unrolled: 2-line block ×3, first 2 shown]
	ds_write_b64 v10, v[18:19]
	s_waitcnt lgkmcnt(0)
	; wave barrier
	s_waitcnt lgkmcnt(0)
	ds_read2_b64 v[10:13], v44 offset1:1
	ds_read2_b64 v[14:17], v44 offset0:2 offset1:3
	s_add_i32 s42, s42, 4
	s_waitcnt lgkmcnt(0)
	; wave barrier
	s_waitcnt lgkmcnt(0)
	s_cbranch_execz .LBB218_45
.LBB218_34:                             ; =>This Loop Header: Depth=1
                                        ;     Child Loop BB218_37 Depth 2
	v_mov_b32_e32 v52, v33
	v_mov_b32_e32 v53, v32
	;; [unrolled: 1-line block ×4, first 2 shown]
	v_pk_mov_b32 v[18:19], v[16:17], v[16:17] op_sel:[0,1]
	v_pk_mov_b32 v[20:21], v[14:15], v[14:15] op_sel:[0,1]
	;; [unrolled: 1-line block ×4, first 2 shown]
	s_and_saveexec_b64 s[28:29], s[8:9]
	s_cbranch_execz .LBB218_41
; %bb.35:                               ;   in Loop: Header=BB218_34 Depth=1
	s_mov_b32 s45, 0
	s_mov_b64 s[30:31], 0
	v_pk_mov_b32 v[10:11], v[0:1], v[0:1] op_sel:[0,1]
	s_branch .LBB218_37
.LBB218_36:                             ;   in Loop: Header=BB218_37 Depth=2
	s_or_b64 exec, exec, s[36:37]
	s_add_i32 s45, s45, 2
	v_cmp_eq_u32_e32 vcc, s45, v50
	v_add_u32_e32 v11, 64, v11
	s_or_b64 s[30:31], vcc, s[30:31]
	v_add_u32_e32 v10, 64, v10
	s_andn2_b64 exec, exec, s[30:31]
	s_cbranch_execz .LBB218_41
.LBB218_37:                             ;   Parent Loop BB218_34 Depth=1
                                        ; =>  This Inner Loop Header: Depth=2
	s_or_b32 s34, s45, 1
	v_cmp_le_u32_e64 s[34:35], s34, 7
	v_cmp_le_u32_e64 s[46:47], s45, 7
	s_and_saveexec_b64 s[36:37], s[46:47]
	s_cbranch_execz .LBB218_39
; %bb.38:                               ;   in Loop: Header=BB218_37 Depth=2
	v_lshlrev_b32_e32 v12, 2, v10
	ds_write_b32 v12, v51
.LBB218_39:                             ;   in Loop: Header=BB218_37 Depth=2
	s_or_b64 exec, exec, s[36:37]
	s_and_saveexec_b64 s[36:37], s[34:35]
	s_cbranch_execz .LBB218_36
; %bb.40:                               ;   in Loop: Header=BB218_37 Depth=2
	v_lshlrev_b32_e32 v12, 2, v11
	ds_write_b32 v12, v51
	s_branch .LBB218_36
.LBB218_41:                             ;   in Loop: Header=BB218_34 Depth=1
	s_or_b64 exec, exec, s[28:29]
	s_sub_i32 s28, 32, s42
	s_min_u32 s28, s41, s28
	v_cmp_ne_u32_e32 vcc, s43, v55
	s_lshl_b32 s28, -1, s28
	v_cndmask_b32_e32 v10, v49, v55, vcc
	s_not_b32 s28, s28
	v_lshrrev_b32_e32 v10, s42, v10
	v_and_b32_e32 v10, s28, v10
	v_lshrrev_b32_e32 v11, 3, v10
	v_lshlrev_b32_e32 v10, 5, v10
	v_and_or_b32 v10, v10, s44, v0
	v_lshlrev_b32_e32 v10, 1, v10
	v_add_lshl_u32 v31, v10, v11, 1
	ds_read_u16 v30, v31
	v_cmp_ne_u32_e32 vcc, s43, v54
	s_waitcnt lgkmcnt(0)
	v_add_u16_e32 v10, 1, v30
	ds_write_b16 v31, v10
	v_cndmask_b32_e32 v10, v49, v54, vcc
	v_lshrrev_b32_e32 v10, s42, v10
	v_and_b32_e32 v10, s28, v10
	v_lshrrev_b32_e32 v11, 3, v10
	v_lshlrev_b32_e32 v10, 5, v10
	v_and_or_b32 v10, v10, s44, v0
	v_lshlrev_b32_e32 v10, 1, v10
	v_add_lshl_u32 v33, v10, v11, 1
	ds_read_u16 v32, v33
	v_cmp_ne_u32_e32 vcc, s43, v53
	s_waitcnt lgkmcnt(0)
	v_add_u16_e32 v10, 1, v32
	ds_write_b16 v33, v10
	v_cndmask_b32_e32 v10, v49, v53, vcc
	;; [unrolled: 13-line block ×3, first 2 shown]
	v_lshrrev_b32_e32 v10, s42, v10
	v_and_b32_e32 v10, s28, v10
	v_lshrrev_b32_e32 v11, 3, v10
	v_lshlrev_b32_e32 v10, 5, v10
	v_and_or_b32 v10, v10, s44, v0
	v_lshlrev_b32_e32 v10, 1, v10
	v_add_lshl_u32 v57, v10, v11, 1
	ds_read_u16 v59, v57
	s_waitcnt lgkmcnt(0)
	v_add_u16_e32 v10, 1, v59
	ds_write_b16 v57, v10
	s_waitcnt lgkmcnt(0)
	; wave barrier
	s_waitcnt lgkmcnt(0)
	ds_read2_b32 v[16:17], v46 offset1:1
	ds_read2_b32 v[14:15], v46 offset0:2 offset1:3
	ds_read2_b32 v[10:11], v46 offset0:4 offset1:5
	;; [unrolled: 1-line block ×3, first 2 shown]
	s_waitcnt lgkmcnt(3)
	v_add_u32_e32 v60, v17, v16
	s_waitcnt lgkmcnt(2)
	v_add3_u32 v60, v60, v14, v15
	s_waitcnt lgkmcnt(1)
	v_add3_u32 v60, v60, v10, v11
	;; [unrolled: 2-line block ×3, first 2 shown]
	s_nop 1
	v_mov_b32_dpp v60, v13 row_shr:1 row_mask:0xf bank_mask:0xf
	v_cndmask_b32_e64 v60, v60, 0, s[10:11]
	v_add_u32_e32 v13, v60, v13
	s_nop 1
	v_mov_b32_dpp v60, v13 row_shr:2 row_mask:0xf bank_mask:0xf
	v_cndmask_b32_e64 v60, 0, v60, s[12:13]
	v_add_u32_e32 v13, v13, v60
	s_nop 1
	v_mov_b32_dpp v60, v13 row_shr:4 row_mask:0xf bank_mask:0xf
	v_cndmask_b32_e64 v60, 0, v60, s[14:15]
	v_add_u32_e32 v13, v13, v60
	s_nop 1
	v_mov_b32_dpp v60, v13 row_shr:8 row_mask:0xf bank_mask:0xf
	v_cndmask_b32_e64 v60, 0, v60, s[16:17]
	v_add_u32_e32 v13, v13, v60
	s_nop 1
	v_mov_b32_dpp v60, v13 row_bcast:15 row_mask:0xf bank_mask:0xf
	v_cndmask_b32_e64 v60, v60, 0, s[18:19]
	v_add_u32_e32 v13, v13, v60
	s_and_saveexec_b64 s[28:29], s[20:21]
	s_cbranch_execz .LBB218_43
; %bb.42:                               ;   in Loop: Header=BB218_34 Depth=1
	ds_write_b32 v51, v13 offset:1024
.LBB218_43:                             ;   in Loop: Header=BB218_34 Depth=1
	s_or_b64 exec, exec, s[28:29]
	ds_bpermute_b32 v13, v47, v13
	s_waitcnt lgkmcnt(0)
	; wave barrier
	s_waitcnt lgkmcnt(0)
	ds_read_b32 v60, v51 offset:1024
	s_cmp_gt_u32 s42, 27
	v_cndmask_b32_e64 v13, v13, 0, s[22:23]
	s_waitcnt lgkmcnt(0)
	v_lshl_add_u32 v13, v60, 16, v13
	v_add_u32_e32 v16, v13, v16
	v_add_u32_e32 v17, v16, v17
	ds_write2_b32 v46, v13, v16 offset1:1
	v_add_u32_e32 v13, v17, v14
	v_add_u32_e32 v14, v13, v15
	;; [unrolled: 1-line block ×5, first 2 shown]
	ds_write2_b32 v46, v17, v13 offset0:2 offset1:3
	ds_write2_b32 v46, v14, v10 offset0:4 offset1:5
	;; [unrolled: 1-line block ×3, first 2 shown]
	s_waitcnt lgkmcnt(0)
	; wave barrier
	s_waitcnt lgkmcnt(0)
	ds_read_u16 v10, v31
	ds_read_u16 v11, v33
	;; [unrolled: 1-line block ×4, first 2 shown]
	s_waitcnt lgkmcnt(3)
	v_add_u32_sdwa v56, v10, v30 dst_sel:DWORD dst_unused:UNUSED_PAD src0_sel:DWORD src1_sel:WORD_0
	s_waitcnt lgkmcnt(2)
	v_add_u32_sdwa v57, v11, v32 dst_sel:DWORD dst_unused:UNUSED_PAD src0_sel:DWORD src1_sel:WORD_0
	;; [unrolled: 2-line block ×4, first 2 shown]
	s_cbranch_scc0 .LBB218_33
; %bb.44:
                                        ; implicit-def: $vgpr33
                                        ; implicit-def: $vgpr31
                                        ; implicit-def: $vgpr16_vgpr17
                                        ; implicit-def: $vgpr12_vgpr13
                                        ; implicit-def: $sgpr42
.LBB218_45:
	v_lshlrev_b32_e32 v10, 2, v56
	s_waitcnt lgkmcnt(0)
	; wave barrier
	ds_write_b32 v10, v55
	v_lshlrev_b32_e32 v10, 2, v57
	ds_write_b32 v10, v54
	v_lshlrev_b32_e32 v10, 2, v58
	;; [unrolled: 2-line block ×3, first 2 shown]
	ds_write_b32 v10, v52
	s_waitcnt lgkmcnt(0)
	; wave barrier
	s_waitcnt lgkmcnt(0)
	ds_read2_b32 v[30:31], v45 offset1:1
	ds_read2_b32 v[32:33], v45 offset0:2 offset1:3
	v_lshlrev_b32_e32 v10, 3, v56
	v_lshlrev_b32_e32 v11, 3, v57
	;; [unrolled: 1-line block ×4, first 2 shown]
	s_waitcnt lgkmcnt(0)
	; wave barrier
	s_waitcnt lgkmcnt(0)
	ds_write_b64 v10, v[28:29]
	ds_write_b64 v11, v[26:27]
	;; [unrolled: 1-line block ×4, first 2 shown]
	s_waitcnt lgkmcnt(0)
	; wave barrier
	s_waitcnt lgkmcnt(0)
	ds_read2_b64 v[10:13], v44 offset1:1
	ds_read2_b64 v[14:17], v44 offset0:2 offset1:3
	v_bfrev_b32_e32 v18, 1
	v_cmp_lt_i32_e32 vcc, -1, v30
	v_cndmask_b32_e64 v26, v18, -1, vcc
	v_cmp_lt_i32_e32 vcc, -1, v31
	v_cndmask_b32_e64 v19, v18, -1, vcc
	;; [unrolled: 2-line block ×4, first 2 shown]
	v_xor_b32_e32 v21, v18, v33
	v_xor_b32_e32 v20, v20, v32
	;; [unrolled: 1-line block ×4, first 2 shown]
	s_branch .LBB218_64
.LBB218_46:
	v_mad_u64_u32 v[2:3], s[12:13], v0, s4, 0
	v_mov_b32_e32 v4, v3
	v_mad_u64_u32 v[4:5], s[12:13], v0, s5, v[4:5]
	v_mov_b32_e32 v3, v4
	v_lshlrev_b64 v[2:3], 3, v[2:3]
	v_mov_b32_e32 v4, s40
	v_add_co_u32_e32 v2, vcc, s39, v2
	v_addc_co_u32_e32 v3, vcc, v4, v3, vcc
	global_load_dwordx2 v[2:3], v[2:3], off
	v_mov_b32_e32 v4, 0
	v_mov_b32_e32 v5, v4
	;; [unrolled: 1-line block ×6, first 2 shown]
	s_or_b64 exec, exec, s[8:9]
	s_and_saveexec_b64 s[8:9], s[2:3]
	s_cbranch_execz .LBB218_28
.LBB218_47:
	v_mad_u64_u32 v[4:5], s[12:13], v1, s4, 0
	v_mov_b32_e32 v16, v5
	v_mad_u64_u32 v[16:17], s[12:13], v1, s5, v[16:17]
	v_mov_b32_e32 v5, v16
	v_lshlrev_b64 v[4:5], 3, v[4:5]
	v_mov_b32_e32 v16, s40
	v_add_co_u32_e32 v4, vcc, s39, v4
	v_addc_co_u32_e32 v5, vcc, v16, v5, vcc
	global_load_dwordx2 v[4:5], v[4:5], off
	s_or_b64 exec, exec, s[8:9]
	s_and_saveexec_b64 s[8:9], s[24:25]
	s_cbranch_execz .LBB218_29
.LBB218_48:
	v_mad_u64_u32 v[6:7], s[12:13], v11, s4, 0
	v_mov_b32_e32 v16, v7
	v_mad_u64_u32 v[16:17], s[12:13], v11, s5, v[16:17]
	v_mov_b32_e32 v7, v16
	v_lshlrev_b64 v[6:7], 3, v[6:7]
	v_mov_b32_e32 v11, s40
	v_add_co_u32_e32 v6, vcc, s39, v6
	v_addc_co_u32_e32 v7, vcc, v11, v7, vcc
	global_load_dwordx2 v[6:7], v[6:7], off
	s_or_b64 exec, exec, s[8:9]
	s_xor_b64 s[28:29], s[10:11], -1
	s_and_saveexec_b64 s[8:9], s[6:7]
	s_cbranch_execnz .LBB218_30
	s_branch .LBB218_31
.LBB218_49:
                                        ; implicit-def: $vgpr16_vgpr17
                                        ; implicit-def: $vgpr12_vgpr13
                                        ; implicit-def: $vgpr18_vgpr19_vgpr20_vgpr21
	s_cbranch_execz .LBB218_64
; %bb.50:
	v_bfrev_b32_e32 v26, -2
	v_cmp_gt_i32_e32 vcc, 0, v24
	s_waitcnt lgkmcnt(1)
	v_cndmask_b32_e64 v10, v26, 0, vcc
	v_cmp_gt_i32_e32 vcc, 0, v25
	v_xor_b32_e32 v18, v10, v24
	v_cndmask_b32_e64 v10, v26, 0, vcc
	v_cmp_gt_i32_e32 vcc, 0, v22
	v_xor_b32_e32 v19, v10, v25
	;; [unrolled: 3-line block ×3, first 2 shown]
	v_cndmask_b32_e64 v10, v26, 0, vcc
	s_mov_b32 s42, 0
	v_xor_b32_e32 v21, v10, v23
	v_and_b32_e32 v22, 14, v48
	v_mov_b32_e32 v23, 0
	s_brev_b32 s43, 1
	s_movk_i32 s44, 0xe0
	s_branch .LBB218_52
.LBB218_51:                             ;   in Loop: Header=BB218_52 Depth=1
	v_lshlrev_b32_e32 v2, 2, v29
	s_waitcnt lgkmcnt(0)
	; wave barrier
	ds_write_b32 v2, v28
	v_lshlrev_b32_e32 v2, 2, v30
	ds_write_b32 v2, v27
	v_lshlrev_b32_e32 v2, 2, v31
	;; [unrolled: 2-line block ×4, first 2 shown]
	s_waitcnt lgkmcnt(0)
	; wave barrier
	s_waitcnt lgkmcnt(0)
	ds_read2_b32 v[18:19], v45 offset1:1
	ds_read2_b32 v[20:21], v45 offset0:2 offset1:3
	s_waitcnt lgkmcnt(0)
	; wave barrier
	s_waitcnt lgkmcnt(0)
	ds_write_b64 v2, v[16:17]
	v_lshlrev_b32_e32 v2, 3, v30
	ds_write_b64 v2, v[14:15]
	v_lshlrev_b32_e32 v2, 3, v31
	;; [unrolled: 2-line block ×3, first 2 shown]
	ds_write_b64 v2, v[10:11]
	s_waitcnt lgkmcnt(0)
	; wave barrier
	s_waitcnt lgkmcnt(0)
	ds_read2_b64 v[2:5], v44 offset1:1
	ds_read2_b64 v[6:9], v44 offset0:2 offset1:3
	s_add_i32 s42, s42, 4
	s_waitcnt lgkmcnt(0)
	; wave barrier
	s_waitcnt lgkmcnt(0)
	s_cbranch_execz .LBB218_63
.LBB218_52:                             ; =>This Loop Header: Depth=1
                                        ;     Child Loop BB218_55 Depth 2
	v_mov_b32_e32 v24, v21
	v_mov_b32_e32 v25, v20
	;; [unrolled: 1-line block ×4, first 2 shown]
	v_pk_mov_b32 v[10:11], v[8:9], v[8:9] op_sel:[0,1]
	v_pk_mov_b32 v[12:13], v[6:7], v[6:7] op_sel:[0,1]
	s_waitcnt lgkmcnt(0)
	v_pk_mov_b32 v[14:15], v[4:5], v[4:5] op_sel:[0,1]
	v_pk_mov_b32 v[16:17], v[2:3], v[2:3] op_sel:[0,1]
	s_and_saveexec_b64 s[28:29], s[8:9]
	s_cbranch_execz .LBB218_59
; %bb.53:                               ;   in Loop: Header=BB218_52 Depth=1
	s_mov_b32 s45, 0
	s_mov_b64 s[30:31], 0
	v_pk_mov_b32 v[2:3], v[0:1], v[0:1] op_sel:[0,1]
	s_branch .LBB218_55
.LBB218_54:                             ;   in Loop: Header=BB218_55 Depth=2
	s_or_b64 exec, exec, s[36:37]
	s_add_i32 s45, s45, 2
	v_cmp_eq_u32_e32 vcc, s45, v22
	v_add_u32_e32 v3, 64, v3
	s_or_b64 s[30:31], vcc, s[30:31]
	v_add_u32_e32 v2, 64, v2
	s_andn2_b64 exec, exec, s[30:31]
	s_cbranch_execz .LBB218_59
.LBB218_55:                             ;   Parent Loop BB218_52 Depth=1
                                        ; =>  This Inner Loop Header: Depth=2
	s_or_b32 s34, s45, 1
	v_cmp_le_u32_e64 s[34:35], s34, 7
	v_cmp_le_u32_e64 s[46:47], s45, 7
	s_and_saveexec_b64 s[36:37], s[46:47]
	s_cbranch_execz .LBB218_57
; %bb.56:                               ;   in Loop: Header=BB218_55 Depth=2
	v_lshlrev_b32_e32 v4, 2, v2
	ds_write_b32 v4, v23
.LBB218_57:                             ;   in Loop: Header=BB218_55 Depth=2
	s_or_b64 exec, exec, s[36:37]
	s_and_saveexec_b64 s[36:37], s[34:35]
	s_cbranch_execz .LBB218_54
; %bb.58:                               ;   in Loop: Header=BB218_55 Depth=2
	v_lshlrev_b32_e32 v4, 2, v3
	ds_write_b32 v4, v23
	s_branch .LBB218_54
.LBB218_59:                             ;   in Loop: Header=BB218_52 Depth=1
	s_or_b64 exec, exec, s[28:29]
	s_sub_i32 s28, 32, s42
	s_min_u32 s28, s41, s28
	v_cmp_ne_u32_e32 vcc, s43, v28
	s_lshl_b32 s28, -1, s28
	v_cndmask_b32_e32 v2, v26, v28, vcc
	s_not_b32 s28, s28
	v_lshrrev_b32_e32 v2, s42, v2
	v_and_b32_e32 v2, s28, v2
	v_lshrrev_b32_e32 v3, 3, v2
	v_lshlrev_b32_e32 v2, 5, v2
	v_and_or_b32 v2, v2, s44, v0
	v_lshlrev_b32_e32 v2, 1, v2
	v_add_lshl_u32 v19, v2, v3, 1
	ds_read_u16 v18, v19
	v_cmp_ne_u32_e32 vcc, s43, v27
	s_waitcnt lgkmcnt(0)
	v_add_u16_e32 v2, 1, v18
	ds_write_b16 v19, v2
	v_cndmask_b32_e32 v2, v26, v27, vcc
	v_lshrrev_b32_e32 v2, s42, v2
	v_and_b32_e32 v2, s28, v2
	v_lshrrev_b32_e32 v3, 3, v2
	v_lshlrev_b32_e32 v2, 5, v2
	v_and_or_b32 v2, v2, s44, v0
	v_lshlrev_b32_e32 v2, 1, v2
	v_add_lshl_u32 v21, v2, v3, 1
	ds_read_u16 v20, v21
	v_cmp_ne_u32_e32 vcc, s43, v25
	s_waitcnt lgkmcnt(0)
	v_add_u16_e32 v2, 1, v20
	ds_write_b16 v21, v2
	v_cndmask_b32_e32 v2, v26, v25, vcc
	;; [unrolled: 13-line block ×3, first 2 shown]
	v_lshrrev_b32_e32 v2, s42, v2
	v_and_b32_e32 v2, s28, v2
	v_lshrrev_b32_e32 v3, 3, v2
	v_lshlrev_b32_e32 v2, 5, v2
	v_and_or_b32 v2, v2, s44, v0
	v_lshlrev_b32_e32 v2, 1, v2
	v_add_lshl_u32 v30, v2, v3, 1
	ds_read_u16 v32, v30
	s_waitcnt lgkmcnt(0)
	v_add_u16_e32 v2, 1, v32
	ds_write_b16 v30, v2
	s_waitcnt lgkmcnt(0)
	; wave barrier
	s_waitcnt lgkmcnt(0)
	ds_read2_b32 v[8:9], v46 offset1:1
	ds_read2_b32 v[6:7], v46 offset0:2 offset1:3
	ds_read2_b32 v[2:3], v46 offset0:4 offset1:5
	;; [unrolled: 1-line block ×3, first 2 shown]
	s_waitcnt lgkmcnt(3)
	v_add_u32_e32 v33, v9, v8
	s_waitcnt lgkmcnt(2)
	v_add3_u32 v33, v33, v6, v7
	s_waitcnt lgkmcnt(1)
	v_add3_u32 v33, v33, v2, v3
	s_waitcnt lgkmcnt(0)
	v_add3_u32 v5, v33, v4, v5
	s_nop 1
	v_mov_b32_dpp v33, v5 row_shr:1 row_mask:0xf bank_mask:0xf
	v_cndmask_b32_e64 v33, v33, 0, s[10:11]
	v_add_u32_e32 v5, v33, v5
	s_nop 1
	v_mov_b32_dpp v33, v5 row_shr:2 row_mask:0xf bank_mask:0xf
	v_cndmask_b32_e64 v33, 0, v33, s[12:13]
	v_add_u32_e32 v5, v5, v33
	;; [unrolled: 4-line block ×4, first 2 shown]
	s_nop 1
	v_mov_b32_dpp v33, v5 row_bcast:15 row_mask:0xf bank_mask:0xf
	v_cndmask_b32_e64 v33, v33, 0, s[18:19]
	v_add_u32_e32 v5, v5, v33
	s_and_saveexec_b64 s[28:29], s[20:21]
	s_cbranch_execz .LBB218_61
; %bb.60:                               ;   in Loop: Header=BB218_52 Depth=1
	ds_write_b32 v23, v5 offset:1024
.LBB218_61:                             ;   in Loop: Header=BB218_52 Depth=1
	s_or_b64 exec, exec, s[28:29]
	ds_bpermute_b32 v5, v47, v5
	s_waitcnt lgkmcnt(0)
	; wave barrier
	s_waitcnt lgkmcnt(0)
	ds_read_b32 v33, v23 offset:1024
	s_cmp_gt_u32 s42, 27
	v_cndmask_b32_e64 v5, v5, 0, s[22:23]
	s_waitcnt lgkmcnt(0)
	v_lshl_add_u32 v5, v33, 16, v5
	v_add_u32_e32 v8, v5, v8
	v_add_u32_e32 v9, v8, v9
	ds_write2_b32 v46, v5, v8 offset1:1
	v_add_u32_e32 v5, v9, v6
	v_add_u32_e32 v6, v5, v7
	v_add_u32_e32 v2, v6, v2
	v_add_u32_e32 v3, v2, v3
	v_add_u32_e32 v4, v3, v4
	ds_write2_b32 v46, v9, v5 offset0:2 offset1:3
	ds_write2_b32 v46, v6, v2 offset0:4 offset1:5
	;; [unrolled: 1-line block ×3, first 2 shown]
	s_waitcnt lgkmcnt(0)
	; wave barrier
	s_waitcnt lgkmcnt(0)
	ds_read_u16 v2, v19
	ds_read_u16 v3, v21
	;; [unrolled: 1-line block ×4, first 2 shown]
	s_waitcnt lgkmcnt(3)
	v_add_u32_sdwa v29, v2, v18 dst_sel:DWORD dst_unused:UNUSED_PAD src0_sel:DWORD src1_sel:WORD_0
	s_waitcnt lgkmcnt(2)
	v_add_u32_sdwa v30, v3, v20 dst_sel:DWORD dst_unused:UNUSED_PAD src0_sel:DWORD src1_sel:WORD_0
	s_waitcnt lgkmcnt(1)
	v_add_u32_sdwa v31, v4, v31 dst_sel:DWORD dst_unused:UNUSED_PAD src0_sel:DWORD src1_sel:WORD_0
	s_waitcnt lgkmcnt(0)
	v_add_u32_sdwa v32, v5, v32 dst_sel:DWORD dst_unused:UNUSED_PAD src0_sel:DWORD src1_sel:WORD_0
	s_cbranch_scc0 .LBB218_51
; %bb.62:
                                        ; implicit-def: $vgpr21
                                        ; implicit-def: $vgpr19
                                        ; implicit-def: $vgpr8_vgpr9
                                        ; implicit-def: $vgpr4_vgpr5
                                        ; implicit-def: $sgpr42
.LBB218_63:
	v_lshlrev_b32_e32 v1, 2, v29
	s_waitcnt lgkmcnt(0)
	; wave barrier
	ds_write_b32 v1, v28
	v_lshlrev_b32_e32 v1, 2, v30
	ds_write_b32 v1, v27
	v_lshlrev_b32_e32 v1, 2, v31
	;; [unrolled: 2-line block ×3, first 2 shown]
	ds_write_b32 v1, v24
	s_waitcnt lgkmcnt(0)
	; wave barrier
	s_waitcnt lgkmcnt(0)
	ds_read2_b32 v[2:3], v45 offset1:1
	ds_read2_b32 v[4:5], v45 offset0:2 offset1:3
	v_lshlrev_b32_e32 v1, 3, v29
	v_lshlrev_b32_e32 v6, 3, v30
	v_lshlrev_b32_e32 v7, 3, v31
	v_lshlrev_b32_e32 v8, 3, v32
	s_waitcnt lgkmcnt(0)
	; wave barrier
	s_waitcnt lgkmcnt(0)
	ds_write_b64 v1, v[16:17]
	ds_write_b64 v6, v[14:15]
	;; [unrolled: 1-line block ×4, first 2 shown]
	s_waitcnt lgkmcnt(0)
	; wave barrier
	s_waitcnt lgkmcnt(0)
	ds_read2_b64 v[10:13], v44 offset1:1
	ds_read2_b64 v[14:17], v44 offset0:2 offset1:3
	v_bfrev_b32_e32 v1, -2
	v_cmp_gt_i32_e32 vcc, 0, v2
	v_cndmask_b32_e64 v6, v1, 0, vcc
	v_cmp_gt_i32_e32 vcc, 0, v3
	v_cndmask_b32_e64 v7, v1, 0, vcc
	;; [unrolled: 2-line block ×4, first 2 shown]
	v_xor_b32_e32 v21, v1, v5
	v_xor_b32_e32 v20, v8, v4
	;; [unrolled: 1-line block ×4, first 2 shown]
.LBB218_64:
	v_mad_u64_u32 v[2:3], s[8:9], v0, s26, 0
	s_waitcnt lgkmcnt(0)
	; wave barrier
	s_waitcnt lgkmcnt(0)
	ds_write2_b32 v38, v18, v19 offset1:1
	ds_write2_b32 v38, v20, v21 offset0:2 offset1:3
	s_waitcnt lgkmcnt(0)
	; wave barrier
	s_waitcnt lgkmcnt(0)
	ds_read_b32 v5, v35 offset:128
	ds_read_b32 v4, v36 offset:256
	;; [unrolled: 1-line block ×3, first 2 shown]
	v_mov_b32_e32 v6, v3
	v_mad_u64_u32 v[6:7], s[8:9], v0, s27, v[6:7]
	v_mov_b32_e32 v3, v6
	v_lshlrev_b64 v[2:3], 2, v[2:3]
	v_mov_b32_e32 v6, s38
	v_add_co_u32_e32 v2, vcc, s33, v2
	v_addc_co_u32_e32 v3, vcc, v6, v3, vcc
	s_and_saveexec_b64 s[8:9], s[0:1]
	s_cbranch_execnz .LBB218_75
; %bb.65:
	s_or_b64 exec, exec, s[8:9]
	s_and_saveexec_b64 s[8:9], s[2:3]
	s_cbranch_execnz .LBB218_76
.LBB218_66:
	s_or_b64 exec, exec, s[8:9]
	s_and_saveexec_b64 s[8:9], s[24:25]
	s_cbranch_execnz .LBB218_77
.LBB218_67:
	s_or_b64 exec, exec, s[8:9]
	s_and_saveexec_b64 s[8:9], s[6:7]
	s_cbranch_execz .LBB218_69
.LBB218_68:
	s_waitcnt lgkmcnt(1)
	v_mov_b32_e32 v4, 0x180
	v_mad_u64_u32 v[2:3], s[10:11], s26, v4, v[2:3]
	s_mul_i32 s10, s27, 0x180
	v_add_u32_e32 v3, s10, v3
	s_waitcnt lgkmcnt(0)
	global_store_dword v[2:3], v1, off
.LBB218_69:
	s_or_b64 exec, exec, s[8:9]
	v_mad_u64_u32 v[8:9], s[8:9], v0, s4, 0
	s_waitcnt lgkmcnt(0)
	; wave barrier
	s_waitcnt lgkmcnt(0)
	ds_write2_b64 v43, v[10:11], v[12:13] offset1:1
	ds_write2_b64 v43, v[14:15], v[16:17] offset0:2 offset1:3
	s_waitcnt lgkmcnt(0)
	; wave barrier
	s_waitcnt lgkmcnt(0)
	ds_read_b64 v[6:7], v40 offset:256
	ds_read_b64 v[4:5], v41 offset:512
	;; [unrolled: 1-line block ×3, first 2 shown]
	v_mov_b32_e32 v10, v9
	v_mad_u64_u32 v[0:1], s[8:9], v0, s5, v[10:11]
	v_mov_b32_e32 v9, v0
	v_lshlrev_b64 v[0:1], 3, v[8:9]
	v_mov_b32_e32 v8, s40
	v_add_co_u32_e32 v0, vcc, s39, v0
	v_addc_co_u32_e32 v1, vcc, v8, v1, vcc
	s_and_saveexec_b64 s[8:9], s[0:1]
	s_cbranch_execnz .LBB218_78
; %bb.70:
	s_or_b64 exec, exec, s[8:9]
	s_and_saveexec_b64 s[0:1], s[2:3]
	s_cbranch_execnz .LBB218_79
.LBB218_71:
	s_or_b64 exec, exec, s[0:1]
	s_and_saveexec_b64 s[0:1], s[24:25]
	s_cbranch_execnz .LBB218_80
.LBB218_72:
	s_or_b64 exec, exec, s[0:1]
	s_and_saveexec_b64 s[0:1], s[6:7]
	s_cbranch_execz .LBB218_74
.LBB218_73:
	s_waitcnt lgkmcnt(1)
	v_mov_b32_e32 v4, 0x300
	v_mad_u64_u32 v[0:1], s[0:1], s4, v4, v[0:1]
	s_mul_i32 s0, s5, 0x300
	v_add_u32_e32 v1, s0, v1
	s_waitcnt lgkmcnt(0)
	global_store_dwordx2 v[0:1], v[2:3], off
.LBB218_74:
	s_endpgm
.LBB218_75:
	ds_read_b32 v6, v34
	s_waitcnt lgkmcnt(0)
	global_store_dword v[2:3], v6, off
	s_or_b64 exec, exec, s[8:9]
	s_and_saveexec_b64 s[8:9], s[2:3]
	s_cbranch_execz .LBB218_66
.LBB218_76:
	s_lshl_b64 s[10:11], s[26:27], 7
	v_mov_b32_e32 v7, s11
	v_add_co_u32_e32 v6, vcc, s10, v2
	v_addc_co_u32_e32 v7, vcc, v3, v7, vcc
	s_waitcnt lgkmcnt(2)
	global_store_dword v[6:7], v5, off
	s_or_b64 exec, exec, s[8:9]
	s_and_saveexec_b64 s[8:9], s[24:25]
	s_cbranch_execz .LBB218_67
.LBB218_77:
	s_lshl_b64 s[10:11], s[26:27], 8
	s_waitcnt lgkmcnt(2)
	v_mov_b32_e32 v5, s11
	v_add_co_u32_e32 v6, vcc, s10, v2
	v_addc_co_u32_e32 v7, vcc, v3, v5, vcc
	s_waitcnt lgkmcnt(1)
	global_store_dword v[6:7], v4, off
	s_or_b64 exec, exec, s[8:9]
	s_and_saveexec_b64 s[8:9], s[6:7]
	s_cbranch_execnz .LBB218_68
	s_branch .LBB218_69
.LBB218_78:
	ds_read_b64 v[8:9], v39
	s_waitcnt lgkmcnt(0)
	global_store_dwordx2 v[0:1], v[8:9], off
	s_or_b64 exec, exec, s[8:9]
	s_and_saveexec_b64 s[0:1], s[2:3]
	s_cbranch_execz .LBB218_71
.LBB218_79:
	s_lshl_b64 s[2:3], s[4:5], 8
	v_mov_b32_e32 v9, s3
	v_add_co_u32_e32 v8, vcc, s2, v0
	v_addc_co_u32_e32 v9, vcc, v1, v9, vcc
	s_waitcnt lgkmcnt(2)
	global_store_dwordx2 v[8:9], v[6:7], off
	s_or_b64 exec, exec, s[0:1]
	s_and_saveexec_b64 s[0:1], s[24:25]
	s_cbranch_execz .LBB218_72
.LBB218_80:
	s_lshl_b64 s[2:3], s[4:5], 9
	s_waitcnt lgkmcnt(2)
	v_mov_b32_e32 v7, s3
	v_add_co_u32_e32 v6, vcc, s2, v0
	v_addc_co_u32_e32 v7, vcc, v1, v7, vcc
	s_waitcnt lgkmcnt(1)
	global_store_dwordx2 v[6:7], v[4:5], off
	s_or_b64 exec, exec, s[0:1]
	s_and_saveexec_b64 s[0:1], s[6:7]
	s_cbranch_execnz .LBB218_73
	s_branch .LBB218_74
	.section	.rodata,"a",@progbits
	.p2align	6, 0x0
	.amdhsa_kernel _ZN2at6native18radixSortKVInPlaceILin1ELin1ELi32ELi4EflmEEvNS_4cuda6detail10TensorInfoIT3_T5_EES6_S6_S6_NS4_IT4_S6_EES6_b
		.amdhsa_group_segment_fixed_size 1056
		.amdhsa_private_segment_fixed_size 0
		.amdhsa_kernarg_size 1128
		.amdhsa_user_sgpr_count 6
		.amdhsa_user_sgpr_private_segment_buffer 1
		.amdhsa_user_sgpr_dispatch_ptr 0
		.amdhsa_user_sgpr_queue_ptr 0
		.amdhsa_user_sgpr_kernarg_segment_ptr 1
		.amdhsa_user_sgpr_dispatch_id 0
		.amdhsa_user_sgpr_flat_scratch_init 0
		.amdhsa_user_sgpr_kernarg_preload_length 0
		.amdhsa_user_sgpr_kernarg_preload_offset 0
		.amdhsa_user_sgpr_private_segment_size 0
		.amdhsa_uses_dynamic_stack 0
		.amdhsa_system_sgpr_private_segment_wavefront_offset 0
		.amdhsa_system_sgpr_workgroup_id_x 1
		.amdhsa_system_sgpr_workgroup_id_y 1
		.amdhsa_system_sgpr_workgroup_id_z 1
		.amdhsa_system_sgpr_workgroup_info 0
		.amdhsa_system_vgpr_workitem_id 0
		.amdhsa_next_free_vgpr 61
		.amdhsa_next_free_sgpr 48
		.amdhsa_accum_offset 64
		.amdhsa_reserve_vcc 1
		.amdhsa_reserve_flat_scratch 0
		.amdhsa_float_round_mode_32 0
		.amdhsa_float_round_mode_16_64 0
		.amdhsa_float_denorm_mode_32 3
		.amdhsa_float_denorm_mode_16_64 3
		.amdhsa_dx10_clamp 1
		.amdhsa_ieee_mode 1
		.amdhsa_fp16_overflow 0
		.amdhsa_tg_split 0
		.amdhsa_exception_fp_ieee_invalid_op 0
		.amdhsa_exception_fp_denorm_src 0
		.amdhsa_exception_fp_ieee_div_zero 0
		.amdhsa_exception_fp_ieee_overflow 0
		.amdhsa_exception_fp_ieee_underflow 0
		.amdhsa_exception_fp_ieee_inexact 0
		.amdhsa_exception_int_div_zero 0
	.end_amdhsa_kernel
	.section	.text._ZN2at6native18radixSortKVInPlaceILin1ELin1ELi32ELi4EflmEEvNS_4cuda6detail10TensorInfoIT3_T5_EES6_S6_S6_NS4_IT4_S6_EES6_b,"axG",@progbits,_ZN2at6native18radixSortKVInPlaceILin1ELin1ELi32ELi4EflmEEvNS_4cuda6detail10TensorInfoIT3_T5_EES6_S6_S6_NS4_IT4_S6_EES6_b,comdat
.Lfunc_end218:
	.size	_ZN2at6native18radixSortKVInPlaceILin1ELin1ELi32ELi4EflmEEvNS_4cuda6detail10TensorInfoIT3_T5_EES6_S6_S6_NS4_IT4_S6_EES6_b, .Lfunc_end218-_ZN2at6native18radixSortKVInPlaceILin1ELin1ELi32ELi4EflmEEvNS_4cuda6detail10TensorInfoIT3_T5_EES6_S6_S6_NS4_IT4_S6_EES6_b
                                        ; -- End function
	.section	.AMDGPU.csdata,"",@progbits
; Kernel info:
; codeLenInByte = 6308
; NumSgprs: 52
; NumVgprs: 61
; NumAgprs: 0
; TotalNumVgprs: 61
; ScratchSize: 0
; MemoryBound: 0
; FloatMode: 240
; IeeeMode: 1
; LDSByteSize: 1056 bytes/workgroup (compile time only)
; SGPRBlocks: 6
; VGPRBlocks: 7
; NumSGPRsForWavesPerEU: 52
; NumVGPRsForWavesPerEU: 61
; AccumOffset: 64
; Occupancy: 8
; WaveLimiterHint : 1
; COMPUTE_PGM_RSRC2:SCRATCH_EN: 0
; COMPUTE_PGM_RSRC2:USER_SGPR: 6
; COMPUTE_PGM_RSRC2:TRAP_HANDLER: 0
; COMPUTE_PGM_RSRC2:TGID_X_EN: 1
; COMPUTE_PGM_RSRC2:TGID_Y_EN: 1
; COMPUTE_PGM_RSRC2:TGID_Z_EN: 1
; COMPUTE_PGM_RSRC2:TIDIG_COMP_CNT: 0
; COMPUTE_PGM_RSRC3_GFX90A:ACCUM_OFFSET: 15
; COMPUTE_PGM_RSRC3_GFX90A:TG_SPLIT: 0
	.section	.text._ZN2at6native18radixSortKVInPlaceILin1ELin1ELi16ELi2EflmEEvNS_4cuda6detail10TensorInfoIT3_T5_EES6_S6_S6_NS4_IT4_S6_EES6_b,"axG",@progbits,_ZN2at6native18radixSortKVInPlaceILin1ELin1ELi16ELi2EflmEEvNS_4cuda6detail10TensorInfoIT3_T5_EES6_S6_S6_NS4_IT4_S6_EES6_b,comdat
	.protected	_ZN2at6native18radixSortKVInPlaceILin1ELin1ELi16ELi2EflmEEvNS_4cuda6detail10TensorInfoIT3_T5_EES6_S6_S6_NS4_IT4_S6_EES6_b ; -- Begin function _ZN2at6native18radixSortKVInPlaceILin1ELin1ELi16ELi2EflmEEvNS_4cuda6detail10TensorInfoIT3_T5_EES6_S6_S6_NS4_IT4_S6_EES6_b
	.globl	_ZN2at6native18radixSortKVInPlaceILin1ELin1ELi16ELi2EflmEEvNS_4cuda6detail10TensorInfoIT3_T5_EES6_S6_S6_NS4_IT4_S6_EES6_b
	.p2align	8
	.type	_ZN2at6native18radixSortKVInPlaceILin1ELin1ELi16ELi2EflmEEvNS_4cuda6detail10TensorInfoIT3_T5_EES6_S6_S6_NS4_IT4_S6_EES6_b,@function
_ZN2at6native18radixSortKVInPlaceILin1ELin1ELi16ELi2EflmEEvNS_4cuda6detail10TensorInfoIT3_T5_EES6_S6_S6_NS4_IT4_S6_EES6_b: ; @_ZN2at6native18radixSortKVInPlaceILin1ELin1ELi16ELi2EflmEEvNS_4cuda6detail10TensorInfoIT3_T5_EES6_S6_S6_NS4_IT4_S6_EES6_b
; %bb.0:
	s_load_dwordx4 s[0:3], s[4:5], 0x1a0
	s_load_dwordx2 s[10:11], s[4:5], 0x368
	s_mov_b32 s9, 0
	s_waitcnt lgkmcnt(0)
	v_mov_b32_e32 v2, s0
	s_mul_i32 s0, s11, s8
	s_add_i32 s0, s0, s7
	s_mul_i32 s0, s0, s10
	v_mov_b32_e32 v3, s1
	s_add_i32 s8, s0, s6
	v_cmp_ge_u64_e32 vcc, s[8:9], v[2:3]
	s_cbranch_vccnz .LBB219_64
; %bb.1:
	s_load_dword s0, s[4:5], 0x198
	s_load_dwordx2 s[18:19], s[4:5], 0x1b0
	s_mov_b64 s[6:7], 0
	s_mov_b64 s[12:13], s[8:9]
	s_waitcnt lgkmcnt(0)
	s_cmp_lt_i32 s0, 2
	s_cbranch_scc1 .LBB219_9
; %bb.2:
	s_mov_b32 s10, 0
	s_add_i32 s3, s0, 1
	s_add_i32 s0, s0, -1
	s_mov_b32 s1, s10
	s_lshl_b64 s[0:1], s[0:1], 3
	s_add_u32 s0, s0, s4
	s_addc_u32 s1, s1, s5
	s_add_u32 s14, s0, 8
	s_addc_u32 s15, s1, 0
	s_mov_b64 s[16:17], s[8:9]
.LBB219_3:                              ; =>This Inner Loop Header: Depth=1
	s_load_dwordx2 s[20:21], s[14:15], 0x0
	s_waitcnt lgkmcnt(0)
	s_or_b64 s[0:1], s[16:17], s[20:21]
	s_mov_b32 s11, s1
	s_cmp_lg_u64 s[10:11], 0
	s_cbranch_scc0 .LBB219_8
; %bb.4:                                ;   in Loop: Header=BB219_3 Depth=1
	v_cvt_f32_u32_e32 v1, s20
	v_cvt_f32_u32_e32 v2, s21
	s_sub_u32 s0, 0, s20
	s_subb_u32 s1, 0, s21
	v_mac_f32_e32 v1, 0x4f800000, v2
	v_rcp_f32_e32 v1, v1
	v_mul_f32_e32 v1, 0x5f7ffffc, v1
	v_mul_f32_e32 v2, 0x2f800000, v1
	v_trunc_f32_e32 v2, v2
	v_mac_f32_e32 v1, 0xcf800000, v2
	v_cvt_u32_f32_e32 v2, v2
	v_cvt_u32_f32_e32 v1, v1
	v_readfirstlane_b32 s11, v2
	v_readfirstlane_b32 s12, v1
	s_mul_i32 s13, s0, s11
	s_mul_hi_u32 s23, s0, s12
	s_mul_i32 s22, s1, s12
	s_add_i32 s13, s23, s13
	s_mul_i32 s24, s0, s12
	s_add_i32 s13, s13, s22
	s_mul_hi_u32 s22, s12, s13
	s_mul_i32 s23, s12, s13
	s_mul_hi_u32 s12, s12, s24
	s_add_u32 s12, s12, s23
	s_addc_u32 s22, 0, s22
	s_mul_hi_u32 s25, s11, s24
	s_mul_i32 s24, s11, s24
	s_add_u32 s12, s12, s24
	s_mul_hi_u32 s23, s11, s13
	s_addc_u32 s12, s22, s25
	s_addc_u32 s22, s23, 0
	s_mul_i32 s13, s11, s13
	s_add_u32 s12, s12, s13
	s_addc_u32 s13, 0, s22
	v_add_co_u32_e32 v1, vcc, s12, v1
	s_cmp_lg_u64 vcc, 0
	s_addc_u32 s11, s11, s13
	v_readfirstlane_b32 s13, v1
	s_mul_i32 s12, s0, s11
	s_mul_hi_u32 s22, s0, s13
	s_add_i32 s12, s22, s12
	s_mul_i32 s1, s1, s13
	s_add_i32 s12, s12, s1
	s_mul_i32 s0, s0, s13
	s_mul_hi_u32 s22, s11, s0
	s_mul_i32 s23, s11, s0
	s_mul_i32 s25, s13, s12
	s_mul_hi_u32 s0, s13, s0
	s_mul_hi_u32 s24, s13, s12
	s_add_u32 s0, s0, s25
	s_addc_u32 s13, 0, s24
	s_add_u32 s0, s0, s23
	s_mul_hi_u32 s1, s11, s12
	s_addc_u32 s0, s13, s22
	s_addc_u32 s1, s1, 0
	s_mul_i32 s12, s11, s12
	s_add_u32 s0, s0, s12
	s_addc_u32 s1, 0, s1
	v_add_co_u32_e32 v1, vcc, s0, v1
	s_cmp_lg_u64 vcc, 0
	s_addc_u32 s0, s11, s1
	v_readfirstlane_b32 s12, v1
	s_mul_i32 s11, s16, s0
	s_mul_hi_u32 s13, s16, s12
	s_mul_hi_u32 s1, s16, s0
	s_add_u32 s11, s13, s11
	s_addc_u32 s1, 0, s1
	s_mul_hi_u32 s22, s17, s12
	s_mul_i32 s12, s17, s12
	s_add_u32 s11, s11, s12
	s_mul_hi_u32 s13, s17, s0
	s_addc_u32 s1, s1, s22
	s_addc_u32 s11, s13, 0
	s_mul_i32 s0, s17, s0
	s_add_u32 s12, s1, s0
	s_addc_u32 s11, 0, s11
	s_mul_i32 s0, s20, s11
	s_mul_hi_u32 s1, s20, s12
	s_add_i32 s0, s1, s0
	s_mul_i32 s1, s21, s12
	s_add_i32 s13, s0, s1
	s_mul_i32 s1, s20, s12
	v_mov_b32_e32 v1, s1
	s_sub_i32 s0, s17, s13
	v_sub_co_u32_e32 v1, vcc, s16, v1
	s_cmp_lg_u64 vcc, 0
	s_subb_u32 s22, s0, s21
	v_subrev_co_u32_e64 v2, s[0:1], s20, v1
	s_cmp_lg_u64 s[0:1], 0
	s_subb_u32 s0, s22, 0
	s_cmp_ge_u32 s0, s21
	v_readfirstlane_b32 s22, v2
	s_cselect_b32 s1, -1, 0
	s_cmp_ge_u32 s22, s20
	s_cselect_b32 s22, -1, 0
	s_cmp_eq_u32 s0, s21
	s_cselect_b32 s0, s22, s1
	s_add_u32 s1, s12, 1
	s_addc_u32 s22, s11, 0
	s_add_u32 s23, s12, 2
	s_addc_u32 s24, s11, 0
	s_cmp_lg_u32 s0, 0
	s_cselect_b32 s0, s23, s1
	s_cselect_b32 s1, s24, s22
	s_cmp_lg_u64 vcc, 0
	s_subb_u32 s13, s17, s13
	s_cmp_ge_u32 s13, s21
	v_readfirstlane_b32 s23, v1
	s_cselect_b32 s22, -1, 0
	s_cmp_ge_u32 s23, s20
	s_cselect_b32 s23, -1, 0
	s_cmp_eq_u32 s13, s21
	s_cselect_b32 s13, s23, s22
	s_cmp_lg_u32 s13, 0
	s_cselect_b32 s13, s1, s11
	s_cselect_b32 s12, s0, s12
	s_cbranch_execnz .LBB219_6
.LBB219_5:                              ;   in Loop: Header=BB219_3 Depth=1
	v_cvt_f32_u32_e32 v1, s20
	s_sub_i32 s0, 0, s20
	s_mov_b32 s13, s10
	v_rcp_iflag_f32_e32 v1, v1
	v_mul_f32_e32 v1, 0x4f7ffffe, v1
	v_cvt_u32_f32_e32 v1, v1
	v_readfirstlane_b32 s1, v1
	s_mul_i32 s0, s0, s1
	s_mul_hi_u32 s0, s1, s0
	s_add_i32 s1, s1, s0
	s_mul_hi_u32 s0, s16, s1
	s_mul_i32 s11, s0, s20
	s_sub_i32 s11, s16, s11
	s_add_i32 s1, s0, 1
	s_sub_i32 s12, s11, s20
	s_cmp_ge_u32 s11, s20
	s_cselect_b32 s0, s1, s0
	s_cselect_b32 s11, s12, s11
	s_add_i32 s1, s0, 1
	s_cmp_ge_u32 s11, s20
	s_cselect_b32 s12, s1, s0
.LBB219_6:                              ;   in Loop: Header=BB219_3 Depth=1
	s_mul_i32 s0, s12, s21
	s_mul_hi_u32 s1, s12, s20
	s_add_i32 s11, s1, s0
	s_load_dwordx2 s[0:1], s[14:15], 0xc8
	s_mul_i32 s21, s13, s20
	s_add_i32 s11, s11, s21
	s_mul_i32 s20, s12, s20
	s_sub_u32 s16, s16, s20
	s_subb_u32 s11, s17, s11
	s_waitcnt lgkmcnt(0)
	s_mul_i32 s11, s0, s11
	s_mul_hi_u32 s17, s0, s16
	s_add_i32 s11, s17, s11
	s_mul_i32 s1, s1, s16
	s_add_i32 s11, s11, s1
	s_mul_i32 s0, s0, s16
	s_add_u32 s6, s0, s6
	s_addc_u32 s7, s11, s7
	s_add_i32 s3, s3, -1
	s_add_u32 s14, s14, -8
	s_addc_u32 s15, s15, -1
	s_cmp_gt_u32 s3, 2
	s_cbranch_scc0 .LBB219_9
; %bb.7:                                ;   in Loop: Header=BB219_3 Depth=1
	s_mov_b64 s[16:17], s[12:13]
	s_branch .LBB219_3
.LBB219_8:                              ;   in Loop: Header=BB219_3 Depth=1
                                        ; implicit-def: $sgpr12_sgpr13
	s_branch .LBB219_5
.LBB219_9:
	s_load_dword s0, s[4:5], 0x350
	s_load_dwordx2 s[14:15], s[4:5], 0xd0
	s_mov_b64 s[10:11], 0
	s_waitcnt lgkmcnt(0)
	s_cmp_lt_i32 s0, 2
	s_cbranch_scc1 .LBB219_17
; %bb.10:
	s_mov_b32 s16, 0
	s_add_i32 s3, s0, 1
	s_add_i32 s0, s0, -1
	s_mov_b32 s1, s16
	s_lshl_b64 s[0:1], s[0:1], 3
	s_add_u32 s0, s0, s4
	s_addc_u32 s1, s1, s5
	s_add_u32 s20, s0, 0x1c0
	s_addc_u32 s21, s1, 0
.LBB219_11:                             ; =>This Inner Loop Header: Depth=1
	s_load_dwordx2 s[22:23], s[20:21], 0x0
	s_waitcnt lgkmcnt(0)
	s_or_b64 s[0:1], s[8:9], s[22:23]
	s_mov_b32 s17, s1
	s_cmp_lg_u64 s[16:17], 0
	s_cbranch_scc0 .LBB219_16
; %bb.12:                               ;   in Loop: Header=BB219_11 Depth=1
	v_cvt_f32_u32_e32 v1, s22
	v_cvt_f32_u32_e32 v2, s23
	s_sub_u32 s0, 0, s22
	s_subb_u32 s1, 0, s23
	v_mac_f32_e32 v1, 0x4f800000, v2
	v_rcp_f32_e32 v1, v1
	v_mul_f32_e32 v1, 0x5f7ffffc, v1
	v_mul_f32_e32 v2, 0x2f800000, v1
	v_trunc_f32_e32 v2, v2
	v_mac_f32_e32 v1, 0xcf800000, v2
	v_cvt_u32_f32_e32 v2, v2
	v_cvt_u32_f32_e32 v1, v1
	v_readfirstlane_b32 s17, v2
	v_readfirstlane_b32 s24, v1
	s_mul_i32 s25, s0, s17
	s_mul_hi_u32 s27, s0, s24
	s_mul_i32 s26, s1, s24
	s_add_i32 s25, s27, s25
	s_mul_i32 s28, s0, s24
	s_add_i32 s25, s25, s26
	s_mul_hi_u32 s26, s24, s25
	s_mul_i32 s27, s24, s25
	s_mul_hi_u32 s24, s24, s28
	s_add_u32 s24, s24, s27
	s_addc_u32 s26, 0, s26
	s_mul_hi_u32 s29, s17, s28
	s_mul_i32 s28, s17, s28
	s_add_u32 s24, s24, s28
	s_mul_hi_u32 s27, s17, s25
	s_addc_u32 s24, s26, s29
	s_addc_u32 s26, s27, 0
	s_mul_i32 s25, s17, s25
	s_add_u32 s24, s24, s25
	s_addc_u32 s25, 0, s26
	v_add_co_u32_e32 v1, vcc, s24, v1
	s_cmp_lg_u64 vcc, 0
	s_addc_u32 s17, s17, s25
	v_readfirstlane_b32 s25, v1
	s_mul_i32 s24, s0, s17
	s_mul_hi_u32 s26, s0, s25
	s_add_i32 s24, s26, s24
	s_mul_i32 s1, s1, s25
	s_add_i32 s24, s24, s1
	s_mul_i32 s0, s0, s25
	s_mul_hi_u32 s26, s17, s0
	s_mul_i32 s27, s17, s0
	s_mul_i32 s29, s25, s24
	s_mul_hi_u32 s0, s25, s0
	s_mul_hi_u32 s28, s25, s24
	s_add_u32 s0, s0, s29
	s_addc_u32 s25, 0, s28
	s_add_u32 s0, s0, s27
	s_mul_hi_u32 s1, s17, s24
	s_addc_u32 s0, s25, s26
	s_addc_u32 s1, s1, 0
	s_mul_i32 s24, s17, s24
	s_add_u32 s0, s0, s24
	s_addc_u32 s1, 0, s1
	v_add_co_u32_e32 v1, vcc, s0, v1
	s_cmp_lg_u64 vcc, 0
	s_addc_u32 s0, s17, s1
	v_readfirstlane_b32 s24, v1
	s_mul_i32 s17, s8, s0
	s_mul_hi_u32 s25, s8, s24
	s_mul_hi_u32 s1, s8, s0
	s_add_u32 s17, s25, s17
	s_addc_u32 s1, 0, s1
	s_mul_hi_u32 s26, s9, s24
	s_mul_i32 s24, s9, s24
	s_add_u32 s17, s17, s24
	s_mul_hi_u32 s25, s9, s0
	s_addc_u32 s1, s1, s26
	s_addc_u32 s17, s25, 0
	s_mul_i32 s0, s9, s0
	s_add_u32 s24, s1, s0
	s_addc_u32 s17, 0, s17
	s_mul_i32 s0, s22, s17
	s_mul_hi_u32 s1, s22, s24
	s_add_i32 s0, s1, s0
	s_mul_i32 s1, s23, s24
	s_add_i32 s25, s0, s1
	s_mul_i32 s1, s22, s24
	v_mov_b32_e32 v1, s1
	s_sub_i32 s0, s9, s25
	v_sub_co_u32_e32 v1, vcc, s8, v1
	s_cmp_lg_u64 vcc, 0
	s_subb_u32 s26, s0, s23
	v_subrev_co_u32_e64 v2, s[0:1], s22, v1
	s_cmp_lg_u64 s[0:1], 0
	s_subb_u32 s0, s26, 0
	s_cmp_ge_u32 s0, s23
	v_readfirstlane_b32 s26, v2
	s_cselect_b32 s1, -1, 0
	s_cmp_ge_u32 s26, s22
	s_cselect_b32 s26, -1, 0
	s_cmp_eq_u32 s0, s23
	s_cselect_b32 s0, s26, s1
	s_add_u32 s1, s24, 1
	s_addc_u32 s26, s17, 0
	s_add_u32 s27, s24, 2
	s_addc_u32 s28, s17, 0
	s_cmp_lg_u32 s0, 0
	s_cselect_b32 s0, s27, s1
	s_cselect_b32 s1, s28, s26
	s_cmp_lg_u64 vcc, 0
	s_subb_u32 s25, s9, s25
	s_cmp_ge_u32 s25, s23
	v_readfirstlane_b32 s27, v1
	s_cselect_b32 s26, -1, 0
	s_cmp_ge_u32 s27, s22
	s_cselect_b32 s27, -1, 0
	s_cmp_eq_u32 s25, s23
	s_cselect_b32 s25, s27, s26
	s_cmp_lg_u32 s25, 0
	s_cselect_b32 s25, s1, s17
	s_cselect_b32 s24, s0, s24
	s_cbranch_execnz .LBB219_14
.LBB219_13:                             ;   in Loop: Header=BB219_11 Depth=1
	v_cvt_f32_u32_e32 v1, s22
	s_sub_i32 s0, 0, s22
	s_mov_b32 s25, s16
	v_rcp_iflag_f32_e32 v1, v1
	v_mul_f32_e32 v1, 0x4f7ffffe, v1
	v_cvt_u32_f32_e32 v1, v1
	v_readfirstlane_b32 s1, v1
	s_mul_i32 s0, s0, s1
	s_mul_hi_u32 s0, s1, s0
	s_add_i32 s1, s1, s0
	s_mul_hi_u32 s0, s8, s1
	s_mul_i32 s17, s0, s22
	s_sub_i32 s17, s8, s17
	s_add_i32 s1, s0, 1
	s_sub_i32 s24, s17, s22
	s_cmp_ge_u32 s17, s22
	s_cselect_b32 s0, s1, s0
	s_cselect_b32 s17, s24, s17
	s_add_i32 s1, s0, 1
	s_cmp_ge_u32 s17, s22
	s_cselect_b32 s24, s1, s0
.LBB219_14:                             ;   in Loop: Header=BB219_11 Depth=1
	s_mul_i32 s0, s24, s23
	s_mul_hi_u32 s1, s24, s22
	s_add_i32 s17, s1, s0
	s_load_dwordx2 s[0:1], s[20:21], 0xc8
	s_mul_i32 s23, s25, s22
	s_add_i32 s17, s17, s23
	s_mul_i32 s22, s24, s22
	s_sub_u32 s8, s8, s22
	s_subb_u32 s9, s9, s17
	s_waitcnt lgkmcnt(0)
	s_mul_i32 s9, s0, s9
	s_mul_hi_u32 s17, s0, s8
	s_add_i32 s9, s17, s9
	s_mul_i32 s1, s1, s8
	s_add_i32 s9, s9, s1
	s_mul_i32 s0, s0, s8
	s_add_u32 s10, s0, s10
	s_addc_u32 s11, s9, s11
	s_add_i32 s3, s3, -1
	s_add_u32 s20, s20, -8
	s_addc_u32 s21, s21, -1
	s_cmp_gt_u32 s3, 2
	s_cbranch_scc0 .LBB219_18
; %bb.15:                               ;   in Loop: Header=BB219_11 Depth=1
	s_mov_b64 s[8:9], s[24:25]
	s_branch .LBB219_11
.LBB219_16:                             ;   in Loop: Header=BB219_11 Depth=1
                                        ; implicit-def: $sgpr24_sgpr25
	s_branch .LBB219_13
.LBB219_17:
	s_mov_b64 s[24:25], s[8:9]
.LBB219_18:
	s_load_dword s3, s[4:5], 0x360
	s_mul_i32 s0, s14, s13
	s_mul_hi_u32 s1, s14, s12
	s_load_dwordx2 s[16:17], s[4:5], 0x0
	s_add_i32 s0, s1, s0
	s_mul_i32 s1, s15, s12
	s_add_i32 s1, s0, s1
	s_mul_i32 s0, s14, s12
	s_load_dwordx2 s[14:15], s[4:5], 0x1b8
	s_load_dwordx2 s[12:13], s[4:5], 0x288
	s_waitcnt lgkmcnt(0)
	s_bitcmp1_b32 s3, 0
	s_cselect_b64 s[8:9], -1, 0
	s_lshl_b64 s[0:1], s[0:1], 2
	s_add_u32 s3, s16, s0
	v_bfrev_b32_e32 v1, -2
	s_addc_u32 s16, s17, s1
	s_lshl_b64 s[0:1], s[6:7], 2
	s_add_u32 s30, s3, s0
	v_cndmask_b32_e64 v3, v1, -1, s[8:9]
	s_addc_u32 s31, s16, s1
	v_cmp_gt_u32_e64 s[0:1], s2, v0
	v_pk_mov_b32 v[4:5], v[2:3], v[2:3] op_sel:[0,1]
	s_and_saveexec_b64 s[6:7], s[0:1]
	s_cbranch_execz .LBB219_20
; %bb.19:
	v_mad_u64_u32 v[4:5], s[16:17], v0, s18, 0
	v_mov_b32_e32 v2, v5
	v_mad_u64_u32 v[6:7], s[16:17], v0, s19, v[2:3]
	v_mov_b32_e32 v5, v6
	v_lshlrev_b64 v[4:5], 2, v[4:5]
	v_mov_b32_e32 v1, s31
	v_add_co_u32_e32 v4, vcc, s30, v4
	v_addc_co_u32_e32 v5, vcc, v1, v5, vcc
	global_load_dword v1, v[4:5], off
	v_pk_mov_b32 v[4:5], v[2:3], v[2:3] op_sel:[0,1]
	s_waitcnt vmcnt(0)
	v_mov_b32_e32 v3, v1
.LBB219_20:
	s_or_b64 exec, exec, s[6:7]
	v_or_b32_e32 v1, 16, v0
	v_cmp_gt_u32_e64 s[2:3], s2, v1
	s_and_saveexec_b64 s[6:7], s[2:3]
	s_cbranch_execz .LBB219_22
; %bb.21:
	v_mad_u64_u32 v[4:5], s[16:17], v1, s18, 0
	v_mov_b32_e32 v2, v5
	v_mad_u64_u32 v[6:7], s[16:17], v1, s19, v[2:3]
	v_mov_b32_e32 v5, v6
	v_lshlrev_b64 v[4:5], 2, v[4:5]
	v_mov_b32_e32 v2, s31
	v_add_co_u32_e32 v4, vcc, s30, v4
	v_addc_co_u32_e32 v5, vcc, v2, v5, vcc
	global_load_dword v5, v[4:5], off
.LBB219_22:
	s_or_b64 exec, exec, s[6:7]
	s_mul_i32 s6, s12, s25
	s_mul_hi_u32 s7, s12, s24
	s_add_i32 s6, s7, s6
	s_mul_i32 s7, s13, s24
	s_add_i32 s7, s6, s7
	s_mul_i32 s6, s12, s24
	s_lshl_b64 s[6:7], s[6:7], 3
	v_lshlrev_b32_e32 v23, 2, v0
	v_lshlrev_b32_e32 v22, 3, v0
	s_add_u32 s12, s14, s6
	s_load_dwordx2 s[20:21], s[4:5], 0x358
	s_waitcnt vmcnt(0)
	ds_write2_b32 v23, v3, v5 offset1:16
	s_waitcnt lgkmcnt(0)
	; wave barrier
	s_waitcnt lgkmcnt(0)
	ds_read2_b32 v[10:11], v22 offset1:1
	s_addc_u32 s13, s15, s7
	s_lshl_b64 s[6:7], s[10:11], 3
	s_mov_b32 s4, 0
	s_add_u32 s33, s12, s6
	s_mov_b32 s5, s4
	s_addc_u32 s34, s13, s7
	s_mov_b32 s6, s4
	s_mov_b32 s7, s4
	v_pk_mov_b32 v[2:3], s[4:5], s[4:5] op_sel:[0,1]
	v_pk_mov_b32 v[4:5], s[6:7], s[6:7] op_sel:[0,1]
	v_pk_mov_b32 v[2:3], 0, 0
	s_waitcnt lgkmcnt(0)
	; wave barrier
	s_waitcnt lgkmcnt(0)
	s_and_saveexec_b64 s[4:5], s[0:1]
	s_cbranch_execz .LBB219_24
; %bb.23:
	v_mad_u64_u32 v[2:3], s[6:7], v0, s20, 0
	v_mov_b32_e32 v4, v3
	v_mad_u64_u32 v[4:5], s[6:7], v0, s21, v[4:5]
	v_mov_b32_e32 v3, v4
	v_lshlrev_b64 v[2:3], 3, v[2:3]
	v_mov_b32_e32 v4, s34
	v_add_co_u32_e32 v2, vcc, s33, v2
	v_addc_co_u32_e32 v3, vcc, v4, v3, vcc
	global_load_dwordx2 v[2:3], v[2:3], off
	v_mov_b32_e32 v4, 0
	v_mov_b32_e32 v5, v4
.LBB219_24:
	s_or_b64 exec, exec, s[4:5]
	s_xor_b64 s[22:23], s[8:9], -1
	v_lshlrev_b32_e32 v6, 1, v0
	s_and_saveexec_b64 s[4:5], s[2:3]
	s_cbranch_execz .LBB219_26
; %bb.25:
	v_mad_u64_u32 v[4:5], s[6:7], v1, s20, 0
	v_mov_b32_e32 v8, v5
	v_mad_u64_u32 v[8:9], s[6:7], v1, s21, v[8:9]
	v_mov_b32_e32 v5, v8
	v_lshlrev_b64 v[4:5], 3, v[4:5]
	v_mov_b32_e32 v7, s34
	v_add_co_u32_e32 v4, vcc, s33, v4
	v_addc_co_u32_e32 v5, vcc, v7, v5, vcc
	global_load_dwordx2 v[4:5], v[4:5], off
.LBB219_26:
	s_or_b64 exec, exec, s[4:5]
	v_mbcnt_lo_u32_b32 v7, -1, 0
	v_lshlrev_b32_e32 v24, 3, v6
	s_getpc_b64 s[4:5]
	s_add_u32 s4, s4, _ZN7rocprim17ROCPRIM_400000_NS16block_radix_sortIfLj16ELj2ElLj1ELj1ELj0ELNS0_26block_radix_rank_algorithmE1ELNS0_18block_padding_hintE2ELNS0_4arch9wavefront6targetE1EE19radix_bits_per_passE@rel32@lo+4
	s_addc_u32 s5, s5, _ZN7rocprim17ROCPRIM_400000_NS16block_radix_sortIfLj16ELj2ElLj1ELj1ELj0ELNS0_26block_radix_rank_algorithmE1ELNS0_18block_padding_hintE2ELNS0_4arch9wavefront6targetE1EE19radix_bits_per_passE@rel32@hi+12
	v_mbcnt_hi_u32_b32 v7, -1, v7
	s_waitcnt vmcnt(0)
	ds_write2_b64 v22, v[2:3], v[4:5] offset1:16
	s_waitcnt lgkmcnt(0)
	; wave barrier
	s_waitcnt lgkmcnt(0)
	ds_read2_b64 v[2:5], v24 offset1:1
	s_load_dword s35, s[4:5], 0x0
	v_and_b32_e32 v8, 15, v7
	v_cmp_eq_u32_e64 s[6:7], 0, v8
	v_cmp_lt_u32_e64 s[8:9], 1, v8
	v_cmp_lt_u32_e64 s[10:11], 3, v8
	;; [unrolled: 1-line block ×3, first 2 shown]
	v_add_u32_e32 v8, -1, v7
	v_and_b32_e32 v9, 0x70, v7
	v_cmp_lt_i32_e32 vcc, v8, v9
	s_movk_i32 s4, 0x80
	v_cndmask_b32_e32 v8, v8, v7, vcc
	v_cmp_gt_u32_e64 s[4:5], s4, v0
	v_lshlrev_b32_e32 v25, 5, v0
	s_mov_b32 s36, 0
	v_cmp_eq_u32_e64 s[14:15], 15, v0
	s_movk_i32 s37, 0x70
	v_lshlrev_b32_e32 v27, 2, v8
	v_cmp_eq_u32_e64 s[16:17], 0, v7
	v_lshlrev_b32_e32 v26, 2, v6
	s_and_b64 vcc, exec, s[22:23]
	v_add_u32_e64 v28, 7, 2
	s_waitcnt lgkmcnt(0)
	; wave barrier
	s_waitcnt lgkmcnt(0)
	s_cbranch_vccz .LBB219_41
; %bb.27:
	v_bfrev_b32_e32 v29, 1
	v_cmp_lt_i32_e32 vcc, -1, v10
	v_cndmask_b32_e32 v6, -1, v29, vcc
	v_cmp_lt_i32_e32 vcc, -1, v11
	v_xor_b32_e32 v18, v6, v10
	v_cndmask_b32_e32 v6, -1, v29, vcc
	v_xor_b32_e32 v19, v6, v11
	v_and_b32_e32 v30, 14, v28
	v_mov_b32_e32 v31, 0
	s_brev_b32 s38, -2
	v_pk_mov_b32 v[6:7], v[2:3], v[2:3] op_sel:[0,1]
	v_pk_mov_b32 v[8:9], v[4:5], v[4:5] op_sel:[0,1]
	s_branch .LBB219_29
.LBB219_28:                             ;   in Loop: Header=BB219_29 Depth=1
	v_lshlrev_b32_e32 v6, 2, v20
	s_waitcnt lgkmcnt(0)
	; wave barrier
	ds_write_b32 v6, v16
	v_lshlrev_b32_e32 v6, 2, v21
	ds_write_b32 v6, v17
	v_lshlrev_b32_e32 v6, 3, v20
	s_waitcnt lgkmcnt(0)
	; wave barrier
	s_waitcnt lgkmcnt(0)
	ds_read2_b32 v[18:19], v26 offset1:1
	s_waitcnt lgkmcnt(0)
	; wave barrier
	s_waitcnt lgkmcnt(0)
	ds_write_b64 v6, v[14:15]
	v_lshlrev_b32_e32 v6, 3, v21
	ds_write_b64 v6, v[12:13]
	s_waitcnt lgkmcnt(0)
	; wave barrier
	s_waitcnt lgkmcnt(0)
	ds_read2_b64 v[6:9], v24 offset1:1
	s_add_i32 s36, s36, 4
	s_waitcnt lgkmcnt(0)
	; wave barrier
	s_waitcnt lgkmcnt(0)
	s_cbranch_execz .LBB219_40
.LBB219_29:                             ; =>This Loop Header: Depth=1
                                        ;     Child Loop BB219_32 Depth 2
	v_pk_mov_b32 v[12:13], v[8:9], v[8:9] op_sel:[0,1]
	v_pk_mov_b32 v[14:15], v[6:7], v[6:7] op_sel:[0,1]
	;; [unrolled: 1-line block ×3, first 2 shown]
	s_and_saveexec_b64 s[22:23], s[4:5]
	s_cbranch_execz .LBB219_36
; %bb.30:                               ;   in Loop: Header=BB219_29 Depth=1
	s_mov_b32 s39, 0
	s_mov_b64 s[24:25], 0
	v_pk_mov_b32 v[6:7], v[0:1], v[0:1] op_sel:[0,1]
	s_branch .LBB219_32
.LBB219_31:                             ;   in Loop: Header=BB219_32 Depth=2
	s_or_b64 exec, exec, s[28:29]
	s_add_i32 s39, s39, 2
	v_cmp_eq_u32_e32 vcc, s39, v30
	v_add_u32_e32 v7, 32, v7
	s_or_b64 s[24:25], vcc, s[24:25]
	v_add_u32_e32 v6, 32, v6
	s_andn2_b64 exec, exec, s[24:25]
	s_cbranch_execz .LBB219_36
.LBB219_32:                             ;   Parent Loop BB219_29 Depth=1
                                        ; =>  This Inner Loop Header: Depth=2
	s_or_b32 s26, s39, 1
	v_cmp_le_u32_e64 s[26:27], s26, 7
	v_cmp_le_u32_e64 s[40:41], s39, 7
	s_and_saveexec_b64 s[28:29], s[40:41]
	s_cbranch_execz .LBB219_34
; %bb.33:                               ;   in Loop: Header=BB219_32 Depth=2
	v_lshlrev_b32_e32 v8, 2, v6
	ds_write_b32 v8, v31
.LBB219_34:                             ;   in Loop: Header=BB219_32 Depth=2
	s_or_b64 exec, exec, s[28:29]
	s_and_saveexec_b64 s[28:29], s[26:27]
	s_cbranch_execz .LBB219_31
; %bb.35:                               ;   in Loop: Header=BB219_32 Depth=2
	v_lshlrev_b32_e32 v8, 2, v7
	ds_write_b32 v8, v31
	s_branch .LBB219_31
.LBB219_36:                             ;   in Loop: Header=BB219_29 Depth=1
	s_or_b64 exec, exec, s[22:23]
	s_sub_i32 s22, 32, s36
	s_min_u32 s22, s35, s22
	v_cmp_ne_u32_e32 vcc, s38, v16
	s_lshl_b32 s22, -1, s22
	v_cndmask_b32_e32 v6, v29, v16, vcc
	s_not_b32 s22, s22
	v_lshrrev_b32_e32 v6, s36, v6
	v_and_b32_e32 v6, s22, v6
	v_lshrrev_b32_e32 v7, 3, v6
	v_lshlrev_b32_e32 v6, 4, v6
	v_and_or_b32 v6, v6, s37, v0
	v_lshlrev_b32_e32 v6, 1, v6
	v_add_lshl_u32 v33, v6, v7, 1
	ds_read_u16 v32, v33
	v_cmp_ne_u32_e32 vcc, s38, v17
	s_waitcnt lgkmcnt(0)
	v_add_u16_e32 v6, 1, v32
	ds_write_b16 v33, v6
	v_cndmask_b32_e32 v6, v29, v17, vcc
	v_lshrrev_b32_e32 v6, s36, v6
	v_and_b32_e32 v6, s22, v6
	v_lshrrev_b32_e32 v7, 3, v6
	v_lshlrev_b32_e32 v6, 4, v6
	v_and_or_b32 v6, v6, s37, v0
	v_lshlrev_b32_e32 v6, 1, v6
	v_add_lshl_u32 v35, v6, v7, 1
	ds_read_u16 v34, v35
	s_waitcnt lgkmcnt(0)
	v_add_u16_e32 v6, 1, v34
	ds_write_b16 v35, v6
	s_waitcnt lgkmcnt(0)
	; wave barrier
	s_waitcnt lgkmcnt(0)
	ds_read2_b32 v[20:21], v25 offset1:1
	ds_read2_b32 v[18:19], v25 offset0:2 offset1:3
	ds_read2_b32 v[6:7], v25 offset0:4 offset1:5
	;; [unrolled: 1-line block ×3, first 2 shown]
	s_waitcnt lgkmcnt(3)
	v_add_u32_e32 v36, v21, v20
	s_waitcnt lgkmcnt(2)
	v_add3_u32 v36, v36, v18, v19
	s_waitcnt lgkmcnt(1)
	v_add3_u32 v36, v36, v6, v7
	;; [unrolled: 2-line block ×3, first 2 shown]
	s_nop 1
	v_mov_b32_dpp v36, v9 row_shr:1 row_mask:0xf bank_mask:0xf
	v_cndmask_b32_e64 v36, v36, 0, s[6:7]
	v_add_u32_e32 v9, v36, v9
	s_nop 1
	v_mov_b32_dpp v36, v9 row_shr:2 row_mask:0xf bank_mask:0xf
	v_cndmask_b32_e64 v36, 0, v36, s[8:9]
	v_add_u32_e32 v9, v9, v36
	;; [unrolled: 4-line block ×4, first 2 shown]
	s_and_saveexec_b64 s[22:23], s[14:15]
	s_cbranch_execz .LBB219_38
; %bb.37:                               ;   in Loop: Header=BB219_29 Depth=1
	ds_write_b32 v31, v9 offset:512
.LBB219_38:                             ;   in Loop: Header=BB219_29 Depth=1
	s_or_b64 exec, exec, s[22:23]
	ds_bpermute_b32 v9, v27, v9
	s_waitcnt lgkmcnt(0)
	; wave barrier
	s_waitcnt lgkmcnt(0)
	ds_read_b32 v36, v31 offset:512
	s_cmp_gt_u32 s36, 27
	v_cndmask_b32_e64 v9, v9, 0, s[16:17]
	s_waitcnt lgkmcnt(0)
	v_lshl_add_u32 v9, v36, 16, v9
	v_add_u32_e32 v20, v9, v20
	v_add_u32_e32 v21, v20, v21
	ds_write2_b32 v25, v9, v20 offset1:1
	v_add_u32_e32 v9, v21, v18
	v_add_u32_e32 v18, v9, v19
	;; [unrolled: 1-line block ×5, first 2 shown]
	ds_write2_b32 v25, v21, v9 offset0:2 offset1:3
	ds_write2_b32 v25, v18, v6 offset0:4 offset1:5
	ds_write2_b32 v25, v7, v8 offset0:6 offset1:7
	s_waitcnt lgkmcnt(0)
	; wave barrier
	s_waitcnt lgkmcnt(0)
	ds_read_u16 v6, v33
	ds_read_u16 v7, v35
	s_waitcnt lgkmcnt(1)
	v_add_u32_sdwa v20, v6, v32 dst_sel:DWORD dst_unused:UNUSED_PAD src0_sel:DWORD src1_sel:WORD_0
	s_waitcnt lgkmcnt(0)
	v_add_u32_sdwa v21, v7, v34 dst_sel:DWORD dst_unused:UNUSED_PAD src0_sel:DWORD src1_sel:WORD_0
	s_cbranch_scc0 .LBB219_28
; %bb.39:
                                        ; implicit-def: $vgpr8_vgpr9
                                        ; implicit-def: $sgpr36
                                        ; implicit-def: $vgpr18_vgpr19
.LBB219_40:
	v_lshlrev_b32_e32 v6, 2, v20
	s_waitcnt lgkmcnt(0)
	; wave barrier
	ds_write_b32 v6, v16
	v_lshlrev_b32_e32 v6, 2, v21
	ds_write_b32 v6, v17
	s_waitcnt lgkmcnt(0)
	; wave barrier
	s_waitcnt lgkmcnt(0)
	ds_read2_b32 v[16:17], v26 offset1:1
	v_lshlrev_b32_e32 v6, 3, v20
	v_lshlrev_b32_e32 v7, 3, v21
	s_waitcnt lgkmcnt(0)
	; wave barrier
	s_waitcnt lgkmcnt(0)
	ds_write_b64 v6, v[14:15]
	ds_write_b64 v7, v[12:13]
	s_waitcnt lgkmcnt(0)
	; wave barrier
	s_waitcnt lgkmcnt(0)
	ds_read2_b64 v[6:9], v24 offset1:1
	v_bfrev_b32_e32 v12, 1
	v_cmp_lt_i32_e32 vcc, -1, v16
	v_cndmask_b32_e64 v14, v12, -1, vcc
	v_cmp_lt_i32_e32 vcc, -1, v17
	v_cndmask_b32_e64 v12, v12, -1, vcc
	v_xor_b32_e32 v13, v12, v17
	v_xor_b32_e32 v12, v14, v16
	s_branch .LBB219_56
.LBB219_41:
                                        ; implicit-def: $vgpr8_vgpr9
                                        ; implicit-def: $vgpr12_vgpr13
	s_cbranch_execz .LBB219_56
; %bb.42:
	v_bfrev_b32_e32 v16, -2
	v_cmp_gt_i32_e32 vcc, 0, v10
	s_waitcnt lgkmcnt(0)
	v_cndmask_b32_e64 v6, v16, 0, vcc
	v_cmp_gt_i32_e32 vcc, 0, v11
	v_xor_b32_e32 v12, v6, v10
	v_cndmask_b32_e64 v6, v16, 0, vcc
	s_mov_b32 s36, 0
	v_xor_b32_e32 v13, v6, v11
	v_and_b32_e32 v17, 14, v28
	v_mov_b32_e32 v18, 0
	s_brev_b32 s37, 1
	s_movk_i32 s38, 0x70
	s_branch .LBB219_44
.LBB219_43:                             ;   in Loop: Header=BB219_44 Depth=1
	v_lshlrev_b32_e32 v2, 2, v14
	s_waitcnt lgkmcnt(0)
	; wave barrier
	ds_write_b32 v2, v10
	v_lshlrev_b32_e32 v2, 2, v15
	ds_write_b32 v2, v11
	v_lshlrev_b32_e32 v2, 3, v14
	s_waitcnt lgkmcnt(0)
	; wave barrier
	s_waitcnt lgkmcnt(0)
	ds_read2_b32 v[12:13], v26 offset1:1
	s_waitcnt lgkmcnt(0)
	; wave barrier
	s_waitcnt lgkmcnt(0)
	ds_write_b64 v2, v[8:9]
	v_lshlrev_b32_e32 v2, 3, v15
	ds_write_b64 v2, v[6:7]
	s_waitcnt lgkmcnt(0)
	; wave barrier
	s_waitcnt lgkmcnt(0)
	ds_read2_b64 v[2:5], v24 offset1:1
	s_add_i32 s36, s36, 4
	s_waitcnt lgkmcnt(0)
	; wave barrier
	s_waitcnt lgkmcnt(0)
	s_cbranch_execz .LBB219_55
.LBB219_44:                             ; =>This Loop Header: Depth=1
                                        ;     Child Loop BB219_47 Depth 2
	v_pk_mov_b32 v[6:7], v[4:5], v[4:5] op_sel:[0,1]
	v_pk_mov_b32 v[8:9], v[2:3], v[2:3] op_sel:[0,1]
	;; [unrolled: 1-line block ×3, first 2 shown]
	s_and_saveexec_b64 s[22:23], s[4:5]
	s_cbranch_execz .LBB219_51
; %bb.45:                               ;   in Loop: Header=BB219_44 Depth=1
	s_mov_b32 s39, 0
	s_mov_b64 s[24:25], 0
	v_pk_mov_b32 v[2:3], v[0:1], v[0:1] op_sel:[0,1]
	s_branch .LBB219_47
.LBB219_46:                             ;   in Loop: Header=BB219_47 Depth=2
	s_or_b64 exec, exec, s[28:29]
	s_add_i32 s39, s39, 2
	v_cmp_eq_u32_e32 vcc, s39, v17
	v_add_u32_e32 v3, 32, v3
	s_or_b64 s[24:25], vcc, s[24:25]
	v_add_u32_e32 v2, 32, v2
	s_andn2_b64 exec, exec, s[24:25]
	s_cbranch_execz .LBB219_51
.LBB219_47:                             ;   Parent Loop BB219_44 Depth=1
                                        ; =>  This Inner Loop Header: Depth=2
	s_or_b32 s26, s39, 1
	v_cmp_le_u32_e64 s[26:27], s26, 7
	v_cmp_le_u32_e64 s[40:41], s39, 7
	s_and_saveexec_b64 s[28:29], s[40:41]
	s_cbranch_execz .LBB219_49
; %bb.48:                               ;   in Loop: Header=BB219_47 Depth=2
	v_lshlrev_b32_e32 v4, 2, v2
	ds_write_b32 v4, v18
.LBB219_49:                             ;   in Loop: Header=BB219_47 Depth=2
	s_or_b64 exec, exec, s[28:29]
	s_and_saveexec_b64 s[28:29], s[26:27]
	s_cbranch_execz .LBB219_46
; %bb.50:                               ;   in Loop: Header=BB219_47 Depth=2
	v_lshlrev_b32_e32 v4, 2, v3
	ds_write_b32 v4, v18
	s_branch .LBB219_46
.LBB219_51:                             ;   in Loop: Header=BB219_44 Depth=1
	s_or_b64 exec, exec, s[22:23]
	s_sub_i32 s22, 32, s36
	s_min_u32 s22, s35, s22
	v_cmp_ne_u32_e32 vcc, s37, v10
	s_lshl_b32 s22, -1, s22
	v_cndmask_b32_e32 v2, v16, v10, vcc
	s_not_b32 s22, s22
	v_lshrrev_b32_e32 v2, s36, v2
	v_and_b32_e32 v2, s22, v2
	v_lshrrev_b32_e32 v3, 3, v2
	v_lshlrev_b32_e32 v2, 4, v2
	v_and_or_b32 v2, v2, s38, v0
	v_lshlrev_b32_e32 v2, 1, v2
	v_add_lshl_u32 v20, v2, v3, 1
	ds_read_u16 v19, v20
	v_cmp_ne_u32_e32 vcc, s37, v11
	s_waitcnt lgkmcnt(0)
	v_add_u16_e32 v2, 1, v19
	ds_write_b16 v20, v2
	v_cndmask_b32_e32 v2, v16, v11, vcc
	v_lshrrev_b32_e32 v2, s36, v2
	v_and_b32_e32 v2, s22, v2
	v_lshrrev_b32_e32 v3, 3, v2
	v_lshlrev_b32_e32 v2, 4, v2
	v_and_or_b32 v2, v2, s38, v0
	v_lshlrev_b32_e32 v2, 1, v2
	v_add_lshl_u32 v28, v2, v3, 1
	ds_read_u16 v21, v28
	s_waitcnt lgkmcnt(0)
	v_add_u16_e32 v2, 1, v21
	ds_write_b16 v28, v2
	s_waitcnt lgkmcnt(0)
	; wave barrier
	s_waitcnt lgkmcnt(0)
	ds_read2_b32 v[14:15], v25 offset1:1
	ds_read2_b32 v[12:13], v25 offset0:2 offset1:3
	ds_read2_b32 v[2:3], v25 offset0:4 offset1:5
	ds_read2_b32 v[4:5], v25 offset0:6 offset1:7
	s_waitcnt lgkmcnt(3)
	v_add_u32_e32 v29, v15, v14
	s_waitcnt lgkmcnt(2)
	v_add3_u32 v29, v29, v12, v13
	s_waitcnt lgkmcnt(1)
	v_add3_u32 v29, v29, v2, v3
	;; [unrolled: 2-line block ×3, first 2 shown]
	s_nop 1
	v_mov_b32_dpp v29, v5 row_shr:1 row_mask:0xf bank_mask:0xf
	v_cndmask_b32_e64 v29, v29, 0, s[6:7]
	v_add_u32_e32 v5, v29, v5
	s_nop 1
	v_mov_b32_dpp v29, v5 row_shr:2 row_mask:0xf bank_mask:0xf
	v_cndmask_b32_e64 v29, 0, v29, s[8:9]
	v_add_u32_e32 v5, v5, v29
	;; [unrolled: 4-line block ×4, first 2 shown]
	s_and_saveexec_b64 s[22:23], s[14:15]
	s_cbranch_execz .LBB219_53
; %bb.52:                               ;   in Loop: Header=BB219_44 Depth=1
	ds_write_b32 v18, v5 offset:512
.LBB219_53:                             ;   in Loop: Header=BB219_44 Depth=1
	s_or_b64 exec, exec, s[22:23]
	ds_bpermute_b32 v5, v27, v5
	s_waitcnt lgkmcnt(0)
	; wave barrier
	s_waitcnt lgkmcnt(0)
	ds_read_b32 v29, v18 offset:512
	s_cmp_gt_u32 s36, 27
	v_cndmask_b32_e64 v5, v5, 0, s[16:17]
	s_waitcnt lgkmcnt(0)
	v_lshl_add_u32 v5, v29, 16, v5
	v_add_u32_e32 v14, v5, v14
	v_add_u32_e32 v15, v14, v15
	ds_write2_b32 v25, v5, v14 offset1:1
	v_add_u32_e32 v5, v15, v12
	v_add_u32_e32 v12, v5, v13
	;; [unrolled: 1-line block ×5, first 2 shown]
	ds_write2_b32 v25, v15, v5 offset0:2 offset1:3
	ds_write2_b32 v25, v12, v2 offset0:4 offset1:5
	ds_write2_b32 v25, v3, v4 offset0:6 offset1:7
	s_waitcnt lgkmcnt(0)
	; wave barrier
	s_waitcnt lgkmcnt(0)
	ds_read_u16 v2, v20
	ds_read_u16 v3, v28
	s_waitcnt lgkmcnt(1)
	v_add_u32_sdwa v14, v2, v19 dst_sel:DWORD dst_unused:UNUSED_PAD src0_sel:DWORD src1_sel:WORD_0
	s_waitcnt lgkmcnt(0)
	v_add_u32_sdwa v15, v3, v21 dst_sel:DWORD dst_unused:UNUSED_PAD src0_sel:DWORD src1_sel:WORD_0
	s_cbranch_scc0 .LBB219_43
; %bb.54:
                                        ; implicit-def: $vgpr4_vgpr5
                                        ; implicit-def: $sgpr36
                                        ; implicit-def: $vgpr12_vgpr13
.LBB219_55:
	v_lshlrev_b32_e32 v1, 2, v14
	s_waitcnt lgkmcnt(0)
	; wave barrier
	ds_write_b32 v1, v10
	v_lshlrev_b32_e32 v1, 2, v15
	ds_write_b32 v1, v11
	s_waitcnt lgkmcnt(0)
	; wave barrier
	s_waitcnt lgkmcnt(0)
	ds_read2_b32 v[2:3], v26 offset1:1
	v_lshlrev_b32_e32 v1, 3, v14
	v_lshlrev_b32_e32 v4, 3, v15
	s_waitcnt lgkmcnt(0)
	; wave barrier
	s_waitcnt lgkmcnt(0)
	ds_write_b64 v1, v[8:9]
	ds_write_b64 v4, v[6:7]
	s_waitcnt lgkmcnt(0)
	; wave barrier
	s_waitcnt lgkmcnt(0)
	ds_read2_b64 v[6:9], v24 offset1:1
	v_bfrev_b32_e32 v1, -2
	v_cmp_gt_i32_e32 vcc, 0, v2
	v_cndmask_b32_e64 v4, v1, 0, vcc
	v_cmp_gt_i32_e32 vcc, 0, v3
	v_cndmask_b32_e64 v1, v1, 0, vcc
	v_xor_b32_e32 v13, v1, v3
	v_xor_b32_e32 v12, v4, v2
.LBB219_56:
	v_mad_u64_u32 v[2:3], s[4:5], v0, s18, 0
	v_mov_b32_e32 v4, v3
	s_waitcnt lgkmcnt(0)
	; wave barrier
	s_waitcnt lgkmcnt(0)
	ds_write2_b32 v22, v12, v13 offset1:1
	s_waitcnt lgkmcnt(0)
	; wave barrier
	s_waitcnt lgkmcnt(0)
	ds_read_b32 v1, v23 offset:64
	v_mad_u64_u32 v[4:5], s[4:5], v0, s19, v[4:5]
	v_mov_b32_e32 v3, v4
	v_lshlrev_b64 v[2:3], 2, v[2:3]
	v_mov_b32_e32 v4, s31
	v_add_co_u32_e32 v2, vcc, s30, v2
	v_addc_co_u32_e32 v3, vcc, v4, v3, vcc
	s_and_saveexec_b64 s[4:5], s[0:1]
	s_cbranch_execz .LBB219_58
; %bb.57:
	ds_read_b32 v4, v23
	s_waitcnt lgkmcnt(0)
	global_store_dword v[2:3], v4, off
.LBB219_58:
	s_or_b64 exec, exec, s[4:5]
	s_and_saveexec_b64 s[4:5], s[2:3]
	s_cbranch_execz .LBB219_60
; %bb.59:
	s_lshl_b64 s[6:7], s[18:19], 6
	v_mov_b32_e32 v4, s7
	v_add_co_u32_e32 v2, vcc, s6, v2
	v_addc_co_u32_e32 v3, vcc, v3, v4, vcc
	s_waitcnt lgkmcnt(0)
	global_store_dword v[2:3], v1, off
.LBB219_60:
	s_or_b64 exec, exec, s[4:5]
	v_mad_u64_u32 v[4:5], s[4:5], v0, s20, 0
	s_waitcnt lgkmcnt(0)
	; wave barrier
	s_waitcnt lgkmcnt(0)
	ds_write2_b64 v24, v[6:7], v[8:9] offset1:1
	v_mov_b32_e32 v6, v5
	s_waitcnt lgkmcnt(0)
	; wave barrier
	s_waitcnt lgkmcnt(0)
	ds_read_b64 v[2:3], v22 offset:128
	v_mad_u64_u32 v[0:1], s[4:5], v0, s21, v[6:7]
	v_mov_b32_e32 v5, v0
	v_lshlrev_b64 v[0:1], 3, v[4:5]
	v_mov_b32_e32 v4, s34
	v_add_co_u32_e32 v0, vcc, s33, v0
	v_addc_co_u32_e32 v1, vcc, v4, v1, vcc
	s_and_saveexec_b64 s[4:5], s[0:1]
	s_cbranch_execz .LBB219_62
; %bb.61:
	ds_read_b64 v[4:5], v22
	s_waitcnt lgkmcnt(0)
	global_store_dwordx2 v[0:1], v[4:5], off
.LBB219_62:
	s_or_b64 exec, exec, s[4:5]
	s_and_saveexec_b64 s[0:1], s[2:3]
	s_cbranch_execz .LBB219_64
; %bb.63:
	s_lshl_b64 s[0:1], s[20:21], 7
	v_mov_b32_e32 v4, s1
	v_add_co_u32_e32 v0, vcc, s0, v0
	v_addc_co_u32_e32 v1, vcc, v1, v4, vcc
	s_waitcnt lgkmcnt(0)
	global_store_dwordx2 v[0:1], v[2:3], off
.LBB219_64:
	s_endpgm
	.section	.rodata,"a",@progbits
	.p2align	6, 0x0
	.amdhsa_kernel _ZN2at6native18radixSortKVInPlaceILin1ELin1ELi16ELi2EflmEEvNS_4cuda6detail10TensorInfoIT3_T5_EES6_S6_S6_NS4_IT4_S6_EES6_b
		.amdhsa_group_segment_fixed_size 528
		.amdhsa_private_segment_fixed_size 0
		.amdhsa_kernarg_size 1128
		.amdhsa_user_sgpr_count 6
		.amdhsa_user_sgpr_private_segment_buffer 1
		.amdhsa_user_sgpr_dispatch_ptr 0
		.amdhsa_user_sgpr_queue_ptr 0
		.amdhsa_user_sgpr_kernarg_segment_ptr 1
		.amdhsa_user_sgpr_dispatch_id 0
		.amdhsa_user_sgpr_flat_scratch_init 0
		.amdhsa_user_sgpr_kernarg_preload_length 0
		.amdhsa_user_sgpr_kernarg_preload_offset 0
		.amdhsa_user_sgpr_private_segment_size 0
		.amdhsa_uses_dynamic_stack 0
		.amdhsa_system_sgpr_private_segment_wavefront_offset 0
		.amdhsa_system_sgpr_workgroup_id_x 1
		.amdhsa_system_sgpr_workgroup_id_y 1
		.amdhsa_system_sgpr_workgroup_id_z 1
		.amdhsa_system_sgpr_workgroup_info 0
		.amdhsa_system_vgpr_workitem_id 0
		.amdhsa_next_free_vgpr 37
		.amdhsa_next_free_sgpr 42
		.amdhsa_accum_offset 40
		.amdhsa_reserve_vcc 1
		.amdhsa_reserve_flat_scratch 0
		.amdhsa_float_round_mode_32 0
		.amdhsa_float_round_mode_16_64 0
		.amdhsa_float_denorm_mode_32 3
		.amdhsa_float_denorm_mode_16_64 3
		.amdhsa_dx10_clamp 1
		.amdhsa_ieee_mode 1
		.amdhsa_fp16_overflow 0
		.amdhsa_tg_split 0
		.amdhsa_exception_fp_ieee_invalid_op 0
		.amdhsa_exception_fp_denorm_src 0
		.amdhsa_exception_fp_ieee_div_zero 0
		.amdhsa_exception_fp_ieee_overflow 0
		.amdhsa_exception_fp_ieee_underflow 0
		.amdhsa_exception_fp_ieee_inexact 0
		.amdhsa_exception_int_div_zero 0
	.end_amdhsa_kernel
	.section	.text._ZN2at6native18radixSortKVInPlaceILin1ELin1ELi16ELi2EflmEEvNS_4cuda6detail10TensorInfoIT3_T5_EES6_S6_S6_NS4_IT4_S6_EES6_b,"axG",@progbits,_ZN2at6native18radixSortKVInPlaceILin1ELin1ELi16ELi2EflmEEvNS_4cuda6detail10TensorInfoIT3_T5_EES6_S6_S6_NS4_IT4_S6_EES6_b,comdat
.Lfunc_end219:
	.size	_ZN2at6native18radixSortKVInPlaceILin1ELin1ELi16ELi2EflmEEvNS_4cuda6detail10TensorInfoIT3_T5_EES6_S6_S6_NS4_IT4_S6_EES6_b, .Lfunc_end219-_ZN2at6native18radixSortKVInPlaceILin1ELin1ELi16ELi2EflmEEvNS_4cuda6detail10TensorInfoIT3_T5_EES6_S6_S6_NS4_IT4_S6_EES6_b
                                        ; -- End function
	.section	.AMDGPU.csdata,"",@progbits
; Kernel info:
; codeLenInByte = 4632
; NumSgprs: 46
; NumVgprs: 37
; NumAgprs: 0
; TotalNumVgprs: 37
; ScratchSize: 0
; MemoryBound: 0
; FloatMode: 240
; IeeeMode: 1
; LDSByteSize: 528 bytes/workgroup (compile time only)
; SGPRBlocks: 5
; VGPRBlocks: 4
; NumSGPRsForWavesPerEU: 46
; NumVGPRsForWavesPerEU: 37
; AccumOffset: 40
; Occupancy: 8
; WaveLimiterHint : 1
; COMPUTE_PGM_RSRC2:SCRATCH_EN: 0
; COMPUTE_PGM_RSRC2:USER_SGPR: 6
; COMPUTE_PGM_RSRC2:TRAP_HANDLER: 0
; COMPUTE_PGM_RSRC2:TGID_X_EN: 1
; COMPUTE_PGM_RSRC2:TGID_Y_EN: 1
; COMPUTE_PGM_RSRC2:TGID_Z_EN: 1
; COMPUTE_PGM_RSRC2:TIDIG_COMP_CNT: 0
; COMPUTE_PGM_RSRC3_GFX90A:ACCUM_OFFSET: 9
; COMPUTE_PGM_RSRC3_GFX90A:TG_SPLIT: 0
	.section	.text._ZN2at6native18radixSortKVInPlaceILin2ELin1ELi512ELi8EN3c104HalfEljEEvNS_4cuda6detail10TensorInfoIT3_T5_EES8_S8_S8_NS6_IT4_S8_EES8_b,"axG",@progbits,_ZN2at6native18radixSortKVInPlaceILin2ELin1ELi512ELi8EN3c104HalfEljEEvNS_4cuda6detail10TensorInfoIT3_T5_EES8_S8_S8_NS6_IT4_S8_EES8_b,comdat
	.protected	_ZN2at6native18radixSortKVInPlaceILin2ELin1ELi512ELi8EN3c104HalfEljEEvNS_4cuda6detail10TensorInfoIT3_T5_EES8_S8_S8_NS6_IT4_S8_EES8_b ; -- Begin function _ZN2at6native18radixSortKVInPlaceILin2ELin1ELi512ELi8EN3c104HalfEljEEvNS_4cuda6detail10TensorInfoIT3_T5_EES8_S8_S8_NS6_IT4_S8_EES8_b
	.globl	_ZN2at6native18radixSortKVInPlaceILin2ELin1ELi512ELi8EN3c104HalfEljEEvNS_4cuda6detail10TensorInfoIT3_T5_EES8_S8_S8_NS6_IT4_S8_EES8_b
	.p2align	8
	.type	_ZN2at6native18radixSortKVInPlaceILin2ELin1ELi512ELi8EN3c104HalfEljEEvNS_4cuda6detail10TensorInfoIT3_T5_EES8_S8_S8_NS6_IT4_S8_EES8_b,@function
_ZN2at6native18radixSortKVInPlaceILin2ELin1ELi512ELi8EN3c104HalfEljEEvNS_4cuda6detail10TensorInfoIT3_T5_EES8_S8_S8_NS6_IT4_S8_EES8_b: ; @_ZN2at6native18radixSortKVInPlaceILin2ELin1ELi512ELi8EN3c104HalfEljEEvNS_4cuda6detail10TensorInfoIT3_T5_EES8_S8_S8_NS6_IT4_S8_EES8_b
; %bb.0:
	s_load_dwordx2 s[0:1], s[4:5], 0x1c8
	s_load_dwordx4 s[48:51], s[4:5], 0xd8
	s_add_u32 s54, s4, 0x1c8
	s_addc_u32 s55, s5, 0
	s_waitcnt lgkmcnt(0)
	s_mul_i32 s1, s1, s8
	s_add_i32 s1, s1, s7
	s_mul_i32 s0, s1, s0
	s_add_i32 s6, s0, s6
	s_cmp_ge_u32 s6, s48
	s_cbranch_scc1 .LBB220_146
; %bb.1:
	s_load_dword s2, s[4:5], 0x1b8
	s_load_dwordx2 s[0:1], s[4:5], 0x0
	s_add_u32 s14, s4, 0xe8
	s_addc_u32 s15, s5, 0
	s_mov_b32 s17, 0
	s_waitcnt lgkmcnt(0)
	s_cmp_lt_i32 s2, 2
	s_mov_b32 s16, s6
	s_cbranch_scc1 .LBB220_4
; %bb.2:
	s_add_i32 s16, s2, -1
	s_add_i32 s7, s2, 1
	s_lshl_b64 s[2:3], s[16:17], 2
	s_add_u32 s2, s2, s14
	s_addc_u32 s3, s3, s15
	s_add_u32 s2, s2, 8
	s_addc_u32 s3, s3, 0
	s_mov_b32 s16, s6
.LBB220_3:                              ; =>This Inner Loop Header: Depth=1
	s_load_dword s8, s[2:3], 0x0
	s_load_dword s10, s[2:3], 0x64
	s_mov_b32 s9, s16
	s_waitcnt lgkmcnt(0)
	v_cvt_f32_u32_e32 v1, s8
	s_sub_i32 s11, 0, s8
	v_rcp_iflag_f32_e32 v1, v1
	v_mul_f32_e32 v1, 0x4f7ffffe, v1
	v_cvt_u32_f32_e32 v1, v1
	v_readfirstlane_b32 s12, v1
	s_mul_i32 s11, s11, s12
	s_mul_hi_u32 s11, s12, s11
	s_add_i32 s12, s12, s11
	s_mul_hi_u32 s11, s16, s12
	s_mul_i32 s12, s11, s8
	s_sub_i32 s12, s16, s12
	s_add_i32 s13, s11, 1
	s_sub_i32 s16, s12, s8
	s_cmp_ge_u32 s12, s8
	s_cselect_b32 s11, s13, s11
	s_cselect_b32 s12, s16, s12
	s_add_i32 s13, s11, 1
	s_cmp_ge_u32 s12, s8
	s_cselect_b32 s16, s13, s11
	s_mul_i32 s8, s16, s8
	s_sub_i32 s8, s9, s8
	s_mul_i32 s8, s10, s8
	s_add_i32 s7, s7, -1
	s_add_i32 s17, s8, s17
	s_add_u32 s2, s2, -4
	s_addc_u32 s3, s3, -1
	s_cmp_gt_u32 s7, 2
	s_cbranch_scc1 .LBB220_3
.LBB220_4:
	s_load_dword s2, s[4:5], 0x6c
	s_load_dwordx2 s[52:53], s[4:5], 0x1c0
	s_mov_b32 s3, 0
	v_and_b32_e32 v46, 0x3ff, v0
	v_mul_lo_u32 v42, v46, s50
	s_waitcnt lgkmcnt(0)
	s_mul_i32 s2, s2, s6
	s_bitcmp1_b32 s53, 0
	s_cselect_b64 s[34:35], -1, 0
	s_mov_b32 s6, 0xffff
	s_and_b64 s[4:5], s[34:35], exec
	s_cselect_b32 s22, s6, 0x7fff
	s_lshl_b64 s[2:3], s[2:3], 1
	s_add_u32 s33, s0, s2
	s_addc_u32 s48, s1, s3
	v_cmp_gt_u32_e64 s[0:1], s49, v46
	v_mov_b32_e32 v1, s22
	s_and_saveexec_b64 s[2:3], s[0:1]
	s_cbranch_execz .LBB220_6
; %bb.5:
	v_mov_b32_e32 v43, 0
	v_lshlrev_b64 v[2:3], 1, v[42:43]
	v_mov_b32_e32 v1, s48
	v_add_co_u32_e32 v2, vcc, s33, v2
	v_addc_co_u32_e32 v3, vcc, v1, v3, vcc
	global_load_ushort v1, v[2:3], off
.LBB220_6:
	s_or_b64 exec, exec, s[2:3]
	v_add_u32_e32 v36, 0x200, v46
	v_cmp_gt_u32_e64 s[2:3], s49, v36
	v_mov_b32_e32 v2, s22
	s_and_saveexec_b64 s[4:5], s[2:3]
	s_cbranch_execz .LBB220_8
; %bb.7:
	v_mul_lo_u32 v2, v36, s50
	v_mov_b32_e32 v3, 0
	v_lshlrev_b64 v[2:3], 1, v[2:3]
	v_mov_b32_e32 v4, s48
	v_add_co_u32_e32 v2, vcc, s33, v2
	v_addc_co_u32_e32 v3, vcc, v4, v3, vcc
	global_load_ushort v2, v[2:3], off
.LBB220_8:
	s_or_b64 exec, exec, s[4:5]
	v_or_b32_e32 v35, 0x400, v46
	v_cmp_gt_u32_e64 s[4:5], s49, v35
	v_mov_b32_e32 v3, s22
	s_and_saveexec_b64 s[6:7], s[4:5]
	s_cbranch_execz .LBB220_10
; %bb.9:
	v_mul_lo_u32 v4, v35, s50
	v_mov_b32_e32 v5, 0
	v_lshlrev_b64 v[4:5], 1, v[4:5]
	v_mov_b32_e32 v3, s48
	v_add_co_u32_e32 v4, vcc, s33, v4
	v_addc_co_u32_e32 v5, vcc, v3, v5, vcc
	global_load_ushort v3, v[4:5], off
.LBB220_10:
	s_or_b64 exec, exec, s[6:7]
	v_add_u32_e32 v33, 0x600, v46
	v_cmp_gt_u32_e64 s[6:7], s49, v33
	v_mov_b32_e32 v4, s22
	s_and_saveexec_b64 s[8:9], s[6:7]
	s_cbranch_execz .LBB220_12
; %bb.11:
	v_mul_lo_u32 v4, v33, s50
	v_mov_b32_e32 v5, 0
	v_lshlrev_b64 v[4:5], 1, v[4:5]
	v_mov_b32_e32 v6, s48
	v_add_co_u32_e32 v4, vcc, s33, v4
	v_addc_co_u32_e32 v5, vcc, v6, v5, vcc
	global_load_ushort v4, v[4:5], off
.LBB220_12:
	s_or_b64 exec, exec, s[8:9]
	v_or_b32_e32 v30, 0x800, v46
	v_cmp_gt_u32_e64 s[8:9], s49, v30
	v_mov_b32_e32 v5, s22
	s_and_saveexec_b64 s[10:11], s[8:9]
	s_cbranch_execz .LBB220_14
; %bb.13:
	v_mul_lo_u32 v6, v30, s50
	v_mov_b32_e32 v7, 0
	v_lshlrev_b64 v[6:7], 1, v[6:7]
	v_mov_b32_e32 v5, s48
	v_add_co_u32_e32 v6, vcc, s33, v6
	v_addc_co_u32_e32 v7, vcc, v5, v7, vcc
	global_load_ushort v5, v[6:7], off
.LBB220_14:
	s_or_b64 exec, exec, s[10:11]
	v_add_u32_e32 v28, 0xa00, v46
	v_cmp_gt_u32_e64 s[10:11], s49, v28
	v_mov_b32_e32 v6, s22
	s_and_saveexec_b64 s[12:13], s[10:11]
	s_cbranch_execz .LBB220_16
; %bb.15:
	v_mul_lo_u32 v6, v28, s50
	v_mov_b32_e32 v7, 0
	v_lshlrev_b64 v[6:7], 1, v[6:7]
	v_mov_b32_e32 v8, s48
	v_add_co_u32_e32 v6, vcc, s33, v6
	v_addc_co_u32_e32 v7, vcc, v8, v7, vcc
	global_load_ushort v6, v[6:7], off
.LBB220_16:
	s_or_b64 exec, exec, s[12:13]
	s_load_dwordx2 s[18:19], s[14:15], 0x0
	v_or_b32_e32 v26, 0xc00, v46
	v_cmp_gt_u32_e64 s[12:13], s49, v26
	v_mov_b32_e32 v7, s22
	s_and_saveexec_b64 s[20:21], s[12:13]
	s_cbranch_execz .LBB220_18
; %bb.17:
	v_mul_lo_u32 v8, v26, s50
	v_mov_b32_e32 v9, 0
	v_lshlrev_b64 v[8:9], 1, v[8:9]
	v_mov_b32_e32 v7, s48
	v_add_co_u32_e32 v8, vcc, s33, v8
	v_addc_co_u32_e32 v9, vcc, v7, v9, vcc
	global_load_ushort v7, v[8:9], off
.LBB220_18:
	s_or_b64 exec, exec, s[20:21]
	s_load_dword s23, s[14:15], 0x6c
	v_add_u32_e32 v22, 0xe00, v46
	v_cmp_gt_u32_e64 s[14:15], s49, v22
	v_mov_b32_e32 v8, s22
	s_and_saveexec_b64 s[20:21], s[14:15]
	s_cbranch_execz .LBB220_20
; %bb.19:
	v_mul_lo_u32 v8, v22, s50
	v_mov_b32_e32 v9, 0
	v_lshlrev_b64 v[8:9], 1, v[8:9]
	v_mov_b32_e32 v10, s48
	v_add_co_u32_e32 v8, vcc, s33, v8
	v_addc_co_u32_e32 v9, vcc, v10, v9, vcc
	global_load_ushort v8, v[8:9], off
.LBB220_20:
	s_or_b64 exec, exec, s[20:21]
	v_lshrrev_b32_e32 v34, 5, v46
	v_and_b32_e32 v9, 30, v34
	v_add_lshl_u32 v47, v9, v46, 1
	v_lshrrev_b32_e32 v32, 5, v36
	s_waitcnt vmcnt(0)
	ds_write_b16 v47, v1
	v_and_b32_e32 v1, 62, v32
	v_lshrrev_b32_e32 v31, 5, v35
	v_add_lshl_u32 v43, v1, v46, 1
	v_and_b32_e32 v1, 62, v31
	v_lshrrev_b32_e32 v29, 5, v33
	v_add_lshl_u32 v48, v1, v46, 1
	;; [unrolled: 3-line block ×5, first 2 shown]
	v_and_b32_e32 v1, 0x7e, v23
	v_add_lshl_u32 v52, v1, v46, 1
	v_lshrrev_b32_e32 v1, 5, v22
	ds_write_b16 v43, v2 offset:1024
	v_and_b32_e32 v2, 0xfe, v1
	v_lshrrev_b32_e32 v24, 2, v46
	v_add_lshl_u32 v53, v2, v46, 1
	v_lshlrev_b32_e32 v63, 3, v46
	v_and_b32_e32 v2, 0xfe, v24
	s_waitcnt lgkmcnt(0)
	s_mul_i32 s16, s23, s16
	v_add_lshl_u32 v54, v2, v63, 1
	s_add_i32 s16, s16, s17
	s_mov_b32 s17, 0
	ds_write_b16 v48, v3 offset:2048
	ds_write_b16 v49, v4 offset:3072
	;; [unrolled: 1-line block ×6, first 2 shown]
	s_waitcnt lgkmcnt(0)
	s_barrier
	ds_read_b128 v[18:21], v54
	s_lshl_b64 s[20:21], s[16:17], 3
	s_add_u32 s49, s18, s20
	s_mov_b32 s16, s17
	s_addc_u32 s51, s19, s21
	s_mov_b32 s18, s17
	s_mov_b32 s19, s17
	;; [unrolled: 1-line block ×14, first 2 shown]
	v_pk_mov_b32 v[2:3], s[16:17], s[16:17] op_sel:[0,1]
	v_pk_mov_b32 v[4:5], s[18:19], s[18:19] op_sel:[0,1]
	;; [unrolled: 1-line block ×8, first 2 shown]
	v_pk_mov_b32 v[2:3], 0, 0
	v_mul_lo_u32 v44, v46, s52
	s_waitcnt lgkmcnt(0)
	s_barrier
	s_and_saveexec_b64 s[16:17], s[0:1]
	s_cbranch_execnz .LBB220_75
; %bb.21:
	s_or_b64 exec, exec, s[16:17]
	s_and_saveexec_b64 s[16:17], s[2:3]
	s_cbranch_execnz .LBB220_76
.LBB220_22:
	s_or_b64 exec, exec, s[16:17]
	s_and_saveexec_b64 s[16:17], s[4:5]
	s_cbranch_execnz .LBB220_77
.LBB220_23:
	s_or_b64 exec, exec, s[16:17]
	s_and_saveexec_b64 s[16:17], s[6:7]
	s_cbranch_execnz .LBB220_78
.LBB220_24:
	s_or_b64 exec, exec, s[16:17]
	s_and_saveexec_b64 s[16:17], s[8:9]
	s_cbranch_execnz .LBB220_79
.LBB220_25:
	s_or_b64 exec, exec, s[16:17]
	s_and_saveexec_b64 s[16:17], s[10:11]
	s_cbranch_execnz .LBB220_80
.LBB220_26:
	s_or_b64 exec, exec, s[16:17]
	s_and_saveexec_b64 s[16:17], s[12:13]
	s_cbranch_execnz .LBB220_81
.LBB220_27:
	s_or_b64 exec, exec, s[16:17]
	s_xor_b64 s[16:17], s[34:35], -1
	s_and_saveexec_b64 s[18:19], s[14:15]
	s_cbranch_execz .LBB220_29
.LBB220_28:
	v_mul_lo_u32 v16, v22, s52
	v_mov_b32_e32 v17, 0
	v_lshlrev_b64 v[16:17], 3, v[16:17]
	v_mov_b32_e32 v22, s51
	v_add_co_u32_e32 v16, vcc, s49, v16
	v_addc_co_u32_e32 v17, vcc, v22, v17, vcc
	global_load_dwordx2 v[16:17], v[16:17], off
.LBB220_29:
	s_or_b64 exec, exec, s[18:19]
	v_add_lshl_u32 v55, v34, v46, 3
	v_add_lshl_u32 v45, v32, v46, 3
	;; [unrolled: 1-line block ×9, first 2 shown]
	s_waitcnt vmcnt(0)
	ds_write_b64 v55, v[2:3]
	ds_write_b64 v45, v[4:5] offset:4096
	ds_write_b64 v56, v[6:7] offset:8192
	;; [unrolled: 1-line block ×7, first 2 shown]
	s_waitcnt lgkmcnt(0)
	s_barrier
	ds_read2_b64 v[14:17], v62 offset1:1
	ds_read2_b64 v[10:13], v62 offset0:2 offset1:3
	ds_read2_b64 v[6:9], v62 offset0:4 offset1:5
	;; [unrolled: 1-line block ×3, first 2 shown]
	s_and_b64 vcc, exec, s[16:17]
	v_bfe_u32 v65, v0, 10, 10
	v_bfe_u32 v66, v0, 20, 10
	v_mbcnt_lo_u32_b32 v67, -1, 0
	v_lshlrev_b32_e32 v64, 4, v46
	s_waitcnt lgkmcnt(0)
	s_barrier
	s_cbranch_vccz .LBB220_82
; %bb.30:
	s_movk_i32 s16, 0x8000
	v_pk_ashrrev_i16 v24, 15, v18 op_sel_hi:[0,1]
	v_or_b32_e32 v25, 0xffff8000, v24
	v_or_b32_sdwa v24, v24, s16 dst_sel:DWORD dst_unused:UNUSED_PAD src0_sel:WORD_1 src1_sel:DWORD
	v_pk_ashrrev_i16 v22, 15, v19 op_sel_hi:[0,1]
	v_xor_b32_sdwa v26, v24, v18 dst_sel:DWORD dst_unused:UNUSED_PAD src0_sel:DWORD src1_sel:WORD_1
	v_pk_ashrrev_i16 v24, 15, v21 op_sel_hi:[0,1]
	v_pk_ashrrev_i16 v28, 15, v20 op_sel_hi:[0,1]
	v_mbcnt_hi_u32_b32 v76, -1, v67
	v_and_b32_e32 v40, 0x3c0, v46
	v_or_b32_e32 v23, 0xffff8000, v22
	v_or_b32_sdwa v22, v22, s16 dst_sel:DWORD dst_unused:UNUSED_PAD src0_sel:WORD_1 src1_sel:DWORD
	v_xor_b32_e32 v27, v25, v18
	v_or_b32_e32 v25, 0xffff8000, v24
	v_or_b32_e32 v29, 0xffff8000, v28
	v_or_b32_sdwa v24, v24, s16 dst_sel:DWORD dst_unused:UNUSED_PAD src0_sel:WORD_1 src1_sel:DWORD
	v_or_b32_sdwa v28, v28, s16 dst_sel:DWORD dst_unused:UNUSED_PAD src0_sel:WORD_1 src1_sel:DWORD
	v_add_u32_e32 v0, v76, v40
	v_xor_b32_sdwa v22, v22, v19 dst_sel:DWORD dst_unused:UNUSED_PAD src0_sel:DWORD src1_sel:WORD_1
	v_xor_b32_e32 v23, v23, v19
	v_xor_b32_sdwa v28, v28, v20 dst_sel:DWORD dst_unused:UNUSED_PAD src0_sel:DWORD src1_sel:WORD_1
	v_xor_b32_sdwa v24, v24, v21 dst_sel:DWORD dst_unused:UNUSED_PAD src0_sel:DWORD src1_sel:WORD_1
	v_xor_b32_e32 v29, v29, v20
	v_xor_b32_e32 v25, v25, v21
	s_mov_b32 s16, 0x5040100
	v_lshlrev_b32_e32 v1, 4, v0
	v_perm_b32 v25, v24, v25, s16
	v_perm_b32 v24, v28, v29, s16
	;; [unrolled: 1-line block ×4, first 2 shown]
	v_and_b32_e32 v82, 0x1e00, v63
	ds_write_b128 v1, v[22:25]
	v_or_b32_e32 v1, v76, v82
	v_lshlrev_b32_e32 v22, 1, v1
	v_lshlrev_b32_e32 v0, 6, v0
	; wave barrier
	ds_read_u16 v79, v22
	ds_read_u16 v78, v22 offset:128
	ds_read_u16 v77, v22 offset:256
	;; [unrolled: 1-line block ×7, first 2 shown]
	s_waitcnt lgkmcnt(0)
	s_barrier
	ds_write2_b64 v0, v[14:15], v[16:17] offset1:1
	ds_write2_b64 v0, v[10:11], v[12:13] offset0:2 offset1:3
	ds_write2_b64 v0, v[6:7], v[8:9] offset0:4 offset1:5
	;; [unrolled: 1-line block ×3, first 2 shown]
	v_lshlrev_b32_e32 v0, 3, v1
	; wave barrier
	ds_read2st64_b64 v[34:37], v0 offset1:1
	ds_read2st64_b64 v[30:33], v0 offset0:2 offset1:3
	ds_read2st64_b64 v[26:29], v0 offset0:4 offset1:5
	ds_read2st64_b64 v[22:25], v0 offset0:6 offset1:7
	s_waitcnt lgkmcnt(0)
	s_barrier
	s_load_dword s18, s[54:55], 0xc
	s_getpc_b64 s[16:17]
	s_add_u32 s16, s16, _ZN7rocprim17ROCPRIM_400000_NS16block_radix_sortI6__halfLj512ELj8ElLj1ELj1ELj0ELNS0_26block_radix_rank_algorithmE1ELNS0_18block_padding_hintE2ELNS0_4arch9wavefront6targetE1EE19radix_bits_per_passE@rel32@lo+4
	s_addc_u32 s17, s17, _ZN7rocprim17ROCPRIM_400000_NS16block_radix_sortI6__halfLj512ELj8ElLj1ELj1ELj0ELNS0_26block_radix_rank_algorithmE1ELNS0_18block_padding_hintE2ELNS0_4arch9wavefront6targetE1EE19radix_bits_per_passE@rel32@hi+12
	s_load_dword s44, s[16:17], 0x0
	s_movk_i32 s19, 0x7fff
	v_mov_b32_e32 v41, 0xffff8000
	s_waitcnt lgkmcnt(0)
	s_lshr_b32 s16, s18, 16
	s_and_b32 s17, s18, 0xffff
	v_mad_u32_u24 v1, v66, s16, v65
	v_mad_u64_u32 v[38:39], s[16:17], v1, s17, v[46:47]
	s_min_u32 s16, s44, 16
	s_lshl_b32 s16, -1, s16
	v_cmp_ne_u16_e32 vcc, s19, v79
	s_not_b32 s18, s16
	v_cndmask_b32_e32 v1, v41, v79, vcc
	v_lshrrev_b32_e32 v68, 6, v38
	v_and_b32_sdwa v38, s18, v1 dst_sel:DWORD dst_unused:UNUSED_PAD src0_sel:DWORD src1_sel:WORD_0
	v_lshlrev_b32_e32 v1, 3, v38
	v_add_lshl_u32 v83, v68, v1, 2
	v_and_b32_e32 v1, 1, v38
	v_add_co_u32_e32 v39, vcc, -1, v1
	v_addc_co_u32_e64 v69, s[16:17], 0, -1, vcc
	v_cmp_ne_u32_e32 vcc, 0, v1
	v_xor_b32_e32 v1, vcc_hi, v69
	v_mov_b32_e32 v0, 0
	v_and_b32_e32 v69, exec_hi, v1
	v_lshlrev_b32_e32 v1, 30, v38
	v_xor_b32_e32 v39, vcc_lo, v39
	v_cmp_gt_i64_e32 vcc, 0, v[0:1]
	v_not_b32_e32 v1, v1
	v_ashrrev_i32_e32 v1, 31, v1
	v_and_b32_e32 v39, exec_lo, v39
	v_xor_b32_e32 v70, vcc_hi, v1
	v_xor_b32_e32 v1, vcc_lo, v1
	v_and_b32_e32 v39, v39, v1
	v_lshlrev_b32_e32 v1, 29, v38
	v_cmp_gt_i64_e32 vcc, 0, v[0:1]
	v_not_b32_e32 v1, v1
	v_ashrrev_i32_e32 v1, 31, v1
	v_and_b32_e32 v69, v69, v70
	v_xor_b32_e32 v70, vcc_hi, v1
	v_xor_b32_e32 v1, vcc_lo, v1
	v_and_b32_e32 v39, v39, v1
	v_lshlrev_b32_e32 v1, 28, v38
	v_cmp_gt_i64_e32 vcc, 0, v[0:1]
	v_not_b32_e32 v1, v1
	v_ashrrev_i32_e32 v1, 31, v1
	v_and_b32_e32 v69, v69, v70
	;; [unrolled: 8-line block ×5, first 2 shown]
	v_xor_b32_e32 v70, vcc_hi, v1
	v_xor_b32_e32 v1, vcc_lo, v1
	v_and_b32_e32 v69, v69, v70
	v_and_b32_e32 v70, v39, v1
	v_lshlrev_b32_e32 v1, 24, v38
	v_cmp_gt_i64_e32 vcc, 0, v[0:1]
	v_not_b32_e32 v1, v1
	v_ashrrev_i32_e32 v1, 31, v1
	v_xor_b32_e32 v38, vcc_hi, v1
	v_xor_b32_e32 v1, vcc_lo, v1
	v_and_b32_e32 v39, v69, v38
	v_and_b32_e32 v38, v70, v1
	v_mbcnt_lo_u32_b32 v1, v38, 0
	v_mbcnt_hi_u32_b32 v84, v39, v1
	v_cmp_eq_u32_e32 vcc, 0, v84
	v_cmp_ne_u64_e64 s[16:17], 0, v[38:39]
	s_and_b64 s[20:21], s[16:17], vcc
	ds_write2_b32 v64, v0, v0 offset0:8 offset1:9
	ds_write2_b32 v64, v0, v0 offset0:10 offset1:11
	s_waitcnt lgkmcnt(0)
	s_barrier
	s_waitcnt lgkmcnt(0)
	; wave barrier
	s_and_saveexec_b64 s[16:17], s[20:21]
	s_cbranch_execz .LBB220_32
; %bb.31:
	v_bcnt_u32_b32 v1, v38, 0
	v_bcnt_u32_b32 v1, v39, v1
	ds_write_b32 v83, v1 offset:32
.LBB220_32:
	s_or_b64 exec, exec, s[16:17]
	v_cmp_ne_u16_e32 vcc, s19, v78
	v_cndmask_b32_e32 v1, v41, v78, vcc
	v_and_b32_sdwa v38, s18, v1 dst_sel:DWORD dst_unused:UNUSED_PAD src0_sel:DWORD src1_sel:WORD_0
	v_lshlrev_b32_e32 v1, 3, v38
	v_add_lshl_u32 v86, v68, v1, 2
	v_and_b32_e32 v1, 1, v38
	v_add_co_u32_e32 v39, vcc, -1, v1
	v_addc_co_u32_e64 v41, s[16:17], 0, -1, vcc
	v_cmp_ne_u32_e32 vcc, 0, v1
	v_xor_b32_e32 v1, vcc_hi, v41
	v_and_b32_e32 v41, exec_hi, v1
	v_lshlrev_b32_e32 v1, 30, v38
	v_xor_b32_e32 v39, vcc_lo, v39
	v_cmp_gt_i64_e32 vcc, 0, v[0:1]
	v_not_b32_e32 v1, v1
	v_ashrrev_i32_e32 v1, 31, v1
	v_and_b32_e32 v39, exec_lo, v39
	v_xor_b32_e32 v69, vcc_hi, v1
	v_xor_b32_e32 v1, vcc_lo, v1
	v_and_b32_e32 v39, v39, v1
	v_lshlrev_b32_e32 v1, 29, v38
	v_cmp_gt_i64_e32 vcc, 0, v[0:1]
	v_not_b32_e32 v1, v1
	v_ashrrev_i32_e32 v1, 31, v1
	v_and_b32_e32 v41, v41, v69
	v_xor_b32_e32 v69, vcc_hi, v1
	v_xor_b32_e32 v1, vcc_lo, v1
	v_and_b32_e32 v39, v39, v1
	v_lshlrev_b32_e32 v1, 28, v38
	v_cmp_gt_i64_e32 vcc, 0, v[0:1]
	v_not_b32_e32 v1, v1
	v_ashrrev_i32_e32 v1, 31, v1
	v_and_b32_e32 v41, v41, v69
	;; [unrolled: 8-line block ×5, first 2 shown]
	v_xor_b32_e32 v69, vcc_hi, v1
	v_xor_b32_e32 v1, vcc_lo, v1
	v_and_b32_e32 v39, v39, v1
	v_lshlrev_b32_e32 v1, 24, v38
	v_cmp_gt_i64_e32 vcc, 0, v[0:1]
	v_not_b32_e32 v0, v1
	v_ashrrev_i32_e32 v0, 31, v0
	v_xor_b32_e32 v1, vcc_hi, v0
	v_xor_b32_e32 v0, vcc_lo, v0
	; wave barrier
	ds_read_b32 v85, v86 offset:32
	v_and_b32_e32 v41, v41, v69
	v_and_b32_e32 v0, v39, v0
	;; [unrolled: 1-line block ×3, first 2 shown]
	v_mbcnt_lo_u32_b32 v38, v0, 0
	v_mbcnt_hi_u32_b32 v87, v1, v38
	v_cmp_eq_u32_e32 vcc, 0, v87
	v_cmp_ne_u64_e64 s[16:17], 0, v[0:1]
	s_and_b64 s[20:21], s[16:17], vcc
	; wave barrier
	s_and_saveexec_b64 s[16:17], s[20:21]
	s_cbranch_execz .LBB220_34
; %bb.33:
	v_bcnt_u32_b32 v0, v0, 0
	v_bcnt_u32_b32 v0, v1, v0
	s_waitcnt lgkmcnt(0)
	v_add_u32_e32 v0, v85, v0
	ds_write_b32 v86, v0 offset:32
.LBB220_34:
	s_or_b64 exec, exec, s[16:17]
	v_mov_b32_e32 v41, 0xffff8000
	v_cmp_ne_u16_e32 vcc, s19, v77
	v_cndmask_b32_e32 v0, v41, v77, vcc
	v_and_b32_sdwa v38, s18, v0 dst_sel:DWORD dst_unused:UNUSED_PAD src0_sel:DWORD src1_sel:WORD_0
	v_and_b32_e32 v1, 1, v38
	v_add_co_u32_e32 v39, vcc, -1, v1
	v_addc_co_u32_e64 v69, s[16:17], 0, -1, vcc
	v_cmp_ne_u32_e32 vcc, 0, v1
	v_lshlrev_b32_e32 v0, 3, v38
	v_xor_b32_e32 v1, vcc_hi, v69
	v_add_lshl_u32 v89, v68, v0, 2
	v_mov_b32_e32 v0, 0
	v_and_b32_e32 v69, exec_hi, v1
	v_lshlrev_b32_e32 v1, 30, v38
	v_xor_b32_e32 v39, vcc_lo, v39
	v_cmp_gt_i64_e32 vcc, 0, v[0:1]
	v_not_b32_e32 v1, v1
	v_ashrrev_i32_e32 v1, 31, v1
	v_and_b32_e32 v39, exec_lo, v39
	v_xor_b32_e32 v70, vcc_hi, v1
	v_xor_b32_e32 v1, vcc_lo, v1
	v_and_b32_e32 v39, v39, v1
	v_lshlrev_b32_e32 v1, 29, v38
	v_cmp_gt_i64_e32 vcc, 0, v[0:1]
	v_not_b32_e32 v1, v1
	v_ashrrev_i32_e32 v1, 31, v1
	v_and_b32_e32 v69, v69, v70
	v_xor_b32_e32 v70, vcc_hi, v1
	v_xor_b32_e32 v1, vcc_lo, v1
	v_and_b32_e32 v39, v39, v1
	v_lshlrev_b32_e32 v1, 28, v38
	v_cmp_gt_i64_e32 vcc, 0, v[0:1]
	v_not_b32_e32 v1, v1
	v_ashrrev_i32_e32 v1, 31, v1
	v_and_b32_e32 v69, v69, v70
	v_xor_b32_e32 v70, vcc_hi, v1
	v_xor_b32_e32 v1, vcc_lo, v1
	v_and_b32_e32 v39, v39, v1
	v_lshlrev_b32_e32 v1, 27, v38
	v_cmp_gt_i64_e32 vcc, 0, v[0:1]
	v_not_b32_e32 v1, v1
	v_ashrrev_i32_e32 v1, 31, v1
	v_and_b32_e32 v69, v69, v70
	v_xor_b32_e32 v70, vcc_hi, v1
	v_xor_b32_e32 v1, vcc_lo, v1
	v_and_b32_e32 v39, v39, v1
	v_lshlrev_b32_e32 v1, 26, v38
	v_cmp_gt_i64_e32 vcc, 0, v[0:1]
	v_not_b32_e32 v1, v1
	v_ashrrev_i32_e32 v1, 31, v1
	v_and_b32_e32 v69, v69, v70
	v_xor_b32_e32 v70, vcc_hi, v1
	v_xor_b32_e32 v1, vcc_lo, v1
	v_and_b32_e32 v39, v39, v1
	v_lshlrev_b32_e32 v1, 25, v38
	v_cmp_gt_i64_e32 vcc, 0, v[0:1]
	v_not_b32_e32 v1, v1
	v_ashrrev_i32_e32 v1, 31, v1
	v_and_b32_e32 v69, v69, v70
	v_xor_b32_e32 v70, vcc_hi, v1
	v_xor_b32_e32 v1, vcc_lo, v1
	v_and_b32_e32 v69, v69, v70
	v_and_b32_e32 v70, v39, v1
	v_lshlrev_b32_e32 v1, 24, v38
	v_cmp_gt_i64_e32 vcc, 0, v[0:1]
	v_not_b32_e32 v1, v1
	v_ashrrev_i32_e32 v1, 31, v1
	v_xor_b32_e32 v38, vcc_hi, v1
	v_xor_b32_e32 v1, vcc_lo, v1
	; wave barrier
	ds_read_b32 v88, v89 offset:32
	v_and_b32_e32 v39, v69, v38
	v_and_b32_e32 v38, v70, v1
	v_mbcnt_lo_u32_b32 v1, v38, 0
	v_mbcnt_hi_u32_b32 v90, v39, v1
	v_cmp_eq_u32_e32 vcc, 0, v90
	v_cmp_ne_u64_e64 s[16:17], 0, v[38:39]
	s_and_b64 s[20:21], s[16:17], vcc
	; wave barrier
	s_and_saveexec_b64 s[16:17], s[20:21]
	s_cbranch_execz .LBB220_36
; %bb.35:
	v_bcnt_u32_b32 v1, v38, 0
	v_bcnt_u32_b32 v1, v39, v1
	s_waitcnt lgkmcnt(0)
	v_add_u32_e32 v1, v88, v1
	ds_write_b32 v89, v1 offset:32
.LBB220_36:
	s_or_b64 exec, exec, s[16:17]
	v_cmp_ne_u16_e32 vcc, s19, v75
	v_cndmask_b32_e32 v1, v41, v75, vcc
	v_and_b32_sdwa v38, s18, v1 dst_sel:DWORD dst_unused:UNUSED_PAD src0_sel:DWORD src1_sel:WORD_0
	v_lshlrev_b32_e32 v1, 3, v38
	v_add_lshl_u32 v92, v68, v1, 2
	v_and_b32_e32 v1, 1, v38
	v_add_co_u32_e32 v39, vcc, -1, v1
	v_addc_co_u32_e64 v41, s[16:17], 0, -1, vcc
	v_cmp_ne_u32_e32 vcc, 0, v1
	v_xor_b32_e32 v1, vcc_hi, v41
	v_and_b32_e32 v41, exec_hi, v1
	v_lshlrev_b32_e32 v1, 30, v38
	v_xor_b32_e32 v39, vcc_lo, v39
	v_cmp_gt_i64_e32 vcc, 0, v[0:1]
	v_not_b32_e32 v1, v1
	v_ashrrev_i32_e32 v1, 31, v1
	v_and_b32_e32 v39, exec_lo, v39
	v_xor_b32_e32 v69, vcc_hi, v1
	v_xor_b32_e32 v1, vcc_lo, v1
	v_and_b32_e32 v39, v39, v1
	v_lshlrev_b32_e32 v1, 29, v38
	v_cmp_gt_i64_e32 vcc, 0, v[0:1]
	v_not_b32_e32 v1, v1
	v_ashrrev_i32_e32 v1, 31, v1
	v_and_b32_e32 v41, v41, v69
	v_xor_b32_e32 v69, vcc_hi, v1
	v_xor_b32_e32 v1, vcc_lo, v1
	v_and_b32_e32 v39, v39, v1
	v_lshlrev_b32_e32 v1, 28, v38
	v_cmp_gt_i64_e32 vcc, 0, v[0:1]
	v_not_b32_e32 v1, v1
	v_ashrrev_i32_e32 v1, 31, v1
	v_and_b32_e32 v41, v41, v69
	;; [unrolled: 8-line block ×5, first 2 shown]
	v_xor_b32_e32 v69, vcc_hi, v1
	v_xor_b32_e32 v1, vcc_lo, v1
	v_and_b32_e32 v39, v39, v1
	v_lshlrev_b32_e32 v1, 24, v38
	v_cmp_gt_i64_e32 vcc, 0, v[0:1]
	v_not_b32_e32 v0, v1
	v_ashrrev_i32_e32 v0, 31, v0
	v_xor_b32_e32 v1, vcc_hi, v0
	v_xor_b32_e32 v0, vcc_lo, v0
	; wave barrier
	ds_read_b32 v91, v92 offset:32
	v_and_b32_e32 v41, v41, v69
	v_and_b32_e32 v0, v39, v0
	;; [unrolled: 1-line block ×3, first 2 shown]
	v_mbcnt_lo_u32_b32 v38, v0, 0
	v_mbcnt_hi_u32_b32 v93, v1, v38
	v_cmp_eq_u32_e32 vcc, 0, v93
	v_cmp_ne_u64_e64 s[16:17], 0, v[0:1]
	s_and_b64 s[20:21], s[16:17], vcc
	; wave barrier
	s_and_saveexec_b64 s[16:17], s[20:21]
	s_cbranch_execz .LBB220_38
; %bb.37:
	v_bcnt_u32_b32 v0, v0, 0
	v_bcnt_u32_b32 v0, v1, v0
	s_waitcnt lgkmcnt(0)
	v_add_u32_e32 v0, v91, v0
	ds_write_b32 v92, v0 offset:32
.LBB220_38:
	s_or_b64 exec, exec, s[16:17]
	v_mov_b32_e32 v41, 0xffff8000
	v_cmp_ne_u16_e32 vcc, s19, v74
	v_cndmask_b32_e32 v0, v41, v74, vcc
	v_and_b32_sdwa v38, s18, v0 dst_sel:DWORD dst_unused:UNUSED_PAD src0_sel:DWORD src1_sel:WORD_0
	v_and_b32_e32 v1, 1, v38
	v_add_co_u32_e32 v39, vcc, -1, v1
	v_addc_co_u32_e64 v69, s[16:17], 0, -1, vcc
	v_cmp_ne_u32_e32 vcc, 0, v1
	v_lshlrev_b32_e32 v0, 3, v38
	v_xor_b32_e32 v1, vcc_hi, v69
	v_add_lshl_u32 v95, v68, v0, 2
	v_mov_b32_e32 v0, 0
	v_and_b32_e32 v69, exec_hi, v1
	v_lshlrev_b32_e32 v1, 30, v38
	v_xor_b32_e32 v39, vcc_lo, v39
	v_cmp_gt_i64_e32 vcc, 0, v[0:1]
	v_not_b32_e32 v1, v1
	v_ashrrev_i32_e32 v1, 31, v1
	v_and_b32_e32 v39, exec_lo, v39
	v_xor_b32_e32 v70, vcc_hi, v1
	v_xor_b32_e32 v1, vcc_lo, v1
	v_and_b32_e32 v39, v39, v1
	v_lshlrev_b32_e32 v1, 29, v38
	v_cmp_gt_i64_e32 vcc, 0, v[0:1]
	v_not_b32_e32 v1, v1
	v_ashrrev_i32_e32 v1, 31, v1
	v_and_b32_e32 v69, v69, v70
	v_xor_b32_e32 v70, vcc_hi, v1
	v_xor_b32_e32 v1, vcc_lo, v1
	v_and_b32_e32 v39, v39, v1
	v_lshlrev_b32_e32 v1, 28, v38
	v_cmp_gt_i64_e32 vcc, 0, v[0:1]
	v_not_b32_e32 v1, v1
	v_ashrrev_i32_e32 v1, 31, v1
	v_and_b32_e32 v69, v69, v70
	;; [unrolled: 8-line block ×5, first 2 shown]
	v_xor_b32_e32 v70, vcc_hi, v1
	v_xor_b32_e32 v1, vcc_lo, v1
	v_and_b32_e32 v69, v69, v70
	v_and_b32_e32 v70, v39, v1
	v_lshlrev_b32_e32 v1, 24, v38
	v_cmp_gt_i64_e32 vcc, 0, v[0:1]
	v_not_b32_e32 v1, v1
	v_ashrrev_i32_e32 v1, 31, v1
	v_xor_b32_e32 v38, vcc_hi, v1
	v_xor_b32_e32 v1, vcc_lo, v1
	; wave barrier
	ds_read_b32 v94, v95 offset:32
	v_and_b32_e32 v39, v69, v38
	v_and_b32_e32 v38, v70, v1
	v_mbcnt_lo_u32_b32 v1, v38, 0
	v_mbcnt_hi_u32_b32 v96, v39, v1
	v_cmp_eq_u32_e32 vcc, 0, v96
	v_cmp_ne_u64_e64 s[16:17], 0, v[38:39]
	s_and_b64 s[20:21], s[16:17], vcc
	; wave barrier
	s_and_saveexec_b64 s[16:17], s[20:21]
	s_cbranch_execz .LBB220_40
; %bb.39:
	v_bcnt_u32_b32 v1, v38, 0
	v_bcnt_u32_b32 v1, v39, v1
	s_waitcnt lgkmcnt(0)
	v_add_u32_e32 v1, v94, v1
	ds_write_b32 v95, v1 offset:32
.LBB220_40:
	s_or_b64 exec, exec, s[16:17]
	v_cmp_ne_u16_e32 vcc, s19, v73
	v_cndmask_b32_e32 v1, v41, v73, vcc
	v_and_b32_sdwa v38, s18, v1 dst_sel:DWORD dst_unused:UNUSED_PAD src0_sel:DWORD src1_sel:WORD_0
	v_lshlrev_b32_e32 v1, 3, v38
	v_add_lshl_u32 v98, v68, v1, 2
	v_and_b32_e32 v1, 1, v38
	v_add_co_u32_e32 v39, vcc, -1, v1
	v_addc_co_u32_e64 v41, s[16:17], 0, -1, vcc
	v_cmp_ne_u32_e32 vcc, 0, v1
	v_xor_b32_e32 v1, vcc_hi, v41
	v_and_b32_e32 v41, exec_hi, v1
	v_lshlrev_b32_e32 v1, 30, v38
	v_xor_b32_e32 v39, vcc_lo, v39
	v_cmp_gt_i64_e32 vcc, 0, v[0:1]
	v_not_b32_e32 v1, v1
	v_ashrrev_i32_e32 v1, 31, v1
	v_and_b32_e32 v39, exec_lo, v39
	v_xor_b32_e32 v69, vcc_hi, v1
	v_xor_b32_e32 v1, vcc_lo, v1
	v_and_b32_e32 v39, v39, v1
	v_lshlrev_b32_e32 v1, 29, v38
	v_cmp_gt_i64_e32 vcc, 0, v[0:1]
	v_not_b32_e32 v1, v1
	v_ashrrev_i32_e32 v1, 31, v1
	v_and_b32_e32 v41, v41, v69
	v_xor_b32_e32 v69, vcc_hi, v1
	v_xor_b32_e32 v1, vcc_lo, v1
	v_and_b32_e32 v39, v39, v1
	v_lshlrev_b32_e32 v1, 28, v38
	v_cmp_gt_i64_e32 vcc, 0, v[0:1]
	v_not_b32_e32 v1, v1
	v_ashrrev_i32_e32 v1, 31, v1
	v_and_b32_e32 v41, v41, v69
	;; [unrolled: 8-line block ×5, first 2 shown]
	v_xor_b32_e32 v69, vcc_hi, v1
	v_xor_b32_e32 v1, vcc_lo, v1
	v_and_b32_e32 v39, v39, v1
	v_lshlrev_b32_e32 v1, 24, v38
	v_cmp_gt_i64_e32 vcc, 0, v[0:1]
	v_not_b32_e32 v0, v1
	v_ashrrev_i32_e32 v0, 31, v0
	v_xor_b32_e32 v1, vcc_hi, v0
	v_xor_b32_e32 v0, vcc_lo, v0
	; wave barrier
	ds_read_b32 v97, v98 offset:32
	v_and_b32_e32 v41, v41, v69
	v_and_b32_e32 v0, v39, v0
	;; [unrolled: 1-line block ×3, first 2 shown]
	v_mbcnt_lo_u32_b32 v38, v0, 0
	v_mbcnt_hi_u32_b32 v99, v1, v38
	v_cmp_eq_u32_e32 vcc, 0, v99
	v_cmp_ne_u64_e64 s[16:17], 0, v[0:1]
	s_and_b64 s[20:21], s[16:17], vcc
	; wave barrier
	s_and_saveexec_b64 s[16:17], s[20:21]
	s_cbranch_execz .LBB220_42
; %bb.41:
	v_bcnt_u32_b32 v0, v0, 0
	v_bcnt_u32_b32 v0, v1, v0
	s_waitcnt lgkmcnt(0)
	v_add_u32_e32 v0, v97, v0
	ds_write_b32 v98, v0 offset:32
.LBB220_42:
	s_or_b64 exec, exec, s[16:17]
	v_mov_b32_e32 v41, 0xffff8000
	v_cmp_ne_u16_e32 vcc, s19, v72
	v_cndmask_b32_e32 v0, v41, v72, vcc
	v_and_b32_sdwa v38, s18, v0 dst_sel:DWORD dst_unused:UNUSED_PAD src0_sel:DWORD src1_sel:WORD_0
	v_and_b32_e32 v1, 1, v38
	v_add_co_u32_e32 v39, vcc, -1, v1
	v_addc_co_u32_e64 v69, s[16:17], 0, -1, vcc
	v_cmp_ne_u32_e32 vcc, 0, v1
	v_lshlrev_b32_e32 v0, 3, v38
	v_xor_b32_e32 v1, vcc_hi, v69
	v_add_lshl_u32 v101, v68, v0, 2
	v_mov_b32_e32 v0, 0
	v_and_b32_e32 v69, exec_hi, v1
	v_lshlrev_b32_e32 v1, 30, v38
	v_xor_b32_e32 v39, vcc_lo, v39
	v_cmp_gt_i64_e32 vcc, 0, v[0:1]
	v_not_b32_e32 v1, v1
	v_ashrrev_i32_e32 v1, 31, v1
	v_and_b32_e32 v39, exec_lo, v39
	v_xor_b32_e32 v70, vcc_hi, v1
	v_xor_b32_e32 v1, vcc_lo, v1
	v_and_b32_e32 v39, v39, v1
	v_lshlrev_b32_e32 v1, 29, v38
	v_cmp_gt_i64_e32 vcc, 0, v[0:1]
	v_not_b32_e32 v1, v1
	v_ashrrev_i32_e32 v1, 31, v1
	v_and_b32_e32 v69, v69, v70
	v_xor_b32_e32 v70, vcc_hi, v1
	v_xor_b32_e32 v1, vcc_lo, v1
	v_and_b32_e32 v39, v39, v1
	v_lshlrev_b32_e32 v1, 28, v38
	v_cmp_gt_i64_e32 vcc, 0, v[0:1]
	v_not_b32_e32 v1, v1
	v_ashrrev_i32_e32 v1, 31, v1
	v_and_b32_e32 v69, v69, v70
	;; [unrolled: 8-line block ×5, first 2 shown]
	v_xor_b32_e32 v70, vcc_hi, v1
	v_xor_b32_e32 v1, vcc_lo, v1
	v_and_b32_e32 v69, v69, v70
	v_and_b32_e32 v70, v39, v1
	v_lshlrev_b32_e32 v1, 24, v38
	v_cmp_gt_i64_e32 vcc, 0, v[0:1]
	v_not_b32_e32 v1, v1
	v_ashrrev_i32_e32 v1, 31, v1
	v_xor_b32_e32 v38, vcc_hi, v1
	v_xor_b32_e32 v1, vcc_lo, v1
	; wave barrier
	ds_read_b32 v100, v101 offset:32
	v_and_b32_e32 v39, v69, v38
	v_and_b32_e32 v38, v70, v1
	v_mbcnt_lo_u32_b32 v1, v38, 0
	v_mbcnt_hi_u32_b32 v102, v39, v1
	v_cmp_eq_u32_e32 vcc, 0, v102
	v_cmp_ne_u64_e64 s[16:17], 0, v[38:39]
	s_and_b64 s[20:21], s[16:17], vcc
	; wave barrier
	s_and_saveexec_b64 s[16:17], s[20:21]
	s_cbranch_execz .LBB220_44
; %bb.43:
	v_bcnt_u32_b32 v1, v38, 0
	v_bcnt_u32_b32 v1, v39, v1
	s_waitcnt lgkmcnt(0)
	v_add_u32_e32 v1, v100, v1
	ds_write_b32 v101, v1 offset:32
.LBB220_44:
	s_or_b64 exec, exec, s[16:17]
	v_cmp_ne_u16_e32 vcc, s19, v71
	v_cndmask_b32_e32 v1, v41, v71, vcc
	v_and_b32_sdwa v38, s18, v1 dst_sel:DWORD dst_unused:UNUSED_PAD src0_sel:DWORD src1_sel:WORD_0
	v_lshlrev_b32_e32 v1, 3, v38
	v_add_lshl_u32 v104, v68, v1, 2
	v_and_b32_e32 v1, 1, v38
	v_add_co_u32_e32 v39, vcc, -1, v1
	v_min_u32_e32 v80, 0x1c0, v40
	v_addc_co_u32_e64 v40, s[16:17], 0, -1, vcc
	v_cmp_ne_u32_e32 vcc, 0, v1
	v_xor_b32_e32 v1, vcc_hi, v40
	v_and_b32_e32 v40, exec_hi, v1
	v_lshlrev_b32_e32 v1, 30, v38
	v_xor_b32_e32 v39, vcc_lo, v39
	v_cmp_gt_i64_e32 vcc, 0, v[0:1]
	v_not_b32_e32 v1, v1
	v_ashrrev_i32_e32 v1, 31, v1
	v_and_b32_e32 v39, exec_lo, v39
	v_xor_b32_e32 v41, vcc_hi, v1
	v_xor_b32_e32 v1, vcc_lo, v1
	v_and_b32_e32 v39, v39, v1
	v_lshlrev_b32_e32 v1, 29, v38
	v_cmp_gt_i64_e32 vcc, 0, v[0:1]
	v_not_b32_e32 v1, v1
	v_ashrrev_i32_e32 v1, 31, v1
	v_and_b32_e32 v40, v40, v41
	v_xor_b32_e32 v41, vcc_hi, v1
	v_xor_b32_e32 v1, vcc_lo, v1
	v_and_b32_e32 v39, v39, v1
	v_lshlrev_b32_e32 v1, 28, v38
	v_cmp_gt_i64_e32 vcc, 0, v[0:1]
	v_not_b32_e32 v1, v1
	v_ashrrev_i32_e32 v1, 31, v1
	v_and_b32_e32 v40, v40, v41
	;; [unrolled: 8-line block ×5, first 2 shown]
	v_xor_b32_e32 v41, vcc_hi, v1
	v_xor_b32_e32 v1, vcc_lo, v1
	v_and_b32_e32 v39, v39, v1
	v_lshlrev_b32_e32 v1, 24, v38
	v_cmp_gt_i64_e32 vcc, 0, v[0:1]
	v_not_b32_e32 v0, v1
	v_ashrrev_i32_e32 v0, 31, v0
	v_xor_b32_e32 v1, vcc_hi, v0
	v_xor_b32_e32 v0, vcc_lo, v0
	; wave barrier
	ds_read_b32 v103, v104 offset:32
	v_and_b32_e32 v40, v40, v41
	v_and_b32_e32 v0, v39, v0
	;; [unrolled: 1-line block ×3, first 2 shown]
	v_mbcnt_lo_u32_b32 v38, v0, 0
	v_mbcnt_hi_u32_b32 v105, v1, v38
	v_cmp_eq_u32_e32 vcc, 0, v105
	v_cmp_ne_u64_e64 s[16:17], 0, v[0:1]
	v_add_u32_e32 v69, 32, v64
	v_lshrrev_b32_e32 v70, 6, v46
	s_and_b64 s[18:19], s[16:17], vcc
	; wave barrier
	s_and_saveexec_b64 s[16:17], s[18:19]
	s_cbranch_execz .LBB220_46
; %bb.45:
	v_bcnt_u32_b32 v0, v0, 0
	v_bcnt_u32_b32 v0, v1, v0
	s_waitcnt lgkmcnt(0)
	v_add_u32_e32 v0, v103, v0
	ds_write_b32 v104, v0 offset:32
.LBB220_46:
	s_or_b64 exec, exec, s[16:17]
	; wave barrier
	s_waitcnt lgkmcnt(0)
	s_barrier
	ds_read2_b32 v[38:39], v64 offset0:8 offset1:9
	ds_read2_b32 v[40:41], v69 offset0:2 offset1:3
	v_and_b32_e32 v1, 16, v76
	v_cmp_eq_u32_e32 vcc, 0, v1
	v_or_b32_e32 v1, 63, v80
	v_cmp_eq_u32_e64 s[16:17], v1, v46
	s_waitcnt lgkmcnt(1)
	v_add_u32_e32 v1, v39, v38
	v_and_b32_e32 v0, 15, v76
	s_waitcnt lgkmcnt(0)
	v_add3_u32 v1, v1, v40, v41
	v_cmp_eq_u32_e64 s[24:25], 0, v0
	v_cmp_lt_u32_e64 s[26:27], 1, v0
	v_mov_b32_dpp v41, v1 row_shr:1 row_mask:0xf bank_mask:0xf
	v_cndmask_b32_e64 v41, v41, 0, s[24:25]
	v_add_u32_e32 v1, v41, v1
	v_cmp_lt_u32_e64 s[30:31], 3, v0
	v_cmp_lt_u32_e64 s[34:35], 7, v0
	v_mov_b32_dpp v41, v1 row_shr:2 row_mask:0xf bank_mask:0xf
	v_cndmask_b32_e64 v41, 0, v41, s[26:27]
	v_add_u32_e32 v1, v1, v41
	v_bfe_i32 v81, v76, 4, 1
	v_cmp_lt_u32_e64 s[36:37], 31, v76
	v_mov_b32_dpp v41, v1 row_shr:4 row_mask:0xf bank_mask:0xf
	v_cndmask_b32_e64 v41, 0, v41, s[30:31]
	v_add_u32_e32 v1, v1, v41
	v_lshlrev_b32_e32 v70, 2, v70
	s_nop 0
	v_mov_b32_dpp v41, v1 row_shr:8 row_mask:0xf bank_mask:0xf
	v_cndmask_b32_e64 v0, 0, v41, s[34:35]
	v_add_u32_e32 v0, v1, v0
	s_nop 1
	v_mov_b32_dpp v1, v0 row_bcast:15 row_mask:0xf bank_mask:0xf
	v_and_b32_e32 v1, v81, v1
	v_add_u32_e32 v0, v0, v1
	s_nop 1
	v_mov_b32_dpp v1, v0 row_bcast:31 row_mask:0xf bank_mask:0xf
	v_cndmask_b32_e64 v1, 0, v1, s[36:37]
	v_add_u32_e32 v1, v0, v1
	s_and_saveexec_b64 s[18:19], s[16:17]
	s_cbranch_execz .LBB220_48
; %bb.47:
	ds_write_b32 v70, v1
.LBB220_48:
	s_or_b64 exec, exec, s[18:19]
	v_and_b32_e32 v0, 7, v76
	v_cmp_gt_u32_e64 s[28:29], 8, v46
	v_lshlrev_b32_e32 v41, 2, v46
	v_cmp_eq_u32_e64 s[22:23], 0, v0
	v_cmp_lt_u32_e64 s[20:21], 1, v0
	v_cmp_lt_u32_e64 s[18:19], 3, v0
	s_waitcnt lgkmcnt(0)
	s_barrier
	s_and_saveexec_b64 s[38:39], s[28:29]
	s_cbranch_execz .LBB220_50
; %bb.49:
	ds_read_b32 v0, v41
	s_waitcnt lgkmcnt(0)
	s_nop 0
	v_mov_b32_dpp v80, v0 row_shr:1 row_mask:0xf bank_mask:0xf
	v_cndmask_b32_e64 v80, v80, 0, s[22:23]
	v_add_u32_e32 v0, v80, v0
	s_nop 1
	v_mov_b32_dpp v80, v0 row_shr:2 row_mask:0xf bank_mask:0xf
	v_cndmask_b32_e64 v80, 0, v80, s[20:21]
	v_add_u32_e32 v0, v0, v80
	;; [unrolled: 4-line block ×3, first 2 shown]
	ds_write_b32 v41, v0
.LBB220_50:
	s_or_b64 exec, exec, s[38:39]
	v_cmp_lt_u32_e64 s[38:39], 63, v46
	v_add_u32_e32 v80, -4, v70
	v_mov_b32_e32 v0, 0
	v_mov_b32_e32 v106, 0
	s_waitcnt lgkmcnt(0)
	s_barrier
	s_and_saveexec_b64 s[40:41], s[38:39]
	s_cbranch_execz .LBB220_52
; %bb.51:
	ds_read_b32 v106, v80
.LBB220_52:
	s_or_b64 exec, exec, s[40:41]
	v_add_u32_e32 v81, -1, v76
	v_and_b32_e32 v107, 64, v76
	v_cmp_lt_i32_e64 s[40:41], v81, v107
	v_cndmask_b32_e64 v81, v81, v76, s[40:41]
	v_lshlrev_b32_e32 v81, 2, v81
	s_waitcnt lgkmcnt(0)
	v_add_u32_e32 v1, v106, v1
	ds_bpermute_b32 v1, v81, v1
	v_cmp_eq_u32_e64 s[40:41], 0, v76
	v_cmp_eq_u32_e64 s[42:43], 0, v46
	v_and_or_b32 v82, v76, 63, v82
	v_lshlrev_b32_e32 v107, 1, v82
	s_waitcnt lgkmcnt(0)
	v_cndmask_b32_e64 v1, v1, v106, s[40:41]
	v_cndmask_b32_e64 v1, v1, 0, s[42:43]
	v_add_u32_e32 v38, v1, v38
	v_add_u32_e32 v39, v38, v39
	;; [unrolled: 1-line block ×3, first 2 shown]
	ds_write2_b32 v64, v1, v38 offset0:8 offset1:9
	ds_write2_b32 v69, v39, v40 offset0:2 offset1:3
	s_waitcnt lgkmcnt(0)
	s_barrier
	ds_read_b32 v1, v83 offset:32
	ds_read_b32 v38, v86 offset:32
	ds_read_b32 v39, v89 offset:32
	ds_read_b32 v40, v92 offset:32
	ds_read_b32 v76, v95 offset:32
	ds_read_b32 v83, v98 offset:32
	ds_read_b32 v86, v101 offset:32
	ds_read_b32 v89, v104 offset:32
	s_waitcnt lgkmcnt(7)
	v_add_u32_e32 v1, v1, v84
	s_waitcnt lgkmcnt(6)
	v_add3_u32 v38, v87, v85, v38
	s_waitcnt lgkmcnt(4)
	v_add3_u32 v84, v93, v91, v40
	v_lshlrev_b32_e32 v40, 1, v1
	v_add3_u32 v39, v90, v88, v39
	s_waitcnt lgkmcnt(0)
	s_barrier
	ds_write_b16 v40, v79
	v_lshlrev_b32_e32 v40, 1, v38
	ds_write_b16 v40, v78
	v_lshlrev_b32_e32 v40, 1, v39
	v_add3_u32 v85, v96, v94, v76
	ds_write_b16 v40, v77
	v_lshlrev_b32_e32 v40, 1, v84
	v_add3_u32 v83, v99, v97, v83
	;; [unrolled: 3-line block ×4, first 2 shown]
	ds_write_b16 v40, v73
	v_lshlrev_b32_e32 v40, 1, v86
	ds_write_b16 v40, v72
	v_lshlrev_b32_e32 v40, 1, v87
	v_lshlrev_b32_e32 v1, 3, v1
	ds_write_b16 v40, v71
	s_waitcnt lgkmcnt(0)
	s_barrier
	ds_read_u16 v77, v107
	ds_read_u16 v76, v107 offset:128
	ds_read_u16 v75, v107 offset:256
	;; [unrolled: 1-line block ×7, first 2 shown]
	s_waitcnt lgkmcnt(0)
	s_barrier
	ds_write_b64 v1, v[34:35]
	v_lshlrev_b32_e32 v1, 3, v38
	ds_write_b64 v1, v[36:37]
	v_lshlrev_b32_e32 v1, 3, v39
	;; [unrolled: 2-line block ×6, first 2 shown]
	s_min_u32 s44, s44, 8
	ds_write_b64 v1, v[22:23]
	v_lshlrev_b32_e32 v1, 3, v87
	s_lshl_b32 s44, -1, s44
	s_movk_i32 s56, 0x7fff
	ds_write_b64 v1, v[24:25]
	s_not_b32 s53, s44
	v_lshrrev_b16_e32 v1, 8, v77
	v_mov_b32_e32 v38, 0x80
	v_cmp_ne_u16_e64 s[44:45], s56, v77
	v_cndmask_b32_e64 v1, v38, v1, s[44:45]
	v_and_b32_sdwa v39, v1, s53 dst_sel:DWORD dst_unused:UNUSED_PAD src0_sel:WORD_0 src1_sel:DWORD
	v_lshlrev_b32_e32 v1, 3, v39
	v_add_lshl_u32 v78, v1, v68, 2
	v_and_b32_e32 v1, 1, v39
	v_lshlrev_b32_e32 v82, 3, v82
	v_add_co_u32_e64 v79, s[44:45], -1, v1
	s_waitcnt lgkmcnt(0)
	s_barrier
	ds_read2st64_b64 v[34:37], v82 offset1:1
	ds_read2st64_b64 v[30:33], v82 offset0:2 offset1:3
	ds_read2st64_b64 v[26:29], v82 offset0:4 offset1:5
	;; [unrolled: 1-line block ×3, first 2 shown]
	v_addc_co_u32_e64 v82, s[44:45], 0, -1, s[44:45]
	v_cmp_ne_u32_e64 s[44:45], 0, v1
	v_xor_b32_e32 v1, s45, v82
	v_and_b32_e32 v82, exec_hi, v1
	v_lshlrev_b32_e32 v1, 30, v39
	v_xor_b32_e32 v79, s44, v79
	v_cmp_gt_i64_e64 s[44:45], 0, v[0:1]
	v_not_b32_e32 v1, v1
	v_ashrrev_i32_e32 v1, 31, v1
	v_and_b32_e32 v79, exec_lo, v79
	v_xor_b32_e32 v83, s45, v1
	v_xor_b32_e32 v1, s44, v1
	v_and_b32_e32 v79, v79, v1
	v_lshlrev_b32_e32 v1, 29, v39
	v_cmp_gt_i64_e64 s[44:45], 0, v[0:1]
	v_not_b32_e32 v1, v1
	v_ashrrev_i32_e32 v1, 31, v1
	v_and_b32_e32 v82, v82, v83
	v_xor_b32_e32 v83, s45, v1
	v_xor_b32_e32 v1, s44, v1
	v_and_b32_e32 v79, v79, v1
	v_lshlrev_b32_e32 v1, 28, v39
	v_cmp_gt_i64_e64 s[44:45], 0, v[0:1]
	v_not_b32_e32 v1, v1
	v_ashrrev_i32_e32 v1, 31, v1
	v_and_b32_e32 v82, v82, v83
	v_xor_b32_e32 v83, s45, v1
	v_xor_b32_e32 v1, s44, v1
	v_and_b32_e32 v79, v79, v1
	v_lshlrev_b32_e32 v1, 27, v39
	v_cmp_gt_i64_e64 s[44:45], 0, v[0:1]
	v_not_b32_e32 v1, v1
	v_ashrrev_i32_e32 v1, 31, v1
	v_and_b32_e32 v82, v82, v83
	v_xor_b32_e32 v83, s45, v1
	v_xor_b32_e32 v1, s44, v1
	v_and_b32_e32 v79, v79, v1
	v_lshlrev_b32_e32 v1, 26, v39
	v_cmp_gt_i64_e64 s[44:45], 0, v[0:1]
	v_not_b32_e32 v1, v1
	v_ashrrev_i32_e32 v1, 31, v1
	v_and_b32_e32 v82, v82, v83
	v_xor_b32_e32 v83, s45, v1
	v_xor_b32_e32 v1, s44, v1
	v_and_b32_e32 v79, v79, v1
	v_lshlrev_b32_e32 v1, 25, v39
	v_cmp_gt_i64_e64 s[44:45], 0, v[0:1]
	v_not_b32_e32 v1, v1
	v_ashrrev_i32_e32 v1, 31, v1
	v_and_b32_e32 v82, v82, v83
	v_xor_b32_e32 v83, s45, v1
	v_xor_b32_e32 v1, s44, v1
	v_and_b32_e32 v79, v79, v1
	v_lshlrev_b32_e32 v1, 24, v39
	s_waitcnt lgkmcnt(0)
	s_barrier
	ds_write2_b32 v64, v0, v0 offset0:8 offset1:9
	ds_write2_b32 v69, v0, v0 offset0:2 offset1:3
	v_cmp_gt_i64_e64 s[44:45], 0, v[0:1]
	v_not_b32_e32 v0, v1
	v_ashrrev_i32_e32 v0, 31, v0
	v_xor_b32_e32 v1, s45, v0
	v_xor_b32_e32 v0, s44, v0
	v_and_b32_e32 v82, v82, v83
	v_and_b32_e32 v0, v79, v0
	;; [unrolled: 1-line block ×3, first 2 shown]
	v_mbcnt_lo_u32_b32 v39, v0, 0
	v_mbcnt_hi_u32_b32 v79, v1, v39
	v_cmp_eq_u32_e64 s[44:45], 0, v79
	v_cmp_ne_u64_e64 s[46:47], 0, v[0:1]
	s_and_b64 s[46:47], s[46:47], s[44:45]
	s_waitcnt lgkmcnt(0)
	s_barrier
	s_waitcnt lgkmcnt(0)
	; wave barrier
	s_and_saveexec_b64 s[44:45], s[46:47]
	s_cbranch_execz .LBB220_54
; %bb.53:
	v_bcnt_u32_b32 v0, v0, 0
	v_bcnt_u32_b32 v0, v1, v0
	ds_write_b32 v78, v0 offset:32
.LBB220_54:
	s_or_b64 exec, exec, s[44:45]
	v_lshrrev_b16_e32 v0, 8, v76
	v_cmp_ne_u16_e64 s[44:45], s56, v76
	v_cndmask_b32_e64 v0, v38, v0, s[44:45]
	v_and_b32_e32 v38, s53, v0
	v_and_b32_e32 v1, 1, v38
	v_add_co_u32_e64 v39, s[44:45], -1, v1
	v_addc_co_u32_e64 v84, s[44:45], 0, -1, s[44:45]
	v_cmp_ne_u32_e64 s[44:45], 0, v1
	v_lshlrev_b32_e32 v0, 3, v38
	v_xor_b32_e32 v1, s45, v84
	v_add_lshl_u32 v83, v0, v68, 2
	v_mov_b32_e32 v0, 0
	v_and_b32_e32 v84, exec_hi, v1
	v_lshlrev_b32_e32 v1, 30, v38
	v_xor_b32_e32 v39, s44, v39
	v_cmp_gt_i64_e64 s[44:45], 0, v[0:1]
	v_not_b32_e32 v1, v1
	v_ashrrev_i32_e32 v1, 31, v1
	v_and_b32_e32 v39, exec_lo, v39
	v_xor_b32_e32 v85, s45, v1
	v_xor_b32_e32 v1, s44, v1
	v_and_b32_e32 v39, v39, v1
	v_lshlrev_b32_e32 v1, 29, v38
	v_cmp_gt_i64_e64 s[44:45], 0, v[0:1]
	v_not_b32_e32 v1, v1
	v_ashrrev_i32_e32 v1, 31, v1
	v_and_b32_e32 v84, v84, v85
	v_xor_b32_e32 v85, s45, v1
	v_xor_b32_e32 v1, s44, v1
	v_and_b32_e32 v39, v39, v1
	v_lshlrev_b32_e32 v1, 28, v38
	v_cmp_gt_i64_e64 s[44:45], 0, v[0:1]
	v_not_b32_e32 v1, v1
	v_ashrrev_i32_e32 v1, 31, v1
	v_and_b32_e32 v84, v84, v85
	;; [unrolled: 8-line block ×5, first 2 shown]
	v_xor_b32_e32 v85, s45, v1
	v_xor_b32_e32 v1, s44, v1
	v_and_b32_e32 v84, v84, v85
	v_and_b32_e32 v85, v39, v1
	v_lshlrev_b32_e32 v1, 24, v38
	v_cmp_gt_i64_e64 s[44:45], 0, v[0:1]
	v_not_b32_e32 v1, v1
	v_ashrrev_i32_e32 v1, 31, v1
	v_xor_b32_e32 v38, s45, v1
	v_xor_b32_e32 v1, s44, v1
	; wave barrier
	ds_read_b32 v82, v83 offset:32
	v_and_b32_e32 v39, v84, v38
	v_and_b32_e32 v38, v85, v1
	v_mbcnt_lo_u32_b32 v1, v38, 0
	v_mbcnt_hi_u32_b32 v84, v39, v1
	v_cmp_eq_u32_e64 s[44:45], 0, v84
	v_cmp_ne_u64_e64 s[46:47], 0, v[38:39]
	s_and_b64 s[46:47], s[46:47], s[44:45]
	; wave barrier
	s_and_saveexec_b64 s[44:45], s[46:47]
	s_cbranch_execz .LBB220_56
; %bb.55:
	v_bcnt_u32_b32 v1, v38, 0
	v_bcnt_u32_b32 v1, v39, v1
	s_waitcnt lgkmcnt(0)
	v_add_u32_e32 v1, v82, v1
	ds_write_b32 v83, v1 offset:32
.LBB220_56:
	s_or_b64 exec, exec, s[44:45]
	v_lshrrev_b16_e32 v1, 8, v75
	v_mov_b32_e32 v38, 0x80
	v_cmp_ne_u16_e64 s[44:45], s56, v75
	v_cndmask_b32_e64 v1, v38, v1, s[44:45]
	v_and_b32_e32 v39, s53, v1
	v_lshlrev_b32_e32 v1, 3, v39
	v_add_lshl_u32 v86, v1, v68, 2
	v_and_b32_e32 v1, 1, v39
	v_add_co_u32_e64 v87, s[44:45], -1, v1
	v_addc_co_u32_e64 v88, s[44:45], 0, -1, s[44:45]
	v_cmp_ne_u32_e64 s[44:45], 0, v1
	v_xor_b32_e32 v1, s45, v88
	v_and_b32_e32 v88, exec_hi, v1
	v_lshlrev_b32_e32 v1, 30, v39
	v_xor_b32_e32 v87, s44, v87
	v_cmp_gt_i64_e64 s[44:45], 0, v[0:1]
	v_not_b32_e32 v1, v1
	v_ashrrev_i32_e32 v1, 31, v1
	v_and_b32_e32 v87, exec_lo, v87
	v_xor_b32_e32 v89, s45, v1
	v_xor_b32_e32 v1, s44, v1
	v_and_b32_e32 v87, v87, v1
	v_lshlrev_b32_e32 v1, 29, v39
	v_cmp_gt_i64_e64 s[44:45], 0, v[0:1]
	v_not_b32_e32 v1, v1
	v_ashrrev_i32_e32 v1, 31, v1
	v_and_b32_e32 v88, v88, v89
	v_xor_b32_e32 v89, s45, v1
	v_xor_b32_e32 v1, s44, v1
	v_and_b32_e32 v87, v87, v1
	v_lshlrev_b32_e32 v1, 28, v39
	v_cmp_gt_i64_e64 s[44:45], 0, v[0:1]
	v_not_b32_e32 v1, v1
	v_ashrrev_i32_e32 v1, 31, v1
	v_and_b32_e32 v88, v88, v89
	;; [unrolled: 8-line block ×5, first 2 shown]
	v_xor_b32_e32 v89, s45, v1
	v_xor_b32_e32 v1, s44, v1
	v_and_b32_e32 v87, v87, v1
	v_lshlrev_b32_e32 v1, 24, v39
	v_cmp_gt_i64_e64 s[44:45], 0, v[0:1]
	v_not_b32_e32 v0, v1
	v_ashrrev_i32_e32 v0, 31, v0
	v_xor_b32_e32 v1, s45, v0
	v_xor_b32_e32 v0, s44, v0
	; wave barrier
	ds_read_b32 v85, v86 offset:32
	v_and_b32_e32 v88, v88, v89
	v_and_b32_e32 v0, v87, v0
	;; [unrolled: 1-line block ×3, first 2 shown]
	v_mbcnt_lo_u32_b32 v39, v0, 0
	v_mbcnt_hi_u32_b32 v87, v1, v39
	v_cmp_eq_u32_e64 s[44:45], 0, v87
	v_cmp_ne_u64_e64 s[46:47], 0, v[0:1]
	s_and_b64 s[46:47], s[46:47], s[44:45]
	; wave barrier
	s_and_saveexec_b64 s[44:45], s[46:47]
	s_cbranch_execz .LBB220_58
; %bb.57:
	v_bcnt_u32_b32 v0, v0, 0
	v_bcnt_u32_b32 v0, v1, v0
	s_waitcnt lgkmcnt(0)
	v_add_u32_e32 v0, v85, v0
	ds_write_b32 v86, v0 offset:32
.LBB220_58:
	s_or_b64 exec, exec, s[44:45]
	v_lshrrev_b16_e32 v0, 8, v74
	v_cmp_ne_u16_e64 s[44:45], s56, v74
	v_cndmask_b32_e64 v0, v38, v0, s[44:45]
	v_and_b32_e32 v38, s53, v0
	v_and_b32_e32 v1, 1, v38
	v_add_co_u32_e64 v39, s[44:45], -1, v1
	v_addc_co_u32_e64 v90, s[44:45], 0, -1, s[44:45]
	v_cmp_ne_u32_e64 s[44:45], 0, v1
	v_lshlrev_b32_e32 v0, 3, v38
	v_xor_b32_e32 v1, s45, v90
	v_add_lshl_u32 v89, v0, v68, 2
	v_mov_b32_e32 v0, 0
	v_and_b32_e32 v90, exec_hi, v1
	v_lshlrev_b32_e32 v1, 30, v38
	v_xor_b32_e32 v39, s44, v39
	v_cmp_gt_i64_e64 s[44:45], 0, v[0:1]
	v_not_b32_e32 v1, v1
	v_ashrrev_i32_e32 v1, 31, v1
	v_and_b32_e32 v39, exec_lo, v39
	v_xor_b32_e32 v91, s45, v1
	v_xor_b32_e32 v1, s44, v1
	v_and_b32_e32 v39, v39, v1
	v_lshlrev_b32_e32 v1, 29, v38
	v_cmp_gt_i64_e64 s[44:45], 0, v[0:1]
	v_not_b32_e32 v1, v1
	v_ashrrev_i32_e32 v1, 31, v1
	v_and_b32_e32 v90, v90, v91
	v_xor_b32_e32 v91, s45, v1
	v_xor_b32_e32 v1, s44, v1
	v_and_b32_e32 v39, v39, v1
	v_lshlrev_b32_e32 v1, 28, v38
	v_cmp_gt_i64_e64 s[44:45], 0, v[0:1]
	v_not_b32_e32 v1, v1
	v_ashrrev_i32_e32 v1, 31, v1
	v_and_b32_e32 v90, v90, v91
	;; [unrolled: 8-line block ×5, first 2 shown]
	v_xor_b32_e32 v91, s45, v1
	v_xor_b32_e32 v1, s44, v1
	v_and_b32_e32 v90, v90, v91
	v_and_b32_e32 v91, v39, v1
	v_lshlrev_b32_e32 v1, 24, v38
	v_cmp_gt_i64_e64 s[44:45], 0, v[0:1]
	v_not_b32_e32 v1, v1
	v_ashrrev_i32_e32 v1, 31, v1
	v_xor_b32_e32 v38, s45, v1
	v_xor_b32_e32 v1, s44, v1
	; wave barrier
	ds_read_b32 v88, v89 offset:32
	v_and_b32_e32 v39, v90, v38
	v_and_b32_e32 v38, v91, v1
	v_mbcnt_lo_u32_b32 v1, v38, 0
	v_mbcnt_hi_u32_b32 v90, v39, v1
	v_cmp_eq_u32_e64 s[44:45], 0, v90
	v_cmp_ne_u64_e64 s[46:47], 0, v[38:39]
	s_and_b64 s[46:47], s[46:47], s[44:45]
	; wave barrier
	s_and_saveexec_b64 s[44:45], s[46:47]
	s_cbranch_execz .LBB220_60
; %bb.59:
	v_bcnt_u32_b32 v1, v38, 0
	v_bcnt_u32_b32 v1, v39, v1
	s_waitcnt lgkmcnt(0)
	v_add_u32_e32 v1, v88, v1
	ds_write_b32 v89, v1 offset:32
.LBB220_60:
	s_or_b64 exec, exec, s[44:45]
	v_lshrrev_b16_e32 v1, 8, v73
	v_mov_b32_e32 v38, 0x80
	v_cmp_ne_u16_e64 s[44:45], s56, v73
	v_cndmask_b32_e64 v1, v38, v1, s[44:45]
	v_and_b32_e32 v39, s53, v1
	v_lshlrev_b32_e32 v1, 3, v39
	v_add_lshl_u32 v92, v1, v68, 2
	v_and_b32_e32 v1, 1, v39
	v_add_co_u32_e64 v93, s[44:45], -1, v1
	v_addc_co_u32_e64 v94, s[44:45], 0, -1, s[44:45]
	v_cmp_ne_u32_e64 s[44:45], 0, v1
	v_xor_b32_e32 v1, s45, v94
	v_and_b32_e32 v94, exec_hi, v1
	v_lshlrev_b32_e32 v1, 30, v39
	v_xor_b32_e32 v93, s44, v93
	v_cmp_gt_i64_e64 s[44:45], 0, v[0:1]
	v_not_b32_e32 v1, v1
	v_ashrrev_i32_e32 v1, 31, v1
	v_and_b32_e32 v93, exec_lo, v93
	v_xor_b32_e32 v95, s45, v1
	v_xor_b32_e32 v1, s44, v1
	v_and_b32_e32 v93, v93, v1
	v_lshlrev_b32_e32 v1, 29, v39
	v_cmp_gt_i64_e64 s[44:45], 0, v[0:1]
	v_not_b32_e32 v1, v1
	v_ashrrev_i32_e32 v1, 31, v1
	v_and_b32_e32 v94, v94, v95
	v_xor_b32_e32 v95, s45, v1
	v_xor_b32_e32 v1, s44, v1
	v_and_b32_e32 v93, v93, v1
	v_lshlrev_b32_e32 v1, 28, v39
	v_cmp_gt_i64_e64 s[44:45], 0, v[0:1]
	v_not_b32_e32 v1, v1
	v_ashrrev_i32_e32 v1, 31, v1
	v_and_b32_e32 v94, v94, v95
	;; [unrolled: 8-line block ×5, first 2 shown]
	v_xor_b32_e32 v95, s45, v1
	v_xor_b32_e32 v1, s44, v1
	v_and_b32_e32 v93, v93, v1
	v_lshlrev_b32_e32 v1, 24, v39
	v_cmp_gt_i64_e64 s[44:45], 0, v[0:1]
	v_not_b32_e32 v0, v1
	v_ashrrev_i32_e32 v0, 31, v0
	v_xor_b32_e32 v1, s45, v0
	v_xor_b32_e32 v0, s44, v0
	; wave barrier
	ds_read_b32 v91, v92 offset:32
	v_and_b32_e32 v94, v94, v95
	v_and_b32_e32 v0, v93, v0
	;; [unrolled: 1-line block ×3, first 2 shown]
	v_mbcnt_lo_u32_b32 v39, v0, 0
	v_mbcnt_hi_u32_b32 v93, v1, v39
	v_cmp_eq_u32_e64 s[44:45], 0, v93
	v_cmp_ne_u64_e64 s[46:47], 0, v[0:1]
	s_and_b64 s[46:47], s[46:47], s[44:45]
	; wave barrier
	s_and_saveexec_b64 s[44:45], s[46:47]
	s_cbranch_execz .LBB220_62
; %bb.61:
	v_bcnt_u32_b32 v0, v0, 0
	v_bcnt_u32_b32 v0, v1, v0
	s_waitcnt lgkmcnt(0)
	v_add_u32_e32 v0, v91, v0
	ds_write_b32 v92, v0 offset:32
.LBB220_62:
	s_or_b64 exec, exec, s[44:45]
	v_lshrrev_b16_e32 v0, 8, v72
	v_cmp_ne_u16_e64 s[44:45], s56, v72
	v_cndmask_b32_e64 v0, v38, v0, s[44:45]
	v_and_b32_e32 v38, s53, v0
	v_and_b32_e32 v1, 1, v38
	v_add_co_u32_e64 v39, s[44:45], -1, v1
	v_addc_co_u32_e64 v96, s[44:45], 0, -1, s[44:45]
	v_cmp_ne_u32_e64 s[44:45], 0, v1
	v_lshlrev_b32_e32 v0, 3, v38
	v_xor_b32_e32 v1, s45, v96
	v_add_lshl_u32 v95, v0, v68, 2
	v_mov_b32_e32 v0, 0
	v_and_b32_e32 v96, exec_hi, v1
	v_lshlrev_b32_e32 v1, 30, v38
	v_xor_b32_e32 v39, s44, v39
	v_cmp_gt_i64_e64 s[44:45], 0, v[0:1]
	v_not_b32_e32 v1, v1
	v_ashrrev_i32_e32 v1, 31, v1
	v_and_b32_e32 v39, exec_lo, v39
	v_xor_b32_e32 v97, s45, v1
	v_xor_b32_e32 v1, s44, v1
	v_and_b32_e32 v39, v39, v1
	v_lshlrev_b32_e32 v1, 29, v38
	v_cmp_gt_i64_e64 s[44:45], 0, v[0:1]
	v_not_b32_e32 v1, v1
	v_ashrrev_i32_e32 v1, 31, v1
	v_and_b32_e32 v96, v96, v97
	v_xor_b32_e32 v97, s45, v1
	v_xor_b32_e32 v1, s44, v1
	v_and_b32_e32 v39, v39, v1
	v_lshlrev_b32_e32 v1, 28, v38
	v_cmp_gt_i64_e64 s[44:45], 0, v[0:1]
	v_not_b32_e32 v1, v1
	v_ashrrev_i32_e32 v1, 31, v1
	v_and_b32_e32 v96, v96, v97
	;; [unrolled: 8-line block ×5, first 2 shown]
	v_xor_b32_e32 v97, s45, v1
	v_xor_b32_e32 v1, s44, v1
	v_and_b32_e32 v96, v96, v97
	v_and_b32_e32 v97, v39, v1
	v_lshlrev_b32_e32 v1, 24, v38
	v_cmp_gt_i64_e64 s[44:45], 0, v[0:1]
	v_not_b32_e32 v1, v1
	v_ashrrev_i32_e32 v1, 31, v1
	v_xor_b32_e32 v38, s45, v1
	v_xor_b32_e32 v1, s44, v1
	; wave barrier
	ds_read_b32 v94, v95 offset:32
	v_and_b32_e32 v39, v96, v38
	v_and_b32_e32 v38, v97, v1
	v_mbcnt_lo_u32_b32 v1, v38, 0
	v_mbcnt_hi_u32_b32 v96, v39, v1
	v_cmp_eq_u32_e64 s[44:45], 0, v96
	v_cmp_ne_u64_e64 s[46:47], 0, v[38:39]
	s_and_b64 s[46:47], s[46:47], s[44:45]
	; wave barrier
	s_and_saveexec_b64 s[44:45], s[46:47]
	s_cbranch_execz .LBB220_64
; %bb.63:
	v_bcnt_u32_b32 v1, v38, 0
	v_bcnt_u32_b32 v1, v39, v1
	s_waitcnt lgkmcnt(0)
	v_add_u32_e32 v1, v94, v1
	ds_write_b32 v95, v1 offset:32
.LBB220_64:
	s_or_b64 exec, exec, s[44:45]
	v_lshrrev_b16_e32 v1, 8, v71
	v_mov_b32_e32 v38, 0x80
	v_cmp_ne_u16_e64 s[44:45], s56, v71
	v_cndmask_b32_e64 v1, v38, v1, s[44:45]
	v_and_b32_e32 v39, s53, v1
	v_lshlrev_b32_e32 v1, 3, v39
	v_add_lshl_u32 v98, v1, v68, 2
	v_and_b32_e32 v1, 1, v39
	v_add_co_u32_e64 v99, s[44:45], -1, v1
	v_addc_co_u32_e64 v100, s[44:45], 0, -1, s[44:45]
	v_cmp_ne_u32_e64 s[44:45], 0, v1
	v_xor_b32_e32 v1, s45, v100
	v_and_b32_e32 v100, exec_hi, v1
	v_lshlrev_b32_e32 v1, 30, v39
	v_xor_b32_e32 v99, s44, v99
	v_cmp_gt_i64_e64 s[44:45], 0, v[0:1]
	v_not_b32_e32 v1, v1
	v_ashrrev_i32_e32 v1, 31, v1
	v_and_b32_e32 v99, exec_lo, v99
	v_xor_b32_e32 v101, s45, v1
	v_xor_b32_e32 v1, s44, v1
	v_and_b32_e32 v99, v99, v1
	v_lshlrev_b32_e32 v1, 29, v39
	v_cmp_gt_i64_e64 s[44:45], 0, v[0:1]
	v_not_b32_e32 v1, v1
	v_ashrrev_i32_e32 v1, 31, v1
	v_and_b32_e32 v100, v100, v101
	v_xor_b32_e32 v101, s45, v1
	v_xor_b32_e32 v1, s44, v1
	v_and_b32_e32 v99, v99, v1
	v_lshlrev_b32_e32 v1, 28, v39
	v_cmp_gt_i64_e64 s[44:45], 0, v[0:1]
	v_not_b32_e32 v1, v1
	v_ashrrev_i32_e32 v1, 31, v1
	v_and_b32_e32 v100, v100, v101
	;; [unrolled: 8-line block ×5, first 2 shown]
	v_xor_b32_e32 v101, s45, v1
	v_xor_b32_e32 v1, s44, v1
	v_and_b32_e32 v99, v99, v1
	v_lshlrev_b32_e32 v1, 24, v39
	v_cmp_gt_i64_e64 s[44:45], 0, v[0:1]
	v_not_b32_e32 v0, v1
	v_ashrrev_i32_e32 v0, 31, v0
	v_xor_b32_e32 v1, s45, v0
	v_xor_b32_e32 v0, s44, v0
	; wave barrier
	ds_read_b32 v97, v98 offset:32
	v_and_b32_e32 v100, v100, v101
	v_and_b32_e32 v0, v99, v0
	;; [unrolled: 1-line block ×3, first 2 shown]
	v_mbcnt_lo_u32_b32 v39, v0, 0
	v_mbcnt_hi_u32_b32 v99, v1, v39
	v_cmp_eq_u32_e64 s[44:45], 0, v99
	v_cmp_ne_u64_e64 s[46:47], 0, v[0:1]
	s_and_b64 s[46:47], s[46:47], s[44:45]
	; wave barrier
	s_and_saveexec_b64 s[44:45], s[46:47]
	s_cbranch_execz .LBB220_66
; %bb.65:
	v_bcnt_u32_b32 v0, v0, 0
	v_bcnt_u32_b32 v0, v1, v0
	s_waitcnt lgkmcnt(0)
	v_add_u32_e32 v0, v97, v0
	ds_write_b32 v98, v0 offset:32
.LBB220_66:
	s_or_b64 exec, exec, s[44:45]
	v_lshrrev_b16_e32 v0, 8, v40
	v_cmp_ne_u16_e64 s[44:45], s56, v40
	v_cndmask_b32_e64 v0, v38, v0, s[44:45]
	v_and_b32_e32 v38, s53, v0
	v_and_b32_e32 v1, 1, v38
	v_add_co_u32_e64 v39, s[44:45], -1, v1
	v_addc_co_u32_e64 v101, s[44:45], 0, -1, s[44:45]
	v_cmp_ne_u32_e64 s[44:45], 0, v1
	v_lshlrev_b32_e32 v0, 3, v38
	v_xor_b32_e32 v1, s45, v101
	v_add_lshl_u32 v100, v0, v68, 2
	v_mov_b32_e32 v0, 0
	v_and_b32_e32 v101, exec_hi, v1
	v_lshlrev_b32_e32 v1, 30, v38
	v_xor_b32_e32 v39, s44, v39
	v_cmp_gt_i64_e64 s[44:45], 0, v[0:1]
	v_not_b32_e32 v1, v1
	v_ashrrev_i32_e32 v1, 31, v1
	v_and_b32_e32 v39, exec_lo, v39
	v_xor_b32_e32 v102, s45, v1
	v_xor_b32_e32 v1, s44, v1
	v_and_b32_e32 v39, v39, v1
	v_lshlrev_b32_e32 v1, 29, v38
	v_cmp_gt_i64_e64 s[44:45], 0, v[0:1]
	v_not_b32_e32 v1, v1
	v_ashrrev_i32_e32 v1, 31, v1
	v_and_b32_e32 v101, v101, v102
	v_xor_b32_e32 v102, s45, v1
	v_xor_b32_e32 v1, s44, v1
	v_and_b32_e32 v39, v39, v1
	v_lshlrev_b32_e32 v1, 28, v38
	v_cmp_gt_i64_e64 s[44:45], 0, v[0:1]
	v_not_b32_e32 v1, v1
	v_ashrrev_i32_e32 v1, 31, v1
	v_and_b32_e32 v101, v101, v102
	;; [unrolled: 8-line block ×5, first 2 shown]
	v_xor_b32_e32 v102, s45, v1
	v_xor_b32_e32 v1, s44, v1
	v_and_b32_e32 v39, v39, v1
	v_lshlrev_b32_e32 v1, 24, v38
	v_cmp_gt_i64_e64 s[44:45], 0, v[0:1]
	v_not_b32_e32 v0, v1
	v_ashrrev_i32_e32 v0, 31, v0
	v_xor_b32_e32 v1, s45, v0
	v_xor_b32_e32 v0, s44, v0
	; wave barrier
	ds_read_b32 v68, v100 offset:32
	v_and_b32_e32 v101, v101, v102
	v_and_b32_e32 v0, v39, v0
	;; [unrolled: 1-line block ×3, first 2 shown]
	v_mbcnt_lo_u32_b32 v38, v0, 0
	v_mbcnt_hi_u32_b32 v101, v1, v38
	v_cmp_eq_u32_e64 s[44:45], 0, v101
	v_cmp_ne_u64_e64 s[46:47], 0, v[0:1]
	s_and_b64 s[46:47], s[46:47], s[44:45]
	; wave barrier
	s_and_saveexec_b64 s[44:45], s[46:47]
	s_cbranch_execz .LBB220_68
; %bb.67:
	v_bcnt_u32_b32 v0, v0, 0
	v_bcnt_u32_b32 v0, v1, v0
	s_waitcnt lgkmcnt(0)
	v_add_u32_e32 v0, v68, v0
	ds_write_b32 v100, v0 offset:32
.LBB220_68:
	s_or_b64 exec, exec, s[44:45]
	; wave barrier
	s_waitcnt lgkmcnt(0)
	s_barrier
	ds_read2_b32 v[38:39], v64 offset0:8 offset1:9
	ds_read2_b32 v[0:1], v69 offset0:2 offset1:3
	s_waitcnt lgkmcnt(1)
	v_add_u32_e32 v102, v39, v38
	s_waitcnt lgkmcnt(0)
	v_add3_u32 v1, v102, v0, v1
	s_nop 1
	v_mov_b32_dpp v102, v1 row_shr:1 row_mask:0xf bank_mask:0xf
	v_cndmask_b32_e64 v102, v102, 0, s[24:25]
	v_add_u32_e32 v1, v102, v1
	s_nop 1
	v_mov_b32_dpp v102, v1 row_shr:2 row_mask:0xf bank_mask:0xf
	v_cndmask_b32_e64 v102, 0, v102, s[26:27]
	v_add_u32_e32 v1, v1, v102
	;; [unrolled: 4-line block ×4, first 2 shown]
	s_nop 1
	v_mov_b32_dpp v102, v1 row_bcast:15 row_mask:0xf bank_mask:0xf
	v_cndmask_b32_e64 v102, v102, 0, vcc
	v_add_u32_e32 v1, v1, v102
	s_nop 1
	v_mov_b32_dpp v102, v1 row_bcast:31 row_mask:0xf bank_mask:0xf
	v_cndmask_b32_e64 v102, 0, v102, s[36:37]
	v_add_u32_e32 v102, v1, v102
	s_and_saveexec_b64 s[24:25], s[16:17]
	s_cbranch_execz .LBB220_70
; %bb.69:
	ds_write_b32 v70, v102
.LBB220_70:
	s_or_b64 exec, exec, s[24:25]
	s_waitcnt lgkmcnt(0)
	s_barrier
	s_and_saveexec_b64 s[16:17], s[28:29]
	s_cbranch_execz .LBB220_72
; %bb.71:
	ds_read_b32 v1, v41
	s_waitcnt lgkmcnt(0)
	s_nop 0
	v_mov_b32_dpp v70, v1 row_shr:1 row_mask:0xf bank_mask:0xf
	v_cndmask_b32_e64 v70, v70, 0, s[22:23]
	v_add_u32_e32 v1, v70, v1
	s_nop 1
	v_mov_b32_dpp v70, v1 row_shr:2 row_mask:0xf bank_mask:0xf
	v_cndmask_b32_e64 v70, 0, v70, s[20:21]
	v_add_u32_e32 v1, v1, v70
	;; [unrolled: 4-line block ×3, first 2 shown]
	ds_write_b32 v41, v1
.LBB220_72:
	s_or_b64 exec, exec, s[16:17]
	v_mov_b32_e32 v1, 0
	v_mov_b32_e32 v41, 0
	s_waitcnt lgkmcnt(0)
	s_barrier
	s_and_saveexec_b64 s[16:17], s[38:39]
	s_cbranch_execz .LBB220_74
; %bb.73:
	ds_read_b32 v41, v80
.LBB220_74:
	s_or_b64 exec, exec, s[16:17]
	s_waitcnt lgkmcnt(0)
	v_add_u32_e32 v70, v41, v102
	ds_bpermute_b32 v70, v81, v70
	s_mov_b32 s18, 0x5040100
	s_waitcnt lgkmcnt(0)
	v_cndmask_b32_e64 v41, v70, v41, s[40:41]
	v_cndmask_b32_e64 v41, v41, 0, s[42:43]
	v_add_u32_e32 v38, v41, v38
	v_add_u32_e32 v39, v38, v39
	;; [unrolled: 1-line block ×3, first 2 shown]
	ds_write2_b32 v64, v41, v38 offset0:8 offset1:9
	ds_write2_b32 v69, v39, v0 offset0:2 offset1:3
	s_waitcnt lgkmcnt(0)
	s_barrier
	ds_read_b32 v0, v100 offset:32
	ds_read_b32 v38, v98 offset:32
	;; [unrolled: 1-line block ×4, first 2 shown]
	s_waitcnt lgkmcnt(3)
	v_add3_u32 v0, v101, v68, v0
	ds_read_b32 v68, v89 offset:32
	ds_read_b32 v69, v86 offset:32
	;; [unrolled: 1-line block ×4, first 2 shown]
	s_waitcnt lgkmcnt(0)
	s_barrier
	v_add3_u32 v69, v87, v85, v69
	v_add3_u32 v70, v84, v82, v70
	v_add_u32_e32 v78, v78, v79
	v_lshlrev_b32_e32 v79, 1, v78
	ds_write_b16 v79, v77
	v_lshlrev_b32_e32 v77, 1, v70
	v_add3_u32 v68, v90, v88, v68
	ds_write_b16 v77, v76
	v_lshlrev_b32_e32 v76, 1, v69
	v_add3_u32 v41, v93, v91, v41
	ds_write_b16 v76, v75
	v_lshlrev_b32_e32 v75, 1, v68
	v_add3_u32 v39, v96, v94, v39
	ds_write_b16 v75, v74
	v_lshlrev_b32_e32 v74, 1, v41
	v_add3_u32 v38, v99, v97, v38
	ds_write_b16 v74, v73
	v_lshlrev_b32_e32 v73, 1, v39
	ds_write_b16 v73, v72
	v_lshlrev_b32_e32 v72, 1, v38
	;; [unrolled: 2-line block ×4, first 2 shown]
	s_waitcnt lgkmcnt(0)
	s_barrier
	v_lshlrev_b32_e32 v72, 3, v41
	v_lshlrev_b32_e32 v73, 3, v39
	;; [unrolled: 1-line block ×3, first 2 shown]
	ds_read_b128 v[38:41], v40
	v_mov_b32_e32 v77, 0xffff8000
	v_lshlrev_b32_e32 v71, 3, v78
	v_lshlrev_b32_e32 v75, 3, v63
	;; [unrolled: 1-line block ×3, first 2 shown]
	s_waitcnt lgkmcnt(0)
	v_cmp_lt_i16_sdwa vcc, v38, v1 src0_sel:WORD_1 src1_sel:DWORD
	v_cndmask_b32_e32 v78, -1, v77, vcc
	v_cmp_gt_i16_e32 vcc, 0, v38
	v_lshlrev_b32_e32 v69, 3, v69
	v_lshlrev_b32_e32 v68, 3, v68
	;; [unrolled: 1-line block ×3, first 2 shown]
	v_cndmask_b32_e32 v79, -1, v77, vcc
	v_cmp_lt_i16_e32 vcc, -1, v39
	s_barrier
	ds_write_b64 v71, v[34:35]
	ds_write_b64 v70, v[36:37]
	;; [unrolled: 1-line block ×8, first 2 shown]
	s_waitcnt lgkmcnt(0)
	s_barrier
	ds_read2_b64 v[22:25], v75 offset1:1
	ds_read2_b64 v[26:29], v75 offset0:2 offset1:3
	ds_read2_b64 v[30:33], v75 offset0:4 offset1:5
	ds_read2_b64 v[34:37], v75 offset0:6 offset1:7
	v_mov_b32_e32 v76, -1
	v_cndmask_b32_e64 v81, v77, -1, vcc
	v_cmp_lt_i16_sdwa vcc, v40, v1 src0_sel:WORD_1 src1_sel:DWORD
	v_cmp_gt_i16_sdwa s[16:17], v39, v76 src0_sel:WORD_1 src1_sel:DWORD
	v_cndmask_b32_e32 v0, -1, v77, vcc
	v_cmp_gt_i16_e32 vcc, 0, v40
	v_cndmask_b32_e64 v80, v77, -1, s[16:17]
	v_cndmask_b32_e32 v1, -1, v77, vcc
	v_cmp_gt_i16_sdwa s[16:17], v41, v76 src0_sel:WORD_1 src1_sel:DWORD
	v_cmp_lt_i16_e32 vcc, -1, v41
	v_cndmask_b32_e64 v68, v77, -1, s[16:17]
	v_cndmask_b32_e64 v69, v77, -1, vcc
	v_xor_b32_e32 v81, v81, v39
	v_xor_b32_sdwa v39, v80, v39 dst_sel:DWORD dst_unused:UNUSED_PAD src0_sel:DWORD src1_sel:WORD_1
	v_xor_b32_e32 v79, v79, v38
	v_xor_b32_sdwa v38, v78, v38 dst_sel:DWORD dst_unused:UNUSED_PAD src0_sel:DWORD src1_sel:WORD_1
	;; [unrolled: 2-line block ×4, first 2 shown]
	v_perm_b32 v39, v39, v81, s18
	v_perm_b32 v38, v38, v79, s18
	;; [unrolled: 1-line block ×4, first 2 shown]
	s_branch .LBB220_128
.LBB220_75:
	v_mov_b32_e32 v45, 0
	v_lshlrev_b64 v[2:3], 3, v[44:45]
	v_mov_b32_e32 v4, s51
	v_add_co_u32_e32 v2, vcc, s49, v2
	v_addc_co_u32_e32 v3, vcc, v4, v3, vcc
	global_load_dwordx2 v[2:3], v[2:3], off
	v_mov_b32_e32 v4, v45
	v_mov_b32_e32 v5, v45
	v_mov_b32_e32 v6, v45
	v_mov_b32_e32 v7, v45
	v_mov_b32_e32 v8, v45
	v_mov_b32_e32 v9, v45
	v_mov_b32_e32 v10, v45
	v_mov_b32_e32 v11, v45
	v_mov_b32_e32 v12, v45
	v_mov_b32_e32 v13, v45
	v_mov_b32_e32 v14, v45
	v_mov_b32_e32 v15, v45
	v_mov_b32_e32 v16, v45
	v_mov_b32_e32 v17, v45
	s_or_b64 exec, exec, s[16:17]
	s_and_saveexec_b64 s[16:17], s[2:3]
	s_cbranch_execz .LBB220_22
.LBB220_76:
	v_mul_lo_u32 v4, v36, s52
	v_mov_b32_e32 v5, 0
	v_lshlrev_b64 v[4:5], 3, v[4:5]
	v_mov_b32_e32 v36, s51
	v_add_co_u32_e32 v4, vcc, s49, v4
	v_addc_co_u32_e32 v5, vcc, v36, v5, vcc
	global_load_dwordx2 v[4:5], v[4:5], off
	s_or_b64 exec, exec, s[16:17]
	s_and_saveexec_b64 s[16:17], s[4:5]
	s_cbranch_execz .LBB220_23
.LBB220_77:
	v_mul_lo_u32 v6, v35, s52
	v_mov_b32_e32 v7, 0
	v_lshlrev_b64 v[6:7], 3, v[6:7]
	v_mov_b32_e32 v35, s51
	v_add_co_u32_e32 v6, vcc, s49, v6
	v_addc_co_u32_e32 v7, vcc, v35, v7, vcc
	global_load_dwordx2 v[6:7], v[6:7], off
	s_or_b64 exec, exec, s[16:17]
	s_and_saveexec_b64 s[16:17], s[6:7]
	s_cbranch_execz .LBB220_24
.LBB220_78:
	v_mul_lo_u32 v8, v33, s52
	v_mov_b32_e32 v9, 0
	v_lshlrev_b64 v[8:9], 3, v[8:9]
	v_mov_b32_e32 v33, s51
	v_add_co_u32_e32 v8, vcc, s49, v8
	v_addc_co_u32_e32 v9, vcc, v33, v9, vcc
	global_load_dwordx2 v[8:9], v[8:9], off
	s_or_b64 exec, exec, s[16:17]
	s_and_saveexec_b64 s[16:17], s[8:9]
	s_cbranch_execz .LBB220_25
.LBB220_79:
	v_mul_lo_u32 v10, v30, s52
	v_mov_b32_e32 v11, 0
	v_lshlrev_b64 v[10:11], 3, v[10:11]
	v_mov_b32_e32 v30, s51
	v_add_co_u32_e32 v10, vcc, s49, v10
	v_addc_co_u32_e32 v11, vcc, v30, v11, vcc
	global_load_dwordx2 v[10:11], v[10:11], off
	s_or_b64 exec, exec, s[16:17]
	s_and_saveexec_b64 s[16:17], s[10:11]
	s_cbranch_execz .LBB220_26
.LBB220_80:
	v_mul_lo_u32 v12, v28, s52
	v_mov_b32_e32 v13, 0
	v_lshlrev_b64 v[12:13], 3, v[12:13]
	v_mov_b32_e32 v28, s51
	v_add_co_u32_e32 v12, vcc, s49, v12
	v_addc_co_u32_e32 v13, vcc, v28, v13, vcc
	global_load_dwordx2 v[12:13], v[12:13], off
	s_or_b64 exec, exec, s[16:17]
	s_and_saveexec_b64 s[16:17], s[12:13]
	s_cbranch_execz .LBB220_27
.LBB220_81:
	v_mul_lo_u32 v14, v26, s52
	v_mov_b32_e32 v15, 0
	v_lshlrev_b64 v[14:15], 3, v[14:15]
	v_mov_b32_e32 v26, s51
	v_add_co_u32_e32 v14, vcc, s49, v14
	v_addc_co_u32_e32 v15, vcc, v26, v15, vcc
	global_load_dwordx2 v[14:15], v[14:15], off
	s_or_b64 exec, exec, s[16:17]
	s_xor_b64 s[16:17], s[34:35], -1
	s_and_saveexec_b64 s[18:19], s[14:15]
	s_cbranch_execnz .LBB220_28
	s_branch .LBB220_29
.LBB220_82:
                                        ; implicit-def: $vgpr36_vgpr37
                                        ; implicit-def: $vgpr32_vgpr33
                                        ; implicit-def: $vgpr28_vgpr29
                                        ; implicit-def: $vgpr24_vgpr25
                                        ; implicit-def: $vgpr40_vgpr41
	s_cbranch_execz .LBB220_128
; %bb.83:
	s_waitcnt lgkmcnt(3)
	v_mov_b32_e32 v22, 0
	s_waitcnt lgkmcnt(0)
	v_mov_b32_e32 v35, 0x7fff
	v_cmp_gt_i16_e32 vcc, 0, v19
	v_cmp_lt_i16_sdwa s[16:17], v19, v22 src0_sel:WORD_1 src1_sel:DWORD
	v_cndmask_b32_e64 v23, v35, 0, vcc
	v_cmp_gt_i16_e32 vcc, 0, v18
	v_cndmask_b32_e64 v25, v35, 0, s[16:17]
	v_cmp_lt_i16_sdwa s[16:17], v18, v22 src0_sel:WORD_1 src1_sel:DWORD
	v_cndmask_b32_e64 v24, v35, 0, vcc
	v_cndmask_b32_e64 v27, v35, 0, s[16:17]
	v_cmp_gt_i16_e32 vcc, 0, v21
	v_cmp_lt_i16_sdwa s[16:17], v21, v22 src0_sel:WORD_1 src1_sel:DWORD
	v_xor_b32_sdwa v25, v25, v19 dst_sel:DWORD dst_unused:UNUSED_PAD src0_sel:DWORD src1_sel:WORD_1
	v_xor_b32_e32 v19, v23, v19
	v_cndmask_b32_e64 v23, v35, 0, vcc
	v_cmp_gt_i16_e32 vcc, 0, v20
	v_cndmask_b32_e64 v28, v35, 0, s[16:17]
	v_cmp_lt_i16_sdwa s[16:17], v20, v22 src0_sel:WORD_1 src1_sel:DWORD
	v_mbcnt_hi_u32_b32 v26, -1, v67
	v_and_b32_e32 v34, 0x3c0, v46
	v_xor_b32_sdwa v27, v27, v18 dst_sel:DWORD dst_unused:UNUSED_PAD src0_sel:DWORD src1_sel:WORD_1
	v_xor_b32_e32 v18, v24, v18
	v_cndmask_b32_e64 v24, v35, 0, vcc
	v_cndmask_b32_e64 v29, v35, 0, s[16:17]
	v_add_u32_e32 v0, v26, v34
	v_xor_b32_sdwa v29, v29, v20 dst_sel:DWORD dst_unused:UNUSED_PAD src0_sel:DWORD src1_sel:WORD_1
	v_xor_b32_sdwa v28, v28, v21 dst_sel:DWORD dst_unused:UNUSED_PAD src0_sel:DWORD src1_sel:WORD_1
	v_xor_b32_e32 v20, v24, v20
	v_xor_b32_e32 v21, v23, v21
	s_mov_b32 s16, 0x5040100
	v_lshlrev_b32_e32 v1, 4, v0
	v_perm_b32 v21, v28, v21, s16
	v_perm_b32 v20, v29, v20, s16
	;; [unrolled: 1-line block ×4, first 2 shown]
	v_and_b32_e32 v36, 0x1e00, v63
	ds_write_b128 v1, v[18:21]
	v_or_b32_e32 v1, v26, v36
	v_lshlrev_b32_e32 v18, 1, v1
	v_lshlrev_b32_e32 v0, 6, v0
	; wave barrier
	ds_read_u16 v33, v18
	ds_read_u16 v32, v18 offset:128
	ds_read_u16 v31, v18 offset:256
	;; [unrolled: 1-line block ×7, first 2 shown]
	s_waitcnt lgkmcnt(0)
	s_barrier
	ds_write2_b64 v0, v[14:15], v[16:17] offset1:1
	ds_write2_b64 v0, v[10:11], v[12:13] offset0:2 offset1:3
	ds_write2_b64 v0, v[6:7], v[8:9] offset0:4 offset1:5
	;; [unrolled: 1-line block ×3, first 2 shown]
	v_lshlrev_b32_e32 v0, 3, v1
	; wave barrier
	ds_read2st64_b64 v[12:15], v0 offset1:1
	ds_read2st64_b64 v[8:11], v0 offset0:2 offset1:3
	ds_read2st64_b64 v[4:7], v0 offset0:4 offset1:5
	;; [unrolled: 1-line block ×3, first 2 shown]
	s_waitcnt lgkmcnt(0)
	s_barrier
	s_load_dword s18, s[54:55], 0xc
	s_getpc_b64 s[16:17]
	s_add_u32 s16, s16, _ZN7rocprim17ROCPRIM_400000_NS16block_radix_sortI6__halfLj512ELj8ElLj1ELj1ELj0ELNS0_26block_radix_rank_algorithmE1ELNS0_18block_padding_hintE2ELNS0_4arch9wavefront6targetE1EE19radix_bits_per_passE@rel32@lo+4
	s_addc_u32 s17, s17, _ZN7rocprim17ROCPRIM_400000_NS16block_radix_sortI6__halfLj512ELj8ElLj1ELj1ELj0ELNS0_26block_radix_rank_algorithmE1ELNS0_18block_padding_hintE2ELNS0_4arch9wavefront6targetE1EE19radix_bits_per_passE@rel32@hi+12
	s_load_dword s44, s[16:17], 0x0
	s_movk_i32 s19, 0x8000
	v_cmp_ne_u16_e32 vcc, s19, v33
	s_waitcnt lgkmcnt(0)
	s_lshr_b32 s16, s18, 16
	s_and_b32 s17, s18, 0xffff
	v_mad_u32_u24 v16, v66, s16, v65
	v_mad_u64_u32 v[16:17], s[16:17], v16, s17, v[46:47]
	s_min_u32 s16, s44, 16
	s_lshl_b32 s16, -1, s16
	v_lshrrev_b32_e32 v24, 6, v16
	s_not_b32 s18, s16
	v_cndmask_b32_e32 v16, v35, v33, vcc
	v_and_b32_sdwa v16, s18, v16 dst_sel:DWORD dst_unused:UNUSED_PAD src0_sel:DWORD src1_sel:WORD_0
	v_lshlrev_b32_e32 v17, 3, v16
	v_add_lshl_u32 v37, v24, v17, 2
	v_and_b32_e32 v17, 1, v16
	v_add_co_u32_e32 v18, vcc, -1, v17
	v_addc_co_u32_e64 v19, s[16:17], 0, -1, vcc
	v_cmp_ne_u32_e32 vcc, 0, v17
	v_lshlrev_b32_e32 v23, 30, v16
	v_xor_b32_e32 v17, vcc_hi, v19
	v_not_b32_e32 v19, v23
	v_xor_b32_e32 v18, vcc_lo, v18
	v_cmp_gt_i64_e32 vcc, 0, v[22:23]
	v_ashrrev_i32_e32 v19, 31, v19
	v_and_b32_e32 v18, exec_lo, v18
	v_xor_b32_e32 v20, vcc_hi, v19
	v_xor_b32_e32 v19, vcc_lo, v19
	v_lshlrev_b32_e32 v23, 29, v16
	v_and_b32_e32 v18, v18, v19
	v_not_b32_e32 v19, v23
	v_and_b32_e32 v17, exec_hi, v17
	v_cmp_gt_i64_e32 vcc, 0, v[22:23]
	v_ashrrev_i32_e32 v19, 31, v19
	v_and_b32_e32 v17, v17, v20
	v_xor_b32_e32 v20, vcc_hi, v19
	v_xor_b32_e32 v19, vcc_lo, v19
	v_lshlrev_b32_e32 v23, 28, v16
	v_and_b32_e32 v18, v18, v19
	v_not_b32_e32 v19, v23
	v_cmp_gt_i64_e32 vcc, 0, v[22:23]
	v_ashrrev_i32_e32 v19, 31, v19
	v_and_b32_e32 v17, v17, v20
	v_xor_b32_e32 v20, vcc_hi, v19
	v_xor_b32_e32 v19, vcc_lo, v19
	v_lshlrev_b32_e32 v23, 27, v16
	v_and_b32_e32 v18, v18, v19
	v_not_b32_e32 v19, v23
	;; [unrolled: 8-line block ×3, first 2 shown]
	v_cmp_gt_i64_e32 vcc, 0, v[22:23]
	v_ashrrev_i32_e32 v19, 31, v19
	v_and_b32_e32 v17, v17, v20
	v_xor_b32_e32 v20, vcc_hi, v19
	v_xor_b32_e32 v19, vcc_lo, v19
	v_lshlrev_b32_e32 v23, 25, v16
	v_and_b32_e32 v18, v18, v19
	v_cmp_gt_i64_e32 vcc, 0, v[22:23]
	v_not_b32_e32 v19, v23
	v_lshlrev_b32_e32 v23, 24, v16
	v_ashrrev_i32_e32 v19, 31, v19
	v_not_b32_e32 v16, v23
	v_and_b32_e32 v17, v17, v20
	v_xor_b32_e32 v20, vcc_hi, v19
	v_xor_b32_e32 v19, vcc_lo, v19
	v_cmp_gt_i64_e32 vcc, 0, v[22:23]
	v_ashrrev_i32_e32 v16, 31, v16
	v_and_b32_e32 v18, v18, v19
	v_xor_b32_e32 v19, vcc_hi, v16
	v_xor_b32_e32 v16, vcc_lo, v16
	v_and_b32_e32 v17, v17, v20
	v_and_b32_e32 v16, v18, v16
	;; [unrolled: 1-line block ×3, first 2 shown]
	v_mbcnt_lo_u32_b32 v18, v16, 0
	v_mbcnt_hi_u32_b32 v38, v17, v18
	v_cmp_eq_u32_e32 vcc, 0, v38
	v_cmp_ne_u64_e64 s[16:17], 0, v[16:17]
	s_and_b64 s[20:21], s[16:17], vcc
	ds_write2_b32 v64, v22, v22 offset0:8 offset1:9
	ds_write2_b32 v64, v22, v22 offset0:10 offset1:11
	s_waitcnt lgkmcnt(0)
	s_barrier
	s_waitcnt lgkmcnt(0)
	; wave barrier
	s_and_saveexec_b64 s[16:17], s[20:21]
	s_cbranch_execz .LBB220_85
; %bb.84:
	v_bcnt_u32_b32 v16, v16, 0
	v_bcnt_u32_b32 v16, v17, v16
	ds_write_b32 v37, v16 offset:32
.LBB220_85:
	s_or_b64 exec, exec, s[16:17]
	v_cmp_ne_u16_e32 vcc, s19, v32
	v_cndmask_b32_e32 v16, v35, v32, vcc
	v_and_b32_sdwa v16, s18, v16 dst_sel:DWORD dst_unused:UNUSED_PAD src0_sel:DWORD src1_sel:WORD_0
	v_lshlrev_b32_e32 v17, 3, v16
	v_add_lshl_u32 v40, v24, v17, 2
	v_and_b32_e32 v17, 1, v16
	v_add_co_u32_e32 v18, vcc, -1, v17
	v_addc_co_u32_e64 v19, s[16:17], 0, -1, vcc
	v_cmp_ne_u32_e32 vcc, 0, v17
	v_lshlrev_b32_e32 v23, 30, v16
	v_xor_b32_e32 v17, vcc_hi, v19
	v_not_b32_e32 v19, v23
	v_xor_b32_e32 v18, vcc_lo, v18
	v_cmp_gt_i64_e32 vcc, 0, v[22:23]
	v_ashrrev_i32_e32 v19, 31, v19
	v_and_b32_e32 v18, exec_lo, v18
	v_xor_b32_e32 v20, vcc_hi, v19
	v_xor_b32_e32 v19, vcc_lo, v19
	v_lshlrev_b32_e32 v23, 29, v16
	v_and_b32_e32 v18, v18, v19
	v_not_b32_e32 v19, v23
	v_and_b32_e32 v17, exec_hi, v17
	v_cmp_gt_i64_e32 vcc, 0, v[22:23]
	v_ashrrev_i32_e32 v19, 31, v19
	v_and_b32_e32 v17, v17, v20
	v_xor_b32_e32 v20, vcc_hi, v19
	v_xor_b32_e32 v19, vcc_lo, v19
	v_lshlrev_b32_e32 v23, 28, v16
	v_and_b32_e32 v18, v18, v19
	v_not_b32_e32 v19, v23
	v_cmp_gt_i64_e32 vcc, 0, v[22:23]
	v_ashrrev_i32_e32 v19, 31, v19
	v_and_b32_e32 v17, v17, v20
	v_xor_b32_e32 v20, vcc_hi, v19
	v_xor_b32_e32 v19, vcc_lo, v19
	v_lshlrev_b32_e32 v23, 27, v16
	v_and_b32_e32 v18, v18, v19
	v_not_b32_e32 v19, v23
	;; [unrolled: 8-line block ×3, first 2 shown]
	v_cmp_gt_i64_e32 vcc, 0, v[22:23]
	v_ashrrev_i32_e32 v19, 31, v19
	v_and_b32_e32 v17, v17, v20
	v_xor_b32_e32 v20, vcc_hi, v19
	v_xor_b32_e32 v19, vcc_lo, v19
	v_lshlrev_b32_e32 v23, 25, v16
	v_and_b32_e32 v18, v18, v19
	v_cmp_gt_i64_e32 vcc, 0, v[22:23]
	v_not_b32_e32 v19, v23
	v_lshlrev_b32_e32 v23, 24, v16
	v_ashrrev_i32_e32 v19, 31, v19
	v_not_b32_e32 v16, v23
	v_and_b32_e32 v17, v17, v20
	v_xor_b32_e32 v20, vcc_hi, v19
	v_xor_b32_e32 v19, vcc_lo, v19
	v_cmp_gt_i64_e32 vcc, 0, v[22:23]
	v_ashrrev_i32_e32 v16, 31, v16
	v_and_b32_e32 v18, v18, v19
	v_xor_b32_e32 v19, vcc_hi, v16
	v_xor_b32_e32 v16, vcc_lo, v16
	; wave barrier
	ds_read_b32 v39, v40 offset:32
	v_and_b32_e32 v17, v17, v20
	v_and_b32_e32 v16, v18, v16
	;; [unrolled: 1-line block ×3, first 2 shown]
	v_mbcnt_lo_u32_b32 v18, v16, 0
	v_mbcnt_hi_u32_b32 v41, v17, v18
	v_cmp_eq_u32_e32 vcc, 0, v41
	v_cmp_ne_u64_e64 s[16:17], 0, v[16:17]
	s_and_b64 s[20:21], s[16:17], vcc
	; wave barrier
	s_and_saveexec_b64 s[16:17], s[20:21]
	s_cbranch_execz .LBB220_87
; %bb.86:
	v_bcnt_u32_b32 v16, v16, 0
	v_bcnt_u32_b32 v16, v17, v16
	s_waitcnt lgkmcnt(0)
	v_add_u32_e32 v16, v39, v16
	ds_write_b32 v40, v16 offset:32
.LBB220_87:
	s_or_b64 exec, exec, s[16:17]
	v_mov_b32_e32 v20, 0x7fff
	v_cmp_ne_u16_e32 vcc, s19, v31
	v_cndmask_b32_e32 v16, v20, v31, vcc
	v_and_b32_sdwa v18, s18, v16 dst_sel:DWORD dst_unused:UNUSED_PAD src0_sel:DWORD src1_sel:WORD_0
	v_and_b32_e32 v17, 1, v18
	v_add_co_u32_e32 v19, vcc, -1, v17
	v_addc_co_u32_e64 v21, s[16:17], 0, -1, vcc
	v_cmp_ne_u32_e32 vcc, 0, v17
	v_lshlrev_b32_e32 v16, 3, v18
	v_xor_b32_e32 v17, vcc_hi, v21
	v_add_lshl_u32 v66, v24, v16, 2
	v_mov_b32_e32 v16, 0
	v_and_b32_e32 v21, exec_hi, v17
	v_lshlrev_b32_e32 v17, 30, v18
	v_xor_b32_e32 v19, vcc_lo, v19
	v_cmp_gt_i64_e32 vcc, 0, v[16:17]
	v_not_b32_e32 v17, v17
	v_ashrrev_i32_e32 v17, 31, v17
	v_and_b32_e32 v19, exec_lo, v19
	v_xor_b32_e32 v22, vcc_hi, v17
	v_xor_b32_e32 v17, vcc_lo, v17
	v_and_b32_e32 v19, v19, v17
	v_lshlrev_b32_e32 v17, 29, v18
	v_cmp_gt_i64_e32 vcc, 0, v[16:17]
	v_not_b32_e32 v17, v17
	v_ashrrev_i32_e32 v17, 31, v17
	v_and_b32_e32 v21, v21, v22
	v_xor_b32_e32 v22, vcc_hi, v17
	v_xor_b32_e32 v17, vcc_lo, v17
	v_and_b32_e32 v19, v19, v17
	v_lshlrev_b32_e32 v17, 28, v18
	v_cmp_gt_i64_e32 vcc, 0, v[16:17]
	v_not_b32_e32 v17, v17
	v_ashrrev_i32_e32 v17, 31, v17
	v_and_b32_e32 v21, v21, v22
	;; [unrolled: 8-line block ×5, first 2 shown]
	v_xor_b32_e32 v22, vcc_hi, v17
	v_xor_b32_e32 v17, vcc_lo, v17
	v_and_b32_e32 v21, v21, v22
	v_and_b32_e32 v22, v19, v17
	v_lshlrev_b32_e32 v17, 24, v18
	v_cmp_gt_i64_e32 vcc, 0, v[16:17]
	v_not_b32_e32 v17, v17
	v_ashrrev_i32_e32 v17, 31, v17
	v_xor_b32_e32 v18, vcc_hi, v17
	v_xor_b32_e32 v17, vcc_lo, v17
	; wave barrier
	ds_read_b32 v65, v66 offset:32
	v_and_b32_e32 v19, v21, v18
	v_and_b32_e32 v18, v22, v17
	v_mbcnt_lo_u32_b32 v17, v18, 0
	v_mbcnt_hi_u32_b32 v67, v19, v17
	v_cmp_eq_u32_e32 vcc, 0, v67
	v_cmp_ne_u64_e64 s[16:17], 0, v[18:19]
	s_and_b64 s[20:21], s[16:17], vcc
	; wave barrier
	s_and_saveexec_b64 s[16:17], s[20:21]
	s_cbranch_execz .LBB220_89
; %bb.88:
	v_bcnt_u32_b32 v17, v18, 0
	v_bcnt_u32_b32 v17, v19, v17
	s_waitcnt lgkmcnt(0)
	v_add_u32_e32 v17, v65, v17
	ds_write_b32 v66, v17 offset:32
.LBB220_89:
	s_or_b64 exec, exec, s[16:17]
	v_cmp_ne_u16_e32 vcc, s19, v30
	v_cndmask_b32_e32 v17, v20, v30, vcc
	v_and_b32_sdwa v18, s18, v17 dst_sel:DWORD dst_unused:UNUSED_PAD src0_sel:DWORD src1_sel:WORD_0
	v_lshlrev_b32_e32 v17, 3, v18
	v_add_lshl_u32 v69, v24, v17, 2
	v_and_b32_e32 v17, 1, v18
	v_add_co_u32_e32 v19, vcc, -1, v17
	v_addc_co_u32_e64 v20, s[16:17], 0, -1, vcc
	v_cmp_ne_u32_e32 vcc, 0, v17
	v_xor_b32_e32 v17, vcc_hi, v20
	v_and_b32_e32 v20, exec_hi, v17
	v_lshlrev_b32_e32 v17, 30, v18
	v_xor_b32_e32 v19, vcc_lo, v19
	v_cmp_gt_i64_e32 vcc, 0, v[16:17]
	v_not_b32_e32 v17, v17
	v_ashrrev_i32_e32 v17, 31, v17
	v_and_b32_e32 v19, exec_lo, v19
	v_xor_b32_e32 v21, vcc_hi, v17
	v_xor_b32_e32 v17, vcc_lo, v17
	v_and_b32_e32 v19, v19, v17
	v_lshlrev_b32_e32 v17, 29, v18
	v_cmp_gt_i64_e32 vcc, 0, v[16:17]
	v_not_b32_e32 v17, v17
	v_ashrrev_i32_e32 v17, 31, v17
	v_and_b32_e32 v20, v20, v21
	v_xor_b32_e32 v21, vcc_hi, v17
	v_xor_b32_e32 v17, vcc_lo, v17
	v_and_b32_e32 v19, v19, v17
	v_lshlrev_b32_e32 v17, 28, v18
	v_cmp_gt_i64_e32 vcc, 0, v[16:17]
	v_not_b32_e32 v17, v17
	v_ashrrev_i32_e32 v17, 31, v17
	v_and_b32_e32 v20, v20, v21
	;; [unrolled: 8-line block ×5, first 2 shown]
	v_xor_b32_e32 v21, vcc_hi, v17
	v_xor_b32_e32 v17, vcc_lo, v17
	v_and_b32_e32 v19, v19, v17
	v_lshlrev_b32_e32 v17, 24, v18
	v_cmp_gt_i64_e32 vcc, 0, v[16:17]
	v_not_b32_e32 v16, v17
	v_ashrrev_i32_e32 v16, 31, v16
	v_xor_b32_e32 v17, vcc_hi, v16
	v_xor_b32_e32 v16, vcc_lo, v16
	; wave barrier
	ds_read_b32 v68, v69 offset:32
	v_and_b32_e32 v20, v20, v21
	v_and_b32_e32 v16, v19, v16
	;; [unrolled: 1-line block ×3, first 2 shown]
	v_mbcnt_lo_u32_b32 v18, v16, 0
	v_mbcnt_hi_u32_b32 v70, v17, v18
	v_cmp_eq_u32_e32 vcc, 0, v70
	v_cmp_ne_u64_e64 s[16:17], 0, v[16:17]
	s_and_b64 s[20:21], s[16:17], vcc
	; wave barrier
	s_and_saveexec_b64 s[16:17], s[20:21]
	s_cbranch_execz .LBB220_91
; %bb.90:
	v_bcnt_u32_b32 v16, v16, 0
	v_bcnt_u32_b32 v16, v17, v16
	s_waitcnt lgkmcnt(0)
	v_add_u32_e32 v16, v68, v16
	ds_write_b32 v69, v16 offset:32
.LBB220_91:
	s_or_b64 exec, exec, s[16:17]
	v_mov_b32_e32 v20, 0x7fff
	v_cmp_ne_u16_e32 vcc, s19, v29
	v_cndmask_b32_e32 v16, v20, v29, vcc
	v_and_b32_sdwa v18, s18, v16 dst_sel:DWORD dst_unused:UNUSED_PAD src0_sel:DWORD src1_sel:WORD_0
	v_and_b32_e32 v17, 1, v18
	v_add_co_u32_e32 v19, vcc, -1, v17
	v_addc_co_u32_e64 v21, s[16:17], 0, -1, vcc
	v_cmp_ne_u32_e32 vcc, 0, v17
	v_lshlrev_b32_e32 v16, 3, v18
	v_xor_b32_e32 v17, vcc_hi, v21
	v_add_lshl_u32 v72, v24, v16, 2
	v_mov_b32_e32 v16, 0
	v_and_b32_e32 v21, exec_hi, v17
	v_lshlrev_b32_e32 v17, 30, v18
	v_xor_b32_e32 v19, vcc_lo, v19
	v_cmp_gt_i64_e32 vcc, 0, v[16:17]
	v_not_b32_e32 v17, v17
	v_ashrrev_i32_e32 v17, 31, v17
	v_and_b32_e32 v19, exec_lo, v19
	v_xor_b32_e32 v22, vcc_hi, v17
	v_xor_b32_e32 v17, vcc_lo, v17
	v_and_b32_e32 v19, v19, v17
	v_lshlrev_b32_e32 v17, 29, v18
	v_cmp_gt_i64_e32 vcc, 0, v[16:17]
	v_not_b32_e32 v17, v17
	v_ashrrev_i32_e32 v17, 31, v17
	v_and_b32_e32 v21, v21, v22
	v_xor_b32_e32 v22, vcc_hi, v17
	v_xor_b32_e32 v17, vcc_lo, v17
	v_and_b32_e32 v19, v19, v17
	v_lshlrev_b32_e32 v17, 28, v18
	v_cmp_gt_i64_e32 vcc, 0, v[16:17]
	v_not_b32_e32 v17, v17
	v_ashrrev_i32_e32 v17, 31, v17
	v_and_b32_e32 v21, v21, v22
	;; [unrolled: 8-line block ×5, first 2 shown]
	v_xor_b32_e32 v22, vcc_hi, v17
	v_xor_b32_e32 v17, vcc_lo, v17
	v_and_b32_e32 v21, v21, v22
	v_and_b32_e32 v22, v19, v17
	v_lshlrev_b32_e32 v17, 24, v18
	v_cmp_gt_i64_e32 vcc, 0, v[16:17]
	v_not_b32_e32 v17, v17
	v_ashrrev_i32_e32 v17, 31, v17
	v_xor_b32_e32 v18, vcc_hi, v17
	v_xor_b32_e32 v17, vcc_lo, v17
	; wave barrier
	ds_read_b32 v71, v72 offset:32
	v_and_b32_e32 v19, v21, v18
	v_and_b32_e32 v18, v22, v17
	v_mbcnt_lo_u32_b32 v17, v18, 0
	v_mbcnt_hi_u32_b32 v73, v19, v17
	v_cmp_eq_u32_e32 vcc, 0, v73
	v_cmp_ne_u64_e64 s[16:17], 0, v[18:19]
	s_and_b64 s[20:21], s[16:17], vcc
	; wave barrier
	s_and_saveexec_b64 s[16:17], s[20:21]
	s_cbranch_execz .LBB220_93
; %bb.92:
	v_bcnt_u32_b32 v17, v18, 0
	v_bcnt_u32_b32 v17, v19, v17
	s_waitcnt lgkmcnt(0)
	v_add_u32_e32 v17, v71, v17
	ds_write_b32 v72, v17 offset:32
.LBB220_93:
	s_or_b64 exec, exec, s[16:17]
	v_cmp_ne_u16_e32 vcc, s19, v28
	v_cndmask_b32_e32 v17, v20, v28, vcc
	v_and_b32_sdwa v18, s18, v17 dst_sel:DWORD dst_unused:UNUSED_PAD src0_sel:DWORD src1_sel:WORD_0
	v_lshlrev_b32_e32 v17, 3, v18
	v_add_lshl_u32 v75, v24, v17, 2
	v_and_b32_e32 v17, 1, v18
	v_add_co_u32_e32 v19, vcc, -1, v17
	v_addc_co_u32_e64 v20, s[16:17], 0, -1, vcc
	v_cmp_ne_u32_e32 vcc, 0, v17
	v_xor_b32_e32 v17, vcc_hi, v20
	v_and_b32_e32 v20, exec_hi, v17
	v_lshlrev_b32_e32 v17, 30, v18
	v_xor_b32_e32 v19, vcc_lo, v19
	v_cmp_gt_i64_e32 vcc, 0, v[16:17]
	v_not_b32_e32 v17, v17
	v_ashrrev_i32_e32 v17, 31, v17
	v_and_b32_e32 v19, exec_lo, v19
	v_xor_b32_e32 v21, vcc_hi, v17
	v_xor_b32_e32 v17, vcc_lo, v17
	v_and_b32_e32 v19, v19, v17
	v_lshlrev_b32_e32 v17, 29, v18
	v_cmp_gt_i64_e32 vcc, 0, v[16:17]
	v_not_b32_e32 v17, v17
	v_ashrrev_i32_e32 v17, 31, v17
	v_and_b32_e32 v20, v20, v21
	v_xor_b32_e32 v21, vcc_hi, v17
	v_xor_b32_e32 v17, vcc_lo, v17
	v_and_b32_e32 v19, v19, v17
	v_lshlrev_b32_e32 v17, 28, v18
	v_cmp_gt_i64_e32 vcc, 0, v[16:17]
	v_not_b32_e32 v17, v17
	v_ashrrev_i32_e32 v17, 31, v17
	v_and_b32_e32 v20, v20, v21
	;; [unrolled: 8-line block ×5, first 2 shown]
	v_xor_b32_e32 v21, vcc_hi, v17
	v_xor_b32_e32 v17, vcc_lo, v17
	v_and_b32_e32 v19, v19, v17
	v_lshlrev_b32_e32 v17, 24, v18
	v_cmp_gt_i64_e32 vcc, 0, v[16:17]
	v_not_b32_e32 v16, v17
	v_ashrrev_i32_e32 v16, 31, v16
	v_xor_b32_e32 v17, vcc_hi, v16
	v_xor_b32_e32 v16, vcc_lo, v16
	; wave barrier
	ds_read_b32 v74, v75 offset:32
	v_and_b32_e32 v20, v20, v21
	v_and_b32_e32 v16, v19, v16
	;; [unrolled: 1-line block ×3, first 2 shown]
	v_mbcnt_lo_u32_b32 v18, v16, 0
	v_mbcnt_hi_u32_b32 v76, v17, v18
	v_cmp_eq_u32_e32 vcc, 0, v76
	v_cmp_ne_u64_e64 s[16:17], 0, v[16:17]
	s_and_b64 s[20:21], s[16:17], vcc
	; wave barrier
	s_and_saveexec_b64 s[16:17], s[20:21]
	s_cbranch_execz .LBB220_95
; %bb.94:
	v_bcnt_u32_b32 v16, v16, 0
	v_bcnt_u32_b32 v16, v17, v16
	s_waitcnt lgkmcnt(0)
	v_add_u32_e32 v16, v74, v16
	ds_write_b32 v75, v16 offset:32
.LBB220_95:
	s_or_b64 exec, exec, s[16:17]
	v_mov_b32_e32 v20, 0x7fff
	v_cmp_ne_u16_e32 vcc, s19, v27
	v_cndmask_b32_e32 v16, v20, v27, vcc
	v_and_b32_sdwa v18, s18, v16 dst_sel:DWORD dst_unused:UNUSED_PAD src0_sel:DWORD src1_sel:WORD_0
	v_and_b32_e32 v17, 1, v18
	v_add_co_u32_e32 v19, vcc, -1, v17
	v_addc_co_u32_e64 v21, s[16:17], 0, -1, vcc
	v_cmp_ne_u32_e32 vcc, 0, v17
	v_lshlrev_b32_e32 v16, 3, v18
	v_xor_b32_e32 v17, vcc_hi, v21
	v_add_lshl_u32 v78, v24, v16, 2
	v_mov_b32_e32 v16, 0
	v_and_b32_e32 v21, exec_hi, v17
	v_lshlrev_b32_e32 v17, 30, v18
	v_xor_b32_e32 v19, vcc_lo, v19
	v_cmp_gt_i64_e32 vcc, 0, v[16:17]
	v_not_b32_e32 v17, v17
	v_ashrrev_i32_e32 v17, 31, v17
	v_and_b32_e32 v19, exec_lo, v19
	v_xor_b32_e32 v22, vcc_hi, v17
	v_xor_b32_e32 v17, vcc_lo, v17
	v_and_b32_e32 v19, v19, v17
	v_lshlrev_b32_e32 v17, 29, v18
	v_cmp_gt_i64_e32 vcc, 0, v[16:17]
	v_not_b32_e32 v17, v17
	v_ashrrev_i32_e32 v17, 31, v17
	v_and_b32_e32 v21, v21, v22
	v_xor_b32_e32 v22, vcc_hi, v17
	v_xor_b32_e32 v17, vcc_lo, v17
	v_and_b32_e32 v19, v19, v17
	v_lshlrev_b32_e32 v17, 28, v18
	v_cmp_gt_i64_e32 vcc, 0, v[16:17]
	v_not_b32_e32 v17, v17
	v_ashrrev_i32_e32 v17, 31, v17
	v_and_b32_e32 v21, v21, v22
	;; [unrolled: 8-line block ×5, first 2 shown]
	v_xor_b32_e32 v22, vcc_hi, v17
	v_xor_b32_e32 v17, vcc_lo, v17
	v_and_b32_e32 v21, v21, v22
	v_and_b32_e32 v22, v19, v17
	v_lshlrev_b32_e32 v17, 24, v18
	v_cmp_gt_i64_e32 vcc, 0, v[16:17]
	v_not_b32_e32 v17, v17
	v_ashrrev_i32_e32 v17, 31, v17
	v_xor_b32_e32 v18, vcc_hi, v17
	v_xor_b32_e32 v17, vcc_lo, v17
	; wave barrier
	ds_read_b32 v77, v78 offset:32
	v_and_b32_e32 v19, v21, v18
	v_and_b32_e32 v18, v22, v17
	v_mbcnt_lo_u32_b32 v17, v18, 0
	v_mbcnt_hi_u32_b32 v79, v19, v17
	v_cmp_eq_u32_e32 vcc, 0, v79
	v_cmp_ne_u64_e64 s[16:17], 0, v[18:19]
	s_and_b64 s[20:21], s[16:17], vcc
	; wave barrier
	s_and_saveexec_b64 s[16:17], s[20:21]
	s_cbranch_execz .LBB220_97
; %bb.96:
	v_bcnt_u32_b32 v17, v18, 0
	v_bcnt_u32_b32 v17, v19, v17
	s_waitcnt lgkmcnt(0)
	v_add_u32_e32 v17, v77, v17
	ds_write_b32 v78, v17 offset:32
.LBB220_97:
	s_or_b64 exec, exec, s[16:17]
	v_cmp_ne_u16_e32 vcc, s19, v25
	v_cndmask_b32_e32 v17, v20, v25, vcc
	v_and_b32_sdwa v18, s18, v17 dst_sel:DWORD dst_unused:UNUSED_PAD src0_sel:DWORD src1_sel:WORD_0
	v_lshlrev_b32_e32 v17, 3, v18
	v_add_lshl_u32 v81, v24, v17, 2
	v_and_b32_e32 v17, 1, v18
	v_add_co_u32_e32 v19, vcc, -1, v17
	v_addc_co_u32_e64 v20, s[16:17], 0, -1, vcc
	v_cmp_ne_u32_e32 vcc, 0, v17
	v_xor_b32_e32 v17, vcc_hi, v20
	v_and_b32_e32 v20, exec_hi, v17
	v_lshlrev_b32_e32 v17, 30, v18
	v_xor_b32_e32 v19, vcc_lo, v19
	v_cmp_gt_i64_e32 vcc, 0, v[16:17]
	v_not_b32_e32 v17, v17
	v_ashrrev_i32_e32 v17, 31, v17
	v_and_b32_e32 v19, exec_lo, v19
	v_xor_b32_e32 v21, vcc_hi, v17
	v_xor_b32_e32 v17, vcc_lo, v17
	v_and_b32_e32 v19, v19, v17
	v_lshlrev_b32_e32 v17, 29, v18
	v_cmp_gt_i64_e32 vcc, 0, v[16:17]
	v_not_b32_e32 v17, v17
	v_ashrrev_i32_e32 v17, 31, v17
	v_and_b32_e32 v20, v20, v21
	v_xor_b32_e32 v21, vcc_hi, v17
	v_xor_b32_e32 v17, vcc_lo, v17
	v_and_b32_e32 v19, v19, v17
	v_lshlrev_b32_e32 v17, 28, v18
	v_cmp_gt_i64_e32 vcc, 0, v[16:17]
	v_not_b32_e32 v17, v17
	v_ashrrev_i32_e32 v17, 31, v17
	v_and_b32_e32 v20, v20, v21
	;; [unrolled: 8-line block ×5, first 2 shown]
	v_xor_b32_e32 v21, vcc_hi, v17
	v_xor_b32_e32 v17, vcc_lo, v17
	v_and_b32_e32 v19, v19, v17
	v_lshlrev_b32_e32 v17, 24, v18
	v_cmp_gt_i64_e32 vcc, 0, v[16:17]
	v_not_b32_e32 v16, v17
	v_ashrrev_i32_e32 v16, 31, v16
	v_xor_b32_e32 v17, vcc_hi, v16
	v_xor_b32_e32 v16, vcc_lo, v16
	; wave barrier
	ds_read_b32 v80, v81 offset:32
	v_and_b32_e32 v20, v20, v21
	v_and_b32_e32 v16, v19, v16
	;; [unrolled: 1-line block ×3, first 2 shown]
	v_mbcnt_lo_u32_b32 v18, v16, 0
	v_mbcnt_hi_u32_b32 v82, v17, v18
	v_cmp_eq_u32_e32 vcc, 0, v82
	v_cmp_ne_u64_e64 s[16:17], 0, v[16:17]
	v_add_u32_e32 v22, 32, v64
	v_lshrrev_b32_e32 v23, 6, v46
	v_min_u32_e32 v34, 0x1c0, v34
	s_and_b64 s[18:19], s[16:17], vcc
	; wave barrier
	s_and_saveexec_b64 s[16:17], s[18:19]
	s_cbranch_execz .LBB220_99
; %bb.98:
	v_bcnt_u32_b32 v16, v16, 0
	v_bcnt_u32_b32 v16, v17, v16
	s_waitcnt lgkmcnt(0)
	v_add_u32_e32 v16, v80, v16
	ds_write_b32 v81, v16 offset:32
.LBB220_99:
	s_or_b64 exec, exec, s[16:17]
	; wave barrier
	s_waitcnt lgkmcnt(0)
	s_barrier
	ds_read2_b32 v[18:19], v64 offset0:8 offset1:9
	ds_read2_b32 v[20:21], v22 offset0:2 offset1:3
	v_and_b32_e32 v17, 16, v26
	v_cmp_eq_u32_e32 vcc, 0, v17
	v_or_b32_e32 v17, 63, v34
	v_cmp_eq_u32_e64 s[16:17], v17, v46
	s_waitcnt lgkmcnt(1)
	v_add_u32_e32 v17, v19, v18
	v_and_b32_e32 v16, 15, v26
	s_waitcnt lgkmcnt(0)
	v_add3_u32 v17, v17, v20, v21
	v_cmp_eq_u32_e64 s[24:25], 0, v16
	v_cmp_lt_u32_e64 s[26:27], 1, v16
	v_mov_b32_dpp v21, v17 row_shr:1 row_mask:0xf bank_mask:0xf
	v_cndmask_b32_e64 v21, v21, 0, s[24:25]
	v_add_u32_e32 v17, v21, v17
	v_cmp_lt_u32_e64 s[30:31], 3, v16
	v_cmp_lt_u32_e64 s[34:35], 7, v16
	v_mov_b32_dpp v21, v17 row_shr:2 row_mask:0xf bank_mask:0xf
	v_cndmask_b32_e64 v21, 0, v21, s[26:27]
	v_add_u32_e32 v17, v17, v21
	v_bfe_i32 v35, v26, 4, 1
	v_cmp_lt_u32_e64 s[36:37], 31, v26
	v_mov_b32_dpp v21, v17 row_shr:4 row_mask:0xf bank_mask:0xf
	v_cndmask_b32_e64 v21, 0, v21, s[30:31]
	v_add_u32_e32 v17, v17, v21
	v_lshlrev_b32_e32 v23, 2, v23
	s_nop 0
	v_mov_b32_dpp v21, v17 row_shr:8 row_mask:0xf bank_mask:0xf
	v_cndmask_b32_e64 v16, 0, v21, s[34:35]
	v_add_u32_e32 v16, v17, v16
	s_nop 1
	v_mov_b32_dpp v17, v16 row_bcast:15 row_mask:0xf bank_mask:0xf
	v_and_b32_e32 v17, v35, v17
	v_add_u32_e32 v16, v16, v17
	s_nop 1
	v_mov_b32_dpp v17, v16 row_bcast:31 row_mask:0xf bank_mask:0xf
	v_cndmask_b32_e64 v17, 0, v17, s[36:37]
	v_add_u32_e32 v17, v16, v17
	s_and_saveexec_b64 s[18:19], s[16:17]
	s_cbranch_execz .LBB220_101
; %bb.100:
	ds_write_b32 v23, v17
.LBB220_101:
	s_or_b64 exec, exec, s[18:19]
	v_and_b32_e32 v16, 7, v26
	v_cmp_gt_u32_e64 s[28:29], 8, v46
	v_lshlrev_b32_e32 v21, 2, v46
	v_cmp_eq_u32_e64 s[22:23], 0, v16
	v_cmp_lt_u32_e64 s[20:21], 1, v16
	v_cmp_lt_u32_e64 s[18:19], 3, v16
	s_waitcnt lgkmcnt(0)
	s_barrier
	s_and_saveexec_b64 s[38:39], s[28:29]
	s_cbranch_execz .LBB220_103
; %bb.102:
	ds_read_b32 v16, v21
	s_waitcnt lgkmcnt(0)
	s_nop 0
	v_mov_b32_dpp v34, v16 row_shr:1 row_mask:0xf bank_mask:0xf
	v_cndmask_b32_e64 v34, v34, 0, s[22:23]
	v_add_u32_e32 v16, v34, v16
	s_nop 1
	v_mov_b32_dpp v34, v16 row_shr:2 row_mask:0xf bank_mask:0xf
	v_cndmask_b32_e64 v34, 0, v34, s[20:21]
	v_add_u32_e32 v16, v16, v34
	;; [unrolled: 4-line block ×3, first 2 shown]
	ds_write_b32 v21, v16
.LBB220_103:
	s_or_b64 exec, exec, s[38:39]
	v_cmp_lt_u32_e64 s[38:39], 63, v46
	v_add_u32_e32 v34, -4, v23
	v_mov_b32_e32 v16, 0
	v_mov_b32_e32 v83, 0
	s_waitcnt lgkmcnt(0)
	s_barrier
	s_and_saveexec_b64 s[40:41], s[38:39]
	s_cbranch_execz .LBB220_105
; %bb.104:
	ds_read_b32 v83, v34
.LBB220_105:
	s_or_b64 exec, exec, s[40:41]
	v_add_u32_e32 v35, -1, v26
	v_and_b32_e32 v84, 64, v26
	v_cmp_lt_i32_e64 s[40:41], v35, v84
	v_cndmask_b32_e64 v35, v35, v26, s[40:41]
	v_lshlrev_b32_e32 v35, 2, v35
	s_waitcnt lgkmcnt(0)
	v_add_u32_e32 v17, v83, v17
	ds_bpermute_b32 v17, v35, v17
	v_cmp_eq_u32_e64 s[40:41], 0, v26
	v_cmp_eq_u32_e64 s[42:43], 0, v46
	v_and_or_b32 v36, v26, 63, v36
	v_lshlrev_b32_e32 v84, 1, v36
	s_waitcnt lgkmcnt(0)
	v_cndmask_b32_e64 v17, v17, v83, s[40:41]
	v_cndmask_b32_e64 v17, v17, 0, s[42:43]
	v_add_u32_e32 v18, v17, v18
	v_add_u32_e32 v19, v18, v19
	;; [unrolled: 1-line block ×3, first 2 shown]
	ds_write2_b32 v64, v17, v18 offset0:8 offset1:9
	ds_write2_b32 v22, v19, v20 offset0:2 offset1:3
	s_waitcnt lgkmcnt(0)
	s_barrier
	ds_read_b32 v17, v37 offset:32
	ds_read_b32 v18, v40 offset:32
	;; [unrolled: 1-line block ×8, first 2 shown]
	s_waitcnt lgkmcnt(7)
	v_add_u32_e32 v17, v17, v38
	s_waitcnt lgkmcnt(6)
	v_add3_u32 v18, v41, v39, v18
	s_waitcnt lgkmcnt(4)
	v_add3_u32 v38, v70, v68, v20
	v_lshlrev_b32_e32 v20, 1, v17
	v_add3_u32 v19, v67, v65, v19
	s_waitcnt lgkmcnt(0)
	s_barrier
	ds_write_b16 v20, v33
	v_lshlrev_b32_e32 v20, 1, v18
	ds_write_b16 v20, v32
	v_lshlrev_b32_e32 v20, 1, v19
	v_add3_u32 v39, v73, v71, v26
	ds_write_b16 v20, v31
	v_lshlrev_b32_e32 v20, 1, v38
	v_add3_u32 v37, v76, v74, v37
	;; [unrolled: 3-line block ×4, first 2 shown]
	ds_write_b16 v20, v28
	v_lshlrev_b32_e32 v20, 1, v40
	ds_write_b16 v20, v27
	v_lshlrev_b32_e32 v20, 1, v41
	v_lshlrev_b32_e32 v17, 3, v17
	s_min_u32 s44, s44, 8
	ds_write_b16 v20, v25
	s_waitcnt lgkmcnt(0)
	s_barrier
	ds_read_u16 v31, v84
	ds_read_u16 v30, v84 offset:128
	ds_read_u16 v29, v84 offset:256
	;; [unrolled: 1-line block ×7, first 2 shown]
	s_waitcnt lgkmcnt(0)
	s_barrier
	ds_write_b64 v17, v[12:13]
	v_lshlrev_b32_e32 v12, 3, v18
	s_lshl_b32 s44, -1, s44
	s_movk_i32 s54, 0x8000
	ds_write_b64 v12, v[14:15]
	v_lshlrev_b32_e32 v12, 3, v19
	s_not_b32 s53, s44
	v_lshrrev_b16_e32 v17, 8, v31
	v_mov_b32_e32 v18, 0x7f
	v_cmp_ne_u16_e64 s[44:45], s54, v31
	ds_write_b64 v12, v[8:9]
	v_lshlrev_b32_e32 v8, 3, v38
	v_cndmask_b32_e64 v17, v18, v17, s[44:45]
	ds_write_b64 v8, v[10:11]
	v_lshlrev_b32_e32 v8, 3, v39
	v_and_b32_sdwa v19, v17, s53 dst_sel:DWORD dst_unused:UNUSED_PAD src0_sel:WORD_0 src1_sel:DWORD
	ds_write_b64 v8, v[4:5]
	v_lshlrev_b32_e32 v4, 3, v37
	v_lshlrev_b32_e32 v17, 3, v19
	ds_write_b64 v4, v[6:7]
	v_lshlrev_b32_e32 v4, 3, v40
	v_add_lshl_u32 v32, v17, v24, 2
	v_and_b32_e32 v17, 1, v19
	v_lshlrev_b32_e32 v36, 3, v36
	ds_write_b64 v4, v[0:1]
	v_lshlrev_b32_e32 v0, 3, v41
	v_add_co_u32_e64 v33, s[44:45], -1, v17
	ds_write_b64 v0, v[2:3]
	s_waitcnt lgkmcnt(0)
	s_barrier
	ds_read2st64_b64 v[12:15], v36 offset1:1
	ds_read2st64_b64 v[8:11], v36 offset0:2 offset1:3
	ds_read2st64_b64 v[4:7], v36 offset0:4 offset1:5
	;; [unrolled: 1-line block ×3, first 2 shown]
	v_addc_co_u32_e64 v36, s[44:45], 0, -1, s[44:45]
	v_cmp_ne_u32_e64 s[44:45], 0, v17
	v_xor_b32_e32 v17, s45, v36
	v_and_b32_e32 v36, exec_hi, v17
	v_lshlrev_b32_e32 v17, 30, v19
	v_xor_b32_e32 v33, s44, v33
	v_cmp_gt_i64_e64 s[44:45], 0, v[16:17]
	v_not_b32_e32 v17, v17
	v_ashrrev_i32_e32 v17, 31, v17
	v_and_b32_e32 v33, exec_lo, v33
	v_xor_b32_e32 v37, s45, v17
	v_xor_b32_e32 v17, s44, v17
	v_and_b32_e32 v33, v33, v17
	v_lshlrev_b32_e32 v17, 29, v19
	v_cmp_gt_i64_e64 s[44:45], 0, v[16:17]
	v_not_b32_e32 v17, v17
	v_ashrrev_i32_e32 v17, 31, v17
	v_and_b32_e32 v36, v36, v37
	v_xor_b32_e32 v37, s45, v17
	v_xor_b32_e32 v17, s44, v17
	v_and_b32_e32 v33, v33, v17
	v_lshlrev_b32_e32 v17, 28, v19
	v_cmp_gt_i64_e64 s[44:45], 0, v[16:17]
	v_not_b32_e32 v17, v17
	v_ashrrev_i32_e32 v17, 31, v17
	v_and_b32_e32 v36, v36, v37
	;; [unrolled: 8-line block ×5, first 2 shown]
	v_xor_b32_e32 v37, s45, v17
	v_xor_b32_e32 v17, s44, v17
	v_and_b32_e32 v33, v33, v17
	v_lshlrev_b32_e32 v17, 24, v19
	s_waitcnt lgkmcnt(0)
	s_barrier
	ds_write2_b32 v64, v16, v16 offset0:8 offset1:9
	ds_write2_b32 v22, v16, v16 offset0:2 offset1:3
	v_cmp_gt_i64_e64 s[44:45], 0, v[16:17]
	v_not_b32_e32 v16, v17
	v_ashrrev_i32_e32 v16, 31, v16
	v_xor_b32_e32 v17, s45, v16
	v_xor_b32_e32 v16, s44, v16
	v_and_b32_e32 v36, v36, v37
	v_and_b32_e32 v16, v33, v16
	;; [unrolled: 1-line block ×3, first 2 shown]
	v_mbcnt_lo_u32_b32 v19, v16, 0
	v_mbcnt_hi_u32_b32 v33, v17, v19
	v_cmp_eq_u32_e64 s[44:45], 0, v33
	v_cmp_ne_u64_e64 s[46:47], 0, v[16:17]
	s_and_b64 s[46:47], s[46:47], s[44:45]
	s_waitcnt lgkmcnt(0)
	s_barrier
	s_waitcnt lgkmcnt(0)
	; wave barrier
	s_and_saveexec_b64 s[44:45], s[46:47]
	s_cbranch_execz .LBB220_107
; %bb.106:
	v_bcnt_u32_b32 v16, v16, 0
	v_bcnt_u32_b32 v16, v17, v16
	ds_write_b32 v32, v16 offset:32
.LBB220_107:
	s_or_b64 exec, exec, s[44:45]
	v_lshrrev_b16_e32 v16, 8, v30
	v_cmp_ne_u16_e64 s[44:45], s54, v30
	v_cndmask_b32_e64 v16, v18, v16, s[44:45]
	v_and_b32_e32 v18, s53, v16
	v_and_b32_e32 v17, 1, v18
	v_add_co_u32_e64 v19, s[44:45], -1, v17
	v_addc_co_u32_e64 v38, s[44:45], 0, -1, s[44:45]
	v_cmp_ne_u32_e64 s[44:45], 0, v17
	v_lshlrev_b32_e32 v16, 3, v18
	v_xor_b32_e32 v17, s45, v38
	v_add_lshl_u32 v37, v16, v24, 2
	v_mov_b32_e32 v16, 0
	v_and_b32_e32 v38, exec_hi, v17
	v_lshlrev_b32_e32 v17, 30, v18
	v_xor_b32_e32 v19, s44, v19
	v_cmp_gt_i64_e64 s[44:45], 0, v[16:17]
	v_not_b32_e32 v17, v17
	v_ashrrev_i32_e32 v17, 31, v17
	v_and_b32_e32 v19, exec_lo, v19
	v_xor_b32_e32 v39, s45, v17
	v_xor_b32_e32 v17, s44, v17
	v_and_b32_e32 v19, v19, v17
	v_lshlrev_b32_e32 v17, 29, v18
	v_cmp_gt_i64_e64 s[44:45], 0, v[16:17]
	v_not_b32_e32 v17, v17
	v_ashrrev_i32_e32 v17, 31, v17
	v_and_b32_e32 v38, v38, v39
	v_xor_b32_e32 v39, s45, v17
	v_xor_b32_e32 v17, s44, v17
	v_and_b32_e32 v19, v19, v17
	v_lshlrev_b32_e32 v17, 28, v18
	v_cmp_gt_i64_e64 s[44:45], 0, v[16:17]
	v_not_b32_e32 v17, v17
	v_ashrrev_i32_e32 v17, 31, v17
	v_and_b32_e32 v38, v38, v39
	;; [unrolled: 8-line block ×5, first 2 shown]
	v_xor_b32_e32 v39, s45, v17
	v_xor_b32_e32 v17, s44, v17
	v_and_b32_e32 v38, v38, v39
	v_and_b32_e32 v39, v19, v17
	v_lshlrev_b32_e32 v17, 24, v18
	v_cmp_gt_i64_e64 s[44:45], 0, v[16:17]
	v_not_b32_e32 v17, v17
	v_ashrrev_i32_e32 v17, 31, v17
	v_xor_b32_e32 v18, s45, v17
	v_xor_b32_e32 v17, s44, v17
	; wave barrier
	ds_read_b32 v36, v37 offset:32
	v_and_b32_e32 v19, v38, v18
	v_and_b32_e32 v18, v39, v17
	v_mbcnt_lo_u32_b32 v17, v18, 0
	v_mbcnt_hi_u32_b32 v38, v19, v17
	v_cmp_eq_u32_e64 s[44:45], 0, v38
	v_cmp_ne_u64_e64 s[46:47], 0, v[18:19]
	s_and_b64 s[46:47], s[46:47], s[44:45]
	; wave barrier
	s_and_saveexec_b64 s[44:45], s[46:47]
	s_cbranch_execz .LBB220_109
; %bb.108:
	v_bcnt_u32_b32 v17, v18, 0
	v_bcnt_u32_b32 v17, v19, v17
	s_waitcnt lgkmcnt(0)
	v_add_u32_e32 v17, v36, v17
	ds_write_b32 v37, v17 offset:32
.LBB220_109:
	s_or_b64 exec, exec, s[44:45]
	v_lshrrev_b16_e32 v17, 8, v29
	v_mov_b32_e32 v18, 0x7f
	v_cmp_ne_u16_e64 s[44:45], s54, v29
	v_cndmask_b32_e64 v17, v18, v17, s[44:45]
	v_and_b32_e32 v19, s53, v17
	v_lshlrev_b32_e32 v17, 3, v19
	v_add_lshl_u32 v40, v17, v24, 2
	v_and_b32_e32 v17, 1, v19
	v_add_co_u32_e64 v41, s[44:45], -1, v17
	v_addc_co_u32_e64 v46, s[44:45], 0, -1, s[44:45]
	v_cmp_ne_u32_e64 s[44:45], 0, v17
	v_xor_b32_e32 v17, s45, v46
	v_and_b32_e32 v46, exec_hi, v17
	v_lshlrev_b32_e32 v17, 30, v19
	v_xor_b32_e32 v41, s44, v41
	v_cmp_gt_i64_e64 s[44:45], 0, v[16:17]
	v_not_b32_e32 v17, v17
	v_ashrrev_i32_e32 v17, 31, v17
	v_and_b32_e32 v41, exec_lo, v41
	v_xor_b32_e32 v65, s45, v17
	v_xor_b32_e32 v17, s44, v17
	v_and_b32_e32 v41, v41, v17
	v_lshlrev_b32_e32 v17, 29, v19
	v_cmp_gt_i64_e64 s[44:45], 0, v[16:17]
	v_not_b32_e32 v17, v17
	v_ashrrev_i32_e32 v17, 31, v17
	v_and_b32_e32 v46, v46, v65
	v_xor_b32_e32 v65, s45, v17
	v_xor_b32_e32 v17, s44, v17
	v_and_b32_e32 v41, v41, v17
	v_lshlrev_b32_e32 v17, 28, v19
	v_cmp_gt_i64_e64 s[44:45], 0, v[16:17]
	v_not_b32_e32 v17, v17
	v_ashrrev_i32_e32 v17, 31, v17
	v_and_b32_e32 v46, v46, v65
	;; [unrolled: 8-line block ×5, first 2 shown]
	v_xor_b32_e32 v65, s45, v17
	v_xor_b32_e32 v17, s44, v17
	v_and_b32_e32 v41, v41, v17
	v_lshlrev_b32_e32 v17, 24, v19
	v_cmp_gt_i64_e64 s[44:45], 0, v[16:17]
	v_not_b32_e32 v16, v17
	v_ashrrev_i32_e32 v16, 31, v16
	v_xor_b32_e32 v17, s45, v16
	v_xor_b32_e32 v16, s44, v16
	; wave barrier
	ds_read_b32 v39, v40 offset:32
	v_and_b32_e32 v46, v46, v65
	v_and_b32_e32 v16, v41, v16
	;; [unrolled: 1-line block ×3, first 2 shown]
	v_mbcnt_lo_u32_b32 v19, v16, 0
	v_mbcnt_hi_u32_b32 v41, v17, v19
	v_cmp_eq_u32_e64 s[44:45], 0, v41
	v_cmp_ne_u64_e64 s[46:47], 0, v[16:17]
	s_and_b64 s[46:47], s[46:47], s[44:45]
	; wave barrier
	s_and_saveexec_b64 s[44:45], s[46:47]
	s_cbranch_execz .LBB220_111
; %bb.110:
	v_bcnt_u32_b32 v16, v16, 0
	v_bcnt_u32_b32 v16, v17, v16
	s_waitcnt lgkmcnt(0)
	v_add_u32_e32 v16, v39, v16
	ds_write_b32 v40, v16 offset:32
.LBB220_111:
	s_or_b64 exec, exec, s[44:45]
	v_lshrrev_b16_e32 v16, 8, v28
	v_cmp_ne_u16_e64 s[44:45], s54, v28
	v_cndmask_b32_e64 v16, v18, v16, s[44:45]
	v_and_b32_e32 v18, s53, v16
	v_and_b32_e32 v17, 1, v18
	v_add_co_u32_e64 v19, s[44:45], -1, v17
	v_addc_co_u32_e64 v66, s[44:45], 0, -1, s[44:45]
	v_cmp_ne_u32_e64 s[44:45], 0, v17
	v_lshlrev_b32_e32 v16, 3, v18
	v_xor_b32_e32 v17, s45, v66
	v_add_lshl_u32 v65, v16, v24, 2
	v_mov_b32_e32 v16, 0
	v_and_b32_e32 v66, exec_hi, v17
	v_lshlrev_b32_e32 v17, 30, v18
	v_xor_b32_e32 v19, s44, v19
	v_cmp_gt_i64_e64 s[44:45], 0, v[16:17]
	v_not_b32_e32 v17, v17
	v_ashrrev_i32_e32 v17, 31, v17
	v_and_b32_e32 v19, exec_lo, v19
	v_xor_b32_e32 v67, s45, v17
	v_xor_b32_e32 v17, s44, v17
	v_and_b32_e32 v19, v19, v17
	v_lshlrev_b32_e32 v17, 29, v18
	v_cmp_gt_i64_e64 s[44:45], 0, v[16:17]
	v_not_b32_e32 v17, v17
	v_ashrrev_i32_e32 v17, 31, v17
	v_and_b32_e32 v66, v66, v67
	v_xor_b32_e32 v67, s45, v17
	v_xor_b32_e32 v17, s44, v17
	v_and_b32_e32 v19, v19, v17
	v_lshlrev_b32_e32 v17, 28, v18
	v_cmp_gt_i64_e64 s[44:45], 0, v[16:17]
	v_not_b32_e32 v17, v17
	v_ashrrev_i32_e32 v17, 31, v17
	v_and_b32_e32 v66, v66, v67
	;; [unrolled: 8-line block ×5, first 2 shown]
	v_xor_b32_e32 v67, s45, v17
	v_xor_b32_e32 v17, s44, v17
	v_and_b32_e32 v66, v66, v67
	v_and_b32_e32 v67, v19, v17
	v_lshlrev_b32_e32 v17, 24, v18
	v_cmp_gt_i64_e64 s[44:45], 0, v[16:17]
	v_not_b32_e32 v17, v17
	v_ashrrev_i32_e32 v17, 31, v17
	v_xor_b32_e32 v18, s45, v17
	v_xor_b32_e32 v17, s44, v17
	; wave barrier
	ds_read_b32 v46, v65 offset:32
	v_and_b32_e32 v19, v66, v18
	v_and_b32_e32 v18, v67, v17
	v_mbcnt_lo_u32_b32 v17, v18, 0
	v_mbcnt_hi_u32_b32 v66, v19, v17
	v_cmp_eq_u32_e64 s[44:45], 0, v66
	v_cmp_ne_u64_e64 s[46:47], 0, v[18:19]
	s_and_b64 s[46:47], s[46:47], s[44:45]
	; wave barrier
	s_and_saveexec_b64 s[44:45], s[46:47]
	s_cbranch_execz .LBB220_113
; %bb.112:
	v_bcnt_u32_b32 v17, v18, 0
	v_bcnt_u32_b32 v17, v19, v17
	s_waitcnt lgkmcnt(0)
	v_add_u32_e32 v17, v46, v17
	ds_write_b32 v65, v17 offset:32
.LBB220_113:
	s_or_b64 exec, exec, s[44:45]
	v_lshrrev_b16_e32 v17, 8, v27
	v_mov_b32_e32 v18, 0x7f
	v_cmp_ne_u16_e64 s[44:45], s54, v27
	v_cndmask_b32_e64 v17, v18, v17, s[44:45]
	v_and_b32_e32 v19, s53, v17
	v_lshlrev_b32_e32 v17, 3, v19
	v_add_lshl_u32 v68, v17, v24, 2
	v_and_b32_e32 v17, 1, v19
	v_add_co_u32_e64 v69, s[44:45], -1, v17
	v_addc_co_u32_e64 v70, s[44:45], 0, -1, s[44:45]
	v_cmp_ne_u32_e64 s[44:45], 0, v17
	v_xor_b32_e32 v17, s45, v70
	v_and_b32_e32 v70, exec_hi, v17
	v_lshlrev_b32_e32 v17, 30, v19
	v_xor_b32_e32 v69, s44, v69
	v_cmp_gt_i64_e64 s[44:45], 0, v[16:17]
	v_not_b32_e32 v17, v17
	v_ashrrev_i32_e32 v17, 31, v17
	v_and_b32_e32 v69, exec_lo, v69
	v_xor_b32_e32 v71, s45, v17
	v_xor_b32_e32 v17, s44, v17
	v_and_b32_e32 v69, v69, v17
	v_lshlrev_b32_e32 v17, 29, v19
	v_cmp_gt_i64_e64 s[44:45], 0, v[16:17]
	v_not_b32_e32 v17, v17
	v_ashrrev_i32_e32 v17, 31, v17
	v_and_b32_e32 v70, v70, v71
	v_xor_b32_e32 v71, s45, v17
	v_xor_b32_e32 v17, s44, v17
	v_and_b32_e32 v69, v69, v17
	v_lshlrev_b32_e32 v17, 28, v19
	v_cmp_gt_i64_e64 s[44:45], 0, v[16:17]
	v_not_b32_e32 v17, v17
	v_ashrrev_i32_e32 v17, 31, v17
	v_and_b32_e32 v70, v70, v71
	;; [unrolled: 8-line block ×5, first 2 shown]
	v_xor_b32_e32 v71, s45, v17
	v_xor_b32_e32 v17, s44, v17
	v_and_b32_e32 v69, v69, v17
	v_lshlrev_b32_e32 v17, 24, v19
	v_cmp_gt_i64_e64 s[44:45], 0, v[16:17]
	v_not_b32_e32 v16, v17
	v_ashrrev_i32_e32 v16, 31, v16
	v_xor_b32_e32 v17, s45, v16
	v_xor_b32_e32 v16, s44, v16
	; wave barrier
	ds_read_b32 v67, v68 offset:32
	v_and_b32_e32 v70, v70, v71
	v_and_b32_e32 v16, v69, v16
	;; [unrolled: 1-line block ×3, first 2 shown]
	v_mbcnt_lo_u32_b32 v19, v16, 0
	v_mbcnt_hi_u32_b32 v69, v17, v19
	v_cmp_eq_u32_e64 s[44:45], 0, v69
	v_cmp_ne_u64_e64 s[46:47], 0, v[16:17]
	s_and_b64 s[46:47], s[46:47], s[44:45]
	; wave barrier
	s_and_saveexec_b64 s[44:45], s[46:47]
	s_cbranch_execz .LBB220_115
; %bb.114:
	v_bcnt_u32_b32 v16, v16, 0
	v_bcnt_u32_b32 v16, v17, v16
	s_waitcnt lgkmcnt(0)
	v_add_u32_e32 v16, v67, v16
	ds_write_b32 v68, v16 offset:32
.LBB220_115:
	s_or_b64 exec, exec, s[44:45]
	v_lshrrev_b16_e32 v16, 8, v26
	v_cmp_ne_u16_e64 s[44:45], s54, v26
	v_cndmask_b32_e64 v16, v18, v16, s[44:45]
	v_and_b32_e32 v18, s53, v16
	v_and_b32_e32 v17, 1, v18
	v_add_co_u32_e64 v19, s[44:45], -1, v17
	v_addc_co_u32_e64 v72, s[44:45], 0, -1, s[44:45]
	v_cmp_ne_u32_e64 s[44:45], 0, v17
	v_lshlrev_b32_e32 v16, 3, v18
	v_xor_b32_e32 v17, s45, v72
	v_add_lshl_u32 v71, v16, v24, 2
	v_mov_b32_e32 v16, 0
	v_and_b32_e32 v72, exec_hi, v17
	v_lshlrev_b32_e32 v17, 30, v18
	v_xor_b32_e32 v19, s44, v19
	v_cmp_gt_i64_e64 s[44:45], 0, v[16:17]
	v_not_b32_e32 v17, v17
	v_ashrrev_i32_e32 v17, 31, v17
	v_and_b32_e32 v19, exec_lo, v19
	v_xor_b32_e32 v73, s45, v17
	v_xor_b32_e32 v17, s44, v17
	v_and_b32_e32 v19, v19, v17
	v_lshlrev_b32_e32 v17, 29, v18
	v_cmp_gt_i64_e64 s[44:45], 0, v[16:17]
	v_not_b32_e32 v17, v17
	v_ashrrev_i32_e32 v17, 31, v17
	v_and_b32_e32 v72, v72, v73
	v_xor_b32_e32 v73, s45, v17
	v_xor_b32_e32 v17, s44, v17
	v_and_b32_e32 v19, v19, v17
	v_lshlrev_b32_e32 v17, 28, v18
	v_cmp_gt_i64_e64 s[44:45], 0, v[16:17]
	v_not_b32_e32 v17, v17
	v_ashrrev_i32_e32 v17, 31, v17
	v_and_b32_e32 v72, v72, v73
	;; [unrolled: 8-line block ×5, first 2 shown]
	v_xor_b32_e32 v73, s45, v17
	v_xor_b32_e32 v17, s44, v17
	v_and_b32_e32 v72, v72, v73
	v_and_b32_e32 v73, v19, v17
	v_lshlrev_b32_e32 v17, 24, v18
	v_cmp_gt_i64_e64 s[44:45], 0, v[16:17]
	v_not_b32_e32 v17, v17
	v_ashrrev_i32_e32 v17, 31, v17
	v_xor_b32_e32 v18, s45, v17
	v_xor_b32_e32 v17, s44, v17
	; wave barrier
	ds_read_b32 v70, v71 offset:32
	v_and_b32_e32 v19, v72, v18
	v_and_b32_e32 v18, v73, v17
	v_mbcnt_lo_u32_b32 v17, v18, 0
	v_mbcnt_hi_u32_b32 v72, v19, v17
	v_cmp_eq_u32_e64 s[44:45], 0, v72
	v_cmp_ne_u64_e64 s[46:47], 0, v[18:19]
	s_and_b64 s[46:47], s[46:47], s[44:45]
	; wave barrier
	s_and_saveexec_b64 s[44:45], s[46:47]
	s_cbranch_execz .LBB220_117
; %bb.116:
	v_bcnt_u32_b32 v17, v18, 0
	v_bcnt_u32_b32 v17, v19, v17
	s_waitcnt lgkmcnt(0)
	v_add_u32_e32 v17, v70, v17
	ds_write_b32 v71, v17 offset:32
.LBB220_117:
	s_or_b64 exec, exec, s[44:45]
	v_lshrrev_b16_e32 v17, 8, v25
	v_mov_b32_e32 v18, 0x7f
	v_cmp_ne_u16_e64 s[44:45], s54, v25
	v_cndmask_b32_e64 v17, v18, v17, s[44:45]
	v_and_b32_e32 v19, s53, v17
	v_lshlrev_b32_e32 v17, 3, v19
	v_add_lshl_u32 v74, v17, v24, 2
	v_and_b32_e32 v17, 1, v19
	v_add_co_u32_e64 v75, s[44:45], -1, v17
	v_addc_co_u32_e64 v76, s[44:45], 0, -1, s[44:45]
	v_cmp_ne_u32_e64 s[44:45], 0, v17
	v_xor_b32_e32 v17, s45, v76
	v_and_b32_e32 v76, exec_hi, v17
	v_lshlrev_b32_e32 v17, 30, v19
	v_xor_b32_e32 v75, s44, v75
	v_cmp_gt_i64_e64 s[44:45], 0, v[16:17]
	v_not_b32_e32 v17, v17
	v_ashrrev_i32_e32 v17, 31, v17
	v_and_b32_e32 v75, exec_lo, v75
	v_xor_b32_e32 v77, s45, v17
	v_xor_b32_e32 v17, s44, v17
	v_and_b32_e32 v75, v75, v17
	v_lshlrev_b32_e32 v17, 29, v19
	v_cmp_gt_i64_e64 s[44:45], 0, v[16:17]
	v_not_b32_e32 v17, v17
	v_ashrrev_i32_e32 v17, 31, v17
	v_and_b32_e32 v76, v76, v77
	v_xor_b32_e32 v77, s45, v17
	v_xor_b32_e32 v17, s44, v17
	v_and_b32_e32 v75, v75, v17
	v_lshlrev_b32_e32 v17, 28, v19
	v_cmp_gt_i64_e64 s[44:45], 0, v[16:17]
	v_not_b32_e32 v17, v17
	v_ashrrev_i32_e32 v17, 31, v17
	v_and_b32_e32 v76, v76, v77
	;; [unrolled: 8-line block ×5, first 2 shown]
	v_xor_b32_e32 v77, s45, v17
	v_xor_b32_e32 v17, s44, v17
	v_and_b32_e32 v75, v75, v17
	v_lshlrev_b32_e32 v17, 24, v19
	v_cmp_gt_i64_e64 s[44:45], 0, v[16:17]
	v_not_b32_e32 v16, v17
	v_ashrrev_i32_e32 v16, 31, v16
	v_xor_b32_e32 v17, s45, v16
	v_xor_b32_e32 v16, s44, v16
	; wave barrier
	ds_read_b32 v73, v74 offset:32
	v_and_b32_e32 v76, v76, v77
	v_and_b32_e32 v16, v75, v16
	;; [unrolled: 1-line block ×3, first 2 shown]
	v_mbcnt_lo_u32_b32 v19, v16, 0
	v_mbcnt_hi_u32_b32 v75, v17, v19
	v_cmp_eq_u32_e64 s[44:45], 0, v75
	v_cmp_ne_u64_e64 s[46:47], 0, v[16:17]
	s_and_b64 s[46:47], s[46:47], s[44:45]
	; wave barrier
	s_and_saveexec_b64 s[44:45], s[46:47]
	s_cbranch_execz .LBB220_119
; %bb.118:
	v_bcnt_u32_b32 v16, v16, 0
	v_bcnt_u32_b32 v16, v17, v16
	s_waitcnt lgkmcnt(0)
	v_add_u32_e32 v16, v73, v16
	ds_write_b32 v74, v16 offset:32
.LBB220_119:
	s_or_b64 exec, exec, s[44:45]
	v_lshrrev_b16_e32 v16, 8, v20
	v_cmp_ne_u16_e64 s[44:45], s54, v20
	v_cndmask_b32_e64 v16, v18, v16, s[44:45]
	v_and_b32_e32 v18, s53, v16
	v_and_b32_e32 v17, 1, v18
	v_add_co_u32_e64 v19, s[44:45], -1, v17
	v_addc_co_u32_e64 v77, s[44:45], 0, -1, s[44:45]
	v_cmp_ne_u32_e64 s[44:45], 0, v17
	v_lshlrev_b32_e32 v16, 3, v18
	v_xor_b32_e32 v17, s45, v77
	v_add_lshl_u32 v76, v16, v24, 2
	v_mov_b32_e32 v16, 0
	v_and_b32_e32 v77, exec_hi, v17
	v_lshlrev_b32_e32 v17, 30, v18
	v_xor_b32_e32 v19, s44, v19
	v_cmp_gt_i64_e64 s[44:45], 0, v[16:17]
	v_not_b32_e32 v17, v17
	v_ashrrev_i32_e32 v17, 31, v17
	v_and_b32_e32 v19, exec_lo, v19
	v_xor_b32_e32 v78, s45, v17
	v_xor_b32_e32 v17, s44, v17
	v_and_b32_e32 v19, v19, v17
	v_lshlrev_b32_e32 v17, 29, v18
	v_cmp_gt_i64_e64 s[44:45], 0, v[16:17]
	v_not_b32_e32 v17, v17
	v_ashrrev_i32_e32 v17, 31, v17
	v_and_b32_e32 v77, v77, v78
	v_xor_b32_e32 v78, s45, v17
	v_xor_b32_e32 v17, s44, v17
	v_and_b32_e32 v19, v19, v17
	v_lshlrev_b32_e32 v17, 28, v18
	v_cmp_gt_i64_e64 s[44:45], 0, v[16:17]
	v_not_b32_e32 v17, v17
	v_ashrrev_i32_e32 v17, 31, v17
	v_and_b32_e32 v77, v77, v78
	v_xor_b32_e32 v78, s45, v17
	v_xor_b32_e32 v17, s44, v17
	v_and_b32_e32 v19, v19, v17
	v_lshlrev_b32_e32 v17, 27, v18
	v_cmp_gt_i64_e64 s[44:45], 0, v[16:17]
	v_not_b32_e32 v17, v17
	v_ashrrev_i32_e32 v17, 31, v17
	v_and_b32_e32 v77, v77, v78
	v_xor_b32_e32 v78, s45, v17
	v_xor_b32_e32 v17, s44, v17
	v_and_b32_e32 v19, v19, v17
	v_lshlrev_b32_e32 v17, 26, v18
	v_cmp_gt_i64_e64 s[44:45], 0, v[16:17]
	v_not_b32_e32 v17, v17
	v_ashrrev_i32_e32 v17, 31, v17
	v_and_b32_e32 v77, v77, v78
	v_xor_b32_e32 v78, s45, v17
	v_xor_b32_e32 v17, s44, v17
	v_and_b32_e32 v19, v19, v17
	v_lshlrev_b32_e32 v17, 25, v18
	v_cmp_gt_i64_e64 s[44:45], 0, v[16:17]
	v_not_b32_e32 v17, v17
	v_ashrrev_i32_e32 v17, 31, v17
	v_and_b32_e32 v77, v77, v78
	v_xor_b32_e32 v78, s45, v17
	v_xor_b32_e32 v17, s44, v17
	v_and_b32_e32 v19, v19, v17
	v_lshlrev_b32_e32 v17, 24, v18
	v_cmp_gt_i64_e64 s[44:45], 0, v[16:17]
	v_not_b32_e32 v16, v17
	v_ashrrev_i32_e32 v16, 31, v16
	v_xor_b32_e32 v17, s45, v16
	v_xor_b32_e32 v16, s44, v16
	; wave barrier
	ds_read_b32 v24, v76 offset:32
	v_and_b32_e32 v77, v77, v78
	v_and_b32_e32 v16, v19, v16
	v_and_b32_e32 v17, v77, v17
	v_mbcnt_lo_u32_b32 v18, v16, 0
	v_mbcnt_hi_u32_b32 v77, v17, v18
	v_cmp_eq_u32_e64 s[44:45], 0, v77
	v_cmp_ne_u64_e64 s[46:47], 0, v[16:17]
	s_and_b64 s[46:47], s[46:47], s[44:45]
	; wave barrier
	s_and_saveexec_b64 s[44:45], s[46:47]
	s_cbranch_execz .LBB220_121
; %bb.120:
	v_bcnt_u32_b32 v16, v16, 0
	v_bcnt_u32_b32 v16, v17, v16
	s_waitcnt lgkmcnt(0)
	v_add_u32_e32 v16, v24, v16
	ds_write_b32 v76, v16 offset:32
.LBB220_121:
	s_or_b64 exec, exec, s[44:45]
	; wave barrier
	s_waitcnt lgkmcnt(0)
	s_barrier
	ds_read2_b32 v[18:19], v64 offset0:8 offset1:9
	ds_read2_b32 v[16:17], v22 offset0:2 offset1:3
	s_waitcnt lgkmcnt(1)
	v_add_u32_e32 v78, v19, v18
	s_waitcnt lgkmcnt(0)
	v_add3_u32 v17, v78, v16, v17
	s_nop 1
	v_mov_b32_dpp v78, v17 row_shr:1 row_mask:0xf bank_mask:0xf
	v_cndmask_b32_e64 v78, v78, 0, s[24:25]
	v_add_u32_e32 v17, v78, v17
	s_nop 1
	v_mov_b32_dpp v78, v17 row_shr:2 row_mask:0xf bank_mask:0xf
	v_cndmask_b32_e64 v78, 0, v78, s[26:27]
	v_add_u32_e32 v17, v17, v78
	;; [unrolled: 4-line block ×4, first 2 shown]
	s_nop 1
	v_mov_b32_dpp v78, v17 row_bcast:15 row_mask:0xf bank_mask:0xf
	v_cndmask_b32_e64 v78, v78, 0, vcc
	v_add_u32_e32 v17, v17, v78
	s_nop 1
	v_mov_b32_dpp v78, v17 row_bcast:31 row_mask:0xf bank_mask:0xf
	v_cndmask_b32_e64 v78, 0, v78, s[36:37]
	v_add_u32_e32 v78, v17, v78
	s_and_saveexec_b64 s[24:25], s[16:17]
	s_cbranch_execz .LBB220_123
; %bb.122:
	ds_write_b32 v23, v78
.LBB220_123:
	s_or_b64 exec, exec, s[24:25]
	s_waitcnt lgkmcnt(0)
	s_barrier
	s_and_saveexec_b64 s[16:17], s[28:29]
	s_cbranch_execz .LBB220_125
; %bb.124:
	ds_read_b32 v17, v21
	s_waitcnt lgkmcnt(0)
	s_nop 0
	v_mov_b32_dpp v23, v17 row_shr:1 row_mask:0xf bank_mask:0xf
	v_cndmask_b32_e64 v23, v23, 0, s[22:23]
	v_add_u32_e32 v17, v23, v17
	s_nop 1
	v_mov_b32_dpp v23, v17 row_shr:2 row_mask:0xf bank_mask:0xf
	v_cndmask_b32_e64 v23, 0, v23, s[20:21]
	v_add_u32_e32 v17, v17, v23
	;; [unrolled: 4-line block ×3, first 2 shown]
	ds_write_b32 v21, v17
.LBB220_125:
	s_or_b64 exec, exec, s[16:17]
	v_mov_b32_e32 v17, 0
	v_mov_b32_e32 v21, 0
	s_waitcnt lgkmcnt(0)
	s_barrier
	s_and_saveexec_b64 s[16:17], s[38:39]
	s_cbranch_execz .LBB220_127
; %bb.126:
	ds_read_b32 v21, v34
.LBB220_127:
	s_or_b64 exec, exec, s[16:17]
	s_waitcnt lgkmcnt(0)
	v_add_u32_e32 v23, v21, v78
	ds_bpermute_b32 v23, v35, v23
	v_lshlrev_b32_e32 v34, 3, v63
	s_mov_b32 s18, 0x5040100
	s_waitcnt lgkmcnt(0)
	v_cndmask_b32_e64 v21, v23, v21, s[40:41]
	v_cndmask_b32_e64 v21, v21, 0, s[42:43]
	v_add_u32_e32 v18, v21, v18
	v_add_u32_e32 v19, v18, v19
	;; [unrolled: 1-line block ×3, first 2 shown]
	ds_write2_b32 v64, v21, v18 offset0:8 offset1:9
	ds_write2_b32 v22, v19, v16 offset0:2 offset1:3
	s_waitcnt lgkmcnt(0)
	s_barrier
	ds_read_b32 v16, v76 offset:32
	ds_read_b32 v18, v74 offset:32
	;; [unrolled: 1-line block ×4, first 2 shown]
	s_waitcnt lgkmcnt(3)
	v_add3_u32 v16, v77, v24, v16
	ds_read_b32 v22, v65 offset:32
	ds_read_b32 v23, v40 offset:32
	;; [unrolled: 1-line block ×4, first 2 shown]
	s_waitcnt lgkmcnt(0)
	s_barrier
	v_add3_u32 v23, v41, v39, v23
	v_add3_u32 v24, v38, v36, v24
	v_add_u32_e32 v32, v32, v33
	v_lshlrev_b32_e32 v33, 1, v32
	ds_write_b16 v33, v31
	v_lshlrev_b32_e32 v31, 1, v24
	v_add3_u32 v22, v66, v46, v22
	ds_write_b16 v31, v30
	v_lshlrev_b32_e32 v30, 1, v23
	v_add3_u32 v21, v69, v67, v21
	ds_write_b16 v30, v29
	v_lshlrev_b32_e32 v29, 1, v22
	v_add3_u32 v19, v72, v70, v19
	ds_write_b16 v29, v28
	v_lshlrev_b32_e32 v28, 1, v21
	v_add3_u32 v18, v75, v73, v18
	ds_write_b16 v28, v27
	v_lshlrev_b32_e32 v27, 1, v19
	ds_write_b16 v27, v26
	v_lshlrev_b32_e32 v26, 1, v18
	;; [unrolled: 2-line block ×4, first 2 shown]
	s_waitcnt lgkmcnt(0)
	s_barrier
	v_lshlrev_b32_e32 v26, 3, v21
	v_lshlrev_b32_e32 v27, 3, v19
	v_lshlrev_b32_e32 v28, 3, v18
	ds_read_b128 v[18:21], v20
	v_mov_b32_e32 v40, -1
	v_mov_b32_e32 v41, 0x7fff
	v_lshlrev_b32_e32 v25, 3, v32
	v_lshlrev_b32_e32 v24, 3, v24
	s_waitcnt lgkmcnt(0)
	v_cmp_gt_i16_sdwa vcc, v18, v40 src0_sel:WORD_1 src1_sel:DWORD
	v_cndmask_b32_e32 v29, 0, v41, vcc
	v_cmp_lt_i16_e32 vcc, -1, v18
	v_cndmask_b32_e32 v30, 0, v41, vcc
	v_cmp_lt_i16_sdwa s[16:17], v19, v17 src0_sel:WORD_1 src1_sel:DWORD
	v_cmp_gt_i16_e32 vcc, 0, v19
	v_cndmask_b32_e64 v31, v41, 0, s[16:17]
	v_cndmask_b32_e64 v32, v41, 0, vcc
	v_lshlrev_b32_e32 v23, 3, v23
	v_lshlrev_b32_e32 v22, 3, v22
	v_xor_b32_e32 v32, v32, v19
	v_xor_b32_sdwa v19, v31, v19 dst_sel:DWORD dst_unused:UNUSED_PAD src0_sel:DWORD src1_sel:WORD_1
	v_lshlrev_b32_e32 v16, 3, v16
	v_perm_b32 v39, v19, v32, s18
	v_xor_b32_e32 v19, v30, v18
	v_xor_b32_sdwa v18, v29, v18 dst_sel:DWORD dst_unused:UNUSED_PAD src0_sel:DWORD src1_sel:WORD_1
	s_barrier
	ds_write_b64 v25, v[12:13]
	ds_write_b64 v24, v[14:15]
	;; [unrolled: 1-line block ×8, first 2 shown]
	s_waitcnt lgkmcnt(0)
	s_barrier
	ds_read2_b64 v[22:25], v34 offset1:1
	ds_read2_b64 v[26:29], v34 offset0:2 offset1:3
	ds_read2_b64 v[30:33], v34 offset0:4 offset1:5
	;; [unrolled: 1-line block ×3, first 2 shown]
	v_cmp_gt_i16_sdwa vcc, v20, v40 src0_sel:WORD_1 src1_sel:DWORD
	v_cndmask_b32_e32 v0, 0, v41, vcc
	v_cmp_lt_i16_e32 vcc, -1, v20
	v_cndmask_b32_e32 v1, 0, v41, vcc
	v_cmp_lt_i16_sdwa s[16:17], v21, v17 src0_sel:WORD_1 src1_sel:DWORD
	v_cmp_gt_i16_e32 vcc, 0, v21
	v_cndmask_b32_e64 v2, v41, 0, s[16:17]
	v_cndmask_b32_e64 v3, v41, 0, vcc
	v_xor_b32_e32 v3, v3, v21
	v_xor_b32_sdwa v2, v2, v21 dst_sel:DWORD dst_unused:UNUSED_PAD src0_sel:DWORD src1_sel:WORD_1
	v_xor_b32_e32 v1, v1, v20
	v_xor_b32_sdwa v0, v0, v20 dst_sel:DWORD dst_unused:UNUSED_PAD src0_sel:DWORD src1_sel:WORD_1
	v_perm_b32 v38, v18, v19, s18
	v_perm_b32 v41, v2, v3, s18
	v_perm_b32 v40, v0, v1, s18
.LBB220_128:
	s_waitcnt lgkmcnt(0)
	s_barrier
	ds_write_b128 v54, v[38:41]
	s_waitcnt lgkmcnt(0)
	s_barrier
	ds_read_u16 v8, v43 offset:1024
	ds_read_u16 v7, v48 offset:2048
	;; [unrolled: 1-line block ×7, first 2 shown]
	v_mov_b32_e32 v43, 0
	v_lshlrev_b64 v[0:1], 1, v[42:43]
	v_mov_b32_e32 v9, s48
	v_add_co_u32_e32 v0, vcc, s33, v0
	v_addc_co_u32_e32 v1, vcc, v9, v1, vcc
	s_and_saveexec_b64 s[16:17], s[0:1]
	s_cbranch_execnz .LBB220_147
; %bb.129:
	s_or_b64 exec, exec, s[16:17]
	s_and_saveexec_b64 s[16:17], s[2:3]
	s_cbranch_execnz .LBB220_148
.LBB220_130:
	s_or_b64 exec, exec, s[16:17]
	s_and_saveexec_b64 s[16:17], s[4:5]
	s_cbranch_execnz .LBB220_149
.LBB220_131:
	s_or_b64 exec, exec, s[16:17]
	s_and_saveexec_b64 s[16:17], s[6:7]
	s_cbranch_execnz .LBB220_150
.LBB220_132:
	s_or_b64 exec, exec, s[16:17]
	s_and_saveexec_b64 s[16:17], s[8:9]
	s_cbranch_execnz .LBB220_151
.LBB220_133:
	s_or_b64 exec, exec, s[16:17]
	s_and_saveexec_b64 s[16:17], s[10:11]
	s_cbranch_execnz .LBB220_152
.LBB220_134:
	s_or_b64 exec, exec, s[16:17]
	s_and_saveexec_b64 s[16:17], s[12:13]
	s_cbranch_execnz .LBB220_153
.LBB220_135:
	s_or_b64 exec, exec, s[16:17]
	s_and_saveexec_b64 s[16:17], s[14:15]
	s_cbranch_execz .LBB220_137
.LBB220_136:
	s_mul_i32 s18, s50, 0xe00
	s_mov_b32 s19, 0
	s_lshl_b64 s[18:19], s[18:19], 1
	s_waitcnt lgkmcnt(1)
	v_mov_b32_e32 v3, s19
	v_add_co_u32_e32 v0, vcc, s18, v0
	v_addc_co_u32_e32 v1, vcc, v1, v3, vcc
	s_waitcnt lgkmcnt(0)
	global_store_short v[0:1], v2, off
.LBB220_137:
	s_or_b64 exec, exec, s[16:17]
	s_waitcnt lgkmcnt(0)
	s_barrier
	ds_write2_b64 v62, v[22:23], v[24:25] offset1:1
	ds_write2_b64 v62, v[26:27], v[28:29] offset0:2 offset1:3
	ds_write2_b64 v62, v[30:31], v[32:33] offset0:4 offset1:5
	;; [unrolled: 1-line block ×3, first 2 shown]
	s_waitcnt lgkmcnt(0)
	s_barrier
	ds_read_b64 v[14:15], v45 offset:4096
	ds_read_b64 v[12:13], v56 offset:8192
	ds_read_b64 v[10:11], v57 offset:12288
	ds_read_b64 v[8:9], v58 offset:16384
	ds_read_b64 v[6:7], v59 offset:20480
	ds_read_b64 v[4:5], v60 offset:24576
	ds_read_b64 v[0:1], v61 offset:28672
	v_mov_b32_e32 v45, 0
	v_lshlrev_b64 v[2:3], 3, v[44:45]
	v_mov_b32_e32 v16, s51
	v_add_co_u32_e32 v2, vcc, s49, v2
	v_addc_co_u32_e32 v3, vcc, v16, v3, vcc
	s_and_saveexec_b64 s[16:17], s[0:1]
	s_cbranch_execnz .LBB220_154
; %bb.138:
	s_or_b64 exec, exec, s[16:17]
	s_and_saveexec_b64 s[0:1], s[2:3]
	s_cbranch_execnz .LBB220_155
.LBB220_139:
	s_or_b64 exec, exec, s[0:1]
	s_and_saveexec_b64 s[0:1], s[4:5]
	s_cbranch_execnz .LBB220_156
.LBB220_140:
	s_or_b64 exec, exec, s[0:1]
	s_and_saveexec_b64 s[0:1], s[6:7]
	s_cbranch_execnz .LBB220_157
.LBB220_141:
	s_or_b64 exec, exec, s[0:1]
	s_and_saveexec_b64 s[0:1], s[8:9]
	s_cbranch_execnz .LBB220_158
.LBB220_142:
	s_or_b64 exec, exec, s[0:1]
	s_and_saveexec_b64 s[0:1], s[10:11]
	s_cbranch_execnz .LBB220_159
.LBB220_143:
	s_or_b64 exec, exec, s[0:1]
	s_and_saveexec_b64 s[0:1], s[12:13]
	s_cbranch_execnz .LBB220_160
.LBB220_144:
	s_or_b64 exec, exec, s[0:1]
	s_and_saveexec_b64 s[0:1], s[14:15]
	s_cbranch_execz .LBB220_146
.LBB220_145:
	s_mul_i32 s0, s52, 0xe00
	s_mov_b32 s1, 0
	s_lshl_b64 s[0:1], s[0:1], 3
	s_waitcnt lgkmcnt(1)
	v_mov_b32_e32 v4, s1
	v_add_co_u32_e32 v2, vcc, s0, v2
	v_addc_co_u32_e32 v3, vcc, v3, v4, vcc
	s_waitcnt lgkmcnt(0)
	global_store_dwordx2 v[2:3], v[0:1], off
.LBB220_146:
	s_endpgm
.LBB220_147:
	ds_read_u16 v9, v47
	s_waitcnt lgkmcnt(0)
	global_store_short v[0:1], v9, off
	s_or_b64 exec, exec, s[16:17]
	s_and_saveexec_b64 s[16:17], s[2:3]
	s_cbranch_execz .LBB220_130
.LBB220_148:
	s_lshl_b32 s18, s50, 9
	s_mov_b32 s19, 0
	s_lshl_b64 s[18:19], s[18:19], 1
	v_mov_b32_e32 v9, s19
	v_add_co_u32_e32 v10, vcc, s18, v0
	v_addc_co_u32_e32 v11, vcc, v1, v9, vcc
	s_waitcnt lgkmcnt(6)
	global_store_short v[10:11], v8, off
	s_or_b64 exec, exec, s[16:17]
	s_and_saveexec_b64 s[16:17], s[4:5]
	s_cbranch_execz .LBB220_131
.LBB220_149:
	s_lshl_b32 s18, s50, 10
	s_mov_b32 s19, 0
	s_lshl_b64 s[18:19], s[18:19], 1
	v_mov_b32_e32 v9, s19
	s_waitcnt lgkmcnt(6)
	v_add_co_u32_e32 v8, vcc, s18, v0
	v_addc_co_u32_e32 v9, vcc, v1, v9, vcc
	s_waitcnt lgkmcnt(5)
	global_store_short v[8:9], v7, off
	s_or_b64 exec, exec, s[16:17]
	s_and_saveexec_b64 s[16:17], s[6:7]
	s_cbranch_execz .LBB220_132
.LBB220_150:
	s_mul_i32 s18, s50, 0x600
	s_mov_b32 s19, 0
	s_lshl_b64 s[18:19], s[18:19], 1
	s_waitcnt lgkmcnt(5)
	v_mov_b32_e32 v7, s19
	v_add_co_u32_e32 v8, vcc, s18, v0
	v_addc_co_u32_e32 v9, vcc, v1, v7, vcc
	s_waitcnt lgkmcnt(4)
	global_store_short v[8:9], v6, off
	s_or_b64 exec, exec, s[16:17]
	s_and_saveexec_b64 s[16:17], s[8:9]
	s_cbranch_execz .LBB220_133
.LBB220_151:
	s_lshl_b32 s18, s50, 11
	s_mov_b32 s19, 0
	s_lshl_b64 s[18:19], s[18:19], 1
	s_waitcnt lgkmcnt(5)
	v_mov_b32_e32 v7, s19
	s_waitcnt lgkmcnt(4)
	v_add_co_u32_e32 v6, vcc, s18, v0
	v_addc_co_u32_e32 v7, vcc, v1, v7, vcc
	s_waitcnt lgkmcnt(3)
	global_store_short v[6:7], v5, off
	s_or_b64 exec, exec, s[16:17]
	s_and_saveexec_b64 s[16:17], s[10:11]
	s_cbranch_execz .LBB220_134
.LBB220_152:
	s_mul_i32 s18, s50, 0xa00
	s_mov_b32 s19, 0
	s_lshl_b64 s[18:19], s[18:19], 1
	s_waitcnt lgkmcnt(3)
	v_mov_b32_e32 v5, s19
	v_add_co_u32_e32 v6, vcc, s18, v0
	v_addc_co_u32_e32 v7, vcc, v1, v5, vcc
	s_waitcnt lgkmcnt(2)
	global_store_short v[6:7], v4, off
	s_or_b64 exec, exec, s[16:17]
	s_and_saveexec_b64 s[16:17], s[12:13]
	s_cbranch_execz .LBB220_135
.LBB220_153:
	s_mul_i32 s18, s50, 0xc00
	s_mov_b32 s19, 0
	s_lshl_b64 s[18:19], s[18:19], 1
	s_waitcnt lgkmcnt(3)
	v_mov_b32_e32 v5, s19
	s_waitcnt lgkmcnt(2)
	v_add_co_u32_e32 v4, vcc, s18, v0
	v_addc_co_u32_e32 v5, vcc, v1, v5, vcc
	s_waitcnt lgkmcnt(1)
	global_store_short v[4:5], v3, off
	s_or_b64 exec, exec, s[16:17]
	s_and_saveexec_b64 s[16:17], s[14:15]
	s_cbranch_execnz .LBB220_136
	s_branch .LBB220_137
.LBB220_154:
	ds_read_b64 v[16:17], v55
	s_waitcnt lgkmcnt(0)
	global_store_dwordx2 v[2:3], v[16:17], off
	s_or_b64 exec, exec, s[16:17]
	s_and_saveexec_b64 s[0:1], s[2:3]
	s_cbranch_execz .LBB220_139
.LBB220_155:
	s_lshl_b32 s2, s52, 9
	s_mov_b32 s3, 0
	s_lshl_b64 s[2:3], s[2:3], 3
	v_mov_b32_e32 v17, s3
	v_add_co_u32_e32 v16, vcc, s2, v2
	v_addc_co_u32_e32 v17, vcc, v3, v17, vcc
	s_waitcnt lgkmcnt(6)
	global_store_dwordx2 v[16:17], v[14:15], off
	s_or_b64 exec, exec, s[0:1]
	s_and_saveexec_b64 s[0:1], s[4:5]
	s_cbranch_execz .LBB220_140
.LBB220_156:
	s_lshl_b32 s2, s52, 10
	s_mov_b32 s3, 0
	s_lshl_b64 s[2:3], s[2:3], 3
	s_waitcnt lgkmcnt(6)
	v_mov_b32_e32 v15, s3
	v_add_co_u32_e32 v14, vcc, s2, v2
	v_addc_co_u32_e32 v15, vcc, v3, v15, vcc
	s_waitcnt lgkmcnt(5)
	global_store_dwordx2 v[14:15], v[12:13], off
	s_or_b64 exec, exec, s[0:1]
	s_and_saveexec_b64 s[0:1], s[6:7]
	s_cbranch_execz .LBB220_141
.LBB220_157:
	s_mul_i32 s2, s52, 0x600
	s_mov_b32 s3, 0
	s_lshl_b64 s[2:3], s[2:3], 3
	s_waitcnt lgkmcnt(5)
	v_mov_b32_e32 v13, s3
	v_add_co_u32_e32 v12, vcc, s2, v2
	v_addc_co_u32_e32 v13, vcc, v3, v13, vcc
	s_waitcnt lgkmcnt(4)
	global_store_dwordx2 v[12:13], v[10:11], off
	s_or_b64 exec, exec, s[0:1]
	s_and_saveexec_b64 s[0:1], s[8:9]
	s_cbranch_execz .LBB220_142
.LBB220_158:
	s_lshl_b32 s2, s52, 11
	s_mov_b32 s3, 0
	s_lshl_b64 s[2:3], s[2:3], 3
	s_waitcnt lgkmcnt(4)
	v_mov_b32_e32 v11, s3
	v_add_co_u32_e32 v10, vcc, s2, v2
	v_addc_co_u32_e32 v11, vcc, v3, v11, vcc
	s_waitcnt lgkmcnt(3)
	global_store_dwordx2 v[10:11], v[8:9], off
	s_or_b64 exec, exec, s[0:1]
	s_and_saveexec_b64 s[0:1], s[10:11]
	s_cbranch_execz .LBB220_143
.LBB220_159:
	s_mul_i32 s2, s52, 0xa00
	s_mov_b32 s3, 0
	s_lshl_b64 s[2:3], s[2:3], 3
	s_waitcnt lgkmcnt(3)
	v_mov_b32_e32 v9, s3
	v_add_co_u32_e32 v8, vcc, s2, v2
	v_addc_co_u32_e32 v9, vcc, v3, v9, vcc
	s_waitcnt lgkmcnt(2)
	global_store_dwordx2 v[8:9], v[6:7], off
	s_or_b64 exec, exec, s[0:1]
	s_and_saveexec_b64 s[0:1], s[12:13]
	s_cbranch_execz .LBB220_144
.LBB220_160:
	s_mul_i32 s2, s52, 0xc00
	s_mov_b32 s3, 0
	s_lshl_b64 s[2:3], s[2:3], 3
	s_waitcnt lgkmcnt(2)
	v_mov_b32_e32 v7, s3
	v_add_co_u32_e32 v6, vcc, s2, v2
	v_addc_co_u32_e32 v7, vcc, v3, v7, vcc
	s_waitcnt lgkmcnt(1)
	global_store_dwordx2 v[6:7], v[4:5], off
	s_or_b64 exec, exec, s[0:1]
	s_and_saveexec_b64 s[0:1], s[14:15]
	s_cbranch_execnz .LBB220_145
	s_branch .LBB220_146
	.section	.rodata,"a",@progbits
	.p2align	6, 0x0
	.amdhsa_kernel _ZN2at6native18radixSortKVInPlaceILin2ELin1ELi512ELi8EN3c104HalfEljEEvNS_4cuda6detail10TensorInfoIT3_T5_EES8_S8_S8_NS6_IT4_S8_EES8_b
		.amdhsa_group_segment_fixed_size 33792
		.amdhsa_private_segment_fixed_size 0
		.amdhsa_kernarg_size 712
		.amdhsa_user_sgpr_count 6
		.amdhsa_user_sgpr_private_segment_buffer 1
		.amdhsa_user_sgpr_dispatch_ptr 0
		.amdhsa_user_sgpr_queue_ptr 0
		.amdhsa_user_sgpr_kernarg_segment_ptr 1
		.amdhsa_user_sgpr_dispatch_id 0
		.amdhsa_user_sgpr_flat_scratch_init 0
		.amdhsa_user_sgpr_kernarg_preload_length 0
		.amdhsa_user_sgpr_kernarg_preload_offset 0
		.amdhsa_user_sgpr_private_segment_size 0
		.amdhsa_uses_dynamic_stack 0
		.amdhsa_system_sgpr_private_segment_wavefront_offset 0
		.amdhsa_system_sgpr_workgroup_id_x 1
		.amdhsa_system_sgpr_workgroup_id_y 1
		.amdhsa_system_sgpr_workgroup_id_z 1
		.amdhsa_system_sgpr_workgroup_info 0
		.amdhsa_system_vgpr_workitem_id 2
		.amdhsa_next_free_vgpr 108
		.amdhsa_next_free_sgpr 57
		.amdhsa_accum_offset 108
		.amdhsa_reserve_vcc 1
		.amdhsa_reserve_flat_scratch 0
		.amdhsa_float_round_mode_32 0
		.amdhsa_float_round_mode_16_64 0
		.amdhsa_float_denorm_mode_32 3
		.amdhsa_float_denorm_mode_16_64 3
		.amdhsa_dx10_clamp 1
		.amdhsa_ieee_mode 1
		.amdhsa_fp16_overflow 0
		.amdhsa_tg_split 0
		.amdhsa_exception_fp_ieee_invalid_op 0
		.amdhsa_exception_fp_denorm_src 0
		.amdhsa_exception_fp_ieee_div_zero 0
		.amdhsa_exception_fp_ieee_overflow 0
		.amdhsa_exception_fp_ieee_underflow 0
		.amdhsa_exception_fp_ieee_inexact 0
		.amdhsa_exception_int_div_zero 0
	.end_amdhsa_kernel
	.section	.text._ZN2at6native18radixSortKVInPlaceILin2ELin1ELi512ELi8EN3c104HalfEljEEvNS_4cuda6detail10TensorInfoIT3_T5_EES8_S8_S8_NS6_IT4_S8_EES8_b,"axG",@progbits,_ZN2at6native18radixSortKVInPlaceILin2ELin1ELi512ELi8EN3c104HalfEljEEvNS_4cuda6detail10TensorInfoIT3_T5_EES8_S8_S8_NS6_IT4_S8_EES8_b,comdat
.Lfunc_end220:
	.size	_ZN2at6native18radixSortKVInPlaceILin2ELin1ELi512ELi8EN3c104HalfEljEEvNS_4cuda6detail10TensorInfoIT3_T5_EES8_S8_S8_NS6_IT4_S8_EES8_b, .Lfunc_end220-_ZN2at6native18radixSortKVInPlaceILin2ELin1ELi512ELi8EN3c104HalfEljEEvNS_4cuda6detail10TensorInfoIT3_T5_EES8_S8_S8_NS6_IT4_S8_EES8_b
                                        ; -- End function
	.section	.AMDGPU.csdata,"",@progbits
; Kernel info:
; codeLenInByte = 21528
; NumSgprs: 61
; NumVgprs: 108
; NumAgprs: 0
; TotalNumVgprs: 108
; ScratchSize: 0
; MemoryBound: 0
; FloatMode: 240
; IeeeMode: 1
; LDSByteSize: 33792 bytes/workgroup (compile time only)
; SGPRBlocks: 7
; VGPRBlocks: 13
; NumSGPRsForWavesPerEU: 61
; NumVGPRsForWavesPerEU: 108
; AccumOffset: 108
; Occupancy: 2
; WaveLimiterHint : 1
; COMPUTE_PGM_RSRC2:SCRATCH_EN: 0
; COMPUTE_PGM_RSRC2:USER_SGPR: 6
; COMPUTE_PGM_RSRC2:TRAP_HANDLER: 0
; COMPUTE_PGM_RSRC2:TGID_X_EN: 1
; COMPUTE_PGM_RSRC2:TGID_Y_EN: 1
; COMPUTE_PGM_RSRC2:TGID_Z_EN: 1
; COMPUTE_PGM_RSRC2:TIDIG_COMP_CNT: 2
; COMPUTE_PGM_RSRC3_GFX90A:ACCUM_OFFSET: 26
; COMPUTE_PGM_RSRC3_GFX90A:TG_SPLIT: 0
	.section	.text._ZN2at6native18radixSortKVInPlaceILin2ELin1ELi256ELi8EN3c104HalfEljEEvNS_4cuda6detail10TensorInfoIT3_T5_EES8_S8_S8_NS6_IT4_S8_EES8_b,"axG",@progbits,_ZN2at6native18radixSortKVInPlaceILin2ELin1ELi256ELi8EN3c104HalfEljEEvNS_4cuda6detail10TensorInfoIT3_T5_EES8_S8_S8_NS6_IT4_S8_EES8_b,comdat
	.protected	_ZN2at6native18radixSortKVInPlaceILin2ELin1ELi256ELi8EN3c104HalfEljEEvNS_4cuda6detail10TensorInfoIT3_T5_EES8_S8_S8_NS6_IT4_S8_EES8_b ; -- Begin function _ZN2at6native18radixSortKVInPlaceILin2ELin1ELi256ELi8EN3c104HalfEljEEvNS_4cuda6detail10TensorInfoIT3_T5_EES8_S8_S8_NS6_IT4_S8_EES8_b
	.globl	_ZN2at6native18radixSortKVInPlaceILin2ELin1ELi256ELi8EN3c104HalfEljEEvNS_4cuda6detail10TensorInfoIT3_T5_EES8_S8_S8_NS6_IT4_S8_EES8_b
	.p2align	8
	.type	_ZN2at6native18radixSortKVInPlaceILin2ELin1ELi256ELi8EN3c104HalfEljEEvNS_4cuda6detail10TensorInfoIT3_T5_EES8_S8_S8_NS6_IT4_S8_EES8_b,@function
_ZN2at6native18radixSortKVInPlaceILin2ELin1ELi256ELi8EN3c104HalfEljEEvNS_4cuda6detail10TensorInfoIT3_T5_EES8_S8_S8_NS6_IT4_S8_EES8_b: ; @_ZN2at6native18radixSortKVInPlaceILin2ELin1ELi256ELi8EN3c104HalfEljEEvNS_4cuda6detail10TensorInfoIT3_T5_EES8_S8_S8_NS6_IT4_S8_EES8_b
; %bb.0:
	s_load_dwordx2 s[0:1], s[4:5], 0x1c8
	s_load_dwordx4 s[44:47], s[4:5], 0xd8
	s_add_u32 s50, s4, 0x1c8
	s_addc_u32 s51, s5, 0
	s_waitcnt lgkmcnt(0)
	s_mul_i32 s1, s1, s8
	s_add_i32 s1, s1, s7
	s_mul_i32 s0, s1, s0
	s_add_i32 s6, s0, s6
	s_cmp_ge_u32 s6, s44
	s_cbranch_scc1 .LBB221_146
; %bb.1:
	s_load_dword s2, s[4:5], 0x1b8
	s_load_dwordx2 s[0:1], s[4:5], 0x0
	s_add_u32 s14, s4, 0xe8
	s_addc_u32 s15, s5, 0
	s_mov_b32 s17, 0
	s_waitcnt lgkmcnt(0)
	s_cmp_lt_i32 s2, 2
	s_mov_b32 s16, s6
	s_cbranch_scc1 .LBB221_4
; %bb.2:
	s_add_i32 s16, s2, -1
	s_add_i32 s7, s2, 1
	s_lshl_b64 s[2:3], s[16:17], 2
	s_add_u32 s2, s2, s14
	s_addc_u32 s3, s3, s15
	s_add_u32 s2, s2, 8
	s_addc_u32 s3, s3, 0
	s_mov_b32 s16, s6
.LBB221_3:                              ; =>This Inner Loop Header: Depth=1
	s_load_dword s8, s[2:3], 0x0
	s_load_dword s10, s[2:3], 0x64
	s_mov_b32 s9, s16
	s_waitcnt lgkmcnt(0)
	v_cvt_f32_u32_e32 v1, s8
	s_sub_i32 s11, 0, s8
	v_rcp_iflag_f32_e32 v1, v1
	v_mul_f32_e32 v1, 0x4f7ffffe, v1
	v_cvt_u32_f32_e32 v1, v1
	v_readfirstlane_b32 s12, v1
	s_mul_i32 s11, s11, s12
	s_mul_hi_u32 s11, s12, s11
	s_add_i32 s12, s12, s11
	s_mul_hi_u32 s11, s16, s12
	s_mul_i32 s12, s11, s8
	s_sub_i32 s12, s16, s12
	s_add_i32 s13, s11, 1
	s_sub_i32 s16, s12, s8
	s_cmp_ge_u32 s12, s8
	s_cselect_b32 s11, s13, s11
	s_cselect_b32 s12, s16, s12
	s_add_i32 s13, s11, 1
	s_cmp_ge_u32 s12, s8
	s_cselect_b32 s16, s13, s11
	s_mul_i32 s8, s16, s8
	s_sub_i32 s8, s9, s8
	s_mul_i32 s8, s10, s8
	s_add_i32 s7, s7, -1
	s_add_i32 s17, s8, s17
	s_add_u32 s2, s2, -4
	s_addc_u32 s3, s3, -1
	s_cmp_gt_u32 s7, 2
	s_cbranch_scc1 .LBB221_3
.LBB221_4:
	s_load_dword s2, s[4:5], 0x6c
	s_load_dwordx2 s[48:49], s[4:5], 0x1c0
	s_mov_b32 s3, 0
	v_and_b32_e32 v46, 0x3ff, v0
	v_mul_lo_u32 v42, v46, s46
	s_waitcnt lgkmcnt(0)
	s_mul_i32 s2, s2, s6
	s_bitcmp1_b32 s49, 0
	s_cselect_b64 s[34:35], -1, 0
	s_mov_b32 s6, 0xffff
	s_and_b64 s[4:5], s[34:35], exec
	s_cselect_b32 s22, s6, 0x7fff
	s_lshl_b64 s[2:3], s[2:3], 1
	s_add_u32 s33, s0, s2
	s_addc_u32 s47, s1, s3
	v_cmp_gt_u32_e64 s[0:1], s45, v46
	v_mov_b32_e32 v1, s22
	s_and_saveexec_b64 s[2:3], s[0:1]
	s_cbranch_execz .LBB221_6
; %bb.5:
	v_mov_b32_e32 v43, 0
	v_lshlrev_b64 v[2:3], 1, v[42:43]
	v_mov_b32_e32 v1, s47
	v_add_co_u32_e32 v2, vcc, s33, v2
	v_addc_co_u32_e32 v3, vcc, v1, v3, vcc
	global_load_ushort v1, v[2:3], off
.LBB221_6:
	s_or_b64 exec, exec, s[2:3]
	v_add_u32_e32 v36, 0x100, v46
	v_cmp_gt_u32_e64 s[2:3], s45, v36
	v_mov_b32_e32 v2, s22
	s_and_saveexec_b64 s[4:5], s[2:3]
	s_cbranch_execz .LBB221_8
; %bb.7:
	v_mul_lo_u32 v2, v36, s46
	v_mov_b32_e32 v3, 0
	v_lshlrev_b64 v[2:3], 1, v[2:3]
	v_mov_b32_e32 v4, s47
	v_add_co_u32_e32 v2, vcc, s33, v2
	v_addc_co_u32_e32 v3, vcc, v4, v3, vcc
	global_load_ushort v2, v[2:3], off
.LBB221_8:
	s_or_b64 exec, exec, s[4:5]
	v_add_u32_e32 v35, 0x200, v46
	v_cmp_gt_u32_e64 s[4:5], s45, v35
	v_mov_b32_e32 v3, s22
	s_and_saveexec_b64 s[6:7], s[4:5]
	s_cbranch_execz .LBB221_10
; %bb.9:
	v_mul_lo_u32 v4, v35, s46
	v_mov_b32_e32 v5, 0
	v_lshlrev_b64 v[4:5], 1, v[4:5]
	v_mov_b32_e32 v3, s47
	v_add_co_u32_e32 v4, vcc, s33, v4
	v_addc_co_u32_e32 v5, vcc, v3, v5, vcc
	global_load_ushort v3, v[4:5], off
.LBB221_10:
	;; [unrolled: 15-line block ×3, first 2 shown]
	s_or_b64 exec, exec, s[8:9]
	v_or_b32_e32 v30, 0x400, v46
	v_cmp_gt_u32_e64 s[8:9], s45, v30
	v_mov_b32_e32 v5, s22
	s_and_saveexec_b64 s[10:11], s[8:9]
	s_cbranch_execz .LBB221_14
; %bb.13:
	v_mul_lo_u32 v6, v30, s46
	v_mov_b32_e32 v7, 0
	v_lshlrev_b64 v[6:7], 1, v[6:7]
	v_mov_b32_e32 v5, s47
	v_add_co_u32_e32 v6, vcc, s33, v6
	v_addc_co_u32_e32 v7, vcc, v5, v7, vcc
	global_load_ushort v5, v[6:7], off
.LBB221_14:
	s_or_b64 exec, exec, s[10:11]
	v_add_u32_e32 v28, 0x500, v46
	v_cmp_gt_u32_e64 s[10:11], s45, v28
	v_mov_b32_e32 v6, s22
	s_and_saveexec_b64 s[12:13], s[10:11]
	s_cbranch_execz .LBB221_16
; %bb.15:
	v_mul_lo_u32 v6, v28, s46
	v_mov_b32_e32 v7, 0
	v_lshlrev_b64 v[6:7], 1, v[6:7]
	v_mov_b32_e32 v8, s47
	v_add_co_u32_e32 v6, vcc, s33, v6
	v_addc_co_u32_e32 v7, vcc, v8, v7, vcc
	global_load_ushort v6, v[6:7], off
.LBB221_16:
	s_or_b64 exec, exec, s[12:13]
	s_load_dwordx2 s[18:19], s[14:15], 0x0
	v_add_u32_e32 v26, 0x600, v46
	v_cmp_gt_u32_e64 s[12:13], s45, v26
	v_mov_b32_e32 v7, s22
	s_and_saveexec_b64 s[20:21], s[12:13]
	s_cbranch_execz .LBB221_18
; %bb.17:
	v_mul_lo_u32 v8, v26, s46
	v_mov_b32_e32 v9, 0
	v_lshlrev_b64 v[8:9], 1, v[8:9]
	v_mov_b32_e32 v7, s47
	v_add_co_u32_e32 v8, vcc, s33, v8
	v_addc_co_u32_e32 v9, vcc, v7, v9, vcc
	global_load_ushort v7, v[8:9], off
.LBB221_18:
	s_or_b64 exec, exec, s[20:21]
	s_load_dword s23, s[14:15], 0x6c
	v_add_u32_e32 v22, 0x700, v46
	v_cmp_gt_u32_e64 s[14:15], s45, v22
	v_mov_b32_e32 v8, s22
	s_and_saveexec_b64 s[20:21], s[14:15]
	s_cbranch_execz .LBB221_20
; %bb.19:
	v_mul_lo_u32 v8, v22, s46
	v_mov_b32_e32 v9, 0
	v_lshlrev_b64 v[8:9], 1, v[8:9]
	v_mov_b32_e32 v10, s47
	v_add_co_u32_e32 v8, vcc, s33, v8
	v_addc_co_u32_e32 v9, vcc, v10, v9, vcc
	global_load_ushort v8, v[8:9], off
.LBB221_20:
	s_or_b64 exec, exec, s[20:21]
	v_lshrrev_b32_e32 v34, 5, v46
	v_and_b32_e32 v9, 30, v34
	v_add_lshl_u32 v47, v9, v46, 1
	v_lshrrev_b32_e32 v32, 5, v36
	s_waitcnt vmcnt(0)
	ds_write_b16 v47, v1
	v_and_b32_e32 v1, 62, v32
	v_lshrrev_b32_e32 v31, 5, v35
	v_add_lshl_u32 v43, v1, v46, 1
	v_and_b32_e32 v1, 62, v31
	v_lshrrev_b32_e32 v29, 5, v33
	v_add_lshl_u32 v48, v1, v46, 1
	;; [unrolled: 3-line block ×5, first 2 shown]
	v_and_b32_e32 v1, 0x7e, v23
	v_add_lshl_u32 v52, v1, v46, 1
	v_lshrrev_b32_e32 v1, 5, v22
	ds_write_b16 v43, v2 offset:512
	v_and_b32_e32 v2, 0x7e, v1
	v_lshrrev_b32_e32 v24, 2, v46
	v_add_lshl_u32 v53, v2, v46, 1
	v_lshlrev_b32_e32 v63, 3, v46
	v_and_b32_e32 v2, 0xfe, v24
	s_waitcnt lgkmcnt(0)
	s_mul_i32 s16, s23, s16
	v_add_lshl_u32 v54, v2, v63, 1
	s_add_i32 s16, s16, s17
	s_mov_b32 s17, 0
	ds_write_b16 v48, v3 offset:1024
	ds_write_b16 v49, v4 offset:1536
	;; [unrolled: 1-line block ×6, first 2 shown]
	s_waitcnt lgkmcnt(0)
	s_barrier
	ds_read_b128 v[18:21], v54
	s_lshl_b64 s[20:21], s[16:17], 3
	s_add_u32 s49, s18, s20
	s_mov_b32 s16, s17
	s_addc_u32 s52, s19, s21
	s_mov_b32 s18, s17
	s_mov_b32 s19, s17
	;; [unrolled: 1-line block ×14, first 2 shown]
	v_pk_mov_b32 v[2:3], s[16:17], s[16:17] op_sel:[0,1]
	v_pk_mov_b32 v[4:5], s[18:19], s[18:19] op_sel:[0,1]
	;; [unrolled: 1-line block ×8, first 2 shown]
	v_pk_mov_b32 v[2:3], 0, 0
	v_mul_lo_u32 v44, v46, s48
	s_waitcnt lgkmcnt(0)
	s_barrier
	s_and_saveexec_b64 s[16:17], s[0:1]
	s_cbranch_execnz .LBB221_75
; %bb.21:
	s_or_b64 exec, exec, s[16:17]
	s_and_saveexec_b64 s[16:17], s[2:3]
	s_cbranch_execnz .LBB221_76
.LBB221_22:
	s_or_b64 exec, exec, s[16:17]
	s_and_saveexec_b64 s[16:17], s[4:5]
	s_cbranch_execnz .LBB221_77
.LBB221_23:
	s_or_b64 exec, exec, s[16:17]
	s_and_saveexec_b64 s[16:17], s[6:7]
	s_cbranch_execnz .LBB221_78
.LBB221_24:
	s_or_b64 exec, exec, s[16:17]
	s_and_saveexec_b64 s[16:17], s[8:9]
	s_cbranch_execnz .LBB221_79
.LBB221_25:
	s_or_b64 exec, exec, s[16:17]
	s_and_saveexec_b64 s[16:17], s[10:11]
	s_cbranch_execnz .LBB221_80
.LBB221_26:
	s_or_b64 exec, exec, s[16:17]
	s_and_saveexec_b64 s[16:17], s[12:13]
	s_cbranch_execnz .LBB221_81
.LBB221_27:
	s_or_b64 exec, exec, s[16:17]
	s_xor_b64 s[16:17], s[34:35], -1
	s_and_saveexec_b64 s[18:19], s[14:15]
	s_cbranch_execz .LBB221_29
.LBB221_28:
	v_mul_lo_u32 v16, v22, s48
	v_mov_b32_e32 v17, 0
	v_lshlrev_b64 v[16:17], 3, v[16:17]
	v_mov_b32_e32 v22, s52
	v_add_co_u32_e32 v16, vcc, s49, v16
	v_addc_co_u32_e32 v17, vcc, v22, v17, vcc
	global_load_dwordx2 v[16:17], v[16:17], off
.LBB221_29:
	s_or_b64 exec, exec, s[18:19]
	v_add_lshl_u32 v55, v34, v46, 3
	v_add_lshl_u32 v45, v32, v46, 3
	;; [unrolled: 1-line block ×9, first 2 shown]
	s_waitcnt vmcnt(0)
	ds_write_b64 v55, v[2:3]
	ds_write_b64 v45, v[4:5] offset:2048
	ds_write_b64 v56, v[6:7] offset:4096
	;; [unrolled: 1-line block ×7, first 2 shown]
	s_waitcnt lgkmcnt(0)
	s_barrier
	ds_read2_b64 v[14:17], v62 offset1:1
	ds_read2_b64 v[10:13], v62 offset0:2 offset1:3
	ds_read2_b64 v[6:9], v62 offset0:4 offset1:5
	;; [unrolled: 1-line block ×3, first 2 shown]
	s_and_b64 vcc, exec, s[16:17]
	v_bfe_u32 v65, v0, 10, 10
	v_bfe_u32 v66, v0, 20, 10
	v_mbcnt_lo_u32_b32 v67, -1, 0
	v_lshlrev_b32_e32 v64, 4, v46
	s_waitcnt lgkmcnt(0)
	s_barrier
	s_cbranch_vccz .LBB221_82
; %bb.30:
	s_movk_i32 s16, 0x8000
	v_pk_ashrrev_i16 v24, 15, v18 op_sel_hi:[0,1]
	v_or_b32_e32 v25, 0xffff8000, v24
	v_or_b32_sdwa v24, v24, s16 dst_sel:DWORD dst_unused:UNUSED_PAD src0_sel:WORD_1 src1_sel:DWORD
	v_pk_ashrrev_i16 v22, 15, v19 op_sel_hi:[0,1]
	v_xor_b32_sdwa v26, v24, v18 dst_sel:DWORD dst_unused:UNUSED_PAD src0_sel:DWORD src1_sel:WORD_1
	v_pk_ashrrev_i16 v24, 15, v21 op_sel_hi:[0,1]
	v_pk_ashrrev_i16 v28, 15, v20 op_sel_hi:[0,1]
	v_mbcnt_hi_u32_b32 v76, -1, v67
	v_and_b32_e32 v40, 0x3c0, v46
	v_or_b32_e32 v23, 0xffff8000, v22
	v_or_b32_sdwa v22, v22, s16 dst_sel:DWORD dst_unused:UNUSED_PAD src0_sel:WORD_1 src1_sel:DWORD
	v_xor_b32_e32 v27, v25, v18
	v_or_b32_e32 v25, 0xffff8000, v24
	v_or_b32_e32 v29, 0xffff8000, v28
	v_or_b32_sdwa v24, v24, s16 dst_sel:DWORD dst_unused:UNUSED_PAD src0_sel:WORD_1 src1_sel:DWORD
	v_or_b32_sdwa v28, v28, s16 dst_sel:DWORD dst_unused:UNUSED_PAD src0_sel:WORD_1 src1_sel:DWORD
	v_add_u32_e32 v0, v76, v40
	v_xor_b32_sdwa v22, v22, v19 dst_sel:DWORD dst_unused:UNUSED_PAD src0_sel:DWORD src1_sel:WORD_1
	v_xor_b32_e32 v23, v23, v19
	v_xor_b32_sdwa v28, v28, v20 dst_sel:DWORD dst_unused:UNUSED_PAD src0_sel:DWORD src1_sel:WORD_1
	v_xor_b32_sdwa v24, v24, v21 dst_sel:DWORD dst_unused:UNUSED_PAD src0_sel:DWORD src1_sel:WORD_1
	v_xor_b32_e32 v29, v29, v20
	v_xor_b32_e32 v25, v25, v21
	s_mov_b32 s16, 0x5040100
	v_lshlrev_b32_e32 v1, 4, v0
	v_perm_b32 v25, v24, v25, s16
	v_perm_b32 v24, v28, v29, s16
	;; [unrolled: 1-line block ×4, first 2 shown]
	v_and_b32_e32 v82, 0x1e00, v63
	ds_write_b128 v1, v[22:25]
	v_or_b32_e32 v1, v76, v82
	v_lshlrev_b32_e32 v22, 1, v1
	v_lshlrev_b32_e32 v0, 6, v0
	; wave barrier
	ds_read_u16 v79, v22
	ds_read_u16 v78, v22 offset:128
	ds_read_u16 v77, v22 offset:256
	;; [unrolled: 1-line block ×7, first 2 shown]
	s_waitcnt lgkmcnt(0)
	s_barrier
	ds_write2_b64 v0, v[14:15], v[16:17] offset1:1
	ds_write2_b64 v0, v[10:11], v[12:13] offset0:2 offset1:3
	ds_write2_b64 v0, v[6:7], v[8:9] offset0:4 offset1:5
	;; [unrolled: 1-line block ×3, first 2 shown]
	v_lshlrev_b32_e32 v0, 3, v1
	; wave barrier
	ds_read2st64_b64 v[34:37], v0 offset1:1
	ds_read2st64_b64 v[30:33], v0 offset0:2 offset1:3
	ds_read2st64_b64 v[26:29], v0 offset0:4 offset1:5
	;; [unrolled: 1-line block ×3, first 2 shown]
	s_waitcnt lgkmcnt(0)
	s_barrier
	s_load_dword s18, s[50:51], 0xc
	s_getpc_b64 s[16:17]
	s_add_u32 s16, s16, _ZN7rocprim17ROCPRIM_400000_NS16block_radix_sortI6__halfLj256ELj8ElLj1ELj1ELj0ELNS0_26block_radix_rank_algorithmE1ELNS0_18block_padding_hintE2ELNS0_4arch9wavefront6targetE1EE19radix_bits_per_passE@rel32@lo+4
	s_addc_u32 s17, s17, _ZN7rocprim17ROCPRIM_400000_NS16block_radix_sortI6__halfLj256ELj8ElLj1ELj1ELj0ELNS0_26block_radix_rank_algorithmE1ELNS0_18block_padding_hintE2ELNS0_4arch9wavefront6targetE1EE19radix_bits_per_passE@rel32@hi+12
	s_load_dword s42, s[16:17], 0x0
	s_movk_i32 s19, 0x7fff
	v_mov_b32_e32 v41, 0xffff8000
	s_waitcnt lgkmcnt(0)
	s_lshr_b32 s16, s18, 16
	s_and_b32 s17, s18, 0xffff
	v_mad_u32_u24 v1, v66, s16, v65
	v_mad_u64_u32 v[38:39], s[16:17], v1, s17, v[46:47]
	s_min_u32 s16, s42, 16
	s_lshl_b32 s16, -1, s16
	v_cmp_ne_u16_e32 vcc, s19, v79
	s_not_b32 s18, s16
	v_cndmask_b32_e32 v1, v41, v79, vcc
	v_lshrrev_b32_e32 v68, 6, v38
	v_and_b32_sdwa v38, s18, v1 dst_sel:DWORD dst_unused:UNUSED_PAD src0_sel:DWORD src1_sel:WORD_0
	v_lshlrev_b32_e32 v1, 2, v38
	v_add_lshl_u32 v83, v68, v1, 2
	v_and_b32_e32 v1, 1, v38
	v_add_co_u32_e32 v39, vcc, -1, v1
	v_addc_co_u32_e64 v69, s[16:17], 0, -1, vcc
	v_cmp_ne_u32_e32 vcc, 0, v1
	v_xor_b32_e32 v1, vcc_hi, v69
	v_mov_b32_e32 v0, 0
	v_and_b32_e32 v69, exec_hi, v1
	v_lshlrev_b32_e32 v1, 30, v38
	v_xor_b32_e32 v39, vcc_lo, v39
	v_cmp_gt_i64_e32 vcc, 0, v[0:1]
	v_not_b32_e32 v1, v1
	v_ashrrev_i32_e32 v1, 31, v1
	v_and_b32_e32 v39, exec_lo, v39
	v_xor_b32_e32 v70, vcc_hi, v1
	v_xor_b32_e32 v1, vcc_lo, v1
	v_and_b32_e32 v39, v39, v1
	v_lshlrev_b32_e32 v1, 29, v38
	v_cmp_gt_i64_e32 vcc, 0, v[0:1]
	v_not_b32_e32 v1, v1
	v_ashrrev_i32_e32 v1, 31, v1
	v_and_b32_e32 v69, v69, v70
	v_xor_b32_e32 v70, vcc_hi, v1
	v_xor_b32_e32 v1, vcc_lo, v1
	v_and_b32_e32 v39, v39, v1
	v_lshlrev_b32_e32 v1, 28, v38
	v_cmp_gt_i64_e32 vcc, 0, v[0:1]
	v_not_b32_e32 v1, v1
	v_ashrrev_i32_e32 v1, 31, v1
	v_and_b32_e32 v69, v69, v70
	;; [unrolled: 8-line block ×5, first 2 shown]
	v_xor_b32_e32 v70, vcc_hi, v1
	v_xor_b32_e32 v1, vcc_lo, v1
	v_and_b32_e32 v69, v69, v70
	v_and_b32_e32 v70, v39, v1
	v_lshlrev_b32_e32 v1, 24, v38
	v_cmp_gt_i64_e32 vcc, 0, v[0:1]
	v_not_b32_e32 v1, v1
	v_ashrrev_i32_e32 v1, 31, v1
	v_xor_b32_e32 v38, vcc_hi, v1
	v_xor_b32_e32 v1, vcc_lo, v1
	v_and_b32_e32 v39, v69, v38
	v_and_b32_e32 v38, v70, v1
	v_mbcnt_lo_u32_b32 v1, v38, 0
	v_mbcnt_hi_u32_b32 v84, v39, v1
	v_cmp_eq_u32_e32 vcc, 0, v84
	v_cmp_ne_u64_e64 s[16:17], 0, v[38:39]
	s_and_b64 s[20:21], s[16:17], vcc
	ds_write2_b32 v64, v0, v0 offset0:4 offset1:5
	ds_write2_b32 v64, v0, v0 offset0:6 offset1:7
	s_waitcnt lgkmcnt(0)
	s_barrier
	s_waitcnt lgkmcnt(0)
	; wave barrier
	s_and_saveexec_b64 s[16:17], s[20:21]
	s_cbranch_execz .LBB221_32
; %bb.31:
	v_bcnt_u32_b32 v1, v38, 0
	v_bcnt_u32_b32 v1, v39, v1
	ds_write_b32 v83, v1 offset:16
.LBB221_32:
	s_or_b64 exec, exec, s[16:17]
	v_cmp_ne_u16_e32 vcc, s19, v78
	v_cndmask_b32_e32 v1, v41, v78, vcc
	v_and_b32_sdwa v38, s18, v1 dst_sel:DWORD dst_unused:UNUSED_PAD src0_sel:DWORD src1_sel:WORD_0
	v_lshlrev_b32_e32 v1, 2, v38
	v_add_lshl_u32 v86, v68, v1, 2
	v_and_b32_e32 v1, 1, v38
	v_add_co_u32_e32 v39, vcc, -1, v1
	v_addc_co_u32_e64 v41, s[16:17], 0, -1, vcc
	v_cmp_ne_u32_e32 vcc, 0, v1
	v_xor_b32_e32 v1, vcc_hi, v41
	v_and_b32_e32 v41, exec_hi, v1
	v_lshlrev_b32_e32 v1, 30, v38
	v_xor_b32_e32 v39, vcc_lo, v39
	v_cmp_gt_i64_e32 vcc, 0, v[0:1]
	v_not_b32_e32 v1, v1
	v_ashrrev_i32_e32 v1, 31, v1
	v_and_b32_e32 v39, exec_lo, v39
	v_xor_b32_e32 v69, vcc_hi, v1
	v_xor_b32_e32 v1, vcc_lo, v1
	v_and_b32_e32 v39, v39, v1
	v_lshlrev_b32_e32 v1, 29, v38
	v_cmp_gt_i64_e32 vcc, 0, v[0:1]
	v_not_b32_e32 v1, v1
	v_ashrrev_i32_e32 v1, 31, v1
	v_and_b32_e32 v41, v41, v69
	v_xor_b32_e32 v69, vcc_hi, v1
	v_xor_b32_e32 v1, vcc_lo, v1
	v_and_b32_e32 v39, v39, v1
	v_lshlrev_b32_e32 v1, 28, v38
	v_cmp_gt_i64_e32 vcc, 0, v[0:1]
	v_not_b32_e32 v1, v1
	v_ashrrev_i32_e32 v1, 31, v1
	v_and_b32_e32 v41, v41, v69
	;; [unrolled: 8-line block ×5, first 2 shown]
	v_xor_b32_e32 v69, vcc_hi, v1
	v_xor_b32_e32 v1, vcc_lo, v1
	v_and_b32_e32 v39, v39, v1
	v_lshlrev_b32_e32 v1, 24, v38
	v_cmp_gt_i64_e32 vcc, 0, v[0:1]
	v_not_b32_e32 v0, v1
	v_ashrrev_i32_e32 v0, 31, v0
	v_xor_b32_e32 v1, vcc_hi, v0
	v_xor_b32_e32 v0, vcc_lo, v0
	; wave barrier
	ds_read_b32 v85, v86 offset:16
	v_and_b32_e32 v41, v41, v69
	v_and_b32_e32 v0, v39, v0
	;; [unrolled: 1-line block ×3, first 2 shown]
	v_mbcnt_lo_u32_b32 v38, v0, 0
	v_mbcnt_hi_u32_b32 v87, v1, v38
	v_cmp_eq_u32_e32 vcc, 0, v87
	v_cmp_ne_u64_e64 s[16:17], 0, v[0:1]
	s_and_b64 s[20:21], s[16:17], vcc
	; wave barrier
	s_and_saveexec_b64 s[16:17], s[20:21]
	s_cbranch_execz .LBB221_34
; %bb.33:
	v_bcnt_u32_b32 v0, v0, 0
	v_bcnt_u32_b32 v0, v1, v0
	s_waitcnt lgkmcnt(0)
	v_add_u32_e32 v0, v85, v0
	ds_write_b32 v86, v0 offset:16
.LBB221_34:
	s_or_b64 exec, exec, s[16:17]
	v_mov_b32_e32 v41, 0xffff8000
	v_cmp_ne_u16_e32 vcc, s19, v77
	v_cndmask_b32_e32 v0, v41, v77, vcc
	v_and_b32_sdwa v38, s18, v0 dst_sel:DWORD dst_unused:UNUSED_PAD src0_sel:DWORD src1_sel:WORD_0
	v_and_b32_e32 v1, 1, v38
	v_add_co_u32_e32 v39, vcc, -1, v1
	v_addc_co_u32_e64 v69, s[16:17], 0, -1, vcc
	v_cmp_ne_u32_e32 vcc, 0, v1
	v_lshlrev_b32_e32 v0, 2, v38
	v_xor_b32_e32 v1, vcc_hi, v69
	v_add_lshl_u32 v89, v68, v0, 2
	v_mov_b32_e32 v0, 0
	v_and_b32_e32 v69, exec_hi, v1
	v_lshlrev_b32_e32 v1, 30, v38
	v_xor_b32_e32 v39, vcc_lo, v39
	v_cmp_gt_i64_e32 vcc, 0, v[0:1]
	v_not_b32_e32 v1, v1
	v_ashrrev_i32_e32 v1, 31, v1
	v_and_b32_e32 v39, exec_lo, v39
	v_xor_b32_e32 v70, vcc_hi, v1
	v_xor_b32_e32 v1, vcc_lo, v1
	v_and_b32_e32 v39, v39, v1
	v_lshlrev_b32_e32 v1, 29, v38
	v_cmp_gt_i64_e32 vcc, 0, v[0:1]
	v_not_b32_e32 v1, v1
	v_ashrrev_i32_e32 v1, 31, v1
	v_and_b32_e32 v69, v69, v70
	v_xor_b32_e32 v70, vcc_hi, v1
	v_xor_b32_e32 v1, vcc_lo, v1
	v_and_b32_e32 v39, v39, v1
	v_lshlrev_b32_e32 v1, 28, v38
	v_cmp_gt_i64_e32 vcc, 0, v[0:1]
	v_not_b32_e32 v1, v1
	v_ashrrev_i32_e32 v1, 31, v1
	v_and_b32_e32 v69, v69, v70
	;; [unrolled: 8-line block ×5, first 2 shown]
	v_xor_b32_e32 v70, vcc_hi, v1
	v_xor_b32_e32 v1, vcc_lo, v1
	v_and_b32_e32 v69, v69, v70
	v_and_b32_e32 v70, v39, v1
	v_lshlrev_b32_e32 v1, 24, v38
	v_cmp_gt_i64_e32 vcc, 0, v[0:1]
	v_not_b32_e32 v1, v1
	v_ashrrev_i32_e32 v1, 31, v1
	v_xor_b32_e32 v38, vcc_hi, v1
	v_xor_b32_e32 v1, vcc_lo, v1
	; wave barrier
	ds_read_b32 v88, v89 offset:16
	v_and_b32_e32 v39, v69, v38
	v_and_b32_e32 v38, v70, v1
	v_mbcnt_lo_u32_b32 v1, v38, 0
	v_mbcnt_hi_u32_b32 v90, v39, v1
	v_cmp_eq_u32_e32 vcc, 0, v90
	v_cmp_ne_u64_e64 s[16:17], 0, v[38:39]
	s_and_b64 s[20:21], s[16:17], vcc
	; wave barrier
	s_and_saveexec_b64 s[16:17], s[20:21]
	s_cbranch_execz .LBB221_36
; %bb.35:
	v_bcnt_u32_b32 v1, v38, 0
	v_bcnt_u32_b32 v1, v39, v1
	s_waitcnt lgkmcnt(0)
	v_add_u32_e32 v1, v88, v1
	ds_write_b32 v89, v1 offset:16
.LBB221_36:
	s_or_b64 exec, exec, s[16:17]
	v_cmp_ne_u16_e32 vcc, s19, v75
	v_cndmask_b32_e32 v1, v41, v75, vcc
	v_and_b32_sdwa v38, s18, v1 dst_sel:DWORD dst_unused:UNUSED_PAD src0_sel:DWORD src1_sel:WORD_0
	v_lshlrev_b32_e32 v1, 2, v38
	v_add_lshl_u32 v92, v68, v1, 2
	v_and_b32_e32 v1, 1, v38
	v_add_co_u32_e32 v39, vcc, -1, v1
	v_addc_co_u32_e64 v41, s[16:17], 0, -1, vcc
	v_cmp_ne_u32_e32 vcc, 0, v1
	v_xor_b32_e32 v1, vcc_hi, v41
	v_and_b32_e32 v41, exec_hi, v1
	v_lshlrev_b32_e32 v1, 30, v38
	v_xor_b32_e32 v39, vcc_lo, v39
	v_cmp_gt_i64_e32 vcc, 0, v[0:1]
	v_not_b32_e32 v1, v1
	v_ashrrev_i32_e32 v1, 31, v1
	v_and_b32_e32 v39, exec_lo, v39
	v_xor_b32_e32 v69, vcc_hi, v1
	v_xor_b32_e32 v1, vcc_lo, v1
	v_and_b32_e32 v39, v39, v1
	v_lshlrev_b32_e32 v1, 29, v38
	v_cmp_gt_i64_e32 vcc, 0, v[0:1]
	v_not_b32_e32 v1, v1
	v_ashrrev_i32_e32 v1, 31, v1
	v_and_b32_e32 v41, v41, v69
	v_xor_b32_e32 v69, vcc_hi, v1
	v_xor_b32_e32 v1, vcc_lo, v1
	v_and_b32_e32 v39, v39, v1
	v_lshlrev_b32_e32 v1, 28, v38
	v_cmp_gt_i64_e32 vcc, 0, v[0:1]
	v_not_b32_e32 v1, v1
	v_ashrrev_i32_e32 v1, 31, v1
	v_and_b32_e32 v41, v41, v69
	;; [unrolled: 8-line block ×5, first 2 shown]
	v_xor_b32_e32 v69, vcc_hi, v1
	v_xor_b32_e32 v1, vcc_lo, v1
	v_and_b32_e32 v39, v39, v1
	v_lshlrev_b32_e32 v1, 24, v38
	v_cmp_gt_i64_e32 vcc, 0, v[0:1]
	v_not_b32_e32 v0, v1
	v_ashrrev_i32_e32 v0, 31, v0
	v_xor_b32_e32 v1, vcc_hi, v0
	v_xor_b32_e32 v0, vcc_lo, v0
	; wave barrier
	ds_read_b32 v91, v92 offset:16
	v_and_b32_e32 v41, v41, v69
	v_and_b32_e32 v0, v39, v0
	v_and_b32_e32 v1, v41, v1
	v_mbcnt_lo_u32_b32 v38, v0, 0
	v_mbcnt_hi_u32_b32 v93, v1, v38
	v_cmp_eq_u32_e32 vcc, 0, v93
	v_cmp_ne_u64_e64 s[16:17], 0, v[0:1]
	s_and_b64 s[20:21], s[16:17], vcc
	; wave barrier
	s_and_saveexec_b64 s[16:17], s[20:21]
	s_cbranch_execz .LBB221_38
; %bb.37:
	v_bcnt_u32_b32 v0, v0, 0
	v_bcnt_u32_b32 v0, v1, v0
	s_waitcnt lgkmcnt(0)
	v_add_u32_e32 v0, v91, v0
	ds_write_b32 v92, v0 offset:16
.LBB221_38:
	s_or_b64 exec, exec, s[16:17]
	v_mov_b32_e32 v41, 0xffff8000
	v_cmp_ne_u16_e32 vcc, s19, v74
	v_cndmask_b32_e32 v0, v41, v74, vcc
	v_and_b32_sdwa v38, s18, v0 dst_sel:DWORD dst_unused:UNUSED_PAD src0_sel:DWORD src1_sel:WORD_0
	v_and_b32_e32 v1, 1, v38
	v_add_co_u32_e32 v39, vcc, -1, v1
	v_addc_co_u32_e64 v69, s[16:17], 0, -1, vcc
	v_cmp_ne_u32_e32 vcc, 0, v1
	v_lshlrev_b32_e32 v0, 2, v38
	v_xor_b32_e32 v1, vcc_hi, v69
	v_add_lshl_u32 v95, v68, v0, 2
	v_mov_b32_e32 v0, 0
	v_and_b32_e32 v69, exec_hi, v1
	v_lshlrev_b32_e32 v1, 30, v38
	v_xor_b32_e32 v39, vcc_lo, v39
	v_cmp_gt_i64_e32 vcc, 0, v[0:1]
	v_not_b32_e32 v1, v1
	v_ashrrev_i32_e32 v1, 31, v1
	v_and_b32_e32 v39, exec_lo, v39
	v_xor_b32_e32 v70, vcc_hi, v1
	v_xor_b32_e32 v1, vcc_lo, v1
	v_and_b32_e32 v39, v39, v1
	v_lshlrev_b32_e32 v1, 29, v38
	v_cmp_gt_i64_e32 vcc, 0, v[0:1]
	v_not_b32_e32 v1, v1
	v_ashrrev_i32_e32 v1, 31, v1
	v_and_b32_e32 v69, v69, v70
	v_xor_b32_e32 v70, vcc_hi, v1
	v_xor_b32_e32 v1, vcc_lo, v1
	v_and_b32_e32 v39, v39, v1
	v_lshlrev_b32_e32 v1, 28, v38
	v_cmp_gt_i64_e32 vcc, 0, v[0:1]
	v_not_b32_e32 v1, v1
	v_ashrrev_i32_e32 v1, 31, v1
	v_and_b32_e32 v69, v69, v70
	;; [unrolled: 8-line block ×5, first 2 shown]
	v_xor_b32_e32 v70, vcc_hi, v1
	v_xor_b32_e32 v1, vcc_lo, v1
	v_and_b32_e32 v69, v69, v70
	v_and_b32_e32 v70, v39, v1
	v_lshlrev_b32_e32 v1, 24, v38
	v_cmp_gt_i64_e32 vcc, 0, v[0:1]
	v_not_b32_e32 v1, v1
	v_ashrrev_i32_e32 v1, 31, v1
	v_xor_b32_e32 v38, vcc_hi, v1
	v_xor_b32_e32 v1, vcc_lo, v1
	; wave barrier
	ds_read_b32 v94, v95 offset:16
	v_and_b32_e32 v39, v69, v38
	v_and_b32_e32 v38, v70, v1
	v_mbcnt_lo_u32_b32 v1, v38, 0
	v_mbcnt_hi_u32_b32 v96, v39, v1
	v_cmp_eq_u32_e32 vcc, 0, v96
	v_cmp_ne_u64_e64 s[16:17], 0, v[38:39]
	s_and_b64 s[20:21], s[16:17], vcc
	; wave barrier
	s_and_saveexec_b64 s[16:17], s[20:21]
	s_cbranch_execz .LBB221_40
; %bb.39:
	v_bcnt_u32_b32 v1, v38, 0
	v_bcnt_u32_b32 v1, v39, v1
	s_waitcnt lgkmcnt(0)
	v_add_u32_e32 v1, v94, v1
	ds_write_b32 v95, v1 offset:16
.LBB221_40:
	s_or_b64 exec, exec, s[16:17]
	v_cmp_ne_u16_e32 vcc, s19, v73
	v_cndmask_b32_e32 v1, v41, v73, vcc
	v_and_b32_sdwa v38, s18, v1 dst_sel:DWORD dst_unused:UNUSED_PAD src0_sel:DWORD src1_sel:WORD_0
	v_lshlrev_b32_e32 v1, 2, v38
	v_add_lshl_u32 v98, v68, v1, 2
	v_and_b32_e32 v1, 1, v38
	v_add_co_u32_e32 v39, vcc, -1, v1
	v_addc_co_u32_e64 v41, s[16:17], 0, -1, vcc
	v_cmp_ne_u32_e32 vcc, 0, v1
	v_xor_b32_e32 v1, vcc_hi, v41
	v_and_b32_e32 v41, exec_hi, v1
	v_lshlrev_b32_e32 v1, 30, v38
	v_xor_b32_e32 v39, vcc_lo, v39
	v_cmp_gt_i64_e32 vcc, 0, v[0:1]
	v_not_b32_e32 v1, v1
	v_ashrrev_i32_e32 v1, 31, v1
	v_and_b32_e32 v39, exec_lo, v39
	v_xor_b32_e32 v69, vcc_hi, v1
	v_xor_b32_e32 v1, vcc_lo, v1
	v_and_b32_e32 v39, v39, v1
	v_lshlrev_b32_e32 v1, 29, v38
	v_cmp_gt_i64_e32 vcc, 0, v[0:1]
	v_not_b32_e32 v1, v1
	v_ashrrev_i32_e32 v1, 31, v1
	v_and_b32_e32 v41, v41, v69
	v_xor_b32_e32 v69, vcc_hi, v1
	v_xor_b32_e32 v1, vcc_lo, v1
	v_and_b32_e32 v39, v39, v1
	v_lshlrev_b32_e32 v1, 28, v38
	v_cmp_gt_i64_e32 vcc, 0, v[0:1]
	v_not_b32_e32 v1, v1
	v_ashrrev_i32_e32 v1, 31, v1
	v_and_b32_e32 v41, v41, v69
	;; [unrolled: 8-line block ×5, first 2 shown]
	v_xor_b32_e32 v69, vcc_hi, v1
	v_xor_b32_e32 v1, vcc_lo, v1
	v_and_b32_e32 v39, v39, v1
	v_lshlrev_b32_e32 v1, 24, v38
	v_cmp_gt_i64_e32 vcc, 0, v[0:1]
	v_not_b32_e32 v0, v1
	v_ashrrev_i32_e32 v0, 31, v0
	v_xor_b32_e32 v1, vcc_hi, v0
	v_xor_b32_e32 v0, vcc_lo, v0
	; wave barrier
	ds_read_b32 v97, v98 offset:16
	v_and_b32_e32 v41, v41, v69
	v_and_b32_e32 v0, v39, v0
	;; [unrolled: 1-line block ×3, first 2 shown]
	v_mbcnt_lo_u32_b32 v38, v0, 0
	v_mbcnt_hi_u32_b32 v99, v1, v38
	v_cmp_eq_u32_e32 vcc, 0, v99
	v_cmp_ne_u64_e64 s[16:17], 0, v[0:1]
	s_and_b64 s[20:21], s[16:17], vcc
	; wave barrier
	s_and_saveexec_b64 s[16:17], s[20:21]
	s_cbranch_execz .LBB221_42
; %bb.41:
	v_bcnt_u32_b32 v0, v0, 0
	v_bcnt_u32_b32 v0, v1, v0
	s_waitcnt lgkmcnt(0)
	v_add_u32_e32 v0, v97, v0
	ds_write_b32 v98, v0 offset:16
.LBB221_42:
	s_or_b64 exec, exec, s[16:17]
	v_mov_b32_e32 v41, 0xffff8000
	v_cmp_ne_u16_e32 vcc, s19, v72
	v_cndmask_b32_e32 v0, v41, v72, vcc
	v_and_b32_sdwa v38, s18, v0 dst_sel:DWORD dst_unused:UNUSED_PAD src0_sel:DWORD src1_sel:WORD_0
	v_and_b32_e32 v1, 1, v38
	v_add_co_u32_e32 v39, vcc, -1, v1
	v_addc_co_u32_e64 v69, s[16:17], 0, -1, vcc
	v_cmp_ne_u32_e32 vcc, 0, v1
	v_lshlrev_b32_e32 v0, 2, v38
	v_xor_b32_e32 v1, vcc_hi, v69
	v_add_lshl_u32 v101, v68, v0, 2
	v_mov_b32_e32 v0, 0
	v_and_b32_e32 v69, exec_hi, v1
	v_lshlrev_b32_e32 v1, 30, v38
	v_xor_b32_e32 v39, vcc_lo, v39
	v_cmp_gt_i64_e32 vcc, 0, v[0:1]
	v_not_b32_e32 v1, v1
	v_ashrrev_i32_e32 v1, 31, v1
	v_and_b32_e32 v39, exec_lo, v39
	v_xor_b32_e32 v70, vcc_hi, v1
	v_xor_b32_e32 v1, vcc_lo, v1
	v_and_b32_e32 v39, v39, v1
	v_lshlrev_b32_e32 v1, 29, v38
	v_cmp_gt_i64_e32 vcc, 0, v[0:1]
	v_not_b32_e32 v1, v1
	v_ashrrev_i32_e32 v1, 31, v1
	v_and_b32_e32 v69, v69, v70
	v_xor_b32_e32 v70, vcc_hi, v1
	v_xor_b32_e32 v1, vcc_lo, v1
	v_and_b32_e32 v39, v39, v1
	v_lshlrev_b32_e32 v1, 28, v38
	v_cmp_gt_i64_e32 vcc, 0, v[0:1]
	v_not_b32_e32 v1, v1
	v_ashrrev_i32_e32 v1, 31, v1
	v_and_b32_e32 v69, v69, v70
	;; [unrolled: 8-line block ×5, first 2 shown]
	v_xor_b32_e32 v70, vcc_hi, v1
	v_xor_b32_e32 v1, vcc_lo, v1
	v_and_b32_e32 v69, v69, v70
	v_and_b32_e32 v70, v39, v1
	v_lshlrev_b32_e32 v1, 24, v38
	v_cmp_gt_i64_e32 vcc, 0, v[0:1]
	v_not_b32_e32 v1, v1
	v_ashrrev_i32_e32 v1, 31, v1
	v_xor_b32_e32 v38, vcc_hi, v1
	v_xor_b32_e32 v1, vcc_lo, v1
	; wave barrier
	ds_read_b32 v100, v101 offset:16
	v_and_b32_e32 v39, v69, v38
	v_and_b32_e32 v38, v70, v1
	v_mbcnt_lo_u32_b32 v1, v38, 0
	v_mbcnt_hi_u32_b32 v102, v39, v1
	v_cmp_eq_u32_e32 vcc, 0, v102
	v_cmp_ne_u64_e64 s[16:17], 0, v[38:39]
	s_and_b64 s[20:21], s[16:17], vcc
	; wave barrier
	s_and_saveexec_b64 s[16:17], s[20:21]
	s_cbranch_execz .LBB221_44
; %bb.43:
	v_bcnt_u32_b32 v1, v38, 0
	v_bcnt_u32_b32 v1, v39, v1
	s_waitcnt lgkmcnt(0)
	v_add_u32_e32 v1, v100, v1
	ds_write_b32 v101, v1 offset:16
.LBB221_44:
	s_or_b64 exec, exec, s[16:17]
	v_cmp_ne_u16_e32 vcc, s19, v71
	v_cndmask_b32_e32 v1, v41, v71, vcc
	v_and_b32_sdwa v38, s18, v1 dst_sel:DWORD dst_unused:UNUSED_PAD src0_sel:DWORD src1_sel:WORD_0
	v_lshlrev_b32_e32 v1, 2, v38
	v_add_lshl_u32 v104, v68, v1, 2
	v_and_b32_e32 v1, 1, v38
	v_add_co_u32_e32 v39, vcc, -1, v1
	v_min_u32_e32 v80, 0xc0, v40
	v_addc_co_u32_e64 v40, s[16:17], 0, -1, vcc
	v_cmp_ne_u32_e32 vcc, 0, v1
	v_xor_b32_e32 v1, vcc_hi, v40
	v_and_b32_e32 v40, exec_hi, v1
	v_lshlrev_b32_e32 v1, 30, v38
	v_xor_b32_e32 v39, vcc_lo, v39
	v_cmp_gt_i64_e32 vcc, 0, v[0:1]
	v_not_b32_e32 v1, v1
	v_ashrrev_i32_e32 v1, 31, v1
	v_and_b32_e32 v39, exec_lo, v39
	v_xor_b32_e32 v41, vcc_hi, v1
	v_xor_b32_e32 v1, vcc_lo, v1
	v_and_b32_e32 v39, v39, v1
	v_lshlrev_b32_e32 v1, 29, v38
	v_cmp_gt_i64_e32 vcc, 0, v[0:1]
	v_not_b32_e32 v1, v1
	v_ashrrev_i32_e32 v1, 31, v1
	v_and_b32_e32 v40, v40, v41
	v_xor_b32_e32 v41, vcc_hi, v1
	v_xor_b32_e32 v1, vcc_lo, v1
	v_and_b32_e32 v39, v39, v1
	v_lshlrev_b32_e32 v1, 28, v38
	v_cmp_gt_i64_e32 vcc, 0, v[0:1]
	v_not_b32_e32 v1, v1
	v_ashrrev_i32_e32 v1, 31, v1
	v_and_b32_e32 v40, v40, v41
	;; [unrolled: 8-line block ×5, first 2 shown]
	v_xor_b32_e32 v41, vcc_hi, v1
	v_xor_b32_e32 v1, vcc_lo, v1
	v_and_b32_e32 v39, v39, v1
	v_lshlrev_b32_e32 v1, 24, v38
	v_cmp_gt_i64_e32 vcc, 0, v[0:1]
	v_not_b32_e32 v0, v1
	v_ashrrev_i32_e32 v0, 31, v0
	v_xor_b32_e32 v1, vcc_hi, v0
	v_xor_b32_e32 v0, vcc_lo, v0
	; wave barrier
	ds_read_b32 v103, v104 offset:16
	v_and_b32_e32 v40, v40, v41
	v_and_b32_e32 v0, v39, v0
	;; [unrolled: 1-line block ×3, first 2 shown]
	v_mbcnt_lo_u32_b32 v38, v0, 0
	v_mbcnt_hi_u32_b32 v105, v1, v38
	v_cmp_eq_u32_e32 vcc, 0, v105
	v_cmp_ne_u64_e64 s[16:17], 0, v[0:1]
	v_add_u32_e32 v69, 16, v64
	v_lshrrev_b32_e32 v70, 6, v46
	s_and_b64 s[18:19], s[16:17], vcc
	; wave barrier
	s_and_saveexec_b64 s[16:17], s[18:19]
	s_cbranch_execz .LBB221_46
; %bb.45:
	v_bcnt_u32_b32 v0, v0, 0
	v_bcnt_u32_b32 v0, v1, v0
	s_waitcnt lgkmcnt(0)
	v_add_u32_e32 v0, v103, v0
	ds_write_b32 v104, v0 offset:16
.LBB221_46:
	s_or_b64 exec, exec, s[16:17]
	; wave barrier
	s_waitcnt lgkmcnt(0)
	s_barrier
	ds_read2_b32 v[38:39], v64 offset0:4 offset1:5
	ds_read2_b32 v[40:41], v69 offset0:2 offset1:3
	v_and_b32_e32 v1, 16, v76
	v_cmp_eq_u32_e32 vcc, 0, v1
	v_or_b32_e32 v1, 63, v80
	v_cmp_eq_u32_e64 s[16:17], v1, v46
	s_waitcnt lgkmcnt(1)
	v_add_u32_e32 v1, v39, v38
	v_and_b32_e32 v0, 15, v76
	s_waitcnt lgkmcnt(0)
	v_add3_u32 v1, v1, v40, v41
	v_cmp_eq_u32_e64 s[22:23], 0, v0
	v_cmp_lt_u32_e64 s[24:25], 1, v0
	v_mov_b32_dpp v41, v1 row_shr:1 row_mask:0xf bank_mask:0xf
	v_cndmask_b32_e64 v41, v41, 0, s[22:23]
	v_add_u32_e32 v1, v41, v1
	v_cmp_lt_u32_e64 s[28:29], 3, v0
	v_cmp_lt_u32_e64 s[30:31], 7, v0
	v_mov_b32_dpp v41, v1 row_shr:2 row_mask:0xf bank_mask:0xf
	v_cndmask_b32_e64 v41, 0, v41, s[24:25]
	v_add_u32_e32 v1, v1, v41
	v_bfe_i32 v81, v76, 4, 1
	v_cmp_lt_u32_e64 s[34:35], 31, v76
	v_mov_b32_dpp v41, v1 row_shr:4 row_mask:0xf bank_mask:0xf
	v_cndmask_b32_e64 v41, 0, v41, s[28:29]
	v_add_u32_e32 v1, v1, v41
	v_lshlrev_b32_e32 v70, 2, v70
	s_nop 0
	v_mov_b32_dpp v41, v1 row_shr:8 row_mask:0xf bank_mask:0xf
	v_cndmask_b32_e64 v0, 0, v41, s[30:31]
	v_add_u32_e32 v0, v1, v0
	s_nop 1
	v_mov_b32_dpp v1, v0 row_bcast:15 row_mask:0xf bank_mask:0xf
	v_and_b32_e32 v1, v81, v1
	v_add_u32_e32 v0, v0, v1
	s_nop 1
	v_mov_b32_dpp v1, v0 row_bcast:31 row_mask:0xf bank_mask:0xf
	v_cndmask_b32_e64 v1, 0, v1, s[34:35]
	v_add_u32_e32 v1, v0, v1
	s_and_saveexec_b64 s[18:19], s[16:17]
	s_cbranch_execz .LBB221_48
; %bb.47:
	ds_write_b32 v70, v1
.LBB221_48:
	s_or_b64 exec, exec, s[18:19]
	v_and_b32_e32 v0, 3, v76
	v_cmp_gt_u32_e64 s[26:27], 4, v46
	v_lshlrev_b32_e32 v41, 2, v46
	v_cmp_eq_u32_e64 s[20:21], 0, v0
	v_cmp_lt_u32_e64 s[18:19], 1, v0
	s_waitcnt lgkmcnt(0)
	s_barrier
	s_and_saveexec_b64 s[36:37], s[26:27]
	s_cbranch_execz .LBB221_50
; %bb.49:
	ds_read_b32 v0, v41
	s_waitcnt lgkmcnt(0)
	s_nop 0
	v_mov_b32_dpp v80, v0 row_shr:1 row_mask:0xf bank_mask:0xf
	v_cndmask_b32_e64 v80, v80, 0, s[20:21]
	v_add_u32_e32 v0, v80, v0
	s_nop 1
	v_mov_b32_dpp v80, v0 row_shr:2 row_mask:0xf bank_mask:0xf
	v_cndmask_b32_e64 v80, 0, v80, s[18:19]
	v_add_u32_e32 v0, v0, v80
	ds_write_b32 v41, v0
.LBB221_50:
	s_or_b64 exec, exec, s[36:37]
	v_cmp_lt_u32_e64 s[36:37], 63, v46
	v_add_u32_e32 v80, -4, v70
	v_mov_b32_e32 v0, 0
	v_mov_b32_e32 v106, 0
	s_waitcnt lgkmcnt(0)
	s_barrier
	s_and_saveexec_b64 s[38:39], s[36:37]
	s_cbranch_execz .LBB221_52
; %bb.51:
	ds_read_b32 v106, v80
.LBB221_52:
	s_or_b64 exec, exec, s[38:39]
	v_add_u32_e32 v81, -1, v76
	v_and_b32_e32 v107, 64, v76
	v_cmp_lt_i32_e64 s[38:39], v81, v107
	v_cndmask_b32_e64 v81, v81, v76, s[38:39]
	v_lshlrev_b32_e32 v81, 2, v81
	s_waitcnt lgkmcnt(0)
	v_add_u32_e32 v1, v106, v1
	ds_bpermute_b32 v1, v81, v1
	v_cmp_eq_u32_e64 s[38:39], 0, v76
	v_cmp_eq_u32_e64 s[40:41], 0, v46
	v_and_or_b32 v82, v76, 63, v82
	v_lshlrev_b32_e32 v107, 1, v82
	s_waitcnt lgkmcnt(0)
	v_cndmask_b32_e64 v1, v1, v106, s[38:39]
	v_cndmask_b32_e64 v1, v1, 0, s[40:41]
	v_add_u32_e32 v38, v1, v38
	v_add_u32_e32 v39, v38, v39
	;; [unrolled: 1-line block ×3, first 2 shown]
	ds_write2_b32 v64, v1, v38 offset0:4 offset1:5
	ds_write2_b32 v69, v39, v40 offset0:2 offset1:3
	s_waitcnt lgkmcnt(0)
	s_barrier
	ds_read_b32 v1, v83 offset:16
	ds_read_b32 v38, v86 offset:16
	;; [unrolled: 1-line block ×8, first 2 shown]
	s_waitcnt lgkmcnt(7)
	v_add_u32_e32 v1, v1, v84
	s_waitcnt lgkmcnt(6)
	v_add3_u32 v38, v87, v85, v38
	s_waitcnt lgkmcnt(4)
	v_add3_u32 v84, v93, v91, v40
	v_lshlrev_b32_e32 v40, 1, v1
	v_add3_u32 v39, v90, v88, v39
	s_waitcnt lgkmcnt(0)
	s_barrier
	ds_write_b16 v40, v79
	v_lshlrev_b32_e32 v40, 1, v38
	ds_write_b16 v40, v78
	v_lshlrev_b32_e32 v40, 1, v39
	v_add3_u32 v85, v96, v94, v76
	ds_write_b16 v40, v77
	v_lshlrev_b32_e32 v40, 1, v84
	v_add3_u32 v83, v99, v97, v83
	;; [unrolled: 3-line block ×4, first 2 shown]
	ds_write_b16 v40, v73
	v_lshlrev_b32_e32 v40, 1, v86
	ds_write_b16 v40, v72
	v_lshlrev_b32_e32 v40, 1, v87
	v_lshlrev_b32_e32 v1, 3, v1
	ds_write_b16 v40, v71
	s_waitcnt lgkmcnt(0)
	s_barrier
	ds_read_u16 v77, v107
	ds_read_u16 v76, v107 offset:128
	ds_read_u16 v75, v107 offset:256
	;; [unrolled: 1-line block ×7, first 2 shown]
	s_waitcnt lgkmcnt(0)
	s_barrier
	ds_write_b64 v1, v[34:35]
	v_lshlrev_b32_e32 v1, 3, v38
	ds_write_b64 v1, v[36:37]
	v_lshlrev_b32_e32 v1, 3, v39
	;; [unrolled: 2-line block ×6, first 2 shown]
	s_min_u32 s42, s42, 8
	ds_write_b64 v1, v[22:23]
	v_lshlrev_b32_e32 v1, 3, v87
	s_lshl_b32 s42, -1, s42
	s_movk_i32 s54, 0x7fff
	ds_write_b64 v1, v[24:25]
	s_not_b32 s53, s42
	v_lshrrev_b16_e32 v1, 8, v77
	v_mov_b32_e32 v38, 0x80
	v_cmp_ne_u16_e64 s[42:43], s54, v77
	v_cndmask_b32_e64 v1, v38, v1, s[42:43]
	v_and_b32_sdwa v39, v1, s53 dst_sel:DWORD dst_unused:UNUSED_PAD src0_sel:WORD_0 src1_sel:DWORD
	v_lshlrev_b32_e32 v1, 2, v39
	v_add_lshl_u32 v78, v1, v68, 2
	v_and_b32_e32 v1, 1, v39
	v_lshlrev_b32_e32 v82, 3, v82
	v_add_co_u32_e64 v79, s[42:43], -1, v1
	s_waitcnt lgkmcnt(0)
	s_barrier
	ds_read2st64_b64 v[34:37], v82 offset1:1
	ds_read2st64_b64 v[30:33], v82 offset0:2 offset1:3
	ds_read2st64_b64 v[26:29], v82 offset0:4 offset1:5
	ds_read2st64_b64 v[22:25], v82 offset0:6 offset1:7
	v_addc_co_u32_e64 v82, s[42:43], 0, -1, s[42:43]
	v_cmp_ne_u32_e64 s[42:43], 0, v1
	v_xor_b32_e32 v1, s43, v82
	v_and_b32_e32 v82, exec_hi, v1
	v_lshlrev_b32_e32 v1, 30, v39
	v_xor_b32_e32 v79, s42, v79
	v_cmp_gt_i64_e64 s[42:43], 0, v[0:1]
	v_not_b32_e32 v1, v1
	v_ashrrev_i32_e32 v1, 31, v1
	v_and_b32_e32 v79, exec_lo, v79
	v_xor_b32_e32 v83, s43, v1
	v_xor_b32_e32 v1, s42, v1
	v_and_b32_e32 v79, v79, v1
	v_lshlrev_b32_e32 v1, 29, v39
	v_cmp_gt_i64_e64 s[42:43], 0, v[0:1]
	v_not_b32_e32 v1, v1
	v_ashrrev_i32_e32 v1, 31, v1
	v_and_b32_e32 v82, v82, v83
	v_xor_b32_e32 v83, s43, v1
	v_xor_b32_e32 v1, s42, v1
	v_and_b32_e32 v79, v79, v1
	v_lshlrev_b32_e32 v1, 28, v39
	v_cmp_gt_i64_e64 s[42:43], 0, v[0:1]
	v_not_b32_e32 v1, v1
	v_ashrrev_i32_e32 v1, 31, v1
	v_and_b32_e32 v82, v82, v83
	;; [unrolled: 8-line block ×5, first 2 shown]
	v_xor_b32_e32 v83, s43, v1
	v_xor_b32_e32 v1, s42, v1
	v_and_b32_e32 v79, v79, v1
	v_lshlrev_b32_e32 v1, 24, v39
	s_waitcnt lgkmcnt(0)
	s_barrier
	ds_write2_b32 v64, v0, v0 offset0:4 offset1:5
	ds_write2_b32 v69, v0, v0 offset0:2 offset1:3
	v_cmp_gt_i64_e64 s[42:43], 0, v[0:1]
	v_not_b32_e32 v0, v1
	v_ashrrev_i32_e32 v0, 31, v0
	v_xor_b32_e32 v1, s43, v0
	v_xor_b32_e32 v0, s42, v0
	v_and_b32_e32 v82, v82, v83
	v_and_b32_e32 v0, v79, v0
	;; [unrolled: 1-line block ×3, first 2 shown]
	v_mbcnt_lo_u32_b32 v39, v0, 0
	v_mbcnt_hi_u32_b32 v79, v1, v39
	v_cmp_eq_u32_e64 s[42:43], 0, v79
	v_cmp_ne_u64_e64 s[44:45], 0, v[0:1]
	s_and_b64 s[44:45], s[44:45], s[42:43]
	s_waitcnt lgkmcnt(0)
	s_barrier
	s_waitcnt lgkmcnt(0)
	; wave barrier
	s_and_saveexec_b64 s[42:43], s[44:45]
	s_cbranch_execz .LBB221_54
; %bb.53:
	v_bcnt_u32_b32 v0, v0, 0
	v_bcnt_u32_b32 v0, v1, v0
	ds_write_b32 v78, v0 offset:16
.LBB221_54:
	s_or_b64 exec, exec, s[42:43]
	v_lshrrev_b16_e32 v0, 8, v76
	v_cmp_ne_u16_e64 s[42:43], s54, v76
	v_cndmask_b32_e64 v0, v38, v0, s[42:43]
	v_and_b32_e32 v38, s53, v0
	v_and_b32_e32 v1, 1, v38
	v_add_co_u32_e64 v39, s[42:43], -1, v1
	v_addc_co_u32_e64 v84, s[42:43], 0, -1, s[42:43]
	v_cmp_ne_u32_e64 s[42:43], 0, v1
	v_lshlrev_b32_e32 v0, 2, v38
	v_xor_b32_e32 v1, s43, v84
	v_add_lshl_u32 v83, v0, v68, 2
	v_mov_b32_e32 v0, 0
	v_and_b32_e32 v84, exec_hi, v1
	v_lshlrev_b32_e32 v1, 30, v38
	v_xor_b32_e32 v39, s42, v39
	v_cmp_gt_i64_e64 s[42:43], 0, v[0:1]
	v_not_b32_e32 v1, v1
	v_ashrrev_i32_e32 v1, 31, v1
	v_and_b32_e32 v39, exec_lo, v39
	v_xor_b32_e32 v85, s43, v1
	v_xor_b32_e32 v1, s42, v1
	v_and_b32_e32 v39, v39, v1
	v_lshlrev_b32_e32 v1, 29, v38
	v_cmp_gt_i64_e64 s[42:43], 0, v[0:1]
	v_not_b32_e32 v1, v1
	v_ashrrev_i32_e32 v1, 31, v1
	v_and_b32_e32 v84, v84, v85
	v_xor_b32_e32 v85, s43, v1
	v_xor_b32_e32 v1, s42, v1
	v_and_b32_e32 v39, v39, v1
	v_lshlrev_b32_e32 v1, 28, v38
	v_cmp_gt_i64_e64 s[42:43], 0, v[0:1]
	v_not_b32_e32 v1, v1
	v_ashrrev_i32_e32 v1, 31, v1
	v_and_b32_e32 v84, v84, v85
	v_xor_b32_e32 v85, s43, v1
	v_xor_b32_e32 v1, s42, v1
	v_and_b32_e32 v39, v39, v1
	v_lshlrev_b32_e32 v1, 27, v38
	v_cmp_gt_i64_e64 s[42:43], 0, v[0:1]
	v_not_b32_e32 v1, v1
	v_ashrrev_i32_e32 v1, 31, v1
	v_and_b32_e32 v84, v84, v85
	v_xor_b32_e32 v85, s43, v1
	v_xor_b32_e32 v1, s42, v1
	v_and_b32_e32 v39, v39, v1
	v_lshlrev_b32_e32 v1, 26, v38
	v_cmp_gt_i64_e64 s[42:43], 0, v[0:1]
	v_not_b32_e32 v1, v1
	v_ashrrev_i32_e32 v1, 31, v1
	v_and_b32_e32 v84, v84, v85
	v_xor_b32_e32 v85, s43, v1
	v_xor_b32_e32 v1, s42, v1
	v_and_b32_e32 v39, v39, v1
	v_lshlrev_b32_e32 v1, 25, v38
	v_cmp_gt_i64_e64 s[42:43], 0, v[0:1]
	v_not_b32_e32 v1, v1
	v_ashrrev_i32_e32 v1, 31, v1
	v_and_b32_e32 v84, v84, v85
	v_xor_b32_e32 v85, s43, v1
	v_xor_b32_e32 v1, s42, v1
	v_and_b32_e32 v84, v84, v85
	v_and_b32_e32 v85, v39, v1
	v_lshlrev_b32_e32 v1, 24, v38
	v_cmp_gt_i64_e64 s[42:43], 0, v[0:1]
	v_not_b32_e32 v1, v1
	v_ashrrev_i32_e32 v1, 31, v1
	v_xor_b32_e32 v38, s43, v1
	v_xor_b32_e32 v1, s42, v1
	; wave barrier
	ds_read_b32 v82, v83 offset:16
	v_and_b32_e32 v39, v84, v38
	v_and_b32_e32 v38, v85, v1
	v_mbcnt_lo_u32_b32 v1, v38, 0
	v_mbcnt_hi_u32_b32 v84, v39, v1
	v_cmp_eq_u32_e64 s[42:43], 0, v84
	v_cmp_ne_u64_e64 s[44:45], 0, v[38:39]
	s_and_b64 s[44:45], s[44:45], s[42:43]
	; wave barrier
	s_and_saveexec_b64 s[42:43], s[44:45]
	s_cbranch_execz .LBB221_56
; %bb.55:
	v_bcnt_u32_b32 v1, v38, 0
	v_bcnt_u32_b32 v1, v39, v1
	s_waitcnt lgkmcnt(0)
	v_add_u32_e32 v1, v82, v1
	ds_write_b32 v83, v1 offset:16
.LBB221_56:
	s_or_b64 exec, exec, s[42:43]
	v_lshrrev_b16_e32 v1, 8, v75
	v_mov_b32_e32 v38, 0x80
	v_cmp_ne_u16_e64 s[42:43], s54, v75
	v_cndmask_b32_e64 v1, v38, v1, s[42:43]
	v_and_b32_e32 v39, s53, v1
	v_lshlrev_b32_e32 v1, 2, v39
	v_add_lshl_u32 v86, v1, v68, 2
	v_and_b32_e32 v1, 1, v39
	v_add_co_u32_e64 v87, s[42:43], -1, v1
	v_addc_co_u32_e64 v88, s[42:43], 0, -1, s[42:43]
	v_cmp_ne_u32_e64 s[42:43], 0, v1
	v_xor_b32_e32 v1, s43, v88
	v_and_b32_e32 v88, exec_hi, v1
	v_lshlrev_b32_e32 v1, 30, v39
	v_xor_b32_e32 v87, s42, v87
	v_cmp_gt_i64_e64 s[42:43], 0, v[0:1]
	v_not_b32_e32 v1, v1
	v_ashrrev_i32_e32 v1, 31, v1
	v_and_b32_e32 v87, exec_lo, v87
	v_xor_b32_e32 v89, s43, v1
	v_xor_b32_e32 v1, s42, v1
	v_and_b32_e32 v87, v87, v1
	v_lshlrev_b32_e32 v1, 29, v39
	v_cmp_gt_i64_e64 s[42:43], 0, v[0:1]
	v_not_b32_e32 v1, v1
	v_ashrrev_i32_e32 v1, 31, v1
	v_and_b32_e32 v88, v88, v89
	v_xor_b32_e32 v89, s43, v1
	v_xor_b32_e32 v1, s42, v1
	v_and_b32_e32 v87, v87, v1
	v_lshlrev_b32_e32 v1, 28, v39
	v_cmp_gt_i64_e64 s[42:43], 0, v[0:1]
	v_not_b32_e32 v1, v1
	v_ashrrev_i32_e32 v1, 31, v1
	v_and_b32_e32 v88, v88, v89
	;; [unrolled: 8-line block ×5, first 2 shown]
	v_xor_b32_e32 v89, s43, v1
	v_xor_b32_e32 v1, s42, v1
	v_and_b32_e32 v87, v87, v1
	v_lshlrev_b32_e32 v1, 24, v39
	v_cmp_gt_i64_e64 s[42:43], 0, v[0:1]
	v_not_b32_e32 v0, v1
	v_ashrrev_i32_e32 v0, 31, v0
	v_xor_b32_e32 v1, s43, v0
	v_xor_b32_e32 v0, s42, v0
	; wave barrier
	ds_read_b32 v85, v86 offset:16
	v_and_b32_e32 v88, v88, v89
	v_and_b32_e32 v0, v87, v0
	;; [unrolled: 1-line block ×3, first 2 shown]
	v_mbcnt_lo_u32_b32 v39, v0, 0
	v_mbcnt_hi_u32_b32 v87, v1, v39
	v_cmp_eq_u32_e64 s[42:43], 0, v87
	v_cmp_ne_u64_e64 s[44:45], 0, v[0:1]
	s_and_b64 s[44:45], s[44:45], s[42:43]
	; wave barrier
	s_and_saveexec_b64 s[42:43], s[44:45]
	s_cbranch_execz .LBB221_58
; %bb.57:
	v_bcnt_u32_b32 v0, v0, 0
	v_bcnt_u32_b32 v0, v1, v0
	s_waitcnt lgkmcnt(0)
	v_add_u32_e32 v0, v85, v0
	ds_write_b32 v86, v0 offset:16
.LBB221_58:
	s_or_b64 exec, exec, s[42:43]
	v_lshrrev_b16_e32 v0, 8, v74
	v_cmp_ne_u16_e64 s[42:43], s54, v74
	v_cndmask_b32_e64 v0, v38, v0, s[42:43]
	v_and_b32_e32 v38, s53, v0
	v_and_b32_e32 v1, 1, v38
	v_add_co_u32_e64 v39, s[42:43], -1, v1
	v_addc_co_u32_e64 v90, s[42:43], 0, -1, s[42:43]
	v_cmp_ne_u32_e64 s[42:43], 0, v1
	v_lshlrev_b32_e32 v0, 2, v38
	v_xor_b32_e32 v1, s43, v90
	v_add_lshl_u32 v89, v0, v68, 2
	v_mov_b32_e32 v0, 0
	v_and_b32_e32 v90, exec_hi, v1
	v_lshlrev_b32_e32 v1, 30, v38
	v_xor_b32_e32 v39, s42, v39
	v_cmp_gt_i64_e64 s[42:43], 0, v[0:1]
	v_not_b32_e32 v1, v1
	v_ashrrev_i32_e32 v1, 31, v1
	v_and_b32_e32 v39, exec_lo, v39
	v_xor_b32_e32 v91, s43, v1
	v_xor_b32_e32 v1, s42, v1
	v_and_b32_e32 v39, v39, v1
	v_lshlrev_b32_e32 v1, 29, v38
	v_cmp_gt_i64_e64 s[42:43], 0, v[0:1]
	v_not_b32_e32 v1, v1
	v_ashrrev_i32_e32 v1, 31, v1
	v_and_b32_e32 v90, v90, v91
	v_xor_b32_e32 v91, s43, v1
	v_xor_b32_e32 v1, s42, v1
	v_and_b32_e32 v39, v39, v1
	v_lshlrev_b32_e32 v1, 28, v38
	v_cmp_gt_i64_e64 s[42:43], 0, v[0:1]
	v_not_b32_e32 v1, v1
	v_ashrrev_i32_e32 v1, 31, v1
	v_and_b32_e32 v90, v90, v91
	;; [unrolled: 8-line block ×5, first 2 shown]
	v_xor_b32_e32 v91, s43, v1
	v_xor_b32_e32 v1, s42, v1
	v_and_b32_e32 v90, v90, v91
	v_and_b32_e32 v91, v39, v1
	v_lshlrev_b32_e32 v1, 24, v38
	v_cmp_gt_i64_e64 s[42:43], 0, v[0:1]
	v_not_b32_e32 v1, v1
	v_ashrrev_i32_e32 v1, 31, v1
	v_xor_b32_e32 v38, s43, v1
	v_xor_b32_e32 v1, s42, v1
	; wave barrier
	ds_read_b32 v88, v89 offset:16
	v_and_b32_e32 v39, v90, v38
	v_and_b32_e32 v38, v91, v1
	v_mbcnt_lo_u32_b32 v1, v38, 0
	v_mbcnt_hi_u32_b32 v90, v39, v1
	v_cmp_eq_u32_e64 s[42:43], 0, v90
	v_cmp_ne_u64_e64 s[44:45], 0, v[38:39]
	s_and_b64 s[44:45], s[44:45], s[42:43]
	; wave barrier
	s_and_saveexec_b64 s[42:43], s[44:45]
	s_cbranch_execz .LBB221_60
; %bb.59:
	v_bcnt_u32_b32 v1, v38, 0
	v_bcnt_u32_b32 v1, v39, v1
	s_waitcnt lgkmcnt(0)
	v_add_u32_e32 v1, v88, v1
	ds_write_b32 v89, v1 offset:16
.LBB221_60:
	s_or_b64 exec, exec, s[42:43]
	v_lshrrev_b16_e32 v1, 8, v73
	v_mov_b32_e32 v38, 0x80
	v_cmp_ne_u16_e64 s[42:43], s54, v73
	v_cndmask_b32_e64 v1, v38, v1, s[42:43]
	v_and_b32_e32 v39, s53, v1
	v_lshlrev_b32_e32 v1, 2, v39
	v_add_lshl_u32 v92, v1, v68, 2
	v_and_b32_e32 v1, 1, v39
	v_add_co_u32_e64 v93, s[42:43], -1, v1
	v_addc_co_u32_e64 v94, s[42:43], 0, -1, s[42:43]
	v_cmp_ne_u32_e64 s[42:43], 0, v1
	v_xor_b32_e32 v1, s43, v94
	v_and_b32_e32 v94, exec_hi, v1
	v_lshlrev_b32_e32 v1, 30, v39
	v_xor_b32_e32 v93, s42, v93
	v_cmp_gt_i64_e64 s[42:43], 0, v[0:1]
	v_not_b32_e32 v1, v1
	v_ashrrev_i32_e32 v1, 31, v1
	v_and_b32_e32 v93, exec_lo, v93
	v_xor_b32_e32 v95, s43, v1
	v_xor_b32_e32 v1, s42, v1
	v_and_b32_e32 v93, v93, v1
	v_lshlrev_b32_e32 v1, 29, v39
	v_cmp_gt_i64_e64 s[42:43], 0, v[0:1]
	v_not_b32_e32 v1, v1
	v_ashrrev_i32_e32 v1, 31, v1
	v_and_b32_e32 v94, v94, v95
	v_xor_b32_e32 v95, s43, v1
	v_xor_b32_e32 v1, s42, v1
	v_and_b32_e32 v93, v93, v1
	v_lshlrev_b32_e32 v1, 28, v39
	v_cmp_gt_i64_e64 s[42:43], 0, v[0:1]
	v_not_b32_e32 v1, v1
	v_ashrrev_i32_e32 v1, 31, v1
	v_and_b32_e32 v94, v94, v95
	;; [unrolled: 8-line block ×5, first 2 shown]
	v_xor_b32_e32 v95, s43, v1
	v_xor_b32_e32 v1, s42, v1
	v_and_b32_e32 v93, v93, v1
	v_lshlrev_b32_e32 v1, 24, v39
	v_cmp_gt_i64_e64 s[42:43], 0, v[0:1]
	v_not_b32_e32 v0, v1
	v_ashrrev_i32_e32 v0, 31, v0
	v_xor_b32_e32 v1, s43, v0
	v_xor_b32_e32 v0, s42, v0
	; wave barrier
	ds_read_b32 v91, v92 offset:16
	v_and_b32_e32 v94, v94, v95
	v_and_b32_e32 v0, v93, v0
	;; [unrolled: 1-line block ×3, first 2 shown]
	v_mbcnt_lo_u32_b32 v39, v0, 0
	v_mbcnt_hi_u32_b32 v93, v1, v39
	v_cmp_eq_u32_e64 s[42:43], 0, v93
	v_cmp_ne_u64_e64 s[44:45], 0, v[0:1]
	s_and_b64 s[44:45], s[44:45], s[42:43]
	; wave barrier
	s_and_saveexec_b64 s[42:43], s[44:45]
	s_cbranch_execz .LBB221_62
; %bb.61:
	v_bcnt_u32_b32 v0, v0, 0
	v_bcnt_u32_b32 v0, v1, v0
	s_waitcnt lgkmcnt(0)
	v_add_u32_e32 v0, v91, v0
	ds_write_b32 v92, v0 offset:16
.LBB221_62:
	s_or_b64 exec, exec, s[42:43]
	v_lshrrev_b16_e32 v0, 8, v72
	v_cmp_ne_u16_e64 s[42:43], s54, v72
	v_cndmask_b32_e64 v0, v38, v0, s[42:43]
	v_and_b32_e32 v38, s53, v0
	v_and_b32_e32 v1, 1, v38
	v_add_co_u32_e64 v39, s[42:43], -1, v1
	v_addc_co_u32_e64 v96, s[42:43], 0, -1, s[42:43]
	v_cmp_ne_u32_e64 s[42:43], 0, v1
	v_lshlrev_b32_e32 v0, 2, v38
	v_xor_b32_e32 v1, s43, v96
	v_add_lshl_u32 v95, v0, v68, 2
	v_mov_b32_e32 v0, 0
	v_and_b32_e32 v96, exec_hi, v1
	v_lshlrev_b32_e32 v1, 30, v38
	v_xor_b32_e32 v39, s42, v39
	v_cmp_gt_i64_e64 s[42:43], 0, v[0:1]
	v_not_b32_e32 v1, v1
	v_ashrrev_i32_e32 v1, 31, v1
	v_and_b32_e32 v39, exec_lo, v39
	v_xor_b32_e32 v97, s43, v1
	v_xor_b32_e32 v1, s42, v1
	v_and_b32_e32 v39, v39, v1
	v_lshlrev_b32_e32 v1, 29, v38
	v_cmp_gt_i64_e64 s[42:43], 0, v[0:1]
	v_not_b32_e32 v1, v1
	v_ashrrev_i32_e32 v1, 31, v1
	v_and_b32_e32 v96, v96, v97
	v_xor_b32_e32 v97, s43, v1
	v_xor_b32_e32 v1, s42, v1
	v_and_b32_e32 v39, v39, v1
	v_lshlrev_b32_e32 v1, 28, v38
	v_cmp_gt_i64_e64 s[42:43], 0, v[0:1]
	v_not_b32_e32 v1, v1
	v_ashrrev_i32_e32 v1, 31, v1
	v_and_b32_e32 v96, v96, v97
	;; [unrolled: 8-line block ×5, first 2 shown]
	v_xor_b32_e32 v97, s43, v1
	v_xor_b32_e32 v1, s42, v1
	v_and_b32_e32 v96, v96, v97
	v_and_b32_e32 v97, v39, v1
	v_lshlrev_b32_e32 v1, 24, v38
	v_cmp_gt_i64_e64 s[42:43], 0, v[0:1]
	v_not_b32_e32 v1, v1
	v_ashrrev_i32_e32 v1, 31, v1
	v_xor_b32_e32 v38, s43, v1
	v_xor_b32_e32 v1, s42, v1
	; wave barrier
	ds_read_b32 v94, v95 offset:16
	v_and_b32_e32 v39, v96, v38
	v_and_b32_e32 v38, v97, v1
	v_mbcnt_lo_u32_b32 v1, v38, 0
	v_mbcnt_hi_u32_b32 v96, v39, v1
	v_cmp_eq_u32_e64 s[42:43], 0, v96
	v_cmp_ne_u64_e64 s[44:45], 0, v[38:39]
	s_and_b64 s[44:45], s[44:45], s[42:43]
	; wave barrier
	s_and_saveexec_b64 s[42:43], s[44:45]
	s_cbranch_execz .LBB221_64
; %bb.63:
	v_bcnt_u32_b32 v1, v38, 0
	v_bcnt_u32_b32 v1, v39, v1
	s_waitcnt lgkmcnt(0)
	v_add_u32_e32 v1, v94, v1
	ds_write_b32 v95, v1 offset:16
.LBB221_64:
	s_or_b64 exec, exec, s[42:43]
	v_lshrrev_b16_e32 v1, 8, v71
	v_mov_b32_e32 v38, 0x80
	v_cmp_ne_u16_e64 s[42:43], s54, v71
	v_cndmask_b32_e64 v1, v38, v1, s[42:43]
	v_and_b32_e32 v39, s53, v1
	v_lshlrev_b32_e32 v1, 2, v39
	v_add_lshl_u32 v98, v1, v68, 2
	v_and_b32_e32 v1, 1, v39
	v_add_co_u32_e64 v99, s[42:43], -1, v1
	v_addc_co_u32_e64 v100, s[42:43], 0, -1, s[42:43]
	v_cmp_ne_u32_e64 s[42:43], 0, v1
	v_xor_b32_e32 v1, s43, v100
	v_and_b32_e32 v100, exec_hi, v1
	v_lshlrev_b32_e32 v1, 30, v39
	v_xor_b32_e32 v99, s42, v99
	v_cmp_gt_i64_e64 s[42:43], 0, v[0:1]
	v_not_b32_e32 v1, v1
	v_ashrrev_i32_e32 v1, 31, v1
	v_and_b32_e32 v99, exec_lo, v99
	v_xor_b32_e32 v101, s43, v1
	v_xor_b32_e32 v1, s42, v1
	v_and_b32_e32 v99, v99, v1
	v_lshlrev_b32_e32 v1, 29, v39
	v_cmp_gt_i64_e64 s[42:43], 0, v[0:1]
	v_not_b32_e32 v1, v1
	v_ashrrev_i32_e32 v1, 31, v1
	v_and_b32_e32 v100, v100, v101
	v_xor_b32_e32 v101, s43, v1
	v_xor_b32_e32 v1, s42, v1
	v_and_b32_e32 v99, v99, v1
	v_lshlrev_b32_e32 v1, 28, v39
	v_cmp_gt_i64_e64 s[42:43], 0, v[0:1]
	v_not_b32_e32 v1, v1
	v_ashrrev_i32_e32 v1, 31, v1
	v_and_b32_e32 v100, v100, v101
	;; [unrolled: 8-line block ×5, first 2 shown]
	v_xor_b32_e32 v101, s43, v1
	v_xor_b32_e32 v1, s42, v1
	v_and_b32_e32 v99, v99, v1
	v_lshlrev_b32_e32 v1, 24, v39
	v_cmp_gt_i64_e64 s[42:43], 0, v[0:1]
	v_not_b32_e32 v0, v1
	v_ashrrev_i32_e32 v0, 31, v0
	v_xor_b32_e32 v1, s43, v0
	v_xor_b32_e32 v0, s42, v0
	; wave barrier
	ds_read_b32 v97, v98 offset:16
	v_and_b32_e32 v100, v100, v101
	v_and_b32_e32 v0, v99, v0
	;; [unrolled: 1-line block ×3, first 2 shown]
	v_mbcnt_lo_u32_b32 v39, v0, 0
	v_mbcnt_hi_u32_b32 v99, v1, v39
	v_cmp_eq_u32_e64 s[42:43], 0, v99
	v_cmp_ne_u64_e64 s[44:45], 0, v[0:1]
	s_and_b64 s[44:45], s[44:45], s[42:43]
	; wave barrier
	s_and_saveexec_b64 s[42:43], s[44:45]
	s_cbranch_execz .LBB221_66
; %bb.65:
	v_bcnt_u32_b32 v0, v0, 0
	v_bcnt_u32_b32 v0, v1, v0
	s_waitcnt lgkmcnt(0)
	v_add_u32_e32 v0, v97, v0
	ds_write_b32 v98, v0 offset:16
.LBB221_66:
	s_or_b64 exec, exec, s[42:43]
	v_lshrrev_b16_e32 v0, 8, v40
	v_cmp_ne_u16_e64 s[42:43], s54, v40
	v_cndmask_b32_e64 v0, v38, v0, s[42:43]
	v_and_b32_e32 v38, s53, v0
	v_and_b32_e32 v1, 1, v38
	v_add_co_u32_e64 v39, s[42:43], -1, v1
	v_addc_co_u32_e64 v101, s[42:43], 0, -1, s[42:43]
	v_cmp_ne_u32_e64 s[42:43], 0, v1
	v_lshlrev_b32_e32 v0, 2, v38
	v_xor_b32_e32 v1, s43, v101
	v_add_lshl_u32 v100, v0, v68, 2
	v_mov_b32_e32 v0, 0
	v_and_b32_e32 v101, exec_hi, v1
	v_lshlrev_b32_e32 v1, 30, v38
	v_xor_b32_e32 v39, s42, v39
	v_cmp_gt_i64_e64 s[42:43], 0, v[0:1]
	v_not_b32_e32 v1, v1
	v_ashrrev_i32_e32 v1, 31, v1
	v_and_b32_e32 v39, exec_lo, v39
	v_xor_b32_e32 v102, s43, v1
	v_xor_b32_e32 v1, s42, v1
	v_and_b32_e32 v39, v39, v1
	v_lshlrev_b32_e32 v1, 29, v38
	v_cmp_gt_i64_e64 s[42:43], 0, v[0:1]
	v_not_b32_e32 v1, v1
	v_ashrrev_i32_e32 v1, 31, v1
	v_and_b32_e32 v101, v101, v102
	v_xor_b32_e32 v102, s43, v1
	v_xor_b32_e32 v1, s42, v1
	v_and_b32_e32 v39, v39, v1
	v_lshlrev_b32_e32 v1, 28, v38
	v_cmp_gt_i64_e64 s[42:43], 0, v[0:1]
	v_not_b32_e32 v1, v1
	v_ashrrev_i32_e32 v1, 31, v1
	v_and_b32_e32 v101, v101, v102
	;; [unrolled: 8-line block ×5, first 2 shown]
	v_xor_b32_e32 v102, s43, v1
	v_xor_b32_e32 v1, s42, v1
	v_and_b32_e32 v39, v39, v1
	v_lshlrev_b32_e32 v1, 24, v38
	v_cmp_gt_i64_e64 s[42:43], 0, v[0:1]
	v_not_b32_e32 v0, v1
	v_ashrrev_i32_e32 v0, 31, v0
	v_xor_b32_e32 v1, s43, v0
	v_xor_b32_e32 v0, s42, v0
	; wave barrier
	ds_read_b32 v68, v100 offset:16
	v_and_b32_e32 v101, v101, v102
	v_and_b32_e32 v0, v39, v0
	;; [unrolled: 1-line block ×3, first 2 shown]
	v_mbcnt_lo_u32_b32 v38, v0, 0
	v_mbcnt_hi_u32_b32 v101, v1, v38
	v_cmp_eq_u32_e64 s[42:43], 0, v101
	v_cmp_ne_u64_e64 s[44:45], 0, v[0:1]
	s_and_b64 s[44:45], s[44:45], s[42:43]
	; wave barrier
	s_and_saveexec_b64 s[42:43], s[44:45]
	s_cbranch_execz .LBB221_68
; %bb.67:
	v_bcnt_u32_b32 v0, v0, 0
	v_bcnt_u32_b32 v0, v1, v0
	s_waitcnt lgkmcnt(0)
	v_add_u32_e32 v0, v68, v0
	ds_write_b32 v100, v0 offset:16
.LBB221_68:
	s_or_b64 exec, exec, s[42:43]
	; wave barrier
	s_waitcnt lgkmcnt(0)
	s_barrier
	ds_read2_b32 v[38:39], v64 offset0:4 offset1:5
	ds_read2_b32 v[0:1], v69 offset0:2 offset1:3
	s_waitcnt lgkmcnt(1)
	v_add_u32_e32 v102, v39, v38
	s_waitcnt lgkmcnt(0)
	v_add3_u32 v1, v102, v0, v1
	s_nop 1
	v_mov_b32_dpp v102, v1 row_shr:1 row_mask:0xf bank_mask:0xf
	v_cndmask_b32_e64 v102, v102, 0, s[22:23]
	v_add_u32_e32 v1, v102, v1
	s_nop 1
	v_mov_b32_dpp v102, v1 row_shr:2 row_mask:0xf bank_mask:0xf
	v_cndmask_b32_e64 v102, 0, v102, s[24:25]
	v_add_u32_e32 v1, v1, v102
	s_nop 1
	v_mov_b32_dpp v102, v1 row_shr:4 row_mask:0xf bank_mask:0xf
	v_cndmask_b32_e64 v102, 0, v102, s[28:29]
	v_add_u32_e32 v1, v1, v102
	s_nop 1
	v_mov_b32_dpp v102, v1 row_shr:8 row_mask:0xf bank_mask:0xf
	v_cndmask_b32_e64 v102, 0, v102, s[30:31]
	v_add_u32_e32 v1, v1, v102
	s_nop 1
	v_mov_b32_dpp v102, v1 row_bcast:15 row_mask:0xf bank_mask:0xf
	v_cndmask_b32_e64 v102, v102, 0, vcc
	v_add_u32_e32 v1, v1, v102
	s_nop 1
	v_mov_b32_dpp v102, v1 row_bcast:31 row_mask:0xf bank_mask:0xf
	v_cndmask_b32_e64 v102, 0, v102, s[34:35]
	v_add_u32_e32 v102, v1, v102
	s_and_saveexec_b64 s[22:23], s[16:17]
	s_cbranch_execz .LBB221_70
; %bb.69:
	ds_write_b32 v70, v102
.LBB221_70:
	s_or_b64 exec, exec, s[22:23]
	s_waitcnt lgkmcnt(0)
	s_barrier
	s_and_saveexec_b64 s[16:17], s[26:27]
	s_cbranch_execz .LBB221_72
; %bb.71:
	ds_read_b32 v1, v41
	s_waitcnt lgkmcnt(0)
	s_nop 0
	v_mov_b32_dpp v70, v1 row_shr:1 row_mask:0xf bank_mask:0xf
	v_cndmask_b32_e64 v70, v70, 0, s[20:21]
	v_add_u32_e32 v1, v70, v1
	s_nop 1
	v_mov_b32_dpp v70, v1 row_shr:2 row_mask:0xf bank_mask:0xf
	v_cndmask_b32_e64 v70, 0, v70, s[18:19]
	v_add_u32_e32 v1, v1, v70
	ds_write_b32 v41, v1
.LBB221_72:
	s_or_b64 exec, exec, s[16:17]
	v_mov_b32_e32 v1, 0
	v_mov_b32_e32 v41, 0
	s_waitcnt lgkmcnt(0)
	s_barrier
	s_and_saveexec_b64 s[16:17], s[36:37]
	s_cbranch_execz .LBB221_74
; %bb.73:
	ds_read_b32 v41, v80
.LBB221_74:
	s_or_b64 exec, exec, s[16:17]
	s_waitcnt lgkmcnt(0)
	v_add_u32_e32 v70, v41, v102
	ds_bpermute_b32 v70, v81, v70
	s_mov_b32 s18, 0x5040100
	s_waitcnt lgkmcnt(0)
	v_cndmask_b32_e64 v41, v70, v41, s[38:39]
	v_cndmask_b32_e64 v41, v41, 0, s[40:41]
	v_add_u32_e32 v38, v41, v38
	v_add_u32_e32 v39, v38, v39
	;; [unrolled: 1-line block ×3, first 2 shown]
	ds_write2_b32 v64, v41, v38 offset0:4 offset1:5
	ds_write2_b32 v69, v39, v0 offset0:2 offset1:3
	s_waitcnt lgkmcnt(0)
	s_barrier
	ds_read_b32 v0, v100 offset:16
	ds_read_b32 v38, v98 offset:16
	;; [unrolled: 1-line block ×4, first 2 shown]
	s_waitcnt lgkmcnt(3)
	v_add3_u32 v0, v101, v68, v0
	ds_read_b32 v68, v89 offset:16
	ds_read_b32 v69, v86 offset:16
	;; [unrolled: 1-line block ×4, first 2 shown]
	s_waitcnt lgkmcnt(0)
	s_barrier
	v_add3_u32 v69, v87, v85, v69
	v_add3_u32 v70, v84, v82, v70
	v_add_u32_e32 v78, v78, v79
	v_lshlrev_b32_e32 v79, 1, v78
	ds_write_b16 v79, v77
	v_lshlrev_b32_e32 v77, 1, v70
	v_add3_u32 v68, v90, v88, v68
	ds_write_b16 v77, v76
	v_lshlrev_b32_e32 v76, 1, v69
	v_add3_u32 v41, v93, v91, v41
	;; [unrolled: 3-line block ×4, first 2 shown]
	ds_write_b16 v74, v73
	v_lshlrev_b32_e32 v73, 1, v39
	ds_write_b16 v73, v72
	v_lshlrev_b32_e32 v72, 1, v38
	;; [unrolled: 2-line block ×4, first 2 shown]
	s_waitcnt lgkmcnt(0)
	s_barrier
	v_lshlrev_b32_e32 v72, 3, v41
	v_lshlrev_b32_e32 v73, 3, v39
	;; [unrolled: 1-line block ×3, first 2 shown]
	ds_read_b128 v[38:41], v40
	v_mov_b32_e32 v77, 0xffff8000
	v_lshlrev_b32_e32 v71, 3, v78
	v_lshlrev_b32_e32 v75, 3, v63
	;; [unrolled: 1-line block ×3, first 2 shown]
	s_waitcnt lgkmcnt(0)
	v_cmp_lt_i16_sdwa vcc, v38, v1 src0_sel:WORD_1 src1_sel:DWORD
	v_cndmask_b32_e32 v78, -1, v77, vcc
	v_cmp_gt_i16_e32 vcc, 0, v38
	v_lshlrev_b32_e32 v69, 3, v69
	v_lshlrev_b32_e32 v68, 3, v68
	v_lshlrev_b32_e32 v0, 3, v0
	v_cndmask_b32_e32 v79, -1, v77, vcc
	v_cmp_lt_i16_e32 vcc, -1, v39
	s_barrier
	ds_write_b64 v71, v[34:35]
	ds_write_b64 v70, v[36:37]
	;; [unrolled: 1-line block ×8, first 2 shown]
	s_waitcnt lgkmcnt(0)
	s_barrier
	ds_read2_b64 v[22:25], v75 offset1:1
	ds_read2_b64 v[26:29], v75 offset0:2 offset1:3
	ds_read2_b64 v[30:33], v75 offset0:4 offset1:5
	;; [unrolled: 1-line block ×3, first 2 shown]
	v_mov_b32_e32 v76, -1
	v_cndmask_b32_e64 v81, v77, -1, vcc
	v_cmp_lt_i16_sdwa vcc, v40, v1 src0_sel:WORD_1 src1_sel:DWORD
	v_cmp_gt_i16_sdwa s[16:17], v39, v76 src0_sel:WORD_1 src1_sel:DWORD
	v_cndmask_b32_e32 v0, -1, v77, vcc
	v_cmp_gt_i16_e32 vcc, 0, v40
	v_cndmask_b32_e64 v80, v77, -1, s[16:17]
	v_cndmask_b32_e32 v1, -1, v77, vcc
	v_cmp_gt_i16_sdwa s[16:17], v41, v76 src0_sel:WORD_1 src1_sel:DWORD
	v_cmp_lt_i16_e32 vcc, -1, v41
	v_cndmask_b32_e64 v68, v77, -1, s[16:17]
	v_cndmask_b32_e64 v69, v77, -1, vcc
	v_xor_b32_e32 v81, v81, v39
	v_xor_b32_sdwa v39, v80, v39 dst_sel:DWORD dst_unused:UNUSED_PAD src0_sel:DWORD src1_sel:WORD_1
	v_xor_b32_e32 v79, v79, v38
	v_xor_b32_sdwa v38, v78, v38 dst_sel:DWORD dst_unused:UNUSED_PAD src0_sel:DWORD src1_sel:WORD_1
	;; [unrolled: 2-line block ×4, first 2 shown]
	v_perm_b32 v39, v39, v81, s18
	v_perm_b32 v38, v38, v79, s18
	;; [unrolled: 1-line block ×4, first 2 shown]
	s_branch .LBB221_128
.LBB221_75:
	v_mov_b32_e32 v45, 0
	v_lshlrev_b64 v[2:3], 3, v[44:45]
	v_mov_b32_e32 v4, s52
	v_add_co_u32_e32 v2, vcc, s49, v2
	v_addc_co_u32_e32 v3, vcc, v4, v3, vcc
	global_load_dwordx2 v[2:3], v[2:3], off
	v_mov_b32_e32 v4, v45
	v_mov_b32_e32 v5, v45
	;; [unrolled: 1-line block ×14, first 2 shown]
	s_or_b64 exec, exec, s[16:17]
	s_and_saveexec_b64 s[16:17], s[2:3]
	s_cbranch_execz .LBB221_22
.LBB221_76:
	v_mul_lo_u32 v4, v36, s48
	v_mov_b32_e32 v5, 0
	v_lshlrev_b64 v[4:5], 3, v[4:5]
	v_mov_b32_e32 v36, s52
	v_add_co_u32_e32 v4, vcc, s49, v4
	v_addc_co_u32_e32 v5, vcc, v36, v5, vcc
	global_load_dwordx2 v[4:5], v[4:5], off
	s_or_b64 exec, exec, s[16:17]
	s_and_saveexec_b64 s[16:17], s[4:5]
	s_cbranch_execz .LBB221_23
.LBB221_77:
	v_mul_lo_u32 v6, v35, s48
	v_mov_b32_e32 v7, 0
	v_lshlrev_b64 v[6:7], 3, v[6:7]
	v_mov_b32_e32 v35, s52
	v_add_co_u32_e32 v6, vcc, s49, v6
	v_addc_co_u32_e32 v7, vcc, v35, v7, vcc
	global_load_dwordx2 v[6:7], v[6:7], off
	s_or_b64 exec, exec, s[16:17]
	s_and_saveexec_b64 s[16:17], s[6:7]
	s_cbranch_execz .LBB221_24
.LBB221_78:
	v_mul_lo_u32 v8, v33, s48
	v_mov_b32_e32 v9, 0
	v_lshlrev_b64 v[8:9], 3, v[8:9]
	v_mov_b32_e32 v33, s52
	v_add_co_u32_e32 v8, vcc, s49, v8
	v_addc_co_u32_e32 v9, vcc, v33, v9, vcc
	global_load_dwordx2 v[8:9], v[8:9], off
	s_or_b64 exec, exec, s[16:17]
	s_and_saveexec_b64 s[16:17], s[8:9]
	s_cbranch_execz .LBB221_25
.LBB221_79:
	v_mul_lo_u32 v10, v30, s48
	v_mov_b32_e32 v11, 0
	v_lshlrev_b64 v[10:11], 3, v[10:11]
	v_mov_b32_e32 v30, s52
	v_add_co_u32_e32 v10, vcc, s49, v10
	v_addc_co_u32_e32 v11, vcc, v30, v11, vcc
	global_load_dwordx2 v[10:11], v[10:11], off
	s_or_b64 exec, exec, s[16:17]
	s_and_saveexec_b64 s[16:17], s[10:11]
	s_cbranch_execz .LBB221_26
.LBB221_80:
	v_mul_lo_u32 v12, v28, s48
	v_mov_b32_e32 v13, 0
	v_lshlrev_b64 v[12:13], 3, v[12:13]
	v_mov_b32_e32 v28, s52
	v_add_co_u32_e32 v12, vcc, s49, v12
	v_addc_co_u32_e32 v13, vcc, v28, v13, vcc
	global_load_dwordx2 v[12:13], v[12:13], off
	s_or_b64 exec, exec, s[16:17]
	s_and_saveexec_b64 s[16:17], s[12:13]
	s_cbranch_execz .LBB221_27
.LBB221_81:
	v_mul_lo_u32 v14, v26, s48
	v_mov_b32_e32 v15, 0
	v_lshlrev_b64 v[14:15], 3, v[14:15]
	v_mov_b32_e32 v26, s52
	v_add_co_u32_e32 v14, vcc, s49, v14
	v_addc_co_u32_e32 v15, vcc, v26, v15, vcc
	global_load_dwordx2 v[14:15], v[14:15], off
	s_or_b64 exec, exec, s[16:17]
	s_xor_b64 s[16:17], s[34:35], -1
	s_and_saveexec_b64 s[18:19], s[14:15]
	s_cbranch_execnz .LBB221_28
	s_branch .LBB221_29
.LBB221_82:
                                        ; implicit-def: $vgpr36_vgpr37
                                        ; implicit-def: $vgpr32_vgpr33
                                        ; implicit-def: $vgpr28_vgpr29
                                        ; implicit-def: $vgpr24_vgpr25
                                        ; implicit-def: $vgpr40_vgpr41
	s_cbranch_execz .LBB221_128
; %bb.83:
	s_waitcnt lgkmcnt(3)
	v_mov_b32_e32 v22, 0
	s_waitcnt lgkmcnt(0)
	v_mov_b32_e32 v35, 0x7fff
	v_cmp_gt_i16_e32 vcc, 0, v19
	v_cmp_lt_i16_sdwa s[16:17], v19, v22 src0_sel:WORD_1 src1_sel:DWORD
	v_cndmask_b32_e64 v23, v35, 0, vcc
	v_cmp_gt_i16_e32 vcc, 0, v18
	v_cndmask_b32_e64 v25, v35, 0, s[16:17]
	v_cmp_lt_i16_sdwa s[16:17], v18, v22 src0_sel:WORD_1 src1_sel:DWORD
	v_cndmask_b32_e64 v24, v35, 0, vcc
	v_cndmask_b32_e64 v27, v35, 0, s[16:17]
	v_cmp_gt_i16_e32 vcc, 0, v21
	v_cmp_lt_i16_sdwa s[16:17], v21, v22 src0_sel:WORD_1 src1_sel:DWORD
	v_xor_b32_sdwa v25, v25, v19 dst_sel:DWORD dst_unused:UNUSED_PAD src0_sel:DWORD src1_sel:WORD_1
	v_xor_b32_e32 v19, v23, v19
	v_cndmask_b32_e64 v23, v35, 0, vcc
	v_cmp_gt_i16_e32 vcc, 0, v20
	v_cndmask_b32_e64 v28, v35, 0, s[16:17]
	v_cmp_lt_i16_sdwa s[16:17], v20, v22 src0_sel:WORD_1 src1_sel:DWORD
	v_mbcnt_hi_u32_b32 v26, -1, v67
	v_and_b32_e32 v34, 0x3c0, v46
	v_xor_b32_sdwa v27, v27, v18 dst_sel:DWORD dst_unused:UNUSED_PAD src0_sel:DWORD src1_sel:WORD_1
	v_xor_b32_e32 v18, v24, v18
	v_cndmask_b32_e64 v24, v35, 0, vcc
	v_cndmask_b32_e64 v29, v35, 0, s[16:17]
	v_add_u32_e32 v0, v26, v34
	v_xor_b32_sdwa v29, v29, v20 dst_sel:DWORD dst_unused:UNUSED_PAD src0_sel:DWORD src1_sel:WORD_1
	v_xor_b32_sdwa v28, v28, v21 dst_sel:DWORD dst_unused:UNUSED_PAD src0_sel:DWORD src1_sel:WORD_1
	v_xor_b32_e32 v20, v24, v20
	v_xor_b32_e32 v21, v23, v21
	s_mov_b32 s16, 0x5040100
	v_lshlrev_b32_e32 v1, 4, v0
	v_perm_b32 v21, v28, v21, s16
	v_perm_b32 v20, v29, v20, s16
	;; [unrolled: 1-line block ×4, first 2 shown]
	v_and_b32_e32 v36, 0x1e00, v63
	ds_write_b128 v1, v[18:21]
	v_or_b32_e32 v1, v26, v36
	v_lshlrev_b32_e32 v18, 1, v1
	v_lshlrev_b32_e32 v0, 6, v0
	; wave barrier
	ds_read_u16 v33, v18
	ds_read_u16 v32, v18 offset:128
	ds_read_u16 v31, v18 offset:256
	;; [unrolled: 1-line block ×7, first 2 shown]
	s_waitcnt lgkmcnt(0)
	s_barrier
	ds_write2_b64 v0, v[14:15], v[16:17] offset1:1
	ds_write2_b64 v0, v[10:11], v[12:13] offset0:2 offset1:3
	ds_write2_b64 v0, v[6:7], v[8:9] offset0:4 offset1:5
	;; [unrolled: 1-line block ×3, first 2 shown]
	v_lshlrev_b32_e32 v0, 3, v1
	; wave barrier
	ds_read2st64_b64 v[12:15], v0 offset1:1
	ds_read2st64_b64 v[8:11], v0 offset0:2 offset1:3
	ds_read2st64_b64 v[4:7], v0 offset0:4 offset1:5
	ds_read2st64_b64 v[0:3], v0 offset0:6 offset1:7
	s_waitcnt lgkmcnt(0)
	s_barrier
	s_load_dword s18, s[50:51], 0xc
	s_getpc_b64 s[16:17]
	s_add_u32 s16, s16, _ZN7rocprim17ROCPRIM_400000_NS16block_radix_sortI6__halfLj256ELj8ElLj1ELj1ELj0ELNS0_26block_radix_rank_algorithmE1ELNS0_18block_padding_hintE2ELNS0_4arch9wavefront6targetE1EE19radix_bits_per_passE@rel32@lo+4
	s_addc_u32 s17, s17, _ZN7rocprim17ROCPRIM_400000_NS16block_radix_sortI6__halfLj256ELj8ElLj1ELj1ELj0ELNS0_26block_radix_rank_algorithmE1ELNS0_18block_padding_hintE2ELNS0_4arch9wavefront6targetE1EE19radix_bits_per_passE@rel32@hi+12
	s_load_dword s42, s[16:17], 0x0
	s_movk_i32 s19, 0x8000
	v_cmp_ne_u16_e32 vcc, s19, v33
	s_waitcnt lgkmcnt(0)
	s_lshr_b32 s16, s18, 16
	s_and_b32 s17, s18, 0xffff
	v_mad_u32_u24 v16, v66, s16, v65
	v_mad_u64_u32 v[16:17], s[16:17], v16, s17, v[46:47]
	s_min_u32 s16, s42, 16
	s_lshl_b32 s16, -1, s16
	v_lshrrev_b32_e32 v24, 6, v16
	s_not_b32 s18, s16
	v_cndmask_b32_e32 v16, v35, v33, vcc
	v_and_b32_sdwa v16, s18, v16 dst_sel:DWORD dst_unused:UNUSED_PAD src0_sel:DWORD src1_sel:WORD_0
	v_lshlrev_b32_e32 v17, 2, v16
	v_add_lshl_u32 v37, v24, v17, 2
	v_and_b32_e32 v17, 1, v16
	v_add_co_u32_e32 v18, vcc, -1, v17
	v_addc_co_u32_e64 v19, s[16:17], 0, -1, vcc
	v_cmp_ne_u32_e32 vcc, 0, v17
	v_lshlrev_b32_e32 v23, 30, v16
	v_xor_b32_e32 v17, vcc_hi, v19
	v_not_b32_e32 v19, v23
	v_xor_b32_e32 v18, vcc_lo, v18
	v_cmp_gt_i64_e32 vcc, 0, v[22:23]
	v_ashrrev_i32_e32 v19, 31, v19
	v_and_b32_e32 v18, exec_lo, v18
	v_xor_b32_e32 v20, vcc_hi, v19
	v_xor_b32_e32 v19, vcc_lo, v19
	v_lshlrev_b32_e32 v23, 29, v16
	v_and_b32_e32 v18, v18, v19
	v_not_b32_e32 v19, v23
	v_and_b32_e32 v17, exec_hi, v17
	v_cmp_gt_i64_e32 vcc, 0, v[22:23]
	v_ashrrev_i32_e32 v19, 31, v19
	v_and_b32_e32 v17, v17, v20
	v_xor_b32_e32 v20, vcc_hi, v19
	v_xor_b32_e32 v19, vcc_lo, v19
	v_lshlrev_b32_e32 v23, 28, v16
	v_and_b32_e32 v18, v18, v19
	v_not_b32_e32 v19, v23
	v_cmp_gt_i64_e32 vcc, 0, v[22:23]
	v_ashrrev_i32_e32 v19, 31, v19
	v_and_b32_e32 v17, v17, v20
	v_xor_b32_e32 v20, vcc_hi, v19
	v_xor_b32_e32 v19, vcc_lo, v19
	v_lshlrev_b32_e32 v23, 27, v16
	v_and_b32_e32 v18, v18, v19
	v_not_b32_e32 v19, v23
	;; [unrolled: 8-line block ×3, first 2 shown]
	v_cmp_gt_i64_e32 vcc, 0, v[22:23]
	v_ashrrev_i32_e32 v19, 31, v19
	v_and_b32_e32 v17, v17, v20
	v_xor_b32_e32 v20, vcc_hi, v19
	v_xor_b32_e32 v19, vcc_lo, v19
	v_lshlrev_b32_e32 v23, 25, v16
	v_and_b32_e32 v18, v18, v19
	v_cmp_gt_i64_e32 vcc, 0, v[22:23]
	v_not_b32_e32 v19, v23
	v_lshlrev_b32_e32 v23, 24, v16
	v_ashrrev_i32_e32 v19, 31, v19
	v_not_b32_e32 v16, v23
	v_and_b32_e32 v17, v17, v20
	v_xor_b32_e32 v20, vcc_hi, v19
	v_xor_b32_e32 v19, vcc_lo, v19
	v_cmp_gt_i64_e32 vcc, 0, v[22:23]
	v_ashrrev_i32_e32 v16, 31, v16
	v_and_b32_e32 v18, v18, v19
	v_xor_b32_e32 v19, vcc_hi, v16
	v_xor_b32_e32 v16, vcc_lo, v16
	v_and_b32_e32 v17, v17, v20
	v_and_b32_e32 v16, v18, v16
	;; [unrolled: 1-line block ×3, first 2 shown]
	v_mbcnt_lo_u32_b32 v18, v16, 0
	v_mbcnt_hi_u32_b32 v38, v17, v18
	v_cmp_eq_u32_e32 vcc, 0, v38
	v_cmp_ne_u64_e64 s[16:17], 0, v[16:17]
	s_and_b64 s[20:21], s[16:17], vcc
	ds_write2_b32 v64, v22, v22 offset0:4 offset1:5
	ds_write2_b32 v64, v22, v22 offset0:6 offset1:7
	s_waitcnt lgkmcnt(0)
	s_barrier
	s_waitcnt lgkmcnt(0)
	; wave barrier
	s_and_saveexec_b64 s[16:17], s[20:21]
	s_cbranch_execz .LBB221_85
; %bb.84:
	v_bcnt_u32_b32 v16, v16, 0
	v_bcnt_u32_b32 v16, v17, v16
	ds_write_b32 v37, v16 offset:16
.LBB221_85:
	s_or_b64 exec, exec, s[16:17]
	v_cmp_ne_u16_e32 vcc, s19, v32
	v_cndmask_b32_e32 v16, v35, v32, vcc
	v_and_b32_sdwa v16, s18, v16 dst_sel:DWORD dst_unused:UNUSED_PAD src0_sel:DWORD src1_sel:WORD_0
	v_lshlrev_b32_e32 v17, 2, v16
	v_add_lshl_u32 v40, v24, v17, 2
	v_and_b32_e32 v17, 1, v16
	v_add_co_u32_e32 v18, vcc, -1, v17
	v_addc_co_u32_e64 v19, s[16:17], 0, -1, vcc
	v_cmp_ne_u32_e32 vcc, 0, v17
	v_lshlrev_b32_e32 v23, 30, v16
	v_xor_b32_e32 v17, vcc_hi, v19
	v_not_b32_e32 v19, v23
	v_xor_b32_e32 v18, vcc_lo, v18
	v_cmp_gt_i64_e32 vcc, 0, v[22:23]
	v_ashrrev_i32_e32 v19, 31, v19
	v_and_b32_e32 v18, exec_lo, v18
	v_xor_b32_e32 v20, vcc_hi, v19
	v_xor_b32_e32 v19, vcc_lo, v19
	v_lshlrev_b32_e32 v23, 29, v16
	v_and_b32_e32 v18, v18, v19
	v_not_b32_e32 v19, v23
	v_and_b32_e32 v17, exec_hi, v17
	v_cmp_gt_i64_e32 vcc, 0, v[22:23]
	v_ashrrev_i32_e32 v19, 31, v19
	v_and_b32_e32 v17, v17, v20
	v_xor_b32_e32 v20, vcc_hi, v19
	v_xor_b32_e32 v19, vcc_lo, v19
	v_lshlrev_b32_e32 v23, 28, v16
	v_and_b32_e32 v18, v18, v19
	v_not_b32_e32 v19, v23
	v_cmp_gt_i64_e32 vcc, 0, v[22:23]
	v_ashrrev_i32_e32 v19, 31, v19
	v_and_b32_e32 v17, v17, v20
	v_xor_b32_e32 v20, vcc_hi, v19
	v_xor_b32_e32 v19, vcc_lo, v19
	v_lshlrev_b32_e32 v23, 27, v16
	v_and_b32_e32 v18, v18, v19
	v_not_b32_e32 v19, v23
	;; [unrolled: 8-line block ×3, first 2 shown]
	v_cmp_gt_i64_e32 vcc, 0, v[22:23]
	v_ashrrev_i32_e32 v19, 31, v19
	v_and_b32_e32 v17, v17, v20
	v_xor_b32_e32 v20, vcc_hi, v19
	v_xor_b32_e32 v19, vcc_lo, v19
	v_lshlrev_b32_e32 v23, 25, v16
	v_and_b32_e32 v18, v18, v19
	v_cmp_gt_i64_e32 vcc, 0, v[22:23]
	v_not_b32_e32 v19, v23
	v_lshlrev_b32_e32 v23, 24, v16
	v_ashrrev_i32_e32 v19, 31, v19
	v_not_b32_e32 v16, v23
	v_and_b32_e32 v17, v17, v20
	v_xor_b32_e32 v20, vcc_hi, v19
	v_xor_b32_e32 v19, vcc_lo, v19
	v_cmp_gt_i64_e32 vcc, 0, v[22:23]
	v_ashrrev_i32_e32 v16, 31, v16
	v_and_b32_e32 v18, v18, v19
	v_xor_b32_e32 v19, vcc_hi, v16
	v_xor_b32_e32 v16, vcc_lo, v16
	; wave barrier
	ds_read_b32 v39, v40 offset:16
	v_and_b32_e32 v17, v17, v20
	v_and_b32_e32 v16, v18, v16
	;; [unrolled: 1-line block ×3, first 2 shown]
	v_mbcnt_lo_u32_b32 v18, v16, 0
	v_mbcnt_hi_u32_b32 v41, v17, v18
	v_cmp_eq_u32_e32 vcc, 0, v41
	v_cmp_ne_u64_e64 s[16:17], 0, v[16:17]
	s_and_b64 s[20:21], s[16:17], vcc
	; wave barrier
	s_and_saveexec_b64 s[16:17], s[20:21]
	s_cbranch_execz .LBB221_87
; %bb.86:
	v_bcnt_u32_b32 v16, v16, 0
	v_bcnt_u32_b32 v16, v17, v16
	s_waitcnt lgkmcnt(0)
	v_add_u32_e32 v16, v39, v16
	ds_write_b32 v40, v16 offset:16
.LBB221_87:
	s_or_b64 exec, exec, s[16:17]
	v_mov_b32_e32 v20, 0x7fff
	v_cmp_ne_u16_e32 vcc, s19, v31
	v_cndmask_b32_e32 v16, v20, v31, vcc
	v_and_b32_sdwa v18, s18, v16 dst_sel:DWORD dst_unused:UNUSED_PAD src0_sel:DWORD src1_sel:WORD_0
	v_and_b32_e32 v17, 1, v18
	v_add_co_u32_e32 v19, vcc, -1, v17
	v_addc_co_u32_e64 v21, s[16:17], 0, -1, vcc
	v_cmp_ne_u32_e32 vcc, 0, v17
	v_lshlrev_b32_e32 v16, 2, v18
	v_xor_b32_e32 v17, vcc_hi, v21
	v_add_lshl_u32 v66, v24, v16, 2
	v_mov_b32_e32 v16, 0
	v_and_b32_e32 v21, exec_hi, v17
	v_lshlrev_b32_e32 v17, 30, v18
	v_xor_b32_e32 v19, vcc_lo, v19
	v_cmp_gt_i64_e32 vcc, 0, v[16:17]
	v_not_b32_e32 v17, v17
	v_ashrrev_i32_e32 v17, 31, v17
	v_and_b32_e32 v19, exec_lo, v19
	v_xor_b32_e32 v22, vcc_hi, v17
	v_xor_b32_e32 v17, vcc_lo, v17
	v_and_b32_e32 v19, v19, v17
	v_lshlrev_b32_e32 v17, 29, v18
	v_cmp_gt_i64_e32 vcc, 0, v[16:17]
	v_not_b32_e32 v17, v17
	v_ashrrev_i32_e32 v17, 31, v17
	v_and_b32_e32 v21, v21, v22
	v_xor_b32_e32 v22, vcc_hi, v17
	v_xor_b32_e32 v17, vcc_lo, v17
	v_and_b32_e32 v19, v19, v17
	v_lshlrev_b32_e32 v17, 28, v18
	v_cmp_gt_i64_e32 vcc, 0, v[16:17]
	v_not_b32_e32 v17, v17
	v_ashrrev_i32_e32 v17, 31, v17
	v_and_b32_e32 v21, v21, v22
	;; [unrolled: 8-line block ×5, first 2 shown]
	v_xor_b32_e32 v22, vcc_hi, v17
	v_xor_b32_e32 v17, vcc_lo, v17
	v_and_b32_e32 v21, v21, v22
	v_and_b32_e32 v22, v19, v17
	v_lshlrev_b32_e32 v17, 24, v18
	v_cmp_gt_i64_e32 vcc, 0, v[16:17]
	v_not_b32_e32 v17, v17
	v_ashrrev_i32_e32 v17, 31, v17
	v_xor_b32_e32 v18, vcc_hi, v17
	v_xor_b32_e32 v17, vcc_lo, v17
	; wave barrier
	ds_read_b32 v65, v66 offset:16
	v_and_b32_e32 v19, v21, v18
	v_and_b32_e32 v18, v22, v17
	v_mbcnt_lo_u32_b32 v17, v18, 0
	v_mbcnt_hi_u32_b32 v67, v19, v17
	v_cmp_eq_u32_e32 vcc, 0, v67
	v_cmp_ne_u64_e64 s[16:17], 0, v[18:19]
	s_and_b64 s[20:21], s[16:17], vcc
	; wave barrier
	s_and_saveexec_b64 s[16:17], s[20:21]
	s_cbranch_execz .LBB221_89
; %bb.88:
	v_bcnt_u32_b32 v17, v18, 0
	v_bcnt_u32_b32 v17, v19, v17
	s_waitcnt lgkmcnt(0)
	v_add_u32_e32 v17, v65, v17
	ds_write_b32 v66, v17 offset:16
.LBB221_89:
	s_or_b64 exec, exec, s[16:17]
	v_cmp_ne_u16_e32 vcc, s19, v30
	v_cndmask_b32_e32 v17, v20, v30, vcc
	v_and_b32_sdwa v18, s18, v17 dst_sel:DWORD dst_unused:UNUSED_PAD src0_sel:DWORD src1_sel:WORD_0
	v_lshlrev_b32_e32 v17, 2, v18
	v_add_lshl_u32 v69, v24, v17, 2
	v_and_b32_e32 v17, 1, v18
	v_add_co_u32_e32 v19, vcc, -1, v17
	v_addc_co_u32_e64 v20, s[16:17], 0, -1, vcc
	v_cmp_ne_u32_e32 vcc, 0, v17
	v_xor_b32_e32 v17, vcc_hi, v20
	v_and_b32_e32 v20, exec_hi, v17
	v_lshlrev_b32_e32 v17, 30, v18
	v_xor_b32_e32 v19, vcc_lo, v19
	v_cmp_gt_i64_e32 vcc, 0, v[16:17]
	v_not_b32_e32 v17, v17
	v_ashrrev_i32_e32 v17, 31, v17
	v_and_b32_e32 v19, exec_lo, v19
	v_xor_b32_e32 v21, vcc_hi, v17
	v_xor_b32_e32 v17, vcc_lo, v17
	v_and_b32_e32 v19, v19, v17
	v_lshlrev_b32_e32 v17, 29, v18
	v_cmp_gt_i64_e32 vcc, 0, v[16:17]
	v_not_b32_e32 v17, v17
	v_ashrrev_i32_e32 v17, 31, v17
	v_and_b32_e32 v20, v20, v21
	v_xor_b32_e32 v21, vcc_hi, v17
	v_xor_b32_e32 v17, vcc_lo, v17
	v_and_b32_e32 v19, v19, v17
	v_lshlrev_b32_e32 v17, 28, v18
	v_cmp_gt_i64_e32 vcc, 0, v[16:17]
	v_not_b32_e32 v17, v17
	v_ashrrev_i32_e32 v17, 31, v17
	v_and_b32_e32 v20, v20, v21
	;; [unrolled: 8-line block ×5, first 2 shown]
	v_xor_b32_e32 v21, vcc_hi, v17
	v_xor_b32_e32 v17, vcc_lo, v17
	v_and_b32_e32 v19, v19, v17
	v_lshlrev_b32_e32 v17, 24, v18
	v_cmp_gt_i64_e32 vcc, 0, v[16:17]
	v_not_b32_e32 v16, v17
	v_ashrrev_i32_e32 v16, 31, v16
	v_xor_b32_e32 v17, vcc_hi, v16
	v_xor_b32_e32 v16, vcc_lo, v16
	; wave barrier
	ds_read_b32 v68, v69 offset:16
	v_and_b32_e32 v20, v20, v21
	v_and_b32_e32 v16, v19, v16
	v_and_b32_e32 v17, v20, v17
	v_mbcnt_lo_u32_b32 v18, v16, 0
	v_mbcnt_hi_u32_b32 v70, v17, v18
	v_cmp_eq_u32_e32 vcc, 0, v70
	v_cmp_ne_u64_e64 s[16:17], 0, v[16:17]
	s_and_b64 s[20:21], s[16:17], vcc
	; wave barrier
	s_and_saveexec_b64 s[16:17], s[20:21]
	s_cbranch_execz .LBB221_91
; %bb.90:
	v_bcnt_u32_b32 v16, v16, 0
	v_bcnt_u32_b32 v16, v17, v16
	s_waitcnt lgkmcnt(0)
	v_add_u32_e32 v16, v68, v16
	ds_write_b32 v69, v16 offset:16
.LBB221_91:
	s_or_b64 exec, exec, s[16:17]
	v_mov_b32_e32 v20, 0x7fff
	v_cmp_ne_u16_e32 vcc, s19, v29
	v_cndmask_b32_e32 v16, v20, v29, vcc
	v_and_b32_sdwa v18, s18, v16 dst_sel:DWORD dst_unused:UNUSED_PAD src0_sel:DWORD src1_sel:WORD_0
	v_and_b32_e32 v17, 1, v18
	v_add_co_u32_e32 v19, vcc, -1, v17
	v_addc_co_u32_e64 v21, s[16:17], 0, -1, vcc
	v_cmp_ne_u32_e32 vcc, 0, v17
	v_lshlrev_b32_e32 v16, 2, v18
	v_xor_b32_e32 v17, vcc_hi, v21
	v_add_lshl_u32 v72, v24, v16, 2
	v_mov_b32_e32 v16, 0
	v_and_b32_e32 v21, exec_hi, v17
	v_lshlrev_b32_e32 v17, 30, v18
	v_xor_b32_e32 v19, vcc_lo, v19
	v_cmp_gt_i64_e32 vcc, 0, v[16:17]
	v_not_b32_e32 v17, v17
	v_ashrrev_i32_e32 v17, 31, v17
	v_and_b32_e32 v19, exec_lo, v19
	v_xor_b32_e32 v22, vcc_hi, v17
	v_xor_b32_e32 v17, vcc_lo, v17
	v_and_b32_e32 v19, v19, v17
	v_lshlrev_b32_e32 v17, 29, v18
	v_cmp_gt_i64_e32 vcc, 0, v[16:17]
	v_not_b32_e32 v17, v17
	v_ashrrev_i32_e32 v17, 31, v17
	v_and_b32_e32 v21, v21, v22
	v_xor_b32_e32 v22, vcc_hi, v17
	v_xor_b32_e32 v17, vcc_lo, v17
	v_and_b32_e32 v19, v19, v17
	v_lshlrev_b32_e32 v17, 28, v18
	v_cmp_gt_i64_e32 vcc, 0, v[16:17]
	v_not_b32_e32 v17, v17
	v_ashrrev_i32_e32 v17, 31, v17
	v_and_b32_e32 v21, v21, v22
	;; [unrolled: 8-line block ×5, first 2 shown]
	v_xor_b32_e32 v22, vcc_hi, v17
	v_xor_b32_e32 v17, vcc_lo, v17
	v_and_b32_e32 v21, v21, v22
	v_and_b32_e32 v22, v19, v17
	v_lshlrev_b32_e32 v17, 24, v18
	v_cmp_gt_i64_e32 vcc, 0, v[16:17]
	v_not_b32_e32 v17, v17
	v_ashrrev_i32_e32 v17, 31, v17
	v_xor_b32_e32 v18, vcc_hi, v17
	v_xor_b32_e32 v17, vcc_lo, v17
	; wave barrier
	ds_read_b32 v71, v72 offset:16
	v_and_b32_e32 v19, v21, v18
	v_and_b32_e32 v18, v22, v17
	v_mbcnt_lo_u32_b32 v17, v18, 0
	v_mbcnt_hi_u32_b32 v73, v19, v17
	v_cmp_eq_u32_e32 vcc, 0, v73
	v_cmp_ne_u64_e64 s[16:17], 0, v[18:19]
	s_and_b64 s[20:21], s[16:17], vcc
	; wave barrier
	s_and_saveexec_b64 s[16:17], s[20:21]
	s_cbranch_execz .LBB221_93
; %bb.92:
	v_bcnt_u32_b32 v17, v18, 0
	v_bcnt_u32_b32 v17, v19, v17
	s_waitcnt lgkmcnt(0)
	v_add_u32_e32 v17, v71, v17
	ds_write_b32 v72, v17 offset:16
.LBB221_93:
	s_or_b64 exec, exec, s[16:17]
	v_cmp_ne_u16_e32 vcc, s19, v28
	v_cndmask_b32_e32 v17, v20, v28, vcc
	v_and_b32_sdwa v18, s18, v17 dst_sel:DWORD dst_unused:UNUSED_PAD src0_sel:DWORD src1_sel:WORD_0
	v_lshlrev_b32_e32 v17, 2, v18
	v_add_lshl_u32 v75, v24, v17, 2
	v_and_b32_e32 v17, 1, v18
	v_add_co_u32_e32 v19, vcc, -1, v17
	v_addc_co_u32_e64 v20, s[16:17], 0, -1, vcc
	v_cmp_ne_u32_e32 vcc, 0, v17
	v_xor_b32_e32 v17, vcc_hi, v20
	v_and_b32_e32 v20, exec_hi, v17
	v_lshlrev_b32_e32 v17, 30, v18
	v_xor_b32_e32 v19, vcc_lo, v19
	v_cmp_gt_i64_e32 vcc, 0, v[16:17]
	v_not_b32_e32 v17, v17
	v_ashrrev_i32_e32 v17, 31, v17
	v_and_b32_e32 v19, exec_lo, v19
	v_xor_b32_e32 v21, vcc_hi, v17
	v_xor_b32_e32 v17, vcc_lo, v17
	v_and_b32_e32 v19, v19, v17
	v_lshlrev_b32_e32 v17, 29, v18
	v_cmp_gt_i64_e32 vcc, 0, v[16:17]
	v_not_b32_e32 v17, v17
	v_ashrrev_i32_e32 v17, 31, v17
	v_and_b32_e32 v20, v20, v21
	v_xor_b32_e32 v21, vcc_hi, v17
	v_xor_b32_e32 v17, vcc_lo, v17
	v_and_b32_e32 v19, v19, v17
	v_lshlrev_b32_e32 v17, 28, v18
	v_cmp_gt_i64_e32 vcc, 0, v[16:17]
	v_not_b32_e32 v17, v17
	v_ashrrev_i32_e32 v17, 31, v17
	v_and_b32_e32 v20, v20, v21
	;; [unrolled: 8-line block ×5, first 2 shown]
	v_xor_b32_e32 v21, vcc_hi, v17
	v_xor_b32_e32 v17, vcc_lo, v17
	v_and_b32_e32 v19, v19, v17
	v_lshlrev_b32_e32 v17, 24, v18
	v_cmp_gt_i64_e32 vcc, 0, v[16:17]
	v_not_b32_e32 v16, v17
	v_ashrrev_i32_e32 v16, 31, v16
	v_xor_b32_e32 v17, vcc_hi, v16
	v_xor_b32_e32 v16, vcc_lo, v16
	; wave barrier
	ds_read_b32 v74, v75 offset:16
	v_and_b32_e32 v20, v20, v21
	v_and_b32_e32 v16, v19, v16
	;; [unrolled: 1-line block ×3, first 2 shown]
	v_mbcnt_lo_u32_b32 v18, v16, 0
	v_mbcnt_hi_u32_b32 v76, v17, v18
	v_cmp_eq_u32_e32 vcc, 0, v76
	v_cmp_ne_u64_e64 s[16:17], 0, v[16:17]
	s_and_b64 s[20:21], s[16:17], vcc
	; wave barrier
	s_and_saveexec_b64 s[16:17], s[20:21]
	s_cbranch_execz .LBB221_95
; %bb.94:
	v_bcnt_u32_b32 v16, v16, 0
	v_bcnt_u32_b32 v16, v17, v16
	s_waitcnt lgkmcnt(0)
	v_add_u32_e32 v16, v74, v16
	ds_write_b32 v75, v16 offset:16
.LBB221_95:
	s_or_b64 exec, exec, s[16:17]
	v_mov_b32_e32 v20, 0x7fff
	v_cmp_ne_u16_e32 vcc, s19, v27
	v_cndmask_b32_e32 v16, v20, v27, vcc
	v_and_b32_sdwa v18, s18, v16 dst_sel:DWORD dst_unused:UNUSED_PAD src0_sel:DWORD src1_sel:WORD_0
	v_and_b32_e32 v17, 1, v18
	v_add_co_u32_e32 v19, vcc, -1, v17
	v_addc_co_u32_e64 v21, s[16:17], 0, -1, vcc
	v_cmp_ne_u32_e32 vcc, 0, v17
	v_lshlrev_b32_e32 v16, 2, v18
	v_xor_b32_e32 v17, vcc_hi, v21
	v_add_lshl_u32 v78, v24, v16, 2
	v_mov_b32_e32 v16, 0
	v_and_b32_e32 v21, exec_hi, v17
	v_lshlrev_b32_e32 v17, 30, v18
	v_xor_b32_e32 v19, vcc_lo, v19
	v_cmp_gt_i64_e32 vcc, 0, v[16:17]
	v_not_b32_e32 v17, v17
	v_ashrrev_i32_e32 v17, 31, v17
	v_and_b32_e32 v19, exec_lo, v19
	v_xor_b32_e32 v22, vcc_hi, v17
	v_xor_b32_e32 v17, vcc_lo, v17
	v_and_b32_e32 v19, v19, v17
	v_lshlrev_b32_e32 v17, 29, v18
	v_cmp_gt_i64_e32 vcc, 0, v[16:17]
	v_not_b32_e32 v17, v17
	v_ashrrev_i32_e32 v17, 31, v17
	v_and_b32_e32 v21, v21, v22
	v_xor_b32_e32 v22, vcc_hi, v17
	v_xor_b32_e32 v17, vcc_lo, v17
	v_and_b32_e32 v19, v19, v17
	v_lshlrev_b32_e32 v17, 28, v18
	v_cmp_gt_i64_e32 vcc, 0, v[16:17]
	v_not_b32_e32 v17, v17
	v_ashrrev_i32_e32 v17, 31, v17
	v_and_b32_e32 v21, v21, v22
	;; [unrolled: 8-line block ×5, first 2 shown]
	v_xor_b32_e32 v22, vcc_hi, v17
	v_xor_b32_e32 v17, vcc_lo, v17
	v_and_b32_e32 v21, v21, v22
	v_and_b32_e32 v22, v19, v17
	v_lshlrev_b32_e32 v17, 24, v18
	v_cmp_gt_i64_e32 vcc, 0, v[16:17]
	v_not_b32_e32 v17, v17
	v_ashrrev_i32_e32 v17, 31, v17
	v_xor_b32_e32 v18, vcc_hi, v17
	v_xor_b32_e32 v17, vcc_lo, v17
	; wave barrier
	ds_read_b32 v77, v78 offset:16
	v_and_b32_e32 v19, v21, v18
	v_and_b32_e32 v18, v22, v17
	v_mbcnt_lo_u32_b32 v17, v18, 0
	v_mbcnt_hi_u32_b32 v79, v19, v17
	v_cmp_eq_u32_e32 vcc, 0, v79
	v_cmp_ne_u64_e64 s[16:17], 0, v[18:19]
	s_and_b64 s[20:21], s[16:17], vcc
	; wave barrier
	s_and_saveexec_b64 s[16:17], s[20:21]
	s_cbranch_execz .LBB221_97
; %bb.96:
	v_bcnt_u32_b32 v17, v18, 0
	v_bcnt_u32_b32 v17, v19, v17
	s_waitcnt lgkmcnt(0)
	v_add_u32_e32 v17, v77, v17
	ds_write_b32 v78, v17 offset:16
.LBB221_97:
	s_or_b64 exec, exec, s[16:17]
	v_cmp_ne_u16_e32 vcc, s19, v25
	v_cndmask_b32_e32 v17, v20, v25, vcc
	v_and_b32_sdwa v18, s18, v17 dst_sel:DWORD dst_unused:UNUSED_PAD src0_sel:DWORD src1_sel:WORD_0
	v_lshlrev_b32_e32 v17, 2, v18
	v_add_lshl_u32 v81, v24, v17, 2
	v_and_b32_e32 v17, 1, v18
	v_add_co_u32_e32 v19, vcc, -1, v17
	v_addc_co_u32_e64 v20, s[16:17], 0, -1, vcc
	v_cmp_ne_u32_e32 vcc, 0, v17
	v_xor_b32_e32 v17, vcc_hi, v20
	v_and_b32_e32 v20, exec_hi, v17
	v_lshlrev_b32_e32 v17, 30, v18
	v_xor_b32_e32 v19, vcc_lo, v19
	v_cmp_gt_i64_e32 vcc, 0, v[16:17]
	v_not_b32_e32 v17, v17
	v_ashrrev_i32_e32 v17, 31, v17
	v_and_b32_e32 v19, exec_lo, v19
	v_xor_b32_e32 v21, vcc_hi, v17
	v_xor_b32_e32 v17, vcc_lo, v17
	v_and_b32_e32 v19, v19, v17
	v_lshlrev_b32_e32 v17, 29, v18
	v_cmp_gt_i64_e32 vcc, 0, v[16:17]
	v_not_b32_e32 v17, v17
	v_ashrrev_i32_e32 v17, 31, v17
	v_and_b32_e32 v20, v20, v21
	v_xor_b32_e32 v21, vcc_hi, v17
	v_xor_b32_e32 v17, vcc_lo, v17
	v_and_b32_e32 v19, v19, v17
	v_lshlrev_b32_e32 v17, 28, v18
	v_cmp_gt_i64_e32 vcc, 0, v[16:17]
	v_not_b32_e32 v17, v17
	v_ashrrev_i32_e32 v17, 31, v17
	v_and_b32_e32 v20, v20, v21
	;; [unrolled: 8-line block ×5, first 2 shown]
	v_xor_b32_e32 v21, vcc_hi, v17
	v_xor_b32_e32 v17, vcc_lo, v17
	v_and_b32_e32 v19, v19, v17
	v_lshlrev_b32_e32 v17, 24, v18
	v_cmp_gt_i64_e32 vcc, 0, v[16:17]
	v_not_b32_e32 v16, v17
	v_ashrrev_i32_e32 v16, 31, v16
	v_xor_b32_e32 v17, vcc_hi, v16
	v_xor_b32_e32 v16, vcc_lo, v16
	; wave barrier
	ds_read_b32 v80, v81 offset:16
	v_and_b32_e32 v20, v20, v21
	v_and_b32_e32 v16, v19, v16
	v_and_b32_e32 v17, v20, v17
	v_mbcnt_lo_u32_b32 v18, v16, 0
	v_mbcnt_hi_u32_b32 v82, v17, v18
	v_cmp_eq_u32_e32 vcc, 0, v82
	v_cmp_ne_u64_e64 s[16:17], 0, v[16:17]
	v_add_u32_e32 v22, 16, v64
	v_lshrrev_b32_e32 v23, 6, v46
	v_min_u32_e32 v34, 0xc0, v34
	s_and_b64 s[18:19], s[16:17], vcc
	; wave barrier
	s_and_saveexec_b64 s[16:17], s[18:19]
	s_cbranch_execz .LBB221_99
; %bb.98:
	v_bcnt_u32_b32 v16, v16, 0
	v_bcnt_u32_b32 v16, v17, v16
	s_waitcnt lgkmcnt(0)
	v_add_u32_e32 v16, v80, v16
	ds_write_b32 v81, v16 offset:16
.LBB221_99:
	s_or_b64 exec, exec, s[16:17]
	; wave barrier
	s_waitcnt lgkmcnt(0)
	s_barrier
	ds_read2_b32 v[18:19], v64 offset0:4 offset1:5
	ds_read2_b32 v[20:21], v22 offset0:2 offset1:3
	v_and_b32_e32 v17, 16, v26
	v_cmp_eq_u32_e32 vcc, 0, v17
	v_or_b32_e32 v17, 63, v34
	v_cmp_eq_u32_e64 s[16:17], v17, v46
	s_waitcnt lgkmcnt(1)
	v_add_u32_e32 v17, v19, v18
	v_and_b32_e32 v16, 15, v26
	s_waitcnt lgkmcnt(0)
	v_add3_u32 v17, v17, v20, v21
	v_cmp_eq_u32_e64 s[22:23], 0, v16
	v_cmp_lt_u32_e64 s[24:25], 1, v16
	v_mov_b32_dpp v21, v17 row_shr:1 row_mask:0xf bank_mask:0xf
	v_cndmask_b32_e64 v21, v21, 0, s[22:23]
	v_add_u32_e32 v17, v21, v17
	v_cmp_lt_u32_e64 s[28:29], 3, v16
	v_cmp_lt_u32_e64 s[30:31], 7, v16
	v_mov_b32_dpp v21, v17 row_shr:2 row_mask:0xf bank_mask:0xf
	v_cndmask_b32_e64 v21, 0, v21, s[24:25]
	v_add_u32_e32 v17, v17, v21
	v_bfe_i32 v35, v26, 4, 1
	v_cmp_lt_u32_e64 s[34:35], 31, v26
	v_mov_b32_dpp v21, v17 row_shr:4 row_mask:0xf bank_mask:0xf
	v_cndmask_b32_e64 v21, 0, v21, s[28:29]
	v_add_u32_e32 v17, v17, v21
	v_lshlrev_b32_e32 v23, 2, v23
	s_nop 0
	v_mov_b32_dpp v21, v17 row_shr:8 row_mask:0xf bank_mask:0xf
	v_cndmask_b32_e64 v16, 0, v21, s[30:31]
	v_add_u32_e32 v16, v17, v16
	s_nop 1
	v_mov_b32_dpp v17, v16 row_bcast:15 row_mask:0xf bank_mask:0xf
	v_and_b32_e32 v17, v35, v17
	v_add_u32_e32 v16, v16, v17
	s_nop 1
	v_mov_b32_dpp v17, v16 row_bcast:31 row_mask:0xf bank_mask:0xf
	v_cndmask_b32_e64 v17, 0, v17, s[34:35]
	v_add_u32_e32 v17, v16, v17
	s_and_saveexec_b64 s[18:19], s[16:17]
	s_cbranch_execz .LBB221_101
; %bb.100:
	ds_write_b32 v23, v17
.LBB221_101:
	s_or_b64 exec, exec, s[18:19]
	v_and_b32_e32 v16, 3, v26
	v_cmp_gt_u32_e64 s[26:27], 4, v46
	v_lshlrev_b32_e32 v21, 2, v46
	v_cmp_eq_u32_e64 s[20:21], 0, v16
	v_cmp_lt_u32_e64 s[18:19], 1, v16
	s_waitcnt lgkmcnt(0)
	s_barrier
	s_and_saveexec_b64 s[36:37], s[26:27]
	s_cbranch_execz .LBB221_103
; %bb.102:
	ds_read_b32 v16, v21
	s_waitcnt lgkmcnt(0)
	s_nop 0
	v_mov_b32_dpp v34, v16 row_shr:1 row_mask:0xf bank_mask:0xf
	v_cndmask_b32_e64 v34, v34, 0, s[20:21]
	v_add_u32_e32 v16, v34, v16
	s_nop 1
	v_mov_b32_dpp v34, v16 row_shr:2 row_mask:0xf bank_mask:0xf
	v_cndmask_b32_e64 v34, 0, v34, s[18:19]
	v_add_u32_e32 v16, v16, v34
	ds_write_b32 v21, v16
.LBB221_103:
	s_or_b64 exec, exec, s[36:37]
	v_cmp_lt_u32_e64 s[36:37], 63, v46
	v_add_u32_e32 v34, -4, v23
	v_mov_b32_e32 v16, 0
	v_mov_b32_e32 v83, 0
	s_waitcnt lgkmcnt(0)
	s_barrier
	s_and_saveexec_b64 s[38:39], s[36:37]
	s_cbranch_execz .LBB221_105
; %bb.104:
	ds_read_b32 v83, v34
.LBB221_105:
	s_or_b64 exec, exec, s[38:39]
	v_add_u32_e32 v35, -1, v26
	v_and_b32_e32 v84, 64, v26
	v_cmp_lt_i32_e64 s[38:39], v35, v84
	v_cndmask_b32_e64 v35, v35, v26, s[38:39]
	v_lshlrev_b32_e32 v35, 2, v35
	s_waitcnt lgkmcnt(0)
	v_add_u32_e32 v17, v83, v17
	ds_bpermute_b32 v17, v35, v17
	v_cmp_eq_u32_e64 s[38:39], 0, v26
	v_cmp_eq_u32_e64 s[40:41], 0, v46
	v_and_or_b32 v36, v26, 63, v36
	v_lshlrev_b32_e32 v84, 1, v36
	s_waitcnt lgkmcnt(0)
	v_cndmask_b32_e64 v17, v17, v83, s[38:39]
	v_cndmask_b32_e64 v17, v17, 0, s[40:41]
	v_add_u32_e32 v18, v17, v18
	v_add_u32_e32 v19, v18, v19
	;; [unrolled: 1-line block ×3, first 2 shown]
	ds_write2_b32 v64, v17, v18 offset0:4 offset1:5
	ds_write2_b32 v22, v19, v20 offset0:2 offset1:3
	s_waitcnt lgkmcnt(0)
	s_barrier
	ds_read_b32 v17, v37 offset:16
	ds_read_b32 v18, v40 offset:16
	;; [unrolled: 1-line block ×8, first 2 shown]
	s_waitcnt lgkmcnt(7)
	v_add_u32_e32 v17, v17, v38
	s_waitcnt lgkmcnt(6)
	v_add3_u32 v18, v41, v39, v18
	s_waitcnt lgkmcnt(4)
	v_add3_u32 v38, v70, v68, v20
	v_lshlrev_b32_e32 v20, 1, v17
	v_add3_u32 v19, v67, v65, v19
	s_waitcnt lgkmcnt(0)
	s_barrier
	ds_write_b16 v20, v33
	v_lshlrev_b32_e32 v20, 1, v18
	ds_write_b16 v20, v32
	v_lshlrev_b32_e32 v20, 1, v19
	v_add3_u32 v39, v73, v71, v26
	ds_write_b16 v20, v31
	v_lshlrev_b32_e32 v20, 1, v38
	v_add3_u32 v37, v76, v74, v37
	;; [unrolled: 3-line block ×4, first 2 shown]
	ds_write_b16 v20, v28
	v_lshlrev_b32_e32 v20, 1, v40
	ds_write_b16 v20, v27
	v_lshlrev_b32_e32 v20, 1, v41
	v_lshlrev_b32_e32 v17, 3, v17
	s_min_u32 s42, s42, 8
	ds_write_b16 v20, v25
	s_waitcnt lgkmcnt(0)
	s_barrier
	ds_read_u16 v31, v84
	ds_read_u16 v30, v84 offset:128
	ds_read_u16 v29, v84 offset:256
	;; [unrolled: 1-line block ×7, first 2 shown]
	s_waitcnt lgkmcnt(0)
	s_barrier
	ds_write_b64 v17, v[12:13]
	v_lshlrev_b32_e32 v12, 3, v18
	s_lshl_b32 s42, -1, s42
	s_movk_i32 s51, 0x8000
	ds_write_b64 v12, v[14:15]
	v_lshlrev_b32_e32 v12, 3, v19
	s_not_b32 s50, s42
	v_lshrrev_b16_e32 v17, 8, v31
	v_mov_b32_e32 v18, 0x7f
	v_cmp_ne_u16_e64 s[42:43], s51, v31
	ds_write_b64 v12, v[8:9]
	v_lshlrev_b32_e32 v8, 3, v38
	v_cndmask_b32_e64 v17, v18, v17, s[42:43]
	ds_write_b64 v8, v[10:11]
	v_lshlrev_b32_e32 v8, 3, v39
	v_and_b32_sdwa v19, v17, s50 dst_sel:DWORD dst_unused:UNUSED_PAD src0_sel:WORD_0 src1_sel:DWORD
	ds_write_b64 v8, v[4:5]
	v_lshlrev_b32_e32 v4, 3, v37
	v_lshlrev_b32_e32 v17, 2, v19
	ds_write_b64 v4, v[6:7]
	v_lshlrev_b32_e32 v4, 3, v40
	v_add_lshl_u32 v32, v17, v24, 2
	v_and_b32_e32 v17, 1, v19
	v_lshlrev_b32_e32 v36, 3, v36
	ds_write_b64 v4, v[0:1]
	v_lshlrev_b32_e32 v0, 3, v41
	v_add_co_u32_e64 v33, s[42:43], -1, v17
	ds_write_b64 v0, v[2:3]
	s_waitcnt lgkmcnt(0)
	s_barrier
	ds_read2st64_b64 v[12:15], v36 offset1:1
	ds_read2st64_b64 v[8:11], v36 offset0:2 offset1:3
	ds_read2st64_b64 v[4:7], v36 offset0:4 offset1:5
	;; [unrolled: 1-line block ×3, first 2 shown]
	v_addc_co_u32_e64 v36, s[42:43], 0, -1, s[42:43]
	v_cmp_ne_u32_e64 s[42:43], 0, v17
	v_xor_b32_e32 v17, s43, v36
	v_and_b32_e32 v36, exec_hi, v17
	v_lshlrev_b32_e32 v17, 30, v19
	v_xor_b32_e32 v33, s42, v33
	v_cmp_gt_i64_e64 s[42:43], 0, v[16:17]
	v_not_b32_e32 v17, v17
	v_ashrrev_i32_e32 v17, 31, v17
	v_and_b32_e32 v33, exec_lo, v33
	v_xor_b32_e32 v37, s43, v17
	v_xor_b32_e32 v17, s42, v17
	v_and_b32_e32 v33, v33, v17
	v_lshlrev_b32_e32 v17, 29, v19
	v_cmp_gt_i64_e64 s[42:43], 0, v[16:17]
	v_not_b32_e32 v17, v17
	v_ashrrev_i32_e32 v17, 31, v17
	v_and_b32_e32 v36, v36, v37
	v_xor_b32_e32 v37, s43, v17
	v_xor_b32_e32 v17, s42, v17
	v_and_b32_e32 v33, v33, v17
	v_lshlrev_b32_e32 v17, 28, v19
	v_cmp_gt_i64_e64 s[42:43], 0, v[16:17]
	v_not_b32_e32 v17, v17
	v_ashrrev_i32_e32 v17, 31, v17
	v_and_b32_e32 v36, v36, v37
	;; [unrolled: 8-line block ×5, first 2 shown]
	v_xor_b32_e32 v37, s43, v17
	v_xor_b32_e32 v17, s42, v17
	v_and_b32_e32 v33, v33, v17
	v_lshlrev_b32_e32 v17, 24, v19
	s_waitcnt lgkmcnt(0)
	s_barrier
	ds_write2_b32 v64, v16, v16 offset0:4 offset1:5
	ds_write2_b32 v22, v16, v16 offset0:2 offset1:3
	v_cmp_gt_i64_e64 s[42:43], 0, v[16:17]
	v_not_b32_e32 v16, v17
	v_ashrrev_i32_e32 v16, 31, v16
	v_xor_b32_e32 v17, s43, v16
	v_xor_b32_e32 v16, s42, v16
	v_and_b32_e32 v36, v36, v37
	v_and_b32_e32 v16, v33, v16
	;; [unrolled: 1-line block ×3, first 2 shown]
	v_mbcnt_lo_u32_b32 v19, v16, 0
	v_mbcnt_hi_u32_b32 v33, v17, v19
	v_cmp_eq_u32_e64 s[42:43], 0, v33
	v_cmp_ne_u64_e64 s[44:45], 0, v[16:17]
	s_and_b64 s[44:45], s[44:45], s[42:43]
	s_waitcnt lgkmcnt(0)
	s_barrier
	s_waitcnt lgkmcnt(0)
	; wave barrier
	s_and_saveexec_b64 s[42:43], s[44:45]
	s_cbranch_execz .LBB221_107
; %bb.106:
	v_bcnt_u32_b32 v16, v16, 0
	v_bcnt_u32_b32 v16, v17, v16
	ds_write_b32 v32, v16 offset:16
.LBB221_107:
	s_or_b64 exec, exec, s[42:43]
	v_lshrrev_b16_e32 v16, 8, v30
	v_cmp_ne_u16_e64 s[42:43], s51, v30
	v_cndmask_b32_e64 v16, v18, v16, s[42:43]
	v_and_b32_e32 v18, s50, v16
	v_and_b32_e32 v17, 1, v18
	v_add_co_u32_e64 v19, s[42:43], -1, v17
	v_addc_co_u32_e64 v38, s[42:43], 0, -1, s[42:43]
	v_cmp_ne_u32_e64 s[42:43], 0, v17
	v_lshlrev_b32_e32 v16, 2, v18
	v_xor_b32_e32 v17, s43, v38
	v_add_lshl_u32 v37, v16, v24, 2
	v_mov_b32_e32 v16, 0
	v_and_b32_e32 v38, exec_hi, v17
	v_lshlrev_b32_e32 v17, 30, v18
	v_xor_b32_e32 v19, s42, v19
	v_cmp_gt_i64_e64 s[42:43], 0, v[16:17]
	v_not_b32_e32 v17, v17
	v_ashrrev_i32_e32 v17, 31, v17
	v_and_b32_e32 v19, exec_lo, v19
	v_xor_b32_e32 v39, s43, v17
	v_xor_b32_e32 v17, s42, v17
	v_and_b32_e32 v19, v19, v17
	v_lshlrev_b32_e32 v17, 29, v18
	v_cmp_gt_i64_e64 s[42:43], 0, v[16:17]
	v_not_b32_e32 v17, v17
	v_ashrrev_i32_e32 v17, 31, v17
	v_and_b32_e32 v38, v38, v39
	v_xor_b32_e32 v39, s43, v17
	v_xor_b32_e32 v17, s42, v17
	v_and_b32_e32 v19, v19, v17
	v_lshlrev_b32_e32 v17, 28, v18
	v_cmp_gt_i64_e64 s[42:43], 0, v[16:17]
	v_not_b32_e32 v17, v17
	v_ashrrev_i32_e32 v17, 31, v17
	v_and_b32_e32 v38, v38, v39
	;; [unrolled: 8-line block ×5, first 2 shown]
	v_xor_b32_e32 v39, s43, v17
	v_xor_b32_e32 v17, s42, v17
	v_and_b32_e32 v38, v38, v39
	v_and_b32_e32 v39, v19, v17
	v_lshlrev_b32_e32 v17, 24, v18
	v_cmp_gt_i64_e64 s[42:43], 0, v[16:17]
	v_not_b32_e32 v17, v17
	v_ashrrev_i32_e32 v17, 31, v17
	v_xor_b32_e32 v18, s43, v17
	v_xor_b32_e32 v17, s42, v17
	; wave barrier
	ds_read_b32 v36, v37 offset:16
	v_and_b32_e32 v19, v38, v18
	v_and_b32_e32 v18, v39, v17
	v_mbcnt_lo_u32_b32 v17, v18, 0
	v_mbcnt_hi_u32_b32 v38, v19, v17
	v_cmp_eq_u32_e64 s[42:43], 0, v38
	v_cmp_ne_u64_e64 s[44:45], 0, v[18:19]
	s_and_b64 s[44:45], s[44:45], s[42:43]
	; wave barrier
	s_and_saveexec_b64 s[42:43], s[44:45]
	s_cbranch_execz .LBB221_109
; %bb.108:
	v_bcnt_u32_b32 v17, v18, 0
	v_bcnt_u32_b32 v17, v19, v17
	s_waitcnt lgkmcnt(0)
	v_add_u32_e32 v17, v36, v17
	ds_write_b32 v37, v17 offset:16
.LBB221_109:
	s_or_b64 exec, exec, s[42:43]
	v_lshrrev_b16_e32 v17, 8, v29
	v_mov_b32_e32 v18, 0x7f
	v_cmp_ne_u16_e64 s[42:43], s51, v29
	v_cndmask_b32_e64 v17, v18, v17, s[42:43]
	v_and_b32_e32 v19, s50, v17
	v_lshlrev_b32_e32 v17, 2, v19
	v_add_lshl_u32 v40, v17, v24, 2
	v_and_b32_e32 v17, 1, v19
	v_add_co_u32_e64 v41, s[42:43], -1, v17
	v_addc_co_u32_e64 v46, s[42:43], 0, -1, s[42:43]
	v_cmp_ne_u32_e64 s[42:43], 0, v17
	v_xor_b32_e32 v17, s43, v46
	v_and_b32_e32 v46, exec_hi, v17
	v_lshlrev_b32_e32 v17, 30, v19
	v_xor_b32_e32 v41, s42, v41
	v_cmp_gt_i64_e64 s[42:43], 0, v[16:17]
	v_not_b32_e32 v17, v17
	v_ashrrev_i32_e32 v17, 31, v17
	v_and_b32_e32 v41, exec_lo, v41
	v_xor_b32_e32 v65, s43, v17
	v_xor_b32_e32 v17, s42, v17
	v_and_b32_e32 v41, v41, v17
	v_lshlrev_b32_e32 v17, 29, v19
	v_cmp_gt_i64_e64 s[42:43], 0, v[16:17]
	v_not_b32_e32 v17, v17
	v_ashrrev_i32_e32 v17, 31, v17
	v_and_b32_e32 v46, v46, v65
	v_xor_b32_e32 v65, s43, v17
	v_xor_b32_e32 v17, s42, v17
	v_and_b32_e32 v41, v41, v17
	v_lshlrev_b32_e32 v17, 28, v19
	v_cmp_gt_i64_e64 s[42:43], 0, v[16:17]
	v_not_b32_e32 v17, v17
	v_ashrrev_i32_e32 v17, 31, v17
	v_and_b32_e32 v46, v46, v65
	;; [unrolled: 8-line block ×5, first 2 shown]
	v_xor_b32_e32 v65, s43, v17
	v_xor_b32_e32 v17, s42, v17
	v_and_b32_e32 v41, v41, v17
	v_lshlrev_b32_e32 v17, 24, v19
	v_cmp_gt_i64_e64 s[42:43], 0, v[16:17]
	v_not_b32_e32 v16, v17
	v_ashrrev_i32_e32 v16, 31, v16
	v_xor_b32_e32 v17, s43, v16
	v_xor_b32_e32 v16, s42, v16
	; wave barrier
	ds_read_b32 v39, v40 offset:16
	v_and_b32_e32 v46, v46, v65
	v_and_b32_e32 v16, v41, v16
	;; [unrolled: 1-line block ×3, first 2 shown]
	v_mbcnt_lo_u32_b32 v19, v16, 0
	v_mbcnt_hi_u32_b32 v41, v17, v19
	v_cmp_eq_u32_e64 s[42:43], 0, v41
	v_cmp_ne_u64_e64 s[44:45], 0, v[16:17]
	s_and_b64 s[44:45], s[44:45], s[42:43]
	; wave barrier
	s_and_saveexec_b64 s[42:43], s[44:45]
	s_cbranch_execz .LBB221_111
; %bb.110:
	v_bcnt_u32_b32 v16, v16, 0
	v_bcnt_u32_b32 v16, v17, v16
	s_waitcnt lgkmcnt(0)
	v_add_u32_e32 v16, v39, v16
	ds_write_b32 v40, v16 offset:16
.LBB221_111:
	s_or_b64 exec, exec, s[42:43]
	v_lshrrev_b16_e32 v16, 8, v28
	v_cmp_ne_u16_e64 s[42:43], s51, v28
	v_cndmask_b32_e64 v16, v18, v16, s[42:43]
	v_and_b32_e32 v18, s50, v16
	v_and_b32_e32 v17, 1, v18
	v_add_co_u32_e64 v19, s[42:43], -1, v17
	v_addc_co_u32_e64 v66, s[42:43], 0, -1, s[42:43]
	v_cmp_ne_u32_e64 s[42:43], 0, v17
	v_lshlrev_b32_e32 v16, 2, v18
	v_xor_b32_e32 v17, s43, v66
	v_add_lshl_u32 v65, v16, v24, 2
	v_mov_b32_e32 v16, 0
	v_and_b32_e32 v66, exec_hi, v17
	v_lshlrev_b32_e32 v17, 30, v18
	v_xor_b32_e32 v19, s42, v19
	v_cmp_gt_i64_e64 s[42:43], 0, v[16:17]
	v_not_b32_e32 v17, v17
	v_ashrrev_i32_e32 v17, 31, v17
	v_and_b32_e32 v19, exec_lo, v19
	v_xor_b32_e32 v67, s43, v17
	v_xor_b32_e32 v17, s42, v17
	v_and_b32_e32 v19, v19, v17
	v_lshlrev_b32_e32 v17, 29, v18
	v_cmp_gt_i64_e64 s[42:43], 0, v[16:17]
	v_not_b32_e32 v17, v17
	v_ashrrev_i32_e32 v17, 31, v17
	v_and_b32_e32 v66, v66, v67
	v_xor_b32_e32 v67, s43, v17
	v_xor_b32_e32 v17, s42, v17
	v_and_b32_e32 v19, v19, v17
	v_lshlrev_b32_e32 v17, 28, v18
	v_cmp_gt_i64_e64 s[42:43], 0, v[16:17]
	v_not_b32_e32 v17, v17
	v_ashrrev_i32_e32 v17, 31, v17
	v_and_b32_e32 v66, v66, v67
	v_xor_b32_e32 v67, s43, v17
	v_xor_b32_e32 v17, s42, v17
	v_and_b32_e32 v19, v19, v17
	v_lshlrev_b32_e32 v17, 27, v18
	v_cmp_gt_i64_e64 s[42:43], 0, v[16:17]
	v_not_b32_e32 v17, v17
	v_ashrrev_i32_e32 v17, 31, v17
	v_and_b32_e32 v66, v66, v67
	v_xor_b32_e32 v67, s43, v17
	v_xor_b32_e32 v17, s42, v17
	v_and_b32_e32 v19, v19, v17
	v_lshlrev_b32_e32 v17, 26, v18
	v_cmp_gt_i64_e64 s[42:43], 0, v[16:17]
	v_not_b32_e32 v17, v17
	v_ashrrev_i32_e32 v17, 31, v17
	v_and_b32_e32 v66, v66, v67
	v_xor_b32_e32 v67, s43, v17
	v_xor_b32_e32 v17, s42, v17
	v_and_b32_e32 v19, v19, v17
	v_lshlrev_b32_e32 v17, 25, v18
	v_cmp_gt_i64_e64 s[42:43], 0, v[16:17]
	v_not_b32_e32 v17, v17
	v_ashrrev_i32_e32 v17, 31, v17
	v_and_b32_e32 v66, v66, v67
	v_xor_b32_e32 v67, s43, v17
	v_xor_b32_e32 v17, s42, v17
	v_and_b32_e32 v66, v66, v67
	v_and_b32_e32 v67, v19, v17
	v_lshlrev_b32_e32 v17, 24, v18
	v_cmp_gt_i64_e64 s[42:43], 0, v[16:17]
	v_not_b32_e32 v17, v17
	v_ashrrev_i32_e32 v17, 31, v17
	v_xor_b32_e32 v18, s43, v17
	v_xor_b32_e32 v17, s42, v17
	; wave barrier
	ds_read_b32 v46, v65 offset:16
	v_and_b32_e32 v19, v66, v18
	v_and_b32_e32 v18, v67, v17
	v_mbcnt_lo_u32_b32 v17, v18, 0
	v_mbcnt_hi_u32_b32 v66, v19, v17
	v_cmp_eq_u32_e64 s[42:43], 0, v66
	v_cmp_ne_u64_e64 s[44:45], 0, v[18:19]
	s_and_b64 s[44:45], s[44:45], s[42:43]
	; wave barrier
	s_and_saveexec_b64 s[42:43], s[44:45]
	s_cbranch_execz .LBB221_113
; %bb.112:
	v_bcnt_u32_b32 v17, v18, 0
	v_bcnt_u32_b32 v17, v19, v17
	s_waitcnt lgkmcnt(0)
	v_add_u32_e32 v17, v46, v17
	ds_write_b32 v65, v17 offset:16
.LBB221_113:
	s_or_b64 exec, exec, s[42:43]
	v_lshrrev_b16_e32 v17, 8, v27
	v_mov_b32_e32 v18, 0x7f
	v_cmp_ne_u16_e64 s[42:43], s51, v27
	v_cndmask_b32_e64 v17, v18, v17, s[42:43]
	v_and_b32_e32 v19, s50, v17
	v_lshlrev_b32_e32 v17, 2, v19
	v_add_lshl_u32 v68, v17, v24, 2
	v_and_b32_e32 v17, 1, v19
	v_add_co_u32_e64 v69, s[42:43], -1, v17
	v_addc_co_u32_e64 v70, s[42:43], 0, -1, s[42:43]
	v_cmp_ne_u32_e64 s[42:43], 0, v17
	v_xor_b32_e32 v17, s43, v70
	v_and_b32_e32 v70, exec_hi, v17
	v_lshlrev_b32_e32 v17, 30, v19
	v_xor_b32_e32 v69, s42, v69
	v_cmp_gt_i64_e64 s[42:43], 0, v[16:17]
	v_not_b32_e32 v17, v17
	v_ashrrev_i32_e32 v17, 31, v17
	v_and_b32_e32 v69, exec_lo, v69
	v_xor_b32_e32 v71, s43, v17
	v_xor_b32_e32 v17, s42, v17
	v_and_b32_e32 v69, v69, v17
	v_lshlrev_b32_e32 v17, 29, v19
	v_cmp_gt_i64_e64 s[42:43], 0, v[16:17]
	v_not_b32_e32 v17, v17
	v_ashrrev_i32_e32 v17, 31, v17
	v_and_b32_e32 v70, v70, v71
	v_xor_b32_e32 v71, s43, v17
	v_xor_b32_e32 v17, s42, v17
	v_and_b32_e32 v69, v69, v17
	v_lshlrev_b32_e32 v17, 28, v19
	v_cmp_gt_i64_e64 s[42:43], 0, v[16:17]
	v_not_b32_e32 v17, v17
	v_ashrrev_i32_e32 v17, 31, v17
	v_and_b32_e32 v70, v70, v71
	;; [unrolled: 8-line block ×5, first 2 shown]
	v_xor_b32_e32 v71, s43, v17
	v_xor_b32_e32 v17, s42, v17
	v_and_b32_e32 v69, v69, v17
	v_lshlrev_b32_e32 v17, 24, v19
	v_cmp_gt_i64_e64 s[42:43], 0, v[16:17]
	v_not_b32_e32 v16, v17
	v_ashrrev_i32_e32 v16, 31, v16
	v_xor_b32_e32 v17, s43, v16
	v_xor_b32_e32 v16, s42, v16
	; wave barrier
	ds_read_b32 v67, v68 offset:16
	v_and_b32_e32 v70, v70, v71
	v_and_b32_e32 v16, v69, v16
	;; [unrolled: 1-line block ×3, first 2 shown]
	v_mbcnt_lo_u32_b32 v19, v16, 0
	v_mbcnt_hi_u32_b32 v69, v17, v19
	v_cmp_eq_u32_e64 s[42:43], 0, v69
	v_cmp_ne_u64_e64 s[44:45], 0, v[16:17]
	s_and_b64 s[44:45], s[44:45], s[42:43]
	; wave barrier
	s_and_saveexec_b64 s[42:43], s[44:45]
	s_cbranch_execz .LBB221_115
; %bb.114:
	v_bcnt_u32_b32 v16, v16, 0
	v_bcnt_u32_b32 v16, v17, v16
	s_waitcnt lgkmcnt(0)
	v_add_u32_e32 v16, v67, v16
	ds_write_b32 v68, v16 offset:16
.LBB221_115:
	s_or_b64 exec, exec, s[42:43]
	v_lshrrev_b16_e32 v16, 8, v26
	v_cmp_ne_u16_e64 s[42:43], s51, v26
	v_cndmask_b32_e64 v16, v18, v16, s[42:43]
	v_and_b32_e32 v18, s50, v16
	v_and_b32_e32 v17, 1, v18
	v_add_co_u32_e64 v19, s[42:43], -1, v17
	v_addc_co_u32_e64 v72, s[42:43], 0, -1, s[42:43]
	v_cmp_ne_u32_e64 s[42:43], 0, v17
	v_lshlrev_b32_e32 v16, 2, v18
	v_xor_b32_e32 v17, s43, v72
	v_add_lshl_u32 v71, v16, v24, 2
	v_mov_b32_e32 v16, 0
	v_and_b32_e32 v72, exec_hi, v17
	v_lshlrev_b32_e32 v17, 30, v18
	v_xor_b32_e32 v19, s42, v19
	v_cmp_gt_i64_e64 s[42:43], 0, v[16:17]
	v_not_b32_e32 v17, v17
	v_ashrrev_i32_e32 v17, 31, v17
	v_and_b32_e32 v19, exec_lo, v19
	v_xor_b32_e32 v73, s43, v17
	v_xor_b32_e32 v17, s42, v17
	v_and_b32_e32 v19, v19, v17
	v_lshlrev_b32_e32 v17, 29, v18
	v_cmp_gt_i64_e64 s[42:43], 0, v[16:17]
	v_not_b32_e32 v17, v17
	v_ashrrev_i32_e32 v17, 31, v17
	v_and_b32_e32 v72, v72, v73
	v_xor_b32_e32 v73, s43, v17
	v_xor_b32_e32 v17, s42, v17
	v_and_b32_e32 v19, v19, v17
	v_lshlrev_b32_e32 v17, 28, v18
	v_cmp_gt_i64_e64 s[42:43], 0, v[16:17]
	v_not_b32_e32 v17, v17
	v_ashrrev_i32_e32 v17, 31, v17
	v_and_b32_e32 v72, v72, v73
	;; [unrolled: 8-line block ×5, first 2 shown]
	v_xor_b32_e32 v73, s43, v17
	v_xor_b32_e32 v17, s42, v17
	v_and_b32_e32 v72, v72, v73
	v_and_b32_e32 v73, v19, v17
	v_lshlrev_b32_e32 v17, 24, v18
	v_cmp_gt_i64_e64 s[42:43], 0, v[16:17]
	v_not_b32_e32 v17, v17
	v_ashrrev_i32_e32 v17, 31, v17
	v_xor_b32_e32 v18, s43, v17
	v_xor_b32_e32 v17, s42, v17
	; wave barrier
	ds_read_b32 v70, v71 offset:16
	v_and_b32_e32 v19, v72, v18
	v_and_b32_e32 v18, v73, v17
	v_mbcnt_lo_u32_b32 v17, v18, 0
	v_mbcnt_hi_u32_b32 v72, v19, v17
	v_cmp_eq_u32_e64 s[42:43], 0, v72
	v_cmp_ne_u64_e64 s[44:45], 0, v[18:19]
	s_and_b64 s[44:45], s[44:45], s[42:43]
	; wave barrier
	s_and_saveexec_b64 s[42:43], s[44:45]
	s_cbranch_execz .LBB221_117
; %bb.116:
	v_bcnt_u32_b32 v17, v18, 0
	v_bcnt_u32_b32 v17, v19, v17
	s_waitcnt lgkmcnt(0)
	v_add_u32_e32 v17, v70, v17
	ds_write_b32 v71, v17 offset:16
.LBB221_117:
	s_or_b64 exec, exec, s[42:43]
	v_lshrrev_b16_e32 v17, 8, v25
	v_mov_b32_e32 v18, 0x7f
	v_cmp_ne_u16_e64 s[42:43], s51, v25
	v_cndmask_b32_e64 v17, v18, v17, s[42:43]
	v_and_b32_e32 v19, s50, v17
	v_lshlrev_b32_e32 v17, 2, v19
	v_add_lshl_u32 v74, v17, v24, 2
	v_and_b32_e32 v17, 1, v19
	v_add_co_u32_e64 v75, s[42:43], -1, v17
	v_addc_co_u32_e64 v76, s[42:43], 0, -1, s[42:43]
	v_cmp_ne_u32_e64 s[42:43], 0, v17
	v_xor_b32_e32 v17, s43, v76
	v_and_b32_e32 v76, exec_hi, v17
	v_lshlrev_b32_e32 v17, 30, v19
	v_xor_b32_e32 v75, s42, v75
	v_cmp_gt_i64_e64 s[42:43], 0, v[16:17]
	v_not_b32_e32 v17, v17
	v_ashrrev_i32_e32 v17, 31, v17
	v_and_b32_e32 v75, exec_lo, v75
	v_xor_b32_e32 v77, s43, v17
	v_xor_b32_e32 v17, s42, v17
	v_and_b32_e32 v75, v75, v17
	v_lshlrev_b32_e32 v17, 29, v19
	v_cmp_gt_i64_e64 s[42:43], 0, v[16:17]
	v_not_b32_e32 v17, v17
	v_ashrrev_i32_e32 v17, 31, v17
	v_and_b32_e32 v76, v76, v77
	v_xor_b32_e32 v77, s43, v17
	v_xor_b32_e32 v17, s42, v17
	v_and_b32_e32 v75, v75, v17
	v_lshlrev_b32_e32 v17, 28, v19
	v_cmp_gt_i64_e64 s[42:43], 0, v[16:17]
	v_not_b32_e32 v17, v17
	v_ashrrev_i32_e32 v17, 31, v17
	v_and_b32_e32 v76, v76, v77
	;; [unrolled: 8-line block ×5, first 2 shown]
	v_xor_b32_e32 v77, s43, v17
	v_xor_b32_e32 v17, s42, v17
	v_and_b32_e32 v75, v75, v17
	v_lshlrev_b32_e32 v17, 24, v19
	v_cmp_gt_i64_e64 s[42:43], 0, v[16:17]
	v_not_b32_e32 v16, v17
	v_ashrrev_i32_e32 v16, 31, v16
	v_xor_b32_e32 v17, s43, v16
	v_xor_b32_e32 v16, s42, v16
	; wave barrier
	ds_read_b32 v73, v74 offset:16
	v_and_b32_e32 v76, v76, v77
	v_and_b32_e32 v16, v75, v16
	;; [unrolled: 1-line block ×3, first 2 shown]
	v_mbcnt_lo_u32_b32 v19, v16, 0
	v_mbcnt_hi_u32_b32 v75, v17, v19
	v_cmp_eq_u32_e64 s[42:43], 0, v75
	v_cmp_ne_u64_e64 s[44:45], 0, v[16:17]
	s_and_b64 s[44:45], s[44:45], s[42:43]
	; wave barrier
	s_and_saveexec_b64 s[42:43], s[44:45]
	s_cbranch_execz .LBB221_119
; %bb.118:
	v_bcnt_u32_b32 v16, v16, 0
	v_bcnt_u32_b32 v16, v17, v16
	s_waitcnt lgkmcnt(0)
	v_add_u32_e32 v16, v73, v16
	ds_write_b32 v74, v16 offset:16
.LBB221_119:
	s_or_b64 exec, exec, s[42:43]
	v_lshrrev_b16_e32 v16, 8, v20
	v_cmp_ne_u16_e64 s[42:43], s51, v20
	v_cndmask_b32_e64 v16, v18, v16, s[42:43]
	v_and_b32_e32 v18, s50, v16
	v_and_b32_e32 v17, 1, v18
	v_add_co_u32_e64 v19, s[42:43], -1, v17
	v_addc_co_u32_e64 v77, s[42:43], 0, -1, s[42:43]
	v_cmp_ne_u32_e64 s[42:43], 0, v17
	v_lshlrev_b32_e32 v16, 2, v18
	v_xor_b32_e32 v17, s43, v77
	v_add_lshl_u32 v76, v16, v24, 2
	v_mov_b32_e32 v16, 0
	v_and_b32_e32 v77, exec_hi, v17
	v_lshlrev_b32_e32 v17, 30, v18
	v_xor_b32_e32 v19, s42, v19
	v_cmp_gt_i64_e64 s[42:43], 0, v[16:17]
	v_not_b32_e32 v17, v17
	v_ashrrev_i32_e32 v17, 31, v17
	v_and_b32_e32 v19, exec_lo, v19
	v_xor_b32_e32 v78, s43, v17
	v_xor_b32_e32 v17, s42, v17
	v_and_b32_e32 v19, v19, v17
	v_lshlrev_b32_e32 v17, 29, v18
	v_cmp_gt_i64_e64 s[42:43], 0, v[16:17]
	v_not_b32_e32 v17, v17
	v_ashrrev_i32_e32 v17, 31, v17
	v_and_b32_e32 v77, v77, v78
	v_xor_b32_e32 v78, s43, v17
	v_xor_b32_e32 v17, s42, v17
	v_and_b32_e32 v19, v19, v17
	v_lshlrev_b32_e32 v17, 28, v18
	v_cmp_gt_i64_e64 s[42:43], 0, v[16:17]
	v_not_b32_e32 v17, v17
	v_ashrrev_i32_e32 v17, 31, v17
	v_and_b32_e32 v77, v77, v78
	;; [unrolled: 8-line block ×5, first 2 shown]
	v_xor_b32_e32 v78, s43, v17
	v_xor_b32_e32 v17, s42, v17
	v_and_b32_e32 v19, v19, v17
	v_lshlrev_b32_e32 v17, 24, v18
	v_cmp_gt_i64_e64 s[42:43], 0, v[16:17]
	v_not_b32_e32 v16, v17
	v_ashrrev_i32_e32 v16, 31, v16
	v_xor_b32_e32 v17, s43, v16
	v_xor_b32_e32 v16, s42, v16
	; wave barrier
	ds_read_b32 v24, v76 offset:16
	v_and_b32_e32 v77, v77, v78
	v_and_b32_e32 v16, v19, v16
	;; [unrolled: 1-line block ×3, first 2 shown]
	v_mbcnt_lo_u32_b32 v18, v16, 0
	v_mbcnt_hi_u32_b32 v77, v17, v18
	v_cmp_eq_u32_e64 s[42:43], 0, v77
	v_cmp_ne_u64_e64 s[44:45], 0, v[16:17]
	s_and_b64 s[44:45], s[44:45], s[42:43]
	; wave barrier
	s_and_saveexec_b64 s[42:43], s[44:45]
	s_cbranch_execz .LBB221_121
; %bb.120:
	v_bcnt_u32_b32 v16, v16, 0
	v_bcnt_u32_b32 v16, v17, v16
	s_waitcnt lgkmcnt(0)
	v_add_u32_e32 v16, v24, v16
	ds_write_b32 v76, v16 offset:16
.LBB221_121:
	s_or_b64 exec, exec, s[42:43]
	; wave barrier
	s_waitcnt lgkmcnt(0)
	s_barrier
	ds_read2_b32 v[18:19], v64 offset0:4 offset1:5
	ds_read2_b32 v[16:17], v22 offset0:2 offset1:3
	s_waitcnt lgkmcnt(1)
	v_add_u32_e32 v78, v19, v18
	s_waitcnt lgkmcnt(0)
	v_add3_u32 v17, v78, v16, v17
	s_nop 1
	v_mov_b32_dpp v78, v17 row_shr:1 row_mask:0xf bank_mask:0xf
	v_cndmask_b32_e64 v78, v78, 0, s[22:23]
	v_add_u32_e32 v17, v78, v17
	s_nop 1
	v_mov_b32_dpp v78, v17 row_shr:2 row_mask:0xf bank_mask:0xf
	v_cndmask_b32_e64 v78, 0, v78, s[24:25]
	v_add_u32_e32 v17, v17, v78
	;; [unrolled: 4-line block ×4, first 2 shown]
	s_nop 1
	v_mov_b32_dpp v78, v17 row_bcast:15 row_mask:0xf bank_mask:0xf
	v_cndmask_b32_e64 v78, v78, 0, vcc
	v_add_u32_e32 v17, v17, v78
	s_nop 1
	v_mov_b32_dpp v78, v17 row_bcast:31 row_mask:0xf bank_mask:0xf
	v_cndmask_b32_e64 v78, 0, v78, s[34:35]
	v_add_u32_e32 v78, v17, v78
	s_and_saveexec_b64 s[22:23], s[16:17]
	s_cbranch_execz .LBB221_123
; %bb.122:
	ds_write_b32 v23, v78
.LBB221_123:
	s_or_b64 exec, exec, s[22:23]
	s_waitcnt lgkmcnt(0)
	s_barrier
	s_and_saveexec_b64 s[16:17], s[26:27]
	s_cbranch_execz .LBB221_125
; %bb.124:
	ds_read_b32 v17, v21
	s_waitcnt lgkmcnt(0)
	s_nop 0
	v_mov_b32_dpp v23, v17 row_shr:1 row_mask:0xf bank_mask:0xf
	v_cndmask_b32_e64 v23, v23, 0, s[20:21]
	v_add_u32_e32 v17, v23, v17
	s_nop 1
	v_mov_b32_dpp v23, v17 row_shr:2 row_mask:0xf bank_mask:0xf
	v_cndmask_b32_e64 v23, 0, v23, s[18:19]
	v_add_u32_e32 v17, v17, v23
	ds_write_b32 v21, v17
.LBB221_125:
	s_or_b64 exec, exec, s[16:17]
	v_mov_b32_e32 v17, 0
	v_mov_b32_e32 v21, 0
	s_waitcnt lgkmcnt(0)
	s_barrier
	s_and_saveexec_b64 s[16:17], s[36:37]
	s_cbranch_execz .LBB221_127
; %bb.126:
	ds_read_b32 v21, v34
.LBB221_127:
	s_or_b64 exec, exec, s[16:17]
	s_waitcnt lgkmcnt(0)
	v_add_u32_e32 v23, v21, v78
	ds_bpermute_b32 v23, v35, v23
	v_lshlrev_b32_e32 v34, 3, v63
	s_mov_b32 s18, 0x5040100
	s_waitcnt lgkmcnt(0)
	v_cndmask_b32_e64 v21, v23, v21, s[38:39]
	v_cndmask_b32_e64 v21, v21, 0, s[40:41]
	v_add_u32_e32 v18, v21, v18
	v_add_u32_e32 v19, v18, v19
	;; [unrolled: 1-line block ×3, first 2 shown]
	ds_write2_b32 v64, v21, v18 offset0:4 offset1:5
	ds_write2_b32 v22, v19, v16 offset0:2 offset1:3
	s_waitcnt lgkmcnt(0)
	s_barrier
	ds_read_b32 v16, v76 offset:16
	ds_read_b32 v18, v74 offset:16
	;; [unrolled: 1-line block ×4, first 2 shown]
	s_waitcnt lgkmcnt(3)
	v_add3_u32 v16, v77, v24, v16
	ds_read_b32 v22, v65 offset:16
	ds_read_b32 v23, v40 offset:16
	;; [unrolled: 1-line block ×4, first 2 shown]
	s_waitcnt lgkmcnt(0)
	s_barrier
	v_add3_u32 v23, v41, v39, v23
	v_add3_u32 v24, v38, v36, v24
	v_add_u32_e32 v32, v32, v33
	v_lshlrev_b32_e32 v33, 1, v32
	ds_write_b16 v33, v31
	v_lshlrev_b32_e32 v31, 1, v24
	v_add3_u32 v22, v66, v46, v22
	ds_write_b16 v31, v30
	v_lshlrev_b32_e32 v30, 1, v23
	v_add3_u32 v21, v69, v67, v21
	ds_write_b16 v30, v29
	v_lshlrev_b32_e32 v29, 1, v22
	v_add3_u32 v19, v72, v70, v19
	ds_write_b16 v29, v28
	v_lshlrev_b32_e32 v28, 1, v21
	v_add3_u32 v18, v75, v73, v18
	ds_write_b16 v28, v27
	v_lshlrev_b32_e32 v27, 1, v19
	ds_write_b16 v27, v26
	v_lshlrev_b32_e32 v26, 1, v18
	;; [unrolled: 2-line block ×4, first 2 shown]
	s_waitcnt lgkmcnt(0)
	s_barrier
	v_lshlrev_b32_e32 v26, 3, v21
	v_lshlrev_b32_e32 v27, 3, v19
	v_lshlrev_b32_e32 v28, 3, v18
	ds_read_b128 v[18:21], v20
	v_mov_b32_e32 v40, -1
	v_mov_b32_e32 v41, 0x7fff
	v_lshlrev_b32_e32 v25, 3, v32
	v_lshlrev_b32_e32 v24, 3, v24
	s_waitcnt lgkmcnt(0)
	v_cmp_gt_i16_sdwa vcc, v18, v40 src0_sel:WORD_1 src1_sel:DWORD
	v_cndmask_b32_e32 v29, 0, v41, vcc
	v_cmp_lt_i16_e32 vcc, -1, v18
	v_cndmask_b32_e32 v30, 0, v41, vcc
	v_cmp_lt_i16_sdwa s[16:17], v19, v17 src0_sel:WORD_1 src1_sel:DWORD
	v_cmp_gt_i16_e32 vcc, 0, v19
	v_cndmask_b32_e64 v31, v41, 0, s[16:17]
	v_cndmask_b32_e64 v32, v41, 0, vcc
	v_lshlrev_b32_e32 v23, 3, v23
	v_lshlrev_b32_e32 v22, 3, v22
	v_xor_b32_e32 v32, v32, v19
	v_xor_b32_sdwa v19, v31, v19 dst_sel:DWORD dst_unused:UNUSED_PAD src0_sel:DWORD src1_sel:WORD_1
	v_lshlrev_b32_e32 v16, 3, v16
	v_perm_b32 v39, v19, v32, s18
	v_xor_b32_e32 v19, v30, v18
	v_xor_b32_sdwa v18, v29, v18 dst_sel:DWORD dst_unused:UNUSED_PAD src0_sel:DWORD src1_sel:WORD_1
	s_barrier
	ds_write_b64 v25, v[12:13]
	ds_write_b64 v24, v[14:15]
	;; [unrolled: 1-line block ×8, first 2 shown]
	s_waitcnt lgkmcnt(0)
	s_barrier
	ds_read2_b64 v[22:25], v34 offset1:1
	ds_read2_b64 v[26:29], v34 offset0:2 offset1:3
	ds_read2_b64 v[30:33], v34 offset0:4 offset1:5
	;; [unrolled: 1-line block ×3, first 2 shown]
	v_cmp_gt_i16_sdwa vcc, v20, v40 src0_sel:WORD_1 src1_sel:DWORD
	v_cndmask_b32_e32 v0, 0, v41, vcc
	v_cmp_lt_i16_e32 vcc, -1, v20
	v_cndmask_b32_e32 v1, 0, v41, vcc
	v_cmp_lt_i16_sdwa s[16:17], v21, v17 src0_sel:WORD_1 src1_sel:DWORD
	v_cmp_gt_i16_e32 vcc, 0, v21
	v_cndmask_b32_e64 v2, v41, 0, s[16:17]
	v_cndmask_b32_e64 v3, v41, 0, vcc
	v_xor_b32_e32 v3, v3, v21
	v_xor_b32_sdwa v2, v2, v21 dst_sel:DWORD dst_unused:UNUSED_PAD src0_sel:DWORD src1_sel:WORD_1
	v_xor_b32_e32 v1, v1, v20
	v_xor_b32_sdwa v0, v0, v20 dst_sel:DWORD dst_unused:UNUSED_PAD src0_sel:DWORD src1_sel:WORD_1
	v_perm_b32 v38, v18, v19, s18
	v_perm_b32 v41, v2, v3, s18
	v_perm_b32 v40, v0, v1, s18
.LBB221_128:
	s_waitcnt lgkmcnt(0)
	s_barrier
	ds_write_b128 v54, v[38:41]
	s_waitcnt lgkmcnt(0)
	s_barrier
	ds_read_u16 v8, v43 offset:512
	ds_read_u16 v7, v48 offset:1024
	;; [unrolled: 1-line block ×7, first 2 shown]
	v_mov_b32_e32 v43, 0
	v_lshlrev_b64 v[0:1], 1, v[42:43]
	v_mov_b32_e32 v9, s47
	v_add_co_u32_e32 v0, vcc, s33, v0
	v_addc_co_u32_e32 v1, vcc, v9, v1, vcc
	s_and_saveexec_b64 s[16:17], s[0:1]
	s_cbranch_execnz .LBB221_147
; %bb.129:
	s_or_b64 exec, exec, s[16:17]
	s_and_saveexec_b64 s[16:17], s[2:3]
	s_cbranch_execnz .LBB221_148
.LBB221_130:
	s_or_b64 exec, exec, s[16:17]
	s_and_saveexec_b64 s[16:17], s[4:5]
	s_cbranch_execnz .LBB221_149
.LBB221_131:
	s_or_b64 exec, exec, s[16:17]
	s_and_saveexec_b64 s[16:17], s[6:7]
	s_cbranch_execnz .LBB221_150
.LBB221_132:
	s_or_b64 exec, exec, s[16:17]
	s_and_saveexec_b64 s[16:17], s[8:9]
	s_cbranch_execnz .LBB221_151
.LBB221_133:
	s_or_b64 exec, exec, s[16:17]
	s_and_saveexec_b64 s[16:17], s[10:11]
	s_cbranch_execnz .LBB221_152
.LBB221_134:
	s_or_b64 exec, exec, s[16:17]
	s_and_saveexec_b64 s[16:17], s[12:13]
	s_cbranch_execnz .LBB221_153
.LBB221_135:
	s_or_b64 exec, exec, s[16:17]
	s_and_saveexec_b64 s[16:17], s[14:15]
	s_cbranch_execz .LBB221_137
.LBB221_136:
	s_mul_i32 s18, s46, 0x700
	s_mov_b32 s19, 0
	s_lshl_b64 s[18:19], s[18:19], 1
	s_waitcnt lgkmcnt(1)
	v_mov_b32_e32 v3, s19
	v_add_co_u32_e32 v0, vcc, s18, v0
	v_addc_co_u32_e32 v1, vcc, v1, v3, vcc
	s_waitcnt lgkmcnt(0)
	global_store_short v[0:1], v2, off
.LBB221_137:
	s_or_b64 exec, exec, s[16:17]
	s_waitcnt lgkmcnt(0)
	s_barrier
	ds_write2_b64 v62, v[22:23], v[24:25] offset1:1
	ds_write2_b64 v62, v[26:27], v[28:29] offset0:2 offset1:3
	ds_write2_b64 v62, v[30:31], v[32:33] offset0:4 offset1:5
	;; [unrolled: 1-line block ×3, first 2 shown]
	s_waitcnt lgkmcnt(0)
	s_barrier
	ds_read_b64 v[14:15], v45 offset:2048
	ds_read_b64 v[12:13], v56 offset:4096
	;; [unrolled: 1-line block ×7, first 2 shown]
	v_mov_b32_e32 v45, 0
	v_lshlrev_b64 v[2:3], 3, v[44:45]
	v_mov_b32_e32 v16, s52
	v_add_co_u32_e32 v2, vcc, s49, v2
	v_addc_co_u32_e32 v3, vcc, v16, v3, vcc
	s_and_saveexec_b64 s[16:17], s[0:1]
	s_cbranch_execnz .LBB221_154
; %bb.138:
	s_or_b64 exec, exec, s[16:17]
	s_and_saveexec_b64 s[0:1], s[2:3]
	s_cbranch_execnz .LBB221_155
.LBB221_139:
	s_or_b64 exec, exec, s[0:1]
	s_and_saveexec_b64 s[0:1], s[4:5]
	s_cbranch_execnz .LBB221_156
.LBB221_140:
	s_or_b64 exec, exec, s[0:1]
	s_and_saveexec_b64 s[0:1], s[6:7]
	s_cbranch_execnz .LBB221_157
.LBB221_141:
	s_or_b64 exec, exec, s[0:1]
	s_and_saveexec_b64 s[0:1], s[8:9]
	s_cbranch_execnz .LBB221_158
.LBB221_142:
	s_or_b64 exec, exec, s[0:1]
	s_and_saveexec_b64 s[0:1], s[10:11]
	s_cbranch_execnz .LBB221_159
.LBB221_143:
	s_or_b64 exec, exec, s[0:1]
	s_and_saveexec_b64 s[0:1], s[12:13]
	s_cbranch_execnz .LBB221_160
.LBB221_144:
	s_or_b64 exec, exec, s[0:1]
	s_and_saveexec_b64 s[0:1], s[14:15]
	s_cbranch_execz .LBB221_146
.LBB221_145:
	s_mul_i32 s0, s48, 0x700
	s_mov_b32 s1, 0
	s_lshl_b64 s[0:1], s[0:1], 3
	s_waitcnt lgkmcnt(1)
	v_mov_b32_e32 v4, s1
	v_add_co_u32_e32 v2, vcc, s0, v2
	v_addc_co_u32_e32 v3, vcc, v3, v4, vcc
	s_waitcnt lgkmcnt(0)
	global_store_dwordx2 v[2:3], v[0:1], off
.LBB221_146:
	s_endpgm
.LBB221_147:
	ds_read_u16 v9, v47
	s_waitcnt lgkmcnt(0)
	global_store_short v[0:1], v9, off
	s_or_b64 exec, exec, s[16:17]
	s_and_saveexec_b64 s[16:17], s[2:3]
	s_cbranch_execz .LBB221_130
.LBB221_148:
	s_lshl_b32 s18, s46, 8
	s_mov_b32 s19, 0
	s_lshl_b64 s[18:19], s[18:19], 1
	v_mov_b32_e32 v9, s19
	v_add_co_u32_e32 v10, vcc, s18, v0
	v_addc_co_u32_e32 v11, vcc, v1, v9, vcc
	s_waitcnt lgkmcnt(6)
	global_store_short v[10:11], v8, off
	s_or_b64 exec, exec, s[16:17]
	s_and_saveexec_b64 s[16:17], s[4:5]
	s_cbranch_execz .LBB221_131
.LBB221_149:
	s_lshl_b32 s18, s46, 9
	s_mov_b32 s19, 0
	s_lshl_b64 s[18:19], s[18:19], 1
	v_mov_b32_e32 v9, s19
	s_waitcnt lgkmcnt(6)
	v_add_co_u32_e32 v8, vcc, s18, v0
	v_addc_co_u32_e32 v9, vcc, v1, v9, vcc
	s_waitcnt lgkmcnt(5)
	global_store_short v[8:9], v7, off
	s_or_b64 exec, exec, s[16:17]
	s_and_saveexec_b64 s[16:17], s[6:7]
	s_cbranch_execz .LBB221_132
.LBB221_150:
	s_mul_i32 s18, s46, 0x300
	s_mov_b32 s19, 0
	s_lshl_b64 s[18:19], s[18:19], 1
	s_waitcnt lgkmcnt(5)
	v_mov_b32_e32 v7, s19
	v_add_co_u32_e32 v8, vcc, s18, v0
	v_addc_co_u32_e32 v9, vcc, v1, v7, vcc
	s_waitcnt lgkmcnt(4)
	global_store_short v[8:9], v6, off
	s_or_b64 exec, exec, s[16:17]
	s_and_saveexec_b64 s[16:17], s[8:9]
	s_cbranch_execz .LBB221_133
.LBB221_151:
	s_lshl_b32 s18, s46, 10
	s_mov_b32 s19, 0
	s_lshl_b64 s[18:19], s[18:19], 1
	s_waitcnt lgkmcnt(5)
	v_mov_b32_e32 v7, s19
	s_waitcnt lgkmcnt(4)
	v_add_co_u32_e32 v6, vcc, s18, v0
	v_addc_co_u32_e32 v7, vcc, v1, v7, vcc
	s_waitcnt lgkmcnt(3)
	global_store_short v[6:7], v5, off
	s_or_b64 exec, exec, s[16:17]
	s_and_saveexec_b64 s[16:17], s[10:11]
	s_cbranch_execz .LBB221_134
.LBB221_152:
	s_mul_i32 s18, s46, 0x500
	s_mov_b32 s19, 0
	s_lshl_b64 s[18:19], s[18:19], 1
	s_waitcnt lgkmcnt(3)
	v_mov_b32_e32 v5, s19
	v_add_co_u32_e32 v6, vcc, s18, v0
	v_addc_co_u32_e32 v7, vcc, v1, v5, vcc
	s_waitcnt lgkmcnt(2)
	global_store_short v[6:7], v4, off
	s_or_b64 exec, exec, s[16:17]
	s_and_saveexec_b64 s[16:17], s[12:13]
	s_cbranch_execz .LBB221_135
.LBB221_153:
	s_mul_i32 s18, s46, 0x600
	s_mov_b32 s19, 0
	s_lshl_b64 s[18:19], s[18:19], 1
	s_waitcnt lgkmcnt(3)
	v_mov_b32_e32 v5, s19
	s_waitcnt lgkmcnt(2)
	v_add_co_u32_e32 v4, vcc, s18, v0
	v_addc_co_u32_e32 v5, vcc, v1, v5, vcc
	s_waitcnt lgkmcnt(1)
	global_store_short v[4:5], v3, off
	s_or_b64 exec, exec, s[16:17]
	s_and_saveexec_b64 s[16:17], s[14:15]
	s_cbranch_execnz .LBB221_136
	s_branch .LBB221_137
.LBB221_154:
	ds_read_b64 v[16:17], v55
	s_waitcnt lgkmcnt(0)
	global_store_dwordx2 v[2:3], v[16:17], off
	s_or_b64 exec, exec, s[16:17]
	s_and_saveexec_b64 s[0:1], s[2:3]
	s_cbranch_execz .LBB221_139
.LBB221_155:
	s_lshl_b32 s2, s48, 8
	s_mov_b32 s3, 0
	s_lshl_b64 s[2:3], s[2:3], 3
	v_mov_b32_e32 v17, s3
	v_add_co_u32_e32 v16, vcc, s2, v2
	v_addc_co_u32_e32 v17, vcc, v3, v17, vcc
	s_waitcnt lgkmcnt(6)
	global_store_dwordx2 v[16:17], v[14:15], off
	s_or_b64 exec, exec, s[0:1]
	s_and_saveexec_b64 s[0:1], s[4:5]
	s_cbranch_execz .LBB221_140
.LBB221_156:
	s_lshl_b32 s2, s48, 9
	s_mov_b32 s3, 0
	s_lshl_b64 s[2:3], s[2:3], 3
	s_waitcnt lgkmcnt(6)
	v_mov_b32_e32 v15, s3
	v_add_co_u32_e32 v14, vcc, s2, v2
	v_addc_co_u32_e32 v15, vcc, v3, v15, vcc
	s_waitcnt lgkmcnt(5)
	global_store_dwordx2 v[14:15], v[12:13], off
	s_or_b64 exec, exec, s[0:1]
	s_and_saveexec_b64 s[0:1], s[6:7]
	s_cbranch_execz .LBB221_141
.LBB221_157:
	s_mul_i32 s2, s48, 0x300
	s_mov_b32 s3, 0
	s_lshl_b64 s[2:3], s[2:3], 3
	s_waitcnt lgkmcnt(5)
	v_mov_b32_e32 v13, s3
	v_add_co_u32_e32 v12, vcc, s2, v2
	v_addc_co_u32_e32 v13, vcc, v3, v13, vcc
	s_waitcnt lgkmcnt(4)
	global_store_dwordx2 v[12:13], v[10:11], off
	s_or_b64 exec, exec, s[0:1]
	s_and_saveexec_b64 s[0:1], s[8:9]
	s_cbranch_execz .LBB221_142
.LBB221_158:
	s_lshl_b32 s2, s48, 10
	s_mov_b32 s3, 0
	s_lshl_b64 s[2:3], s[2:3], 3
	s_waitcnt lgkmcnt(4)
	v_mov_b32_e32 v11, s3
	v_add_co_u32_e32 v10, vcc, s2, v2
	v_addc_co_u32_e32 v11, vcc, v3, v11, vcc
	s_waitcnt lgkmcnt(3)
	global_store_dwordx2 v[10:11], v[8:9], off
	s_or_b64 exec, exec, s[0:1]
	s_and_saveexec_b64 s[0:1], s[10:11]
	s_cbranch_execz .LBB221_143
.LBB221_159:
	s_mul_i32 s2, s48, 0x500
	s_mov_b32 s3, 0
	s_lshl_b64 s[2:3], s[2:3], 3
	s_waitcnt lgkmcnt(3)
	v_mov_b32_e32 v9, s3
	v_add_co_u32_e32 v8, vcc, s2, v2
	v_addc_co_u32_e32 v9, vcc, v3, v9, vcc
	s_waitcnt lgkmcnt(2)
	global_store_dwordx2 v[8:9], v[6:7], off
	s_or_b64 exec, exec, s[0:1]
	s_and_saveexec_b64 s[0:1], s[12:13]
	s_cbranch_execz .LBB221_144
.LBB221_160:
	s_mul_i32 s2, s48, 0x600
	s_mov_b32 s3, 0
	s_lshl_b64 s[2:3], s[2:3], 3
	s_waitcnt lgkmcnt(2)
	v_mov_b32_e32 v7, s3
	v_add_co_u32_e32 v6, vcc, s2, v2
	v_addc_co_u32_e32 v7, vcc, v3, v7, vcc
	s_waitcnt lgkmcnt(1)
	global_store_dwordx2 v[6:7], v[4:5], off
	s_or_b64 exec, exec, s[0:1]
	s_and_saveexec_b64 s[0:1], s[14:15]
	s_cbranch_execnz .LBB221_145
	s_branch .LBB221_146
	.section	.rodata,"a",@progbits
	.p2align	6, 0x0
	.amdhsa_kernel _ZN2at6native18radixSortKVInPlaceILin2ELin1ELi256ELi8EN3c104HalfEljEEvNS_4cuda6detail10TensorInfoIT3_T5_EES8_S8_S8_NS6_IT4_S8_EES8_b
		.amdhsa_group_segment_fixed_size 16896
		.amdhsa_private_segment_fixed_size 0
		.amdhsa_kernarg_size 712
		.amdhsa_user_sgpr_count 6
		.amdhsa_user_sgpr_private_segment_buffer 1
		.amdhsa_user_sgpr_dispatch_ptr 0
		.amdhsa_user_sgpr_queue_ptr 0
		.amdhsa_user_sgpr_kernarg_segment_ptr 1
		.amdhsa_user_sgpr_dispatch_id 0
		.amdhsa_user_sgpr_flat_scratch_init 0
		.amdhsa_user_sgpr_kernarg_preload_length 0
		.amdhsa_user_sgpr_kernarg_preload_offset 0
		.amdhsa_user_sgpr_private_segment_size 0
		.amdhsa_uses_dynamic_stack 0
		.amdhsa_system_sgpr_private_segment_wavefront_offset 0
		.amdhsa_system_sgpr_workgroup_id_x 1
		.amdhsa_system_sgpr_workgroup_id_y 1
		.amdhsa_system_sgpr_workgroup_id_z 1
		.amdhsa_system_sgpr_workgroup_info 0
		.amdhsa_system_vgpr_workitem_id 2
		.amdhsa_next_free_vgpr 108
		.amdhsa_next_free_sgpr 55
		.amdhsa_accum_offset 108
		.amdhsa_reserve_vcc 1
		.amdhsa_reserve_flat_scratch 0
		.amdhsa_float_round_mode_32 0
		.amdhsa_float_round_mode_16_64 0
		.amdhsa_float_denorm_mode_32 3
		.amdhsa_float_denorm_mode_16_64 3
		.amdhsa_dx10_clamp 1
		.amdhsa_ieee_mode 1
		.amdhsa_fp16_overflow 0
		.amdhsa_tg_split 0
		.amdhsa_exception_fp_ieee_invalid_op 0
		.amdhsa_exception_fp_denorm_src 0
		.amdhsa_exception_fp_ieee_div_zero 0
		.amdhsa_exception_fp_ieee_overflow 0
		.amdhsa_exception_fp_ieee_underflow 0
		.amdhsa_exception_fp_ieee_inexact 0
		.amdhsa_exception_int_div_zero 0
	.end_amdhsa_kernel
	.section	.text._ZN2at6native18radixSortKVInPlaceILin2ELin1ELi256ELi8EN3c104HalfEljEEvNS_4cuda6detail10TensorInfoIT3_T5_EES8_S8_S8_NS6_IT4_S8_EES8_b,"axG",@progbits,_ZN2at6native18radixSortKVInPlaceILin2ELin1ELi256ELi8EN3c104HalfEljEEvNS_4cuda6detail10TensorInfoIT3_T5_EES8_S8_S8_NS6_IT4_S8_EES8_b,comdat
.Lfunc_end221:
	.size	_ZN2at6native18radixSortKVInPlaceILin2ELin1ELi256ELi8EN3c104HalfEljEEvNS_4cuda6detail10TensorInfoIT3_T5_EES8_S8_S8_NS6_IT4_S8_EES8_b, .Lfunc_end221-_ZN2at6native18radixSortKVInPlaceILin2ELin1ELi256ELi8EN3c104HalfEljEEvNS_4cuda6detail10TensorInfoIT3_T5_EES8_S8_S8_NS6_IT4_S8_EES8_b
                                        ; -- End function
	.section	.AMDGPU.csdata,"",@progbits
; Kernel info:
; codeLenInByte = 21408
; NumSgprs: 59
; NumVgprs: 108
; NumAgprs: 0
; TotalNumVgprs: 108
; ScratchSize: 0
; MemoryBound: 0
; FloatMode: 240
; IeeeMode: 1
; LDSByteSize: 16896 bytes/workgroup (compile time only)
; SGPRBlocks: 7
; VGPRBlocks: 13
; NumSGPRsForWavesPerEU: 59
; NumVGPRsForWavesPerEU: 108
; AccumOffset: 108
; Occupancy: 3
; WaveLimiterHint : 1
; COMPUTE_PGM_RSRC2:SCRATCH_EN: 0
; COMPUTE_PGM_RSRC2:USER_SGPR: 6
; COMPUTE_PGM_RSRC2:TRAP_HANDLER: 0
; COMPUTE_PGM_RSRC2:TGID_X_EN: 1
; COMPUTE_PGM_RSRC2:TGID_Y_EN: 1
; COMPUTE_PGM_RSRC2:TGID_Z_EN: 1
; COMPUTE_PGM_RSRC2:TIDIG_COMP_CNT: 2
; COMPUTE_PGM_RSRC3_GFX90A:ACCUM_OFFSET: 26
; COMPUTE_PGM_RSRC3_GFX90A:TG_SPLIT: 0
	.section	.text._ZN2at6native18radixSortKVInPlaceILin2ELin1ELi128ELi8EN3c104HalfEljEEvNS_4cuda6detail10TensorInfoIT3_T5_EES8_S8_S8_NS6_IT4_S8_EES8_b,"axG",@progbits,_ZN2at6native18radixSortKVInPlaceILin2ELin1ELi128ELi8EN3c104HalfEljEEvNS_4cuda6detail10TensorInfoIT3_T5_EES8_S8_S8_NS6_IT4_S8_EES8_b,comdat
	.protected	_ZN2at6native18radixSortKVInPlaceILin2ELin1ELi128ELi8EN3c104HalfEljEEvNS_4cuda6detail10TensorInfoIT3_T5_EES8_S8_S8_NS6_IT4_S8_EES8_b ; -- Begin function _ZN2at6native18radixSortKVInPlaceILin2ELin1ELi128ELi8EN3c104HalfEljEEvNS_4cuda6detail10TensorInfoIT3_T5_EES8_S8_S8_NS6_IT4_S8_EES8_b
	.globl	_ZN2at6native18radixSortKVInPlaceILin2ELin1ELi128ELi8EN3c104HalfEljEEvNS_4cuda6detail10TensorInfoIT3_T5_EES8_S8_S8_NS6_IT4_S8_EES8_b
	.p2align	8
	.type	_ZN2at6native18radixSortKVInPlaceILin2ELin1ELi128ELi8EN3c104HalfEljEEvNS_4cuda6detail10TensorInfoIT3_T5_EES8_S8_S8_NS6_IT4_S8_EES8_b,@function
_ZN2at6native18radixSortKVInPlaceILin2ELin1ELi128ELi8EN3c104HalfEljEEvNS_4cuda6detail10TensorInfoIT3_T5_EES8_S8_S8_NS6_IT4_S8_EES8_b: ; @_ZN2at6native18radixSortKVInPlaceILin2ELin1ELi128ELi8EN3c104HalfEljEEvNS_4cuda6detail10TensorInfoIT3_T5_EES8_S8_S8_NS6_IT4_S8_EES8_b
; %bb.0:
	s_load_dwordx2 s[0:1], s[4:5], 0x1c8
	s_load_dwordx4 s[44:47], s[4:5], 0xd8
	s_add_u32 s50, s4, 0x1c8
	s_addc_u32 s51, s5, 0
	s_waitcnt lgkmcnt(0)
	s_mul_i32 s1, s1, s8
	s_add_i32 s1, s1, s7
	s_mul_i32 s0, s1, s0
	s_add_i32 s6, s0, s6
	s_cmp_ge_u32 s6, s44
	s_cbranch_scc1 .LBB222_146
; %bb.1:
	s_load_dword s2, s[4:5], 0x1b8
	s_load_dwordx2 s[0:1], s[4:5], 0x0
	s_add_u32 s14, s4, 0xe8
	s_addc_u32 s15, s5, 0
	s_mov_b32 s17, 0
	s_waitcnt lgkmcnt(0)
	s_cmp_lt_i32 s2, 2
	s_mov_b32 s16, s6
	s_cbranch_scc1 .LBB222_4
; %bb.2:
	s_add_i32 s16, s2, -1
	s_add_i32 s7, s2, 1
	s_lshl_b64 s[2:3], s[16:17], 2
	s_add_u32 s2, s2, s14
	s_addc_u32 s3, s3, s15
	s_add_u32 s2, s2, 8
	s_addc_u32 s3, s3, 0
	s_mov_b32 s16, s6
.LBB222_3:                              ; =>This Inner Loop Header: Depth=1
	s_load_dword s8, s[2:3], 0x0
	s_load_dword s10, s[2:3], 0x64
	s_mov_b32 s9, s16
	s_waitcnt lgkmcnt(0)
	v_cvt_f32_u32_e32 v1, s8
	s_sub_i32 s11, 0, s8
	v_rcp_iflag_f32_e32 v1, v1
	v_mul_f32_e32 v1, 0x4f7ffffe, v1
	v_cvt_u32_f32_e32 v1, v1
	v_readfirstlane_b32 s12, v1
	s_mul_i32 s11, s11, s12
	s_mul_hi_u32 s11, s12, s11
	s_add_i32 s12, s12, s11
	s_mul_hi_u32 s11, s16, s12
	s_mul_i32 s12, s11, s8
	s_sub_i32 s12, s16, s12
	s_add_i32 s13, s11, 1
	s_sub_i32 s16, s12, s8
	s_cmp_ge_u32 s12, s8
	s_cselect_b32 s11, s13, s11
	s_cselect_b32 s12, s16, s12
	s_add_i32 s13, s11, 1
	s_cmp_ge_u32 s12, s8
	s_cselect_b32 s16, s13, s11
	s_mul_i32 s8, s16, s8
	s_sub_i32 s8, s9, s8
	s_mul_i32 s8, s10, s8
	s_add_i32 s7, s7, -1
	s_add_i32 s17, s8, s17
	s_add_u32 s2, s2, -4
	s_addc_u32 s3, s3, -1
	s_cmp_gt_u32 s7, 2
	s_cbranch_scc1 .LBB222_3
.LBB222_4:
	s_load_dword s2, s[4:5], 0x6c
	s_load_dwordx2 s[48:49], s[4:5], 0x1c0
	s_mov_b32 s3, 0
	v_and_b32_e32 v46, 0x3ff, v0
	v_mul_lo_u32 v42, v46, s46
	s_waitcnt lgkmcnt(0)
	s_mul_i32 s2, s2, s6
	s_bitcmp1_b32 s49, 0
	s_cselect_b64 s[34:35], -1, 0
	s_mov_b32 s6, 0xffff
	s_and_b64 s[4:5], s[34:35], exec
	s_cselect_b32 s22, s6, 0x7fff
	s_lshl_b64 s[2:3], s[2:3], 1
	s_add_u32 s33, s0, s2
	s_addc_u32 s44, s1, s3
	v_cmp_gt_u32_e64 s[0:1], s45, v46
	v_mov_b32_e32 v1, s22
	s_and_saveexec_b64 s[2:3], s[0:1]
	s_cbranch_execz .LBB222_6
; %bb.5:
	v_mov_b32_e32 v43, 0
	v_lshlrev_b64 v[2:3], 1, v[42:43]
	v_mov_b32_e32 v1, s44
	v_add_co_u32_e32 v2, vcc, s33, v2
	v_addc_co_u32_e32 v3, vcc, v1, v3, vcc
	global_load_ushort v1, v[2:3], off
.LBB222_6:
	s_or_b64 exec, exec, s[2:3]
	v_add_u32_e32 v36, 0x80, v46
	v_cmp_gt_u32_e64 s[2:3], s45, v36
	v_mov_b32_e32 v2, s22
	s_and_saveexec_b64 s[4:5], s[2:3]
	s_cbranch_execz .LBB222_8
; %bb.7:
	v_mul_lo_u32 v2, v36, s46
	v_mov_b32_e32 v3, 0
	v_lshlrev_b64 v[2:3], 1, v[2:3]
	v_mov_b32_e32 v4, s44
	v_add_co_u32_e32 v2, vcc, s33, v2
	v_addc_co_u32_e32 v3, vcc, v4, v3, vcc
	global_load_ushort v2, v[2:3], off
.LBB222_8:
	s_or_b64 exec, exec, s[4:5]
	v_add_u32_e32 v35, 0x100, v46
	v_cmp_gt_u32_e64 s[4:5], s45, v35
	v_mov_b32_e32 v3, s22
	s_and_saveexec_b64 s[6:7], s[4:5]
	s_cbranch_execz .LBB222_10
; %bb.9:
	v_mul_lo_u32 v4, v35, s46
	v_mov_b32_e32 v5, 0
	v_lshlrev_b64 v[4:5], 1, v[4:5]
	v_mov_b32_e32 v3, s44
	v_add_co_u32_e32 v4, vcc, s33, v4
	v_addc_co_u32_e32 v5, vcc, v3, v5, vcc
	global_load_ushort v3, v[4:5], off
.LBB222_10:
	;; [unrolled: 15-line block ×5, first 2 shown]
	s_or_b64 exec, exec, s[12:13]
	s_load_dwordx2 s[18:19], s[14:15], 0x0
	v_add_u32_e32 v26, 0x300, v46
	v_cmp_gt_u32_e64 s[12:13], s45, v26
	v_mov_b32_e32 v7, s22
	s_and_saveexec_b64 s[20:21], s[12:13]
	s_cbranch_execz .LBB222_18
; %bb.17:
	v_mul_lo_u32 v8, v26, s46
	v_mov_b32_e32 v9, 0
	v_lshlrev_b64 v[8:9], 1, v[8:9]
	v_mov_b32_e32 v7, s44
	v_add_co_u32_e32 v8, vcc, s33, v8
	v_addc_co_u32_e32 v9, vcc, v7, v9, vcc
	global_load_ushort v7, v[8:9], off
.LBB222_18:
	s_or_b64 exec, exec, s[20:21]
	s_load_dword s23, s[14:15], 0x6c
	v_add_u32_e32 v22, 0x380, v46
	v_cmp_gt_u32_e64 s[14:15], s45, v22
	v_mov_b32_e32 v8, s22
	s_and_saveexec_b64 s[20:21], s[14:15]
	s_cbranch_execz .LBB222_20
; %bb.19:
	v_mul_lo_u32 v8, v22, s46
	v_mov_b32_e32 v9, 0
	v_lshlrev_b64 v[8:9], 1, v[8:9]
	v_mov_b32_e32 v10, s44
	v_add_co_u32_e32 v8, vcc, s33, v8
	v_addc_co_u32_e32 v9, vcc, v10, v9, vcc
	global_load_ushort v8, v[8:9], off
.LBB222_20:
	s_or_b64 exec, exec, s[20:21]
	v_lshrrev_b32_e32 v34, 5, v46
	v_and_b32_e32 v9, 30, v34
	v_add_lshl_u32 v47, v9, v46, 1
	v_lshrrev_b32_e32 v32, 5, v36
	s_waitcnt vmcnt(0)
	ds_write_b16 v47, v1
	v_and_b32_e32 v1, 62, v32
	v_lshrrev_b32_e32 v31, 5, v35
	v_add_lshl_u32 v43, v1, v46, 1
	v_and_b32_e32 v1, 62, v31
	v_lshrrev_b32_e32 v29, 5, v33
	v_add_lshl_u32 v48, v1, v46, 1
	;; [unrolled: 3-line block ×5, first 2 shown]
	v_and_b32_e32 v1, 62, v23
	v_add_lshl_u32 v52, v1, v46, 1
	v_lshrrev_b32_e32 v1, 5, v22
	ds_write_b16 v43, v2 offset:256
	v_and_b32_e32 v2, 62, v1
	v_lshrrev_b32_e32 v24, 2, v46
	v_add_lshl_u32 v53, v2, v46, 1
	v_lshlrev_b32_e32 v63, 3, v46
	v_and_b32_e32 v2, 0xfe, v24
	s_waitcnt lgkmcnt(0)
	s_mul_i32 s16, s23, s16
	v_add_lshl_u32 v54, v2, v63, 1
	s_add_i32 s16, s16, s17
	s_mov_b32 s17, 0
	ds_write_b16 v48, v3 offset:512
	ds_write_b16 v49, v4 offset:768
	;; [unrolled: 1-line block ×6, first 2 shown]
	s_waitcnt lgkmcnt(0)
	s_barrier
	ds_read_b128 v[18:21], v54
	s_lshl_b64 s[20:21], s[16:17], 3
	s_add_u32 s45, s18, s20
	s_mov_b32 s16, s17
	s_addc_u32 s47, s19, s21
	s_mov_b32 s18, s17
	s_mov_b32 s19, s17
	;; [unrolled: 1-line block ×14, first 2 shown]
	v_pk_mov_b32 v[2:3], s[16:17], s[16:17] op_sel:[0,1]
	v_pk_mov_b32 v[4:5], s[18:19], s[18:19] op_sel:[0,1]
	;; [unrolled: 1-line block ×8, first 2 shown]
	v_pk_mov_b32 v[2:3], 0, 0
	v_mul_lo_u32 v44, v46, s48
	s_waitcnt lgkmcnt(0)
	s_barrier
	s_and_saveexec_b64 s[16:17], s[0:1]
	s_cbranch_execnz .LBB222_75
; %bb.21:
	s_or_b64 exec, exec, s[16:17]
	s_and_saveexec_b64 s[16:17], s[2:3]
	s_cbranch_execnz .LBB222_76
.LBB222_22:
	s_or_b64 exec, exec, s[16:17]
	s_and_saveexec_b64 s[16:17], s[4:5]
	s_cbranch_execnz .LBB222_77
.LBB222_23:
	s_or_b64 exec, exec, s[16:17]
	s_and_saveexec_b64 s[16:17], s[6:7]
	s_cbranch_execnz .LBB222_78
.LBB222_24:
	s_or_b64 exec, exec, s[16:17]
	s_and_saveexec_b64 s[16:17], s[8:9]
	s_cbranch_execnz .LBB222_79
.LBB222_25:
	s_or_b64 exec, exec, s[16:17]
	s_and_saveexec_b64 s[16:17], s[10:11]
	s_cbranch_execnz .LBB222_80
.LBB222_26:
	s_or_b64 exec, exec, s[16:17]
	s_and_saveexec_b64 s[16:17], s[12:13]
	s_cbranch_execnz .LBB222_81
.LBB222_27:
	s_or_b64 exec, exec, s[16:17]
	s_xor_b64 s[16:17], s[34:35], -1
	s_and_saveexec_b64 s[18:19], s[14:15]
	s_cbranch_execz .LBB222_29
.LBB222_28:
	v_mul_lo_u32 v16, v22, s48
	v_mov_b32_e32 v17, 0
	v_lshlrev_b64 v[16:17], 3, v[16:17]
	v_mov_b32_e32 v22, s47
	v_add_co_u32_e32 v16, vcc, s45, v16
	v_addc_co_u32_e32 v17, vcc, v22, v17, vcc
	global_load_dwordx2 v[16:17], v[16:17], off
.LBB222_29:
	s_or_b64 exec, exec, s[18:19]
	v_add_lshl_u32 v55, v34, v46, 3
	v_add_lshl_u32 v45, v32, v46, 3
	;; [unrolled: 1-line block ×9, first 2 shown]
	s_waitcnt vmcnt(0)
	ds_write_b64 v55, v[2:3]
	ds_write_b64 v45, v[4:5] offset:1024
	ds_write_b64 v56, v[6:7] offset:2048
	;; [unrolled: 1-line block ×7, first 2 shown]
	s_waitcnt lgkmcnt(0)
	s_barrier
	ds_read2_b64 v[14:17], v62 offset1:1
	ds_read2_b64 v[10:13], v62 offset0:2 offset1:3
	ds_read2_b64 v[6:9], v62 offset0:4 offset1:5
	;; [unrolled: 1-line block ×3, first 2 shown]
	s_and_b64 vcc, exec, s[16:17]
	v_bfe_u32 v65, v0, 10, 10
	v_bfe_u32 v66, v0, 20, 10
	v_mbcnt_lo_u32_b32 v67, -1, 0
	v_lshlrev_b32_e32 v64, 4, v46
	s_waitcnt lgkmcnt(0)
	s_barrier
	s_cbranch_vccz .LBB222_82
; %bb.30:
	s_movk_i32 s16, 0x8000
	v_pk_ashrrev_i16 v24, 15, v18 op_sel_hi:[0,1]
	v_or_b32_e32 v25, 0xffff8000, v24
	v_or_b32_sdwa v24, v24, s16 dst_sel:DWORD dst_unused:UNUSED_PAD src0_sel:WORD_1 src1_sel:DWORD
	v_pk_ashrrev_i16 v22, 15, v19 op_sel_hi:[0,1]
	v_xor_b32_sdwa v26, v24, v18 dst_sel:DWORD dst_unused:UNUSED_PAD src0_sel:DWORD src1_sel:WORD_1
	v_pk_ashrrev_i16 v24, 15, v21 op_sel_hi:[0,1]
	v_pk_ashrrev_i16 v28, 15, v20 op_sel_hi:[0,1]
	v_mbcnt_hi_u32_b32 v76, -1, v67
	v_and_b32_e32 v40, 0x3c0, v46
	v_or_b32_e32 v23, 0xffff8000, v22
	v_or_b32_sdwa v22, v22, s16 dst_sel:DWORD dst_unused:UNUSED_PAD src0_sel:WORD_1 src1_sel:DWORD
	v_xor_b32_e32 v27, v25, v18
	v_or_b32_e32 v25, 0xffff8000, v24
	v_or_b32_e32 v29, 0xffff8000, v28
	v_or_b32_sdwa v24, v24, s16 dst_sel:DWORD dst_unused:UNUSED_PAD src0_sel:WORD_1 src1_sel:DWORD
	v_or_b32_sdwa v28, v28, s16 dst_sel:DWORD dst_unused:UNUSED_PAD src0_sel:WORD_1 src1_sel:DWORD
	v_add_u32_e32 v0, v76, v40
	v_xor_b32_sdwa v22, v22, v19 dst_sel:DWORD dst_unused:UNUSED_PAD src0_sel:DWORD src1_sel:WORD_1
	v_xor_b32_e32 v23, v23, v19
	v_xor_b32_sdwa v28, v28, v20 dst_sel:DWORD dst_unused:UNUSED_PAD src0_sel:DWORD src1_sel:WORD_1
	v_xor_b32_sdwa v24, v24, v21 dst_sel:DWORD dst_unused:UNUSED_PAD src0_sel:DWORD src1_sel:WORD_1
	v_xor_b32_e32 v29, v29, v20
	v_xor_b32_e32 v25, v25, v21
	s_mov_b32 s16, 0x5040100
	v_lshlrev_b32_e32 v1, 4, v0
	v_perm_b32 v25, v24, v25, s16
	v_perm_b32 v24, v28, v29, s16
	;; [unrolled: 1-line block ×4, first 2 shown]
	v_and_b32_e32 v82, 0x1e00, v63
	ds_write_b128 v1, v[22:25]
	v_or_b32_e32 v1, v76, v82
	v_lshlrev_b32_e32 v22, 1, v1
	v_lshlrev_b32_e32 v0, 6, v0
	; wave barrier
	ds_read_u16 v79, v22
	ds_read_u16 v78, v22 offset:128
	ds_read_u16 v77, v22 offset:256
	;; [unrolled: 1-line block ×7, first 2 shown]
	s_waitcnt lgkmcnt(0)
	s_barrier
	ds_write2_b64 v0, v[14:15], v[16:17] offset1:1
	ds_write2_b64 v0, v[10:11], v[12:13] offset0:2 offset1:3
	ds_write2_b64 v0, v[6:7], v[8:9] offset0:4 offset1:5
	;; [unrolled: 1-line block ×3, first 2 shown]
	v_lshlrev_b32_e32 v0, 3, v1
	; wave barrier
	ds_read2st64_b64 v[34:37], v0 offset1:1
	ds_read2st64_b64 v[30:33], v0 offset0:2 offset1:3
	ds_read2st64_b64 v[26:29], v0 offset0:4 offset1:5
	;; [unrolled: 1-line block ×3, first 2 shown]
	s_waitcnt lgkmcnt(0)
	s_barrier
	s_load_dword s18, s[50:51], 0xc
	s_getpc_b64 s[16:17]
	s_add_u32 s16, s16, _ZN7rocprim17ROCPRIM_400000_NS16block_radix_sortI6__halfLj128ELj8ElLj1ELj1ELj0ELNS0_26block_radix_rank_algorithmE1ELNS0_18block_padding_hintE2ELNS0_4arch9wavefront6targetE1EE19radix_bits_per_passE@rel32@lo+4
	s_addc_u32 s17, s17, _ZN7rocprim17ROCPRIM_400000_NS16block_radix_sortI6__halfLj128ELj8ElLj1ELj1ELj0ELNS0_26block_radix_rank_algorithmE1ELNS0_18block_padding_hintE2ELNS0_4arch9wavefront6targetE1EE19radix_bits_per_passE@rel32@hi+12
	s_load_dword s40, s[16:17], 0x0
	s_movk_i32 s19, 0x7fff
	v_mov_b32_e32 v41, 0xffff8000
	s_waitcnt lgkmcnt(0)
	s_lshr_b32 s16, s18, 16
	s_and_b32 s17, s18, 0xffff
	v_mad_u32_u24 v1, v66, s16, v65
	v_mad_u64_u32 v[38:39], s[16:17], v1, s17, v[46:47]
	s_min_u32 s16, s40, 16
	s_lshl_b32 s16, -1, s16
	v_cmp_ne_u16_e32 vcc, s19, v79
	s_not_b32 s18, s16
	v_cndmask_b32_e32 v1, v41, v79, vcc
	v_lshrrev_b32_e32 v68, 6, v38
	v_and_b32_sdwa v38, s18, v1 dst_sel:DWORD dst_unused:UNUSED_PAD src0_sel:DWORD src1_sel:WORD_0
	v_lshlrev_b32_e32 v1, 1, v38
	v_add_lshl_u32 v83, v68, v1, 2
	v_and_b32_e32 v1, 1, v38
	v_add_co_u32_e32 v39, vcc, -1, v1
	v_addc_co_u32_e64 v69, s[16:17], 0, -1, vcc
	v_cmp_ne_u32_e32 vcc, 0, v1
	v_xor_b32_e32 v1, vcc_hi, v69
	v_mov_b32_e32 v0, 0
	v_and_b32_e32 v69, exec_hi, v1
	v_lshlrev_b32_e32 v1, 30, v38
	v_xor_b32_e32 v39, vcc_lo, v39
	v_cmp_gt_i64_e32 vcc, 0, v[0:1]
	v_not_b32_e32 v1, v1
	v_ashrrev_i32_e32 v1, 31, v1
	v_and_b32_e32 v39, exec_lo, v39
	v_xor_b32_e32 v70, vcc_hi, v1
	v_xor_b32_e32 v1, vcc_lo, v1
	v_and_b32_e32 v39, v39, v1
	v_lshlrev_b32_e32 v1, 29, v38
	v_cmp_gt_i64_e32 vcc, 0, v[0:1]
	v_not_b32_e32 v1, v1
	v_ashrrev_i32_e32 v1, 31, v1
	v_and_b32_e32 v69, v69, v70
	v_xor_b32_e32 v70, vcc_hi, v1
	v_xor_b32_e32 v1, vcc_lo, v1
	v_and_b32_e32 v39, v39, v1
	v_lshlrev_b32_e32 v1, 28, v38
	v_cmp_gt_i64_e32 vcc, 0, v[0:1]
	v_not_b32_e32 v1, v1
	v_ashrrev_i32_e32 v1, 31, v1
	v_and_b32_e32 v69, v69, v70
	;; [unrolled: 8-line block ×5, first 2 shown]
	v_xor_b32_e32 v70, vcc_hi, v1
	v_xor_b32_e32 v1, vcc_lo, v1
	v_and_b32_e32 v69, v69, v70
	v_and_b32_e32 v70, v39, v1
	v_lshlrev_b32_e32 v1, 24, v38
	v_cmp_gt_i64_e32 vcc, 0, v[0:1]
	v_not_b32_e32 v1, v1
	v_ashrrev_i32_e32 v1, 31, v1
	v_xor_b32_e32 v38, vcc_hi, v1
	v_xor_b32_e32 v1, vcc_lo, v1
	v_and_b32_e32 v39, v69, v38
	v_and_b32_e32 v38, v70, v1
	v_mbcnt_lo_u32_b32 v1, v38, 0
	v_mbcnt_hi_u32_b32 v84, v39, v1
	v_cmp_eq_u32_e32 vcc, 0, v84
	v_cmp_ne_u64_e64 s[16:17], 0, v[38:39]
	s_and_b64 s[20:21], s[16:17], vcc
	ds_write2_b32 v64, v0, v0 offset0:2 offset1:3
	ds_write2_b32 v64, v0, v0 offset0:4 offset1:5
	s_waitcnt lgkmcnt(0)
	s_barrier
	s_waitcnt lgkmcnt(0)
	; wave barrier
	s_and_saveexec_b64 s[16:17], s[20:21]
	s_cbranch_execz .LBB222_32
; %bb.31:
	v_bcnt_u32_b32 v1, v38, 0
	v_bcnt_u32_b32 v1, v39, v1
	ds_write_b32 v83, v1 offset:8
.LBB222_32:
	s_or_b64 exec, exec, s[16:17]
	v_cmp_ne_u16_e32 vcc, s19, v78
	v_cndmask_b32_e32 v1, v41, v78, vcc
	v_and_b32_sdwa v38, s18, v1 dst_sel:DWORD dst_unused:UNUSED_PAD src0_sel:DWORD src1_sel:WORD_0
	v_lshlrev_b32_e32 v1, 1, v38
	v_add_lshl_u32 v86, v68, v1, 2
	v_and_b32_e32 v1, 1, v38
	v_add_co_u32_e32 v39, vcc, -1, v1
	v_addc_co_u32_e64 v41, s[16:17], 0, -1, vcc
	v_cmp_ne_u32_e32 vcc, 0, v1
	v_xor_b32_e32 v1, vcc_hi, v41
	v_and_b32_e32 v41, exec_hi, v1
	v_lshlrev_b32_e32 v1, 30, v38
	v_xor_b32_e32 v39, vcc_lo, v39
	v_cmp_gt_i64_e32 vcc, 0, v[0:1]
	v_not_b32_e32 v1, v1
	v_ashrrev_i32_e32 v1, 31, v1
	v_and_b32_e32 v39, exec_lo, v39
	v_xor_b32_e32 v69, vcc_hi, v1
	v_xor_b32_e32 v1, vcc_lo, v1
	v_and_b32_e32 v39, v39, v1
	v_lshlrev_b32_e32 v1, 29, v38
	v_cmp_gt_i64_e32 vcc, 0, v[0:1]
	v_not_b32_e32 v1, v1
	v_ashrrev_i32_e32 v1, 31, v1
	v_and_b32_e32 v41, v41, v69
	v_xor_b32_e32 v69, vcc_hi, v1
	v_xor_b32_e32 v1, vcc_lo, v1
	v_and_b32_e32 v39, v39, v1
	v_lshlrev_b32_e32 v1, 28, v38
	v_cmp_gt_i64_e32 vcc, 0, v[0:1]
	v_not_b32_e32 v1, v1
	v_ashrrev_i32_e32 v1, 31, v1
	v_and_b32_e32 v41, v41, v69
	;; [unrolled: 8-line block ×5, first 2 shown]
	v_xor_b32_e32 v69, vcc_hi, v1
	v_xor_b32_e32 v1, vcc_lo, v1
	v_and_b32_e32 v39, v39, v1
	v_lshlrev_b32_e32 v1, 24, v38
	v_cmp_gt_i64_e32 vcc, 0, v[0:1]
	v_not_b32_e32 v0, v1
	v_ashrrev_i32_e32 v0, 31, v0
	v_xor_b32_e32 v1, vcc_hi, v0
	v_xor_b32_e32 v0, vcc_lo, v0
	; wave barrier
	ds_read_b32 v85, v86 offset:8
	v_and_b32_e32 v41, v41, v69
	v_and_b32_e32 v0, v39, v0
	v_and_b32_e32 v1, v41, v1
	v_mbcnt_lo_u32_b32 v38, v0, 0
	v_mbcnt_hi_u32_b32 v87, v1, v38
	v_cmp_eq_u32_e32 vcc, 0, v87
	v_cmp_ne_u64_e64 s[16:17], 0, v[0:1]
	s_and_b64 s[20:21], s[16:17], vcc
	; wave barrier
	s_and_saveexec_b64 s[16:17], s[20:21]
	s_cbranch_execz .LBB222_34
; %bb.33:
	v_bcnt_u32_b32 v0, v0, 0
	v_bcnt_u32_b32 v0, v1, v0
	s_waitcnt lgkmcnt(0)
	v_add_u32_e32 v0, v85, v0
	ds_write_b32 v86, v0 offset:8
.LBB222_34:
	s_or_b64 exec, exec, s[16:17]
	v_mov_b32_e32 v41, 0xffff8000
	v_cmp_ne_u16_e32 vcc, s19, v77
	v_cndmask_b32_e32 v0, v41, v77, vcc
	v_and_b32_sdwa v38, s18, v0 dst_sel:DWORD dst_unused:UNUSED_PAD src0_sel:DWORD src1_sel:WORD_0
	v_and_b32_e32 v1, 1, v38
	v_add_co_u32_e32 v39, vcc, -1, v1
	v_addc_co_u32_e64 v69, s[16:17], 0, -1, vcc
	v_cmp_ne_u32_e32 vcc, 0, v1
	v_lshlrev_b32_e32 v0, 1, v38
	v_xor_b32_e32 v1, vcc_hi, v69
	v_add_lshl_u32 v89, v68, v0, 2
	v_mov_b32_e32 v0, 0
	v_and_b32_e32 v69, exec_hi, v1
	v_lshlrev_b32_e32 v1, 30, v38
	v_xor_b32_e32 v39, vcc_lo, v39
	v_cmp_gt_i64_e32 vcc, 0, v[0:1]
	v_not_b32_e32 v1, v1
	v_ashrrev_i32_e32 v1, 31, v1
	v_and_b32_e32 v39, exec_lo, v39
	v_xor_b32_e32 v70, vcc_hi, v1
	v_xor_b32_e32 v1, vcc_lo, v1
	v_and_b32_e32 v39, v39, v1
	v_lshlrev_b32_e32 v1, 29, v38
	v_cmp_gt_i64_e32 vcc, 0, v[0:1]
	v_not_b32_e32 v1, v1
	v_ashrrev_i32_e32 v1, 31, v1
	v_and_b32_e32 v69, v69, v70
	v_xor_b32_e32 v70, vcc_hi, v1
	v_xor_b32_e32 v1, vcc_lo, v1
	v_and_b32_e32 v39, v39, v1
	v_lshlrev_b32_e32 v1, 28, v38
	v_cmp_gt_i64_e32 vcc, 0, v[0:1]
	v_not_b32_e32 v1, v1
	v_ashrrev_i32_e32 v1, 31, v1
	v_and_b32_e32 v69, v69, v70
	;; [unrolled: 8-line block ×5, first 2 shown]
	v_xor_b32_e32 v70, vcc_hi, v1
	v_xor_b32_e32 v1, vcc_lo, v1
	v_and_b32_e32 v69, v69, v70
	v_and_b32_e32 v70, v39, v1
	v_lshlrev_b32_e32 v1, 24, v38
	v_cmp_gt_i64_e32 vcc, 0, v[0:1]
	v_not_b32_e32 v1, v1
	v_ashrrev_i32_e32 v1, 31, v1
	v_xor_b32_e32 v38, vcc_hi, v1
	v_xor_b32_e32 v1, vcc_lo, v1
	; wave barrier
	ds_read_b32 v88, v89 offset:8
	v_and_b32_e32 v39, v69, v38
	v_and_b32_e32 v38, v70, v1
	v_mbcnt_lo_u32_b32 v1, v38, 0
	v_mbcnt_hi_u32_b32 v90, v39, v1
	v_cmp_eq_u32_e32 vcc, 0, v90
	v_cmp_ne_u64_e64 s[16:17], 0, v[38:39]
	s_and_b64 s[20:21], s[16:17], vcc
	; wave barrier
	s_and_saveexec_b64 s[16:17], s[20:21]
	s_cbranch_execz .LBB222_36
; %bb.35:
	v_bcnt_u32_b32 v1, v38, 0
	v_bcnt_u32_b32 v1, v39, v1
	s_waitcnt lgkmcnt(0)
	v_add_u32_e32 v1, v88, v1
	ds_write_b32 v89, v1 offset:8
.LBB222_36:
	s_or_b64 exec, exec, s[16:17]
	v_cmp_ne_u16_e32 vcc, s19, v75
	v_cndmask_b32_e32 v1, v41, v75, vcc
	v_and_b32_sdwa v38, s18, v1 dst_sel:DWORD dst_unused:UNUSED_PAD src0_sel:DWORD src1_sel:WORD_0
	v_lshlrev_b32_e32 v1, 1, v38
	v_add_lshl_u32 v92, v68, v1, 2
	v_and_b32_e32 v1, 1, v38
	v_add_co_u32_e32 v39, vcc, -1, v1
	v_addc_co_u32_e64 v41, s[16:17], 0, -1, vcc
	v_cmp_ne_u32_e32 vcc, 0, v1
	v_xor_b32_e32 v1, vcc_hi, v41
	v_and_b32_e32 v41, exec_hi, v1
	v_lshlrev_b32_e32 v1, 30, v38
	v_xor_b32_e32 v39, vcc_lo, v39
	v_cmp_gt_i64_e32 vcc, 0, v[0:1]
	v_not_b32_e32 v1, v1
	v_ashrrev_i32_e32 v1, 31, v1
	v_and_b32_e32 v39, exec_lo, v39
	v_xor_b32_e32 v69, vcc_hi, v1
	v_xor_b32_e32 v1, vcc_lo, v1
	v_and_b32_e32 v39, v39, v1
	v_lshlrev_b32_e32 v1, 29, v38
	v_cmp_gt_i64_e32 vcc, 0, v[0:1]
	v_not_b32_e32 v1, v1
	v_ashrrev_i32_e32 v1, 31, v1
	v_and_b32_e32 v41, v41, v69
	v_xor_b32_e32 v69, vcc_hi, v1
	v_xor_b32_e32 v1, vcc_lo, v1
	v_and_b32_e32 v39, v39, v1
	v_lshlrev_b32_e32 v1, 28, v38
	v_cmp_gt_i64_e32 vcc, 0, v[0:1]
	v_not_b32_e32 v1, v1
	v_ashrrev_i32_e32 v1, 31, v1
	v_and_b32_e32 v41, v41, v69
	;; [unrolled: 8-line block ×5, first 2 shown]
	v_xor_b32_e32 v69, vcc_hi, v1
	v_xor_b32_e32 v1, vcc_lo, v1
	v_and_b32_e32 v39, v39, v1
	v_lshlrev_b32_e32 v1, 24, v38
	v_cmp_gt_i64_e32 vcc, 0, v[0:1]
	v_not_b32_e32 v0, v1
	v_ashrrev_i32_e32 v0, 31, v0
	v_xor_b32_e32 v1, vcc_hi, v0
	v_xor_b32_e32 v0, vcc_lo, v0
	; wave barrier
	ds_read_b32 v91, v92 offset:8
	v_and_b32_e32 v41, v41, v69
	v_and_b32_e32 v0, v39, v0
	;; [unrolled: 1-line block ×3, first 2 shown]
	v_mbcnt_lo_u32_b32 v38, v0, 0
	v_mbcnt_hi_u32_b32 v93, v1, v38
	v_cmp_eq_u32_e32 vcc, 0, v93
	v_cmp_ne_u64_e64 s[16:17], 0, v[0:1]
	s_and_b64 s[20:21], s[16:17], vcc
	; wave barrier
	s_and_saveexec_b64 s[16:17], s[20:21]
	s_cbranch_execz .LBB222_38
; %bb.37:
	v_bcnt_u32_b32 v0, v0, 0
	v_bcnt_u32_b32 v0, v1, v0
	s_waitcnt lgkmcnt(0)
	v_add_u32_e32 v0, v91, v0
	ds_write_b32 v92, v0 offset:8
.LBB222_38:
	s_or_b64 exec, exec, s[16:17]
	v_mov_b32_e32 v41, 0xffff8000
	v_cmp_ne_u16_e32 vcc, s19, v74
	v_cndmask_b32_e32 v0, v41, v74, vcc
	v_and_b32_sdwa v38, s18, v0 dst_sel:DWORD dst_unused:UNUSED_PAD src0_sel:DWORD src1_sel:WORD_0
	v_and_b32_e32 v1, 1, v38
	v_add_co_u32_e32 v39, vcc, -1, v1
	v_addc_co_u32_e64 v69, s[16:17], 0, -1, vcc
	v_cmp_ne_u32_e32 vcc, 0, v1
	v_lshlrev_b32_e32 v0, 1, v38
	v_xor_b32_e32 v1, vcc_hi, v69
	v_add_lshl_u32 v95, v68, v0, 2
	v_mov_b32_e32 v0, 0
	v_and_b32_e32 v69, exec_hi, v1
	v_lshlrev_b32_e32 v1, 30, v38
	v_xor_b32_e32 v39, vcc_lo, v39
	v_cmp_gt_i64_e32 vcc, 0, v[0:1]
	v_not_b32_e32 v1, v1
	v_ashrrev_i32_e32 v1, 31, v1
	v_and_b32_e32 v39, exec_lo, v39
	v_xor_b32_e32 v70, vcc_hi, v1
	v_xor_b32_e32 v1, vcc_lo, v1
	v_and_b32_e32 v39, v39, v1
	v_lshlrev_b32_e32 v1, 29, v38
	v_cmp_gt_i64_e32 vcc, 0, v[0:1]
	v_not_b32_e32 v1, v1
	v_ashrrev_i32_e32 v1, 31, v1
	v_and_b32_e32 v69, v69, v70
	v_xor_b32_e32 v70, vcc_hi, v1
	v_xor_b32_e32 v1, vcc_lo, v1
	v_and_b32_e32 v39, v39, v1
	v_lshlrev_b32_e32 v1, 28, v38
	v_cmp_gt_i64_e32 vcc, 0, v[0:1]
	v_not_b32_e32 v1, v1
	v_ashrrev_i32_e32 v1, 31, v1
	v_and_b32_e32 v69, v69, v70
	;; [unrolled: 8-line block ×5, first 2 shown]
	v_xor_b32_e32 v70, vcc_hi, v1
	v_xor_b32_e32 v1, vcc_lo, v1
	v_and_b32_e32 v69, v69, v70
	v_and_b32_e32 v70, v39, v1
	v_lshlrev_b32_e32 v1, 24, v38
	v_cmp_gt_i64_e32 vcc, 0, v[0:1]
	v_not_b32_e32 v1, v1
	v_ashrrev_i32_e32 v1, 31, v1
	v_xor_b32_e32 v38, vcc_hi, v1
	v_xor_b32_e32 v1, vcc_lo, v1
	; wave barrier
	ds_read_b32 v94, v95 offset:8
	v_and_b32_e32 v39, v69, v38
	v_and_b32_e32 v38, v70, v1
	v_mbcnt_lo_u32_b32 v1, v38, 0
	v_mbcnt_hi_u32_b32 v96, v39, v1
	v_cmp_eq_u32_e32 vcc, 0, v96
	v_cmp_ne_u64_e64 s[16:17], 0, v[38:39]
	s_and_b64 s[20:21], s[16:17], vcc
	; wave barrier
	s_and_saveexec_b64 s[16:17], s[20:21]
	s_cbranch_execz .LBB222_40
; %bb.39:
	v_bcnt_u32_b32 v1, v38, 0
	v_bcnt_u32_b32 v1, v39, v1
	s_waitcnt lgkmcnt(0)
	v_add_u32_e32 v1, v94, v1
	ds_write_b32 v95, v1 offset:8
.LBB222_40:
	s_or_b64 exec, exec, s[16:17]
	v_cmp_ne_u16_e32 vcc, s19, v73
	v_cndmask_b32_e32 v1, v41, v73, vcc
	v_and_b32_sdwa v38, s18, v1 dst_sel:DWORD dst_unused:UNUSED_PAD src0_sel:DWORD src1_sel:WORD_0
	v_lshlrev_b32_e32 v1, 1, v38
	v_add_lshl_u32 v98, v68, v1, 2
	v_and_b32_e32 v1, 1, v38
	v_add_co_u32_e32 v39, vcc, -1, v1
	v_addc_co_u32_e64 v41, s[16:17], 0, -1, vcc
	v_cmp_ne_u32_e32 vcc, 0, v1
	v_xor_b32_e32 v1, vcc_hi, v41
	v_and_b32_e32 v41, exec_hi, v1
	v_lshlrev_b32_e32 v1, 30, v38
	v_xor_b32_e32 v39, vcc_lo, v39
	v_cmp_gt_i64_e32 vcc, 0, v[0:1]
	v_not_b32_e32 v1, v1
	v_ashrrev_i32_e32 v1, 31, v1
	v_and_b32_e32 v39, exec_lo, v39
	v_xor_b32_e32 v69, vcc_hi, v1
	v_xor_b32_e32 v1, vcc_lo, v1
	v_and_b32_e32 v39, v39, v1
	v_lshlrev_b32_e32 v1, 29, v38
	v_cmp_gt_i64_e32 vcc, 0, v[0:1]
	v_not_b32_e32 v1, v1
	v_ashrrev_i32_e32 v1, 31, v1
	v_and_b32_e32 v41, v41, v69
	v_xor_b32_e32 v69, vcc_hi, v1
	v_xor_b32_e32 v1, vcc_lo, v1
	v_and_b32_e32 v39, v39, v1
	v_lshlrev_b32_e32 v1, 28, v38
	v_cmp_gt_i64_e32 vcc, 0, v[0:1]
	v_not_b32_e32 v1, v1
	v_ashrrev_i32_e32 v1, 31, v1
	v_and_b32_e32 v41, v41, v69
	;; [unrolled: 8-line block ×5, first 2 shown]
	v_xor_b32_e32 v69, vcc_hi, v1
	v_xor_b32_e32 v1, vcc_lo, v1
	v_and_b32_e32 v39, v39, v1
	v_lshlrev_b32_e32 v1, 24, v38
	v_cmp_gt_i64_e32 vcc, 0, v[0:1]
	v_not_b32_e32 v0, v1
	v_ashrrev_i32_e32 v0, 31, v0
	v_xor_b32_e32 v1, vcc_hi, v0
	v_xor_b32_e32 v0, vcc_lo, v0
	; wave barrier
	ds_read_b32 v97, v98 offset:8
	v_and_b32_e32 v41, v41, v69
	v_and_b32_e32 v0, v39, v0
	;; [unrolled: 1-line block ×3, first 2 shown]
	v_mbcnt_lo_u32_b32 v38, v0, 0
	v_mbcnt_hi_u32_b32 v99, v1, v38
	v_cmp_eq_u32_e32 vcc, 0, v99
	v_cmp_ne_u64_e64 s[16:17], 0, v[0:1]
	s_and_b64 s[20:21], s[16:17], vcc
	; wave barrier
	s_and_saveexec_b64 s[16:17], s[20:21]
	s_cbranch_execz .LBB222_42
; %bb.41:
	v_bcnt_u32_b32 v0, v0, 0
	v_bcnt_u32_b32 v0, v1, v0
	s_waitcnt lgkmcnt(0)
	v_add_u32_e32 v0, v97, v0
	ds_write_b32 v98, v0 offset:8
.LBB222_42:
	s_or_b64 exec, exec, s[16:17]
	v_mov_b32_e32 v41, 0xffff8000
	v_cmp_ne_u16_e32 vcc, s19, v72
	v_cndmask_b32_e32 v0, v41, v72, vcc
	v_and_b32_sdwa v38, s18, v0 dst_sel:DWORD dst_unused:UNUSED_PAD src0_sel:DWORD src1_sel:WORD_0
	v_and_b32_e32 v1, 1, v38
	v_add_co_u32_e32 v39, vcc, -1, v1
	v_addc_co_u32_e64 v69, s[16:17], 0, -1, vcc
	v_cmp_ne_u32_e32 vcc, 0, v1
	v_lshlrev_b32_e32 v0, 1, v38
	v_xor_b32_e32 v1, vcc_hi, v69
	v_add_lshl_u32 v101, v68, v0, 2
	v_mov_b32_e32 v0, 0
	v_and_b32_e32 v69, exec_hi, v1
	v_lshlrev_b32_e32 v1, 30, v38
	v_xor_b32_e32 v39, vcc_lo, v39
	v_cmp_gt_i64_e32 vcc, 0, v[0:1]
	v_not_b32_e32 v1, v1
	v_ashrrev_i32_e32 v1, 31, v1
	v_and_b32_e32 v39, exec_lo, v39
	v_xor_b32_e32 v70, vcc_hi, v1
	v_xor_b32_e32 v1, vcc_lo, v1
	v_and_b32_e32 v39, v39, v1
	v_lshlrev_b32_e32 v1, 29, v38
	v_cmp_gt_i64_e32 vcc, 0, v[0:1]
	v_not_b32_e32 v1, v1
	v_ashrrev_i32_e32 v1, 31, v1
	v_and_b32_e32 v69, v69, v70
	v_xor_b32_e32 v70, vcc_hi, v1
	v_xor_b32_e32 v1, vcc_lo, v1
	v_and_b32_e32 v39, v39, v1
	v_lshlrev_b32_e32 v1, 28, v38
	v_cmp_gt_i64_e32 vcc, 0, v[0:1]
	v_not_b32_e32 v1, v1
	v_ashrrev_i32_e32 v1, 31, v1
	v_and_b32_e32 v69, v69, v70
	;; [unrolled: 8-line block ×5, first 2 shown]
	v_xor_b32_e32 v70, vcc_hi, v1
	v_xor_b32_e32 v1, vcc_lo, v1
	v_and_b32_e32 v69, v69, v70
	v_and_b32_e32 v70, v39, v1
	v_lshlrev_b32_e32 v1, 24, v38
	v_cmp_gt_i64_e32 vcc, 0, v[0:1]
	v_not_b32_e32 v1, v1
	v_ashrrev_i32_e32 v1, 31, v1
	v_xor_b32_e32 v38, vcc_hi, v1
	v_xor_b32_e32 v1, vcc_lo, v1
	; wave barrier
	ds_read_b32 v100, v101 offset:8
	v_and_b32_e32 v39, v69, v38
	v_and_b32_e32 v38, v70, v1
	v_mbcnt_lo_u32_b32 v1, v38, 0
	v_mbcnt_hi_u32_b32 v102, v39, v1
	v_cmp_eq_u32_e32 vcc, 0, v102
	v_cmp_ne_u64_e64 s[16:17], 0, v[38:39]
	s_and_b64 s[20:21], s[16:17], vcc
	; wave barrier
	s_and_saveexec_b64 s[16:17], s[20:21]
	s_cbranch_execz .LBB222_44
; %bb.43:
	v_bcnt_u32_b32 v1, v38, 0
	v_bcnt_u32_b32 v1, v39, v1
	s_waitcnt lgkmcnt(0)
	v_add_u32_e32 v1, v100, v1
	ds_write_b32 v101, v1 offset:8
.LBB222_44:
	s_or_b64 exec, exec, s[16:17]
	v_cmp_ne_u16_e32 vcc, s19, v71
	v_cndmask_b32_e32 v1, v41, v71, vcc
	v_and_b32_sdwa v38, s18, v1 dst_sel:DWORD dst_unused:UNUSED_PAD src0_sel:DWORD src1_sel:WORD_0
	v_lshlrev_b32_e32 v1, 1, v38
	v_add_lshl_u32 v104, v68, v1, 2
	v_and_b32_e32 v1, 1, v38
	v_add_co_u32_e32 v39, vcc, -1, v1
	v_min_u32_e32 v80, 64, v40
	v_addc_co_u32_e64 v40, s[16:17], 0, -1, vcc
	v_cmp_ne_u32_e32 vcc, 0, v1
	v_xor_b32_e32 v1, vcc_hi, v40
	v_and_b32_e32 v40, exec_hi, v1
	v_lshlrev_b32_e32 v1, 30, v38
	v_xor_b32_e32 v39, vcc_lo, v39
	v_cmp_gt_i64_e32 vcc, 0, v[0:1]
	v_not_b32_e32 v1, v1
	v_ashrrev_i32_e32 v1, 31, v1
	v_and_b32_e32 v39, exec_lo, v39
	v_xor_b32_e32 v41, vcc_hi, v1
	v_xor_b32_e32 v1, vcc_lo, v1
	v_and_b32_e32 v39, v39, v1
	v_lshlrev_b32_e32 v1, 29, v38
	v_cmp_gt_i64_e32 vcc, 0, v[0:1]
	v_not_b32_e32 v1, v1
	v_ashrrev_i32_e32 v1, 31, v1
	v_and_b32_e32 v40, v40, v41
	v_xor_b32_e32 v41, vcc_hi, v1
	v_xor_b32_e32 v1, vcc_lo, v1
	v_and_b32_e32 v39, v39, v1
	v_lshlrev_b32_e32 v1, 28, v38
	v_cmp_gt_i64_e32 vcc, 0, v[0:1]
	v_not_b32_e32 v1, v1
	v_ashrrev_i32_e32 v1, 31, v1
	v_and_b32_e32 v40, v40, v41
	;; [unrolled: 8-line block ×5, first 2 shown]
	v_xor_b32_e32 v41, vcc_hi, v1
	v_xor_b32_e32 v1, vcc_lo, v1
	v_and_b32_e32 v39, v39, v1
	v_lshlrev_b32_e32 v1, 24, v38
	v_cmp_gt_i64_e32 vcc, 0, v[0:1]
	v_not_b32_e32 v0, v1
	v_ashrrev_i32_e32 v0, 31, v0
	v_xor_b32_e32 v1, vcc_hi, v0
	v_xor_b32_e32 v0, vcc_lo, v0
	; wave barrier
	ds_read_b32 v103, v104 offset:8
	v_and_b32_e32 v40, v40, v41
	v_and_b32_e32 v0, v39, v0
	;; [unrolled: 1-line block ×3, first 2 shown]
	v_mbcnt_lo_u32_b32 v38, v0, 0
	v_mbcnt_hi_u32_b32 v105, v1, v38
	v_cmp_eq_u32_e32 vcc, 0, v105
	v_cmp_ne_u64_e64 s[16:17], 0, v[0:1]
	v_or_b32_e32 v69, 8, v64
	v_lshrrev_b32_e32 v70, 6, v46
	s_and_b64 s[18:19], s[16:17], vcc
	; wave barrier
	s_and_saveexec_b64 s[16:17], s[18:19]
	s_cbranch_execz .LBB222_46
; %bb.45:
	v_bcnt_u32_b32 v0, v0, 0
	v_bcnt_u32_b32 v0, v1, v0
	s_waitcnt lgkmcnt(0)
	v_add_u32_e32 v0, v103, v0
	ds_write_b32 v104, v0 offset:8
.LBB222_46:
	s_or_b64 exec, exec, s[16:17]
	; wave barrier
	s_waitcnt lgkmcnt(0)
	s_barrier
	ds_read2_b32 v[38:39], v64 offset0:2 offset1:3
	ds_read2_b32 v[40:41], v69 offset0:2 offset1:3
	v_and_b32_e32 v1, 16, v76
	v_cmp_eq_u32_e32 vcc, 0, v1
	v_or_b32_e32 v1, 63, v80
	v_cmp_eq_u32_e64 s[16:17], v1, v46
	s_waitcnt lgkmcnt(1)
	v_add_u32_e32 v1, v39, v38
	v_and_b32_e32 v0, 15, v76
	s_waitcnt lgkmcnt(0)
	v_add3_u32 v1, v1, v40, v41
	v_cmp_eq_u32_e64 s[20:21], 0, v0
	v_cmp_lt_u32_e64 s[22:23], 1, v0
	v_mov_b32_dpp v41, v1 row_shr:1 row_mask:0xf bank_mask:0xf
	v_cndmask_b32_e64 v41, v41, 0, s[20:21]
	v_add_u32_e32 v1, v41, v1
	v_cmp_lt_u32_e64 s[26:27], 3, v0
	v_cmp_lt_u32_e64 s[28:29], 7, v0
	v_mov_b32_dpp v41, v1 row_shr:2 row_mask:0xf bank_mask:0xf
	v_cndmask_b32_e64 v41, 0, v41, s[22:23]
	v_add_u32_e32 v1, v1, v41
	v_bfe_i32 v81, v76, 4, 1
	v_cmp_lt_u32_e64 s[34:35], 31, v76
	v_mov_b32_dpp v41, v1 row_shr:4 row_mask:0xf bank_mask:0xf
	v_cndmask_b32_e64 v41, 0, v41, s[26:27]
	v_add_u32_e32 v1, v1, v41
	v_lshlrev_b32_e32 v70, 2, v70
	s_nop 0
	v_mov_b32_dpp v41, v1 row_shr:8 row_mask:0xf bank_mask:0xf
	v_cndmask_b32_e64 v0, 0, v41, s[28:29]
	v_add_u32_e32 v0, v1, v0
	s_nop 1
	v_mov_b32_dpp v1, v0 row_bcast:15 row_mask:0xf bank_mask:0xf
	v_and_b32_e32 v1, v81, v1
	v_add_u32_e32 v0, v0, v1
	s_nop 1
	v_mov_b32_dpp v1, v0 row_bcast:31 row_mask:0xf bank_mask:0xf
	v_cndmask_b32_e64 v1, 0, v1, s[34:35]
	v_add_u32_e32 v1, v0, v1
	s_and_saveexec_b64 s[18:19], s[16:17]
	s_cbranch_execz .LBB222_48
; %bb.47:
	ds_write_b32 v70, v1
.LBB222_48:
	s_or_b64 exec, exec, s[18:19]
	v_and_b32_e32 v0, 1, v76
	v_cmp_gt_u32_e64 s[24:25], 2, v46
	v_lshlrev_b32_e32 v41, 2, v46
	v_cmp_eq_u32_e64 s[18:19], 0, v0
	s_waitcnt lgkmcnt(0)
	s_barrier
	s_and_saveexec_b64 s[30:31], s[24:25]
	s_cbranch_execz .LBB222_50
; %bb.49:
	ds_read_b32 v0, v41
	s_waitcnt lgkmcnt(0)
	s_nop 0
	v_mov_b32_dpp v80, v0 row_shr:1 row_mask:0xf bank_mask:0xf
	v_cndmask_b32_e64 v80, v80, 0, s[18:19]
	v_add_u32_e32 v0, v80, v0
	ds_write_b32 v41, v0
.LBB222_50:
	s_or_b64 exec, exec, s[30:31]
	v_cmp_lt_u32_e64 s[30:31], 63, v46
	v_add_u32_e32 v80, -4, v70
	v_mov_b32_e32 v0, 0
	v_mov_b32_e32 v106, 0
	s_waitcnt lgkmcnt(0)
	s_barrier
	s_and_saveexec_b64 s[36:37], s[30:31]
	s_cbranch_execz .LBB222_52
; %bb.51:
	ds_read_b32 v106, v80
.LBB222_52:
	s_or_b64 exec, exec, s[36:37]
	v_add_u32_e32 v81, -1, v76
	v_and_b32_e32 v107, 64, v76
	v_cmp_lt_i32_e64 s[36:37], v81, v107
	v_cndmask_b32_e64 v81, v81, v76, s[36:37]
	v_lshlrev_b32_e32 v81, 2, v81
	s_waitcnt lgkmcnt(0)
	v_add_u32_e32 v1, v106, v1
	ds_bpermute_b32 v1, v81, v1
	v_cmp_eq_u32_e64 s[36:37], 0, v76
	v_cmp_eq_u32_e64 s[38:39], 0, v46
	v_and_or_b32 v82, v76, 63, v82
	v_lshlrev_b32_e32 v107, 1, v82
	s_waitcnt lgkmcnt(0)
	v_cndmask_b32_e64 v1, v1, v106, s[36:37]
	v_cndmask_b32_e64 v1, v1, 0, s[38:39]
	v_add_u32_e32 v38, v1, v38
	v_add_u32_e32 v39, v38, v39
	v_add_u32_e32 v40, v39, v40
	ds_write2_b32 v64, v1, v38 offset0:2 offset1:3
	ds_write2_b32 v69, v39, v40 offset0:2 offset1:3
	s_waitcnt lgkmcnt(0)
	s_barrier
	ds_read_b32 v1, v83 offset:8
	ds_read_b32 v38, v86 offset:8
	;; [unrolled: 1-line block ×8, first 2 shown]
	s_waitcnt lgkmcnt(7)
	v_add_u32_e32 v1, v1, v84
	s_waitcnt lgkmcnt(6)
	v_add3_u32 v38, v87, v85, v38
	s_waitcnt lgkmcnt(4)
	v_add3_u32 v84, v93, v91, v40
	v_lshlrev_b32_e32 v40, 1, v1
	v_add3_u32 v39, v90, v88, v39
	s_waitcnt lgkmcnt(0)
	s_barrier
	ds_write_b16 v40, v79
	v_lshlrev_b32_e32 v40, 1, v38
	ds_write_b16 v40, v78
	v_lshlrev_b32_e32 v40, 1, v39
	v_add3_u32 v85, v96, v94, v76
	ds_write_b16 v40, v77
	v_lshlrev_b32_e32 v40, 1, v84
	v_add3_u32 v83, v99, v97, v83
	ds_write_b16 v40, v75
	v_lshlrev_b32_e32 v40, 1, v85
	v_add3_u32 v86, v102, v100, v86
	ds_write_b16 v40, v74
	v_lshlrev_b32_e32 v40, 1, v83
	v_add3_u32 v87, v105, v103, v89
	ds_write_b16 v40, v73
	v_lshlrev_b32_e32 v40, 1, v86
	ds_write_b16 v40, v72
	v_lshlrev_b32_e32 v40, 1, v87
	v_lshlrev_b32_e32 v1, 3, v1
	ds_write_b16 v40, v71
	s_waitcnt lgkmcnt(0)
	s_barrier
	ds_read_u16 v77, v107
	ds_read_u16 v76, v107 offset:128
	ds_read_u16 v75, v107 offset:256
	;; [unrolled: 1-line block ×7, first 2 shown]
	s_waitcnt lgkmcnt(0)
	s_barrier
	ds_write_b64 v1, v[34:35]
	v_lshlrev_b32_e32 v1, 3, v38
	ds_write_b64 v1, v[36:37]
	v_lshlrev_b32_e32 v1, 3, v39
	;; [unrolled: 2-line block ×6, first 2 shown]
	s_min_u32 s40, s40, 8
	ds_write_b64 v1, v[22:23]
	v_lshlrev_b32_e32 v1, 3, v87
	s_lshl_b32 s40, -1, s40
	s_movk_i32 s52, 0x7fff
	ds_write_b64 v1, v[24:25]
	s_not_b32 s49, s40
	v_lshrrev_b16_e32 v1, 8, v77
	v_mov_b32_e32 v38, 0x80
	v_cmp_ne_u16_e64 s[40:41], s52, v77
	v_cndmask_b32_e64 v1, v38, v1, s[40:41]
	v_and_b32_sdwa v39, v1, s49 dst_sel:DWORD dst_unused:UNUSED_PAD src0_sel:WORD_0 src1_sel:DWORD
	v_lshlrev_b32_e32 v1, 1, v39
	v_add_lshl_u32 v78, v1, v68, 2
	v_and_b32_e32 v1, 1, v39
	v_lshlrev_b32_e32 v82, 3, v82
	v_add_co_u32_e64 v79, s[40:41], -1, v1
	s_waitcnt lgkmcnt(0)
	s_barrier
	ds_read2st64_b64 v[34:37], v82 offset1:1
	ds_read2st64_b64 v[30:33], v82 offset0:2 offset1:3
	ds_read2st64_b64 v[26:29], v82 offset0:4 offset1:5
	;; [unrolled: 1-line block ×3, first 2 shown]
	v_addc_co_u32_e64 v82, s[40:41], 0, -1, s[40:41]
	v_cmp_ne_u32_e64 s[40:41], 0, v1
	v_xor_b32_e32 v1, s41, v82
	v_and_b32_e32 v82, exec_hi, v1
	v_lshlrev_b32_e32 v1, 30, v39
	v_xor_b32_e32 v79, s40, v79
	v_cmp_gt_i64_e64 s[40:41], 0, v[0:1]
	v_not_b32_e32 v1, v1
	v_ashrrev_i32_e32 v1, 31, v1
	v_and_b32_e32 v79, exec_lo, v79
	v_xor_b32_e32 v83, s41, v1
	v_xor_b32_e32 v1, s40, v1
	v_and_b32_e32 v79, v79, v1
	v_lshlrev_b32_e32 v1, 29, v39
	v_cmp_gt_i64_e64 s[40:41], 0, v[0:1]
	v_not_b32_e32 v1, v1
	v_ashrrev_i32_e32 v1, 31, v1
	v_and_b32_e32 v82, v82, v83
	v_xor_b32_e32 v83, s41, v1
	v_xor_b32_e32 v1, s40, v1
	v_and_b32_e32 v79, v79, v1
	v_lshlrev_b32_e32 v1, 28, v39
	v_cmp_gt_i64_e64 s[40:41], 0, v[0:1]
	v_not_b32_e32 v1, v1
	v_ashrrev_i32_e32 v1, 31, v1
	v_and_b32_e32 v82, v82, v83
	;; [unrolled: 8-line block ×5, first 2 shown]
	v_xor_b32_e32 v83, s41, v1
	v_xor_b32_e32 v1, s40, v1
	v_and_b32_e32 v79, v79, v1
	v_lshlrev_b32_e32 v1, 24, v39
	s_waitcnt lgkmcnt(0)
	s_barrier
	ds_write2_b32 v64, v0, v0 offset0:2 offset1:3
	ds_write2_b32 v69, v0, v0 offset0:2 offset1:3
	v_cmp_gt_i64_e64 s[40:41], 0, v[0:1]
	v_not_b32_e32 v0, v1
	v_ashrrev_i32_e32 v0, 31, v0
	v_xor_b32_e32 v1, s41, v0
	v_xor_b32_e32 v0, s40, v0
	v_and_b32_e32 v82, v82, v83
	v_and_b32_e32 v0, v79, v0
	;; [unrolled: 1-line block ×3, first 2 shown]
	v_mbcnt_lo_u32_b32 v39, v0, 0
	v_mbcnt_hi_u32_b32 v79, v1, v39
	v_cmp_eq_u32_e64 s[40:41], 0, v79
	v_cmp_ne_u64_e64 s[42:43], 0, v[0:1]
	s_and_b64 s[42:43], s[42:43], s[40:41]
	s_waitcnt lgkmcnt(0)
	s_barrier
	s_waitcnt lgkmcnt(0)
	; wave barrier
	s_and_saveexec_b64 s[40:41], s[42:43]
	s_cbranch_execz .LBB222_54
; %bb.53:
	v_bcnt_u32_b32 v0, v0, 0
	v_bcnt_u32_b32 v0, v1, v0
	ds_write_b32 v78, v0 offset:8
.LBB222_54:
	s_or_b64 exec, exec, s[40:41]
	v_lshrrev_b16_e32 v0, 8, v76
	v_cmp_ne_u16_e64 s[40:41], s52, v76
	v_cndmask_b32_e64 v0, v38, v0, s[40:41]
	v_and_b32_e32 v38, s49, v0
	v_and_b32_e32 v1, 1, v38
	v_add_co_u32_e64 v39, s[40:41], -1, v1
	v_addc_co_u32_e64 v84, s[40:41], 0, -1, s[40:41]
	v_cmp_ne_u32_e64 s[40:41], 0, v1
	v_lshlrev_b32_e32 v0, 1, v38
	v_xor_b32_e32 v1, s41, v84
	v_add_lshl_u32 v83, v0, v68, 2
	v_mov_b32_e32 v0, 0
	v_and_b32_e32 v84, exec_hi, v1
	v_lshlrev_b32_e32 v1, 30, v38
	v_xor_b32_e32 v39, s40, v39
	v_cmp_gt_i64_e64 s[40:41], 0, v[0:1]
	v_not_b32_e32 v1, v1
	v_ashrrev_i32_e32 v1, 31, v1
	v_and_b32_e32 v39, exec_lo, v39
	v_xor_b32_e32 v85, s41, v1
	v_xor_b32_e32 v1, s40, v1
	v_and_b32_e32 v39, v39, v1
	v_lshlrev_b32_e32 v1, 29, v38
	v_cmp_gt_i64_e64 s[40:41], 0, v[0:1]
	v_not_b32_e32 v1, v1
	v_ashrrev_i32_e32 v1, 31, v1
	v_and_b32_e32 v84, v84, v85
	v_xor_b32_e32 v85, s41, v1
	v_xor_b32_e32 v1, s40, v1
	v_and_b32_e32 v39, v39, v1
	v_lshlrev_b32_e32 v1, 28, v38
	v_cmp_gt_i64_e64 s[40:41], 0, v[0:1]
	v_not_b32_e32 v1, v1
	v_ashrrev_i32_e32 v1, 31, v1
	v_and_b32_e32 v84, v84, v85
	;; [unrolled: 8-line block ×5, first 2 shown]
	v_xor_b32_e32 v85, s41, v1
	v_xor_b32_e32 v1, s40, v1
	v_and_b32_e32 v84, v84, v85
	v_and_b32_e32 v85, v39, v1
	v_lshlrev_b32_e32 v1, 24, v38
	v_cmp_gt_i64_e64 s[40:41], 0, v[0:1]
	v_not_b32_e32 v1, v1
	v_ashrrev_i32_e32 v1, 31, v1
	v_xor_b32_e32 v38, s41, v1
	v_xor_b32_e32 v1, s40, v1
	; wave barrier
	ds_read_b32 v82, v83 offset:8
	v_and_b32_e32 v39, v84, v38
	v_and_b32_e32 v38, v85, v1
	v_mbcnt_lo_u32_b32 v1, v38, 0
	v_mbcnt_hi_u32_b32 v84, v39, v1
	v_cmp_eq_u32_e64 s[40:41], 0, v84
	v_cmp_ne_u64_e64 s[42:43], 0, v[38:39]
	s_and_b64 s[42:43], s[42:43], s[40:41]
	; wave barrier
	s_and_saveexec_b64 s[40:41], s[42:43]
	s_cbranch_execz .LBB222_56
; %bb.55:
	v_bcnt_u32_b32 v1, v38, 0
	v_bcnt_u32_b32 v1, v39, v1
	s_waitcnt lgkmcnt(0)
	v_add_u32_e32 v1, v82, v1
	ds_write_b32 v83, v1 offset:8
.LBB222_56:
	s_or_b64 exec, exec, s[40:41]
	v_lshrrev_b16_e32 v1, 8, v75
	v_mov_b32_e32 v38, 0x80
	v_cmp_ne_u16_e64 s[40:41], s52, v75
	v_cndmask_b32_e64 v1, v38, v1, s[40:41]
	v_and_b32_e32 v39, s49, v1
	v_lshlrev_b32_e32 v1, 1, v39
	v_add_lshl_u32 v86, v1, v68, 2
	v_and_b32_e32 v1, 1, v39
	v_add_co_u32_e64 v87, s[40:41], -1, v1
	v_addc_co_u32_e64 v88, s[40:41], 0, -1, s[40:41]
	v_cmp_ne_u32_e64 s[40:41], 0, v1
	v_xor_b32_e32 v1, s41, v88
	v_and_b32_e32 v88, exec_hi, v1
	v_lshlrev_b32_e32 v1, 30, v39
	v_xor_b32_e32 v87, s40, v87
	v_cmp_gt_i64_e64 s[40:41], 0, v[0:1]
	v_not_b32_e32 v1, v1
	v_ashrrev_i32_e32 v1, 31, v1
	v_and_b32_e32 v87, exec_lo, v87
	v_xor_b32_e32 v89, s41, v1
	v_xor_b32_e32 v1, s40, v1
	v_and_b32_e32 v87, v87, v1
	v_lshlrev_b32_e32 v1, 29, v39
	v_cmp_gt_i64_e64 s[40:41], 0, v[0:1]
	v_not_b32_e32 v1, v1
	v_ashrrev_i32_e32 v1, 31, v1
	v_and_b32_e32 v88, v88, v89
	v_xor_b32_e32 v89, s41, v1
	v_xor_b32_e32 v1, s40, v1
	v_and_b32_e32 v87, v87, v1
	v_lshlrev_b32_e32 v1, 28, v39
	v_cmp_gt_i64_e64 s[40:41], 0, v[0:1]
	v_not_b32_e32 v1, v1
	v_ashrrev_i32_e32 v1, 31, v1
	v_and_b32_e32 v88, v88, v89
	;; [unrolled: 8-line block ×5, first 2 shown]
	v_xor_b32_e32 v89, s41, v1
	v_xor_b32_e32 v1, s40, v1
	v_and_b32_e32 v87, v87, v1
	v_lshlrev_b32_e32 v1, 24, v39
	v_cmp_gt_i64_e64 s[40:41], 0, v[0:1]
	v_not_b32_e32 v0, v1
	v_ashrrev_i32_e32 v0, 31, v0
	v_xor_b32_e32 v1, s41, v0
	v_xor_b32_e32 v0, s40, v0
	; wave barrier
	ds_read_b32 v85, v86 offset:8
	v_and_b32_e32 v88, v88, v89
	v_and_b32_e32 v0, v87, v0
	;; [unrolled: 1-line block ×3, first 2 shown]
	v_mbcnt_lo_u32_b32 v39, v0, 0
	v_mbcnt_hi_u32_b32 v87, v1, v39
	v_cmp_eq_u32_e64 s[40:41], 0, v87
	v_cmp_ne_u64_e64 s[42:43], 0, v[0:1]
	s_and_b64 s[42:43], s[42:43], s[40:41]
	; wave barrier
	s_and_saveexec_b64 s[40:41], s[42:43]
	s_cbranch_execz .LBB222_58
; %bb.57:
	v_bcnt_u32_b32 v0, v0, 0
	v_bcnt_u32_b32 v0, v1, v0
	s_waitcnt lgkmcnt(0)
	v_add_u32_e32 v0, v85, v0
	ds_write_b32 v86, v0 offset:8
.LBB222_58:
	s_or_b64 exec, exec, s[40:41]
	v_lshrrev_b16_e32 v0, 8, v74
	v_cmp_ne_u16_e64 s[40:41], s52, v74
	v_cndmask_b32_e64 v0, v38, v0, s[40:41]
	v_and_b32_e32 v38, s49, v0
	v_and_b32_e32 v1, 1, v38
	v_add_co_u32_e64 v39, s[40:41], -1, v1
	v_addc_co_u32_e64 v90, s[40:41], 0, -1, s[40:41]
	v_cmp_ne_u32_e64 s[40:41], 0, v1
	v_lshlrev_b32_e32 v0, 1, v38
	v_xor_b32_e32 v1, s41, v90
	v_add_lshl_u32 v89, v0, v68, 2
	v_mov_b32_e32 v0, 0
	v_and_b32_e32 v90, exec_hi, v1
	v_lshlrev_b32_e32 v1, 30, v38
	v_xor_b32_e32 v39, s40, v39
	v_cmp_gt_i64_e64 s[40:41], 0, v[0:1]
	v_not_b32_e32 v1, v1
	v_ashrrev_i32_e32 v1, 31, v1
	v_and_b32_e32 v39, exec_lo, v39
	v_xor_b32_e32 v91, s41, v1
	v_xor_b32_e32 v1, s40, v1
	v_and_b32_e32 v39, v39, v1
	v_lshlrev_b32_e32 v1, 29, v38
	v_cmp_gt_i64_e64 s[40:41], 0, v[0:1]
	v_not_b32_e32 v1, v1
	v_ashrrev_i32_e32 v1, 31, v1
	v_and_b32_e32 v90, v90, v91
	v_xor_b32_e32 v91, s41, v1
	v_xor_b32_e32 v1, s40, v1
	v_and_b32_e32 v39, v39, v1
	v_lshlrev_b32_e32 v1, 28, v38
	v_cmp_gt_i64_e64 s[40:41], 0, v[0:1]
	v_not_b32_e32 v1, v1
	v_ashrrev_i32_e32 v1, 31, v1
	v_and_b32_e32 v90, v90, v91
	;; [unrolled: 8-line block ×5, first 2 shown]
	v_xor_b32_e32 v91, s41, v1
	v_xor_b32_e32 v1, s40, v1
	v_and_b32_e32 v90, v90, v91
	v_and_b32_e32 v91, v39, v1
	v_lshlrev_b32_e32 v1, 24, v38
	v_cmp_gt_i64_e64 s[40:41], 0, v[0:1]
	v_not_b32_e32 v1, v1
	v_ashrrev_i32_e32 v1, 31, v1
	v_xor_b32_e32 v38, s41, v1
	v_xor_b32_e32 v1, s40, v1
	; wave barrier
	ds_read_b32 v88, v89 offset:8
	v_and_b32_e32 v39, v90, v38
	v_and_b32_e32 v38, v91, v1
	v_mbcnt_lo_u32_b32 v1, v38, 0
	v_mbcnt_hi_u32_b32 v90, v39, v1
	v_cmp_eq_u32_e64 s[40:41], 0, v90
	v_cmp_ne_u64_e64 s[42:43], 0, v[38:39]
	s_and_b64 s[42:43], s[42:43], s[40:41]
	; wave barrier
	s_and_saveexec_b64 s[40:41], s[42:43]
	s_cbranch_execz .LBB222_60
; %bb.59:
	v_bcnt_u32_b32 v1, v38, 0
	v_bcnt_u32_b32 v1, v39, v1
	s_waitcnt lgkmcnt(0)
	v_add_u32_e32 v1, v88, v1
	ds_write_b32 v89, v1 offset:8
.LBB222_60:
	s_or_b64 exec, exec, s[40:41]
	v_lshrrev_b16_e32 v1, 8, v73
	v_mov_b32_e32 v38, 0x80
	v_cmp_ne_u16_e64 s[40:41], s52, v73
	v_cndmask_b32_e64 v1, v38, v1, s[40:41]
	v_and_b32_e32 v39, s49, v1
	v_lshlrev_b32_e32 v1, 1, v39
	v_add_lshl_u32 v92, v1, v68, 2
	v_and_b32_e32 v1, 1, v39
	v_add_co_u32_e64 v93, s[40:41], -1, v1
	v_addc_co_u32_e64 v94, s[40:41], 0, -1, s[40:41]
	v_cmp_ne_u32_e64 s[40:41], 0, v1
	v_xor_b32_e32 v1, s41, v94
	v_and_b32_e32 v94, exec_hi, v1
	v_lshlrev_b32_e32 v1, 30, v39
	v_xor_b32_e32 v93, s40, v93
	v_cmp_gt_i64_e64 s[40:41], 0, v[0:1]
	v_not_b32_e32 v1, v1
	v_ashrrev_i32_e32 v1, 31, v1
	v_and_b32_e32 v93, exec_lo, v93
	v_xor_b32_e32 v95, s41, v1
	v_xor_b32_e32 v1, s40, v1
	v_and_b32_e32 v93, v93, v1
	v_lshlrev_b32_e32 v1, 29, v39
	v_cmp_gt_i64_e64 s[40:41], 0, v[0:1]
	v_not_b32_e32 v1, v1
	v_ashrrev_i32_e32 v1, 31, v1
	v_and_b32_e32 v94, v94, v95
	v_xor_b32_e32 v95, s41, v1
	v_xor_b32_e32 v1, s40, v1
	v_and_b32_e32 v93, v93, v1
	v_lshlrev_b32_e32 v1, 28, v39
	v_cmp_gt_i64_e64 s[40:41], 0, v[0:1]
	v_not_b32_e32 v1, v1
	v_ashrrev_i32_e32 v1, 31, v1
	v_and_b32_e32 v94, v94, v95
	;; [unrolled: 8-line block ×5, first 2 shown]
	v_xor_b32_e32 v95, s41, v1
	v_xor_b32_e32 v1, s40, v1
	v_and_b32_e32 v93, v93, v1
	v_lshlrev_b32_e32 v1, 24, v39
	v_cmp_gt_i64_e64 s[40:41], 0, v[0:1]
	v_not_b32_e32 v0, v1
	v_ashrrev_i32_e32 v0, 31, v0
	v_xor_b32_e32 v1, s41, v0
	v_xor_b32_e32 v0, s40, v0
	; wave barrier
	ds_read_b32 v91, v92 offset:8
	v_and_b32_e32 v94, v94, v95
	v_and_b32_e32 v0, v93, v0
	;; [unrolled: 1-line block ×3, first 2 shown]
	v_mbcnt_lo_u32_b32 v39, v0, 0
	v_mbcnt_hi_u32_b32 v93, v1, v39
	v_cmp_eq_u32_e64 s[40:41], 0, v93
	v_cmp_ne_u64_e64 s[42:43], 0, v[0:1]
	s_and_b64 s[42:43], s[42:43], s[40:41]
	; wave barrier
	s_and_saveexec_b64 s[40:41], s[42:43]
	s_cbranch_execz .LBB222_62
; %bb.61:
	v_bcnt_u32_b32 v0, v0, 0
	v_bcnt_u32_b32 v0, v1, v0
	s_waitcnt lgkmcnt(0)
	v_add_u32_e32 v0, v91, v0
	ds_write_b32 v92, v0 offset:8
.LBB222_62:
	s_or_b64 exec, exec, s[40:41]
	v_lshrrev_b16_e32 v0, 8, v72
	v_cmp_ne_u16_e64 s[40:41], s52, v72
	v_cndmask_b32_e64 v0, v38, v0, s[40:41]
	v_and_b32_e32 v38, s49, v0
	v_and_b32_e32 v1, 1, v38
	v_add_co_u32_e64 v39, s[40:41], -1, v1
	v_addc_co_u32_e64 v96, s[40:41], 0, -1, s[40:41]
	v_cmp_ne_u32_e64 s[40:41], 0, v1
	v_lshlrev_b32_e32 v0, 1, v38
	v_xor_b32_e32 v1, s41, v96
	v_add_lshl_u32 v95, v0, v68, 2
	v_mov_b32_e32 v0, 0
	v_and_b32_e32 v96, exec_hi, v1
	v_lshlrev_b32_e32 v1, 30, v38
	v_xor_b32_e32 v39, s40, v39
	v_cmp_gt_i64_e64 s[40:41], 0, v[0:1]
	v_not_b32_e32 v1, v1
	v_ashrrev_i32_e32 v1, 31, v1
	v_and_b32_e32 v39, exec_lo, v39
	v_xor_b32_e32 v97, s41, v1
	v_xor_b32_e32 v1, s40, v1
	v_and_b32_e32 v39, v39, v1
	v_lshlrev_b32_e32 v1, 29, v38
	v_cmp_gt_i64_e64 s[40:41], 0, v[0:1]
	v_not_b32_e32 v1, v1
	v_ashrrev_i32_e32 v1, 31, v1
	v_and_b32_e32 v96, v96, v97
	v_xor_b32_e32 v97, s41, v1
	v_xor_b32_e32 v1, s40, v1
	v_and_b32_e32 v39, v39, v1
	v_lshlrev_b32_e32 v1, 28, v38
	v_cmp_gt_i64_e64 s[40:41], 0, v[0:1]
	v_not_b32_e32 v1, v1
	v_ashrrev_i32_e32 v1, 31, v1
	v_and_b32_e32 v96, v96, v97
	;; [unrolled: 8-line block ×5, first 2 shown]
	v_xor_b32_e32 v97, s41, v1
	v_xor_b32_e32 v1, s40, v1
	v_and_b32_e32 v96, v96, v97
	v_and_b32_e32 v97, v39, v1
	v_lshlrev_b32_e32 v1, 24, v38
	v_cmp_gt_i64_e64 s[40:41], 0, v[0:1]
	v_not_b32_e32 v1, v1
	v_ashrrev_i32_e32 v1, 31, v1
	v_xor_b32_e32 v38, s41, v1
	v_xor_b32_e32 v1, s40, v1
	; wave barrier
	ds_read_b32 v94, v95 offset:8
	v_and_b32_e32 v39, v96, v38
	v_and_b32_e32 v38, v97, v1
	v_mbcnt_lo_u32_b32 v1, v38, 0
	v_mbcnt_hi_u32_b32 v96, v39, v1
	v_cmp_eq_u32_e64 s[40:41], 0, v96
	v_cmp_ne_u64_e64 s[42:43], 0, v[38:39]
	s_and_b64 s[42:43], s[42:43], s[40:41]
	; wave barrier
	s_and_saveexec_b64 s[40:41], s[42:43]
	s_cbranch_execz .LBB222_64
; %bb.63:
	v_bcnt_u32_b32 v1, v38, 0
	v_bcnt_u32_b32 v1, v39, v1
	s_waitcnt lgkmcnt(0)
	v_add_u32_e32 v1, v94, v1
	ds_write_b32 v95, v1 offset:8
.LBB222_64:
	s_or_b64 exec, exec, s[40:41]
	v_lshrrev_b16_e32 v1, 8, v71
	v_mov_b32_e32 v38, 0x80
	v_cmp_ne_u16_e64 s[40:41], s52, v71
	v_cndmask_b32_e64 v1, v38, v1, s[40:41]
	v_and_b32_e32 v39, s49, v1
	v_lshlrev_b32_e32 v1, 1, v39
	v_add_lshl_u32 v98, v1, v68, 2
	v_and_b32_e32 v1, 1, v39
	v_add_co_u32_e64 v99, s[40:41], -1, v1
	v_addc_co_u32_e64 v100, s[40:41], 0, -1, s[40:41]
	v_cmp_ne_u32_e64 s[40:41], 0, v1
	v_xor_b32_e32 v1, s41, v100
	v_and_b32_e32 v100, exec_hi, v1
	v_lshlrev_b32_e32 v1, 30, v39
	v_xor_b32_e32 v99, s40, v99
	v_cmp_gt_i64_e64 s[40:41], 0, v[0:1]
	v_not_b32_e32 v1, v1
	v_ashrrev_i32_e32 v1, 31, v1
	v_and_b32_e32 v99, exec_lo, v99
	v_xor_b32_e32 v101, s41, v1
	v_xor_b32_e32 v1, s40, v1
	v_and_b32_e32 v99, v99, v1
	v_lshlrev_b32_e32 v1, 29, v39
	v_cmp_gt_i64_e64 s[40:41], 0, v[0:1]
	v_not_b32_e32 v1, v1
	v_ashrrev_i32_e32 v1, 31, v1
	v_and_b32_e32 v100, v100, v101
	v_xor_b32_e32 v101, s41, v1
	v_xor_b32_e32 v1, s40, v1
	v_and_b32_e32 v99, v99, v1
	v_lshlrev_b32_e32 v1, 28, v39
	v_cmp_gt_i64_e64 s[40:41], 0, v[0:1]
	v_not_b32_e32 v1, v1
	v_ashrrev_i32_e32 v1, 31, v1
	v_and_b32_e32 v100, v100, v101
	;; [unrolled: 8-line block ×5, first 2 shown]
	v_xor_b32_e32 v101, s41, v1
	v_xor_b32_e32 v1, s40, v1
	v_and_b32_e32 v99, v99, v1
	v_lshlrev_b32_e32 v1, 24, v39
	v_cmp_gt_i64_e64 s[40:41], 0, v[0:1]
	v_not_b32_e32 v0, v1
	v_ashrrev_i32_e32 v0, 31, v0
	v_xor_b32_e32 v1, s41, v0
	v_xor_b32_e32 v0, s40, v0
	; wave barrier
	ds_read_b32 v97, v98 offset:8
	v_and_b32_e32 v100, v100, v101
	v_and_b32_e32 v0, v99, v0
	;; [unrolled: 1-line block ×3, first 2 shown]
	v_mbcnt_lo_u32_b32 v39, v0, 0
	v_mbcnt_hi_u32_b32 v99, v1, v39
	v_cmp_eq_u32_e64 s[40:41], 0, v99
	v_cmp_ne_u64_e64 s[42:43], 0, v[0:1]
	s_and_b64 s[42:43], s[42:43], s[40:41]
	; wave barrier
	s_and_saveexec_b64 s[40:41], s[42:43]
	s_cbranch_execz .LBB222_66
; %bb.65:
	v_bcnt_u32_b32 v0, v0, 0
	v_bcnt_u32_b32 v0, v1, v0
	s_waitcnt lgkmcnt(0)
	v_add_u32_e32 v0, v97, v0
	ds_write_b32 v98, v0 offset:8
.LBB222_66:
	s_or_b64 exec, exec, s[40:41]
	v_lshrrev_b16_e32 v0, 8, v40
	v_cmp_ne_u16_e64 s[40:41], s52, v40
	v_cndmask_b32_e64 v0, v38, v0, s[40:41]
	v_and_b32_e32 v38, s49, v0
	v_and_b32_e32 v1, 1, v38
	v_add_co_u32_e64 v39, s[40:41], -1, v1
	v_addc_co_u32_e64 v101, s[40:41], 0, -1, s[40:41]
	v_cmp_ne_u32_e64 s[40:41], 0, v1
	v_lshlrev_b32_e32 v0, 1, v38
	v_xor_b32_e32 v1, s41, v101
	v_add_lshl_u32 v100, v0, v68, 2
	v_mov_b32_e32 v0, 0
	v_and_b32_e32 v101, exec_hi, v1
	v_lshlrev_b32_e32 v1, 30, v38
	v_xor_b32_e32 v39, s40, v39
	v_cmp_gt_i64_e64 s[40:41], 0, v[0:1]
	v_not_b32_e32 v1, v1
	v_ashrrev_i32_e32 v1, 31, v1
	v_and_b32_e32 v39, exec_lo, v39
	v_xor_b32_e32 v102, s41, v1
	v_xor_b32_e32 v1, s40, v1
	v_and_b32_e32 v39, v39, v1
	v_lshlrev_b32_e32 v1, 29, v38
	v_cmp_gt_i64_e64 s[40:41], 0, v[0:1]
	v_not_b32_e32 v1, v1
	v_ashrrev_i32_e32 v1, 31, v1
	v_and_b32_e32 v101, v101, v102
	v_xor_b32_e32 v102, s41, v1
	v_xor_b32_e32 v1, s40, v1
	v_and_b32_e32 v39, v39, v1
	v_lshlrev_b32_e32 v1, 28, v38
	v_cmp_gt_i64_e64 s[40:41], 0, v[0:1]
	v_not_b32_e32 v1, v1
	v_ashrrev_i32_e32 v1, 31, v1
	v_and_b32_e32 v101, v101, v102
	;; [unrolled: 8-line block ×5, first 2 shown]
	v_xor_b32_e32 v102, s41, v1
	v_xor_b32_e32 v1, s40, v1
	v_and_b32_e32 v39, v39, v1
	v_lshlrev_b32_e32 v1, 24, v38
	v_cmp_gt_i64_e64 s[40:41], 0, v[0:1]
	v_not_b32_e32 v0, v1
	v_ashrrev_i32_e32 v0, 31, v0
	v_xor_b32_e32 v1, s41, v0
	v_xor_b32_e32 v0, s40, v0
	; wave barrier
	ds_read_b32 v68, v100 offset:8
	v_and_b32_e32 v101, v101, v102
	v_and_b32_e32 v0, v39, v0
	;; [unrolled: 1-line block ×3, first 2 shown]
	v_mbcnt_lo_u32_b32 v38, v0, 0
	v_mbcnt_hi_u32_b32 v101, v1, v38
	v_cmp_eq_u32_e64 s[40:41], 0, v101
	v_cmp_ne_u64_e64 s[42:43], 0, v[0:1]
	s_and_b64 s[42:43], s[42:43], s[40:41]
	; wave barrier
	s_and_saveexec_b64 s[40:41], s[42:43]
	s_cbranch_execz .LBB222_68
; %bb.67:
	v_bcnt_u32_b32 v0, v0, 0
	v_bcnt_u32_b32 v0, v1, v0
	s_waitcnt lgkmcnt(0)
	v_add_u32_e32 v0, v68, v0
	ds_write_b32 v100, v0 offset:8
.LBB222_68:
	s_or_b64 exec, exec, s[40:41]
	; wave barrier
	s_waitcnt lgkmcnt(0)
	s_barrier
	ds_read2_b32 v[38:39], v64 offset0:2 offset1:3
	ds_read2_b32 v[0:1], v69 offset0:2 offset1:3
	s_waitcnt lgkmcnt(1)
	v_add_u32_e32 v102, v39, v38
	s_waitcnt lgkmcnt(0)
	v_add3_u32 v1, v102, v0, v1
	s_nop 1
	v_mov_b32_dpp v102, v1 row_shr:1 row_mask:0xf bank_mask:0xf
	v_cndmask_b32_e64 v102, v102, 0, s[20:21]
	v_add_u32_e32 v1, v102, v1
	s_nop 1
	v_mov_b32_dpp v102, v1 row_shr:2 row_mask:0xf bank_mask:0xf
	v_cndmask_b32_e64 v102, 0, v102, s[22:23]
	v_add_u32_e32 v1, v1, v102
	;; [unrolled: 4-line block ×4, first 2 shown]
	s_nop 1
	v_mov_b32_dpp v102, v1 row_bcast:15 row_mask:0xf bank_mask:0xf
	v_cndmask_b32_e64 v102, v102, 0, vcc
	v_add_u32_e32 v1, v1, v102
	s_nop 1
	v_mov_b32_dpp v102, v1 row_bcast:31 row_mask:0xf bank_mask:0xf
	v_cndmask_b32_e64 v102, 0, v102, s[34:35]
	v_add_u32_e32 v102, v1, v102
	s_and_saveexec_b64 s[20:21], s[16:17]
	s_cbranch_execz .LBB222_70
; %bb.69:
	ds_write_b32 v70, v102
.LBB222_70:
	s_or_b64 exec, exec, s[20:21]
	s_waitcnt lgkmcnt(0)
	s_barrier
	s_and_saveexec_b64 s[16:17], s[24:25]
	s_cbranch_execz .LBB222_72
; %bb.71:
	ds_read_b32 v1, v41
	s_waitcnt lgkmcnt(0)
	s_nop 0
	v_mov_b32_dpp v70, v1 row_shr:1 row_mask:0xf bank_mask:0xf
	v_cndmask_b32_e64 v70, v70, 0, s[18:19]
	v_add_u32_e32 v1, v70, v1
	ds_write_b32 v41, v1
.LBB222_72:
	s_or_b64 exec, exec, s[16:17]
	v_mov_b32_e32 v1, 0
	v_mov_b32_e32 v41, 0
	s_waitcnt lgkmcnt(0)
	s_barrier
	s_and_saveexec_b64 s[16:17], s[30:31]
	s_cbranch_execz .LBB222_74
; %bb.73:
	ds_read_b32 v41, v80
.LBB222_74:
	s_or_b64 exec, exec, s[16:17]
	s_waitcnt lgkmcnt(0)
	v_add_u32_e32 v70, v41, v102
	ds_bpermute_b32 v70, v81, v70
	s_mov_b32 s18, 0x5040100
	s_waitcnt lgkmcnt(0)
	v_cndmask_b32_e64 v41, v70, v41, s[36:37]
	v_cndmask_b32_e64 v41, v41, 0, s[38:39]
	v_add_u32_e32 v38, v41, v38
	v_add_u32_e32 v39, v38, v39
	;; [unrolled: 1-line block ×3, first 2 shown]
	ds_write2_b32 v64, v41, v38 offset0:2 offset1:3
	ds_write2_b32 v69, v39, v0 offset0:2 offset1:3
	s_waitcnt lgkmcnt(0)
	s_barrier
	ds_read_b32 v0, v100 offset:8
	ds_read_b32 v38, v98 offset:8
	;; [unrolled: 1-line block ×4, first 2 shown]
	s_waitcnt lgkmcnt(3)
	v_add3_u32 v0, v101, v68, v0
	ds_read_b32 v68, v89 offset:8
	ds_read_b32 v69, v86 offset:8
	ds_read_b32 v70, v83 offset:8
	ds_read_b32 v78, v78 offset:8
	s_waitcnt lgkmcnt(0)
	s_barrier
	v_add3_u32 v69, v87, v85, v69
	v_add3_u32 v70, v84, v82, v70
	v_add_u32_e32 v78, v78, v79
	v_lshlrev_b32_e32 v79, 1, v78
	ds_write_b16 v79, v77
	v_lshlrev_b32_e32 v77, 1, v70
	v_add3_u32 v68, v90, v88, v68
	ds_write_b16 v77, v76
	v_lshlrev_b32_e32 v76, 1, v69
	v_add3_u32 v41, v93, v91, v41
	;; [unrolled: 3-line block ×4, first 2 shown]
	ds_write_b16 v74, v73
	v_lshlrev_b32_e32 v73, 1, v39
	ds_write_b16 v73, v72
	v_lshlrev_b32_e32 v72, 1, v38
	;; [unrolled: 2-line block ×4, first 2 shown]
	s_waitcnt lgkmcnt(0)
	s_barrier
	v_lshlrev_b32_e32 v72, 3, v41
	v_lshlrev_b32_e32 v73, 3, v39
	;; [unrolled: 1-line block ×3, first 2 shown]
	ds_read_b128 v[38:41], v40
	v_mov_b32_e32 v77, 0xffff8000
	v_lshlrev_b32_e32 v71, 3, v78
	v_lshlrev_b32_e32 v75, 3, v63
	;; [unrolled: 1-line block ×3, first 2 shown]
	s_waitcnt lgkmcnt(0)
	v_cmp_lt_i16_sdwa vcc, v38, v1 src0_sel:WORD_1 src1_sel:DWORD
	v_cndmask_b32_e32 v78, -1, v77, vcc
	v_cmp_gt_i16_e32 vcc, 0, v38
	v_lshlrev_b32_e32 v69, 3, v69
	v_lshlrev_b32_e32 v68, 3, v68
	;; [unrolled: 1-line block ×3, first 2 shown]
	v_cndmask_b32_e32 v79, -1, v77, vcc
	v_cmp_lt_i16_e32 vcc, -1, v39
	s_barrier
	ds_write_b64 v71, v[34:35]
	ds_write_b64 v70, v[36:37]
	;; [unrolled: 1-line block ×8, first 2 shown]
	s_waitcnt lgkmcnt(0)
	s_barrier
	ds_read2_b64 v[22:25], v75 offset1:1
	ds_read2_b64 v[26:29], v75 offset0:2 offset1:3
	ds_read2_b64 v[30:33], v75 offset0:4 offset1:5
	;; [unrolled: 1-line block ×3, first 2 shown]
	v_mov_b32_e32 v76, -1
	v_cndmask_b32_e64 v81, v77, -1, vcc
	v_cmp_lt_i16_sdwa vcc, v40, v1 src0_sel:WORD_1 src1_sel:DWORD
	v_cmp_gt_i16_sdwa s[16:17], v39, v76 src0_sel:WORD_1 src1_sel:DWORD
	v_cndmask_b32_e32 v0, -1, v77, vcc
	v_cmp_gt_i16_e32 vcc, 0, v40
	v_cndmask_b32_e64 v80, v77, -1, s[16:17]
	v_cndmask_b32_e32 v1, -1, v77, vcc
	v_cmp_gt_i16_sdwa s[16:17], v41, v76 src0_sel:WORD_1 src1_sel:DWORD
	v_cmp_lt_i16_e32 vcc, -1, v41
	v_cndmask_b32_e64 v68, v77, -1, s[16:17]
	v_cndmask_b32_e64 v69, v77, -1, vcc
	v_xor_b32_e32 v81, v81, v39
	v_xor_b32_sdwa v39, v80, v39 dst_sel:DWORD dst_unused:UNUSED_PAD src0_sel:DWORD src1_sel:WORD_1
	v_xor_b32_e32 v79, v79, v38
	v_xor_b32_sdwa v38, v78, v38 dst_sel:DWORD dst_unused:UNUSED_PAD src0_sel:DWORD src1_sel:WORD_1
	;; [unrolled: 2-line block ×4, first 2 shown]
	v_perm_b32 v39, v39, v81, s18
	v_perm_b32 v38, v38, v79, s18
	v_perm_b32 v41, v41, v69, s18
	v_perm_b32 v40, v0, v1, s18
	s_branch .LBB222_128
.LBB222_75:
	v_mov_b32_e32 v45, 0
	v_lshlrev_b64 v[2:3], 3, v[44:45]
	v_mov_b32_e32 v4, s47
	v_add_co_u32_e32 v2, vcc, s45, v2
	v_addc_co_u32_e32 v3, vcc, v4, v3, vcc
	global_load_dwordx2 v[2:3], v[2:3], off
	v_mov_b32_e32 v4, v45
	v_mov_b32_e32 v5, v45
	;; [unrolled: 1-line block ×14, first 2 shown]
	s_or_b64 exec, exec, s[16:17]
	s_and_saveexec_b64 s[16:17], s[2:3]
	s_cbranch_execz .LBB222_22
.LBB222_76:
	v_mul_lo_u32 v4, v36, s48
	v_mov_b32_e32 v5, 0
	v_lshlrev_b64 v[4:5], 3, v[4:5]
	v_mov_b32_e32 v36, s47
	v_add_co_u32_e32 v4, vcc, s45, v4
	v_addc_co_u32_e32 v5, vcc, v36, v5, vcc
	global_load_dwordx2 v[4:5], v[4:5], off
	s_or_b64 exec, exec, s[16:17]
	s_and_saveexec_b64 s[16:17], s[4:5]
	s_cbranch_execz .LBB222_23
.LBB222_77:
	v_mul_lo_u32 v6, v35, s48
	v_mov_b32_e32 v7, 0
	v_lshlrev_b64 v[6:7], 3, v[6:7]
	v_mov_b32_e32 v35, s47
	v_add_co_u32_e32 v6, vcc, s45, v6
	v_addc_co_u32_e32 v7, vcc, v35, v7, vcc
	global_load_dwordx2 v[6:7], v[6:7], off
	s_or_b64 exec, exec, s[16:17]
	s_and_saveexec_b64 s[16:17], s[6:7]
	s_cbranch_execz .LBB222_24
.LBB222_78:
	v_mul_lo_u32 v8, v33, s48
	v_mov_b32_e32 v9, 0
	v_lshlrev_b64 v[8:9], 3, v[8:9]
	v_mov_b32_e32 v33, s47
	v_add_co_u32_e32 v8, vcc, s45, v8
	v_addc_co_u32_e32 v9, vcc, v33, v9, vcc
	global_load_dwordx2 v[8:9], v[8:9], off
	s_or_b64 exec, exec, s[16:17]
	s_and_saveexec_b64 s[16:17], s[8:9]
	s_cbranch_execz .LBB222_25
.LBB222_79:
	v_mul_lo_u32 v10, v30, s48
	v_mov_b32_e32 v11, 0
	v_lshlrev_b64 v[10:11], 3, v[10:11]
	v_mov_b32_e32 v30, s47
	v_add_co_u32_e32 v10, vcc, s45, v10
	v_addc_co_u32_e32 v11, vcc, v30, v11, vcc
	global_load_dwordx2 v[10:11], v[10:11], off
	s_or_b64 exec, exec, s[16:17]
	s_and_saveexec_b64 s[16:17], s[10:11]
	s_cbranch_execz .LBB222_26
.LBB222_80:
	v_mul_lo_u32 v12, v28, s48
	v_mov_b32_e32 v13, 0
	v_lshlrev_b64 v[12:13], 3, v[12:13]
	v_mov_b32_e32 v28, s47
	v_add_co_u32_e32 v12, vcc, s45, v12
	v_addc_co_u32_e32 v13, vcc, v28, v13, vcc
	global_load_dwordx2 v[12:13], v[12:13], off
	s_or_b64 exec, exec, s[16:17]
	s_and_saveexec_b64 s[16:17], s[12:13]
	s_cbranch_execz .LBB222_27
.LBB222_81:
	v_mul_lo_u32 v14, v26, s48
	v_mov_b32_e32 v15, 0
	v_lshlrev_b64 v[14:15], 3, v[14:15]
	v_mov_b32_e32 v26, s47
	v_add_co_u32_e32 v14, vcc, s45, v14
	v_addc_co_u32_e32 v15, vcc, v26, v15, vcc
	global_load_dwordx2 v[14:15], v[14:15], off
	s_or_b64 exec, exec, s[16:17]
	s_xor_b64 s[16:17], s[34:35], -1
	s_and_saveexec_b64 s[18:19], s[14:15]
	s_cbranch_execnz .LBB222_28
	s_branch .LBB222_29
.LBB222_82:
                                        ; implicit-def: $vgpr36_vgpr37
                                        ; implicit-def: $vgpr32_vgpr33
                                        ; implicit-def: $vgpr28_vgpr29
                                        ; implicit-def: $vgpr24_vgpr25
                                        ; implicit-def: $vgpr40_vgpr41
	s_cbranch_execz .LBB222_128
; %bb.83:
	s_waitcnt lgkmcnt(3)
	v_mov_b32_e32 v22, 0
	s_waitcnt lgkmcnt(0)
	v_mov_b32_e32 v35, 0x7fff
	v_cmp_gt_i16_e32 vcc, 0, v19
	v_cmp_lt_i16_sdwa s[16:17], v19, v22 src0_sel:WORD_1 src1_sel:DWORD
	v_cndmask_b32_e64 v23, v35, 0, vcc
	v_cmp_gt_i16_e32 vcc, 0, v18
	v_cndmask_b32_e64 v25, v35, 0, s[16:17]
	v_cmp_lt_i16_sdwa s[16:17], v18, v22 src0_sel:WORD_1 src1_sel:DWORD
	v_cndmask_b32_e64 v24, v35, 0, vcc
	v_cndmask_b32_e64 v27, v35, 0, s[16:17]
	v_cmp_gt_i16_e32 vcc, 0, v21
	v_cmp_lt_i16_sdwa s[16:17], v21, v22 src0_sel:WORD_1 src1_sel:DWORD
	v_xor_b32_sdwa v25, v25, v19 dst_sel:DWORD dst_unused:UNUSED_PAD src0_sel:DWORD src1_sel:WORD_1
	v_xor_b32_e32 v19, v23, v19
	v_cndmask_b32_e64 v23, v35, 0, vcc
	v_cmp_gt_i16_e32 vcc, 0, v20
	v_cndmask_b32_e64 v28, v35, 0, s[16:17]
	v_cmp_lt_i16_sdwa s[16:17], v20, v22 src0_sel:WORD_1 src1_sel:DWORD
	v_mbcnt_hi_u32_b32 v26, -1, v67
	v_and_b32_e32 v34, 0x3c0, v46
	v_xor_b32_sdwa v27, v27, v18 dst_sel:DWORD dst_unused:UNUSED_PAD src0_sel:DWORD src1_sel:WORD_1
	v_xor_b32_e32 v18, v24, v18
	v_cndmask_b32_e64 v24, v35, 0, vcc
	v_cndmask_b32_e64 v29, v35, 0, s[16:17]
	v_add_u32_e32 v0, v26, v34
	v_xor_b32_sdwa v29, v29, v20 dst_sel:DWORD dst_unused:UNUSED_PAD src0_sel:DWORD src1_sel:WORD_1
	v_xor_b32_sdwa v28, v28, v21 dst_sel:DWORD dst_unused:UNUSED_PAD src0_sel:DWORD src1_sel:WORD_1
	v_xor_b32_e32 v20, v24, v20
	v_xor_b32_e32 v21, v23, v21
	s_mov_b32 s16, 0x5040100
	v_lshlrev_b32_e32 v1, 4, v0
	v_perm_b32 v21, v28, v21, s16
	v_perm_b32 v20, v29, v20, s16
	;; [unrolled: 1-line block ×4, first 2 shown]
	v_and_b32_e32 v36, 0x1e00, v63
	ds_write_b128 v1, v[18:21]
	v_or_b32_e32 v1, v26, v36
	v_lshlrev_b32_e32 v18, 1, v1
	v_lshlrev_b32_e32 v0, 6, v0
	; wave barrier
	ds_read_u16 v33, v18
	ds_read_u16 v32, v18 offset:128
	ds_read_u16 v31, v18 offset:256
	;; [unrolled: 1-line block ×7, first 2 shown]
	s_waitcnt lgkmcnt(0)
	s_barrier
	ds_write2_b64 v0, v[14:15], v[16:17] offset1:1
	ds_write2_b64 v0, v[10:11], v[12:13] offset0:2 offset1:3
	ds_write2_b64 v0, v[6:7], v[8:9] offset0:4 offset1:5
	;; [unrolled: 1-line block ×3, first 2 shown]
	v_lshlrev_b32_e32 v0, 3, v1
	; wave barrier
	ds_read2st64_b64 v[12:15], v0 offset1:1
	ds_read2st64_b64 v[8:11], v0 offset0:2 offset1:3
	ds_read2st64_b64 v[4:7], v0 offset0:4 offset1:5
	;; [unrolled: 1-line block ×3, first 2 shown]
	s_waitcnt lgkmcnt(0)
	s_barrier
	s_load_dword s18, s[50:51], 0xc
	s_getpc_b64 s[16:17]
	s_add_u32 s16, s16, _ZN7rocprim17ROCPRIM_400000_NS16block_radix_sortI6__halfLj128ELj8ElLj1ELj1ELj0ELNS0_26block_radix_rank_algorithmE1ELNS0_18block_padding_hintE2ELNS0_4arch9wavefront6targetE1EE19radix_bits_per_passE@rel32@lo+4
	s_addc_u32 s17, s17, _ZN7rocprim17ROCPRIM_400000_NS16block_radix_sortI6__halfLj128ELj8ElLj1ELj1ELj0ELNS0_26block_radix_rank_algorithmE1ELNS0_18block_padding_hintE2ELNS0_4arch9wavefront6targetE1EE19radix_bits_per_passE@rel32@hi+12
	s_load_dword s40, s[16:17], 0x0
	s_movk_i32 s19, 0x8000
	v_cmp_ne_u16_e32 vcc, s19, v33
	s_waitcnt lgkmcnt(0)
	s_lshr_b32 s16, s18, 16
	s_and_b32 s17, s18, 0xffff
	v_mad_u32_u24 v16, v66, s16, v65
	v_mad_u64_u32 v[16:17], s[16:17], v16, s17, v[46:47]
	s_min_u32 s16, s40, 16
	s_lshl_b32 s16, -1, s16
	v_lshrrev_b32_e32 v24, 6, v16
	s_not_b32 s18, s16
	v_cndmask_b32_e32 v16, v35, v33, vcc
	v_and_b32_sdwa v16, s18, v16 dst_sel:DWORD dst_unused:UNUSED_PAD src0_sel:DWORD src1_sel:WORD_0
	v_lshlrev_b32_e32 v17, 1, v16
	v_add_lshl_u32 v37, v24, v17, 2
	v_and_b32_e32 v17, 1, v16
	v_add_co_u32_e32 v18, vcc, -1, v17
	v_addc_co_u32_e64 v19, s[16:17], 0, -1, vcc
	v_cmp_ne_u32_e32 vcc, 0, v17
	v_lshlrev_b32_e32 v23, 30, v16
	v_xor_b32_e32 v17, vcc_hi, v19
	v_not_b32_e32 v19, v23
	v_xor_b32_e32 v18, vcc_lo, v18
	v_cmp_gt_i64_e32 vcc, 0, v[22:23]
	v_ashrrev_i32_e32 v19, 31, v19
	v_and_b32_e32 v18, exec_lo, v18
	v_xor_b32_e32 v20, vcc_hi, v19
	v_xor_b32_e32 v19, vcc_lo, v19
	v_lshlrev_b32_e32 v23, 29, v16
	v_and_b32_e32 v18, v18, v19
	v_not_b32_e32 v19, v23
	v_and_b32_e32 v17, exec_hi, v17
	v_cmp_gt_i64_e32 vcc, 0, v[22:23]
	v_ashrrev_i32_e32 v19, 31, v19
	v_and_b32_e32 v17, v17, v20
	v_xor_b32_e32 v20, vcc_hi, v19
	v_xor_b32_e32 v19, vcc_lo, v19
	v_lshlrev_b32_e32 v23, 28, v16
	v_and_b32_e32 v18, v18, v19
	v_not_b32_e32 v19, v23
	v_cmp_gt_i64_e32 vcc, 0, v[22:23]
	v_ashrrev_i32_e32 v19, 31, v19
	v_and_b32_e32 v17, v17, v20
	v_xor_b32_e32 v20, vcc_hi, v19
	v_xor_b32_e32 v19, vcc_lo, v19
	v_lshlrev_b32_e32 v23, 27, v16
	v_and_b32_e32 v18, v18, v19
	v_not_b32_e32 v19, v23
	;; [unrolled: 8-line block ×3, first 2 shown]
	v_cmp_gt_i64_e32 vcc, 0, v[22:23]
	v_ashrrev_i32_e32 v19, 31, v19
	v_and_b32_e32 v17, v17, v20
	v_xor_b32_e32 v20, vcc_hi, v19
	v_xor_b32_e32 v19, vcc_lo, v19
	v_lshlrev_b32_e32 v23, 25, v16
	v_and_b32_e32 v18, v18, v19
	v_cmp_gt_i64_e32 vcc, 0, v[22:23]
	v_not_b32_e32 v19, v23
	v_lshlrev_b32_e32 v23, 24, v16
	v_ashrrev_i32_e32 v19, 31, v19
	v_not_b32_e32 v16, v23
	v_and_b32_e32 v17, v17, v20
	v_xor_b32_e32 v20, vcc_hi, v19
	v_xor_b32_e32 v19, vcc_lo, v19
	v_cmp_gt_i64_e32 vcc, 0, v[22:23]
	v_ashrrev_i32_e32 v16, 31, v16
	v_and_b32_e32 v18, v18, v19
	v_xor_b32_e32 v19, vcc_hi, v16
	v_xor_b32_e32 v16, vcc_lo, v16
	v_and_b32_e32 v17, v17, v20
	v_and_b32_e32 v16, v18, v16
	;; [unrolled: 1-line block ×3, first 2 shown]
	v_mbcnt_lo_u32_b32 v18, v16, 0
	v_mbcnt_hi_u32_b32 v38, v17, v18
	v_cmp_eq_u32_e32 vcc, 0, v38
	v_cmp_ne_u64_e64 s[16:17], 0, v[16:17]
	s_and_b64 s[20:21], s[16:17], vcc
	ds_write2_b32 v64, v22, v22 offset0:2 offset1:3
	ds_write2_b32 v64, v22, v22 offset0:4 offset1:5
	s_waitcnt lgkmcnt(0)
	s_barrier
	s_waitcnt lgkmcnt(0)
	; wave barrier
	s_and_saveexec_b64 s[16:17], s[20:21]
	s_cbranch_execz .LBB222_85
; %bb.84:
	v_bcnt_u32_b32 v16, v16, 0
	v_bcnt_u32_b32 v16, v17, v16
	ds_write_b32 v37, v16 offset:8
.LBB222_85:
	s_or_b64 exec, exec, s[16:17]
	v_cmp_ne_u16_e32 vcc, s19, v32
	v_cndmask_b32_e32 v16, v35, v32, vcc
	v_and_b32_sdwa v16, s18, v16 dst_sel:DWORD dst_unused:UNUSED_PAD src0_sel:DWORD src1_sel:WORD_0
	v_lshlrev_b32_e32 v17, 1, v16
	v_add_lshl_u32 v40, v24, v17, 2
	v_and_b32_e32 v17, 1, v16
	v_add_co_u32_e32 v18, vcc, -1, v17
	v_addc_co_u32_e64 v19, s[16:17], 0, -1, vcc
	v_cmp_ne_u32_e32 vcc, 0, v17
	v_lshlrev_b32_e32 v23, 30, v16
	v_xor_b32_e32 v17, vcc_hi, v19
	v_not_b32_e32 v19, v23
	v_xor_b32_e32 v18, vcc_lo, v18
	v_cmp_gt_i64_e32 vcc, 0, v[22:23]
	v_ashrrev_i32_e32 v19, 31, v19
	v_and_b32_e32 v18, exec_lo, v18
	v_xor_b32_e32 v20, vcc_hi, v19
	v_xor_b32_e32 v19, vcc_lo, v19
	v_lshlrev_b32_e32 v23, 29, v16
	v_and_b32_e32 v18, v18, v19
	v_not_b32_e32 v19, v23
	v_and_b32_e32 v17, exec_hi, v17
	v_cmp_gt_i64_e32 vcc, 0, v[22:23]
	v_ashrrev_i32_e32 v19, 31, v19
	v_and_b32_e32 v17, v17, v20
	v_xor_b32_e32 v20, vcc_hi, v19
	v_xor_b32_e32 v19, vcc_lo, v19
	v_lshlrev_b32_e32 v23, 28, v16
	v_and_b32_e32 v18, v18, v19
	v_not_b32_e32 v19, v23
	v_cmp_gt_i64_e32 vcc, 0, v[22:23]
	v_ashrrev_i32_e32 v19, 31, v19
	v_and_b32_e32 v17, v17, v20
	v_xor_b32_e32 v20, vcc_hi, v19
	v_xor_b32_e32 v19, vcc_lo, v19
	v_lshlrev_b32_e32 v23, 27, v16
	v_and_b32_e32 v18, v18, v19
	v_not_b32_e32 v19, v23
	v_cmp_gt_i64_e32 vcc, 0, v[22:23]
	v_ashrrev_i32_e32 v19, 31, v19
	v_and_b32_e32 v17, v17, v20
	v_xor_b32_e32 v20, vcc_hi, v19
	v_xor_b32_e32 v19, vcc_lo, v19
	v_lshlrev_b32_e32 v23, 26, v16
	v_and_b32_e32 v18, v18, v19
	v_not_b32_e32 v19, v23
	v_cmp_gt_i64_e32 vcc, 0, v[22:23]
	v_ashrrev_i32_e32 v19, 31, v19
	v_and_b32_e32 v17, v17, v20
	v_xor_b32_e32 v20, vcc_hi, v19
	v_xor_b32_e32 v19, vcc_lo, v19
	v_lshlrev_b32_e32 v23, 25, v16
	v_and_b32_e32 v18, v18, v19
	v_cmp_gt_i64_e32 vcc, 0, v[22:23]
	v_not_b32_e32 v19, v23
	v_lshlrev_b32_e32 v23, 24, v16
	v_ashrrev_i32_e32 v19, 31, v19
	v_not_b32_e32 v16, v23
	v_and_b32_e32 v17, v17, v20
	v_xor_b32_e32 v20, vcc_hi, v19
	v_xor_b32_e32 v19, vcc_lo, v19
	v_cmp_gt_i64_e32 vcc, 0, v[22:23]
	v_ashrrev_i32_e32 v16, 31, v16
	v_and_b32_e32 v18, v18, v19
	v_xor_b32_e32 v19, vcc_hi, v16
	v_xor_b32_e32 v16, vcc_lo, v16
	; wave barrier
	ds_read_b32 v39, v40 offset:8
	v_and_b32_e32 v17, v17, v20
	v_and_b32_e32 v16, v18, v16
	;; [unrolled: 1-line block ×3, first 2 shown]
	v_mbcnt_lo_u32_b32 v18, v16, 0
	v_mbcnt_hi_u32_b32 v41, v17, v18
	v_cmp_eq_u32_e32 vcc, 0, v41
	v_cmp_ne_u64_e64 s[16:17], 0, v[16:17]
	s_and_b64 s[20:21], s[16:17], vcc
	; wave barrier
	s_and_saveexec_b64 s[16:17], s[20:21]
	s_cbranch_execz .LBB222_87
; %bb.86:
	v_bcnt_u32_b32 v16, v16, 0
	v_bcnt_u32_b32 v16, v17, v16
	s_waitcnt lgkmcnt(0)
	v_add_u32_e32 v16, v39, v16
	ds_write_b32 v40, v16 offset:8
.LBB222_87:
	s_or_b64 exec, exec, s[16:17]
	v_mov_b32_e32 v20, 0x7fff
	v_cmp_ne_u16_e32 vcc, s19, v31
	v_cndmask_b32_e32 v16, v20, v31, vcc
	v_and_b32_sdwa v18, s18, v16 dst_sel:DWORD dst_unused:UNUSED_PAD src0_sel:DWORD src1_sel:WORD_0
	v_and_b32_e32 v17, 1, v18
	v_add_co_u32_e32 v19, vcc, -1, v17
	v_addc_co_u32_e64 v21, s[16:17], 0, -1, vcc
	v_cmp_ne_u32_e32 vcc, 0, v17
	v_lshlrev_b32_e32 v16, 1, v18
	v_xor_b32_e32 v17, vcc_hi, v21
	v_add_lshl_u32 v66, v24, v16, 2
	v_mov_b32_e32 v16, 0
	v_and_b32_e32 v21, exec_hi, v17
	v_lshlrev_b32_e32 v17, 30, v18
	v_xor_b32_e32 v19, vcc_lo, v19
	v_cmp_gt_i64_e32 vcc, 0, v[16:17]
	v_not_b32_e32 v17, v17
	v_ashrrev_i32_e32 v17, 31, v17
	v_and_b32_e32 v19, exec_lo, v19
	v_xor_b32_e32 v22, vcc_hi, v17
	v_xor_b32_e32 v17, vcc_lo, v17
	v_and_b32_e32 v19, v19, v17
	v_lshlrev_b32_e32 v17, 29, v18
	v_cmp_gt_i64_e32 vcc, 0, v[16:17]
	v_not_b32_e32 v17, v17
	v_ashrrev_i32_e32 v17, 31, v17
	v_and_b32_e32 v21, v21, v22
	v_xor_b32_e32 v22, vcc_hi, v17
	v_xor_b32_e32 v17, vcc_lo, v17
	v_and_b32_e32 v19, v19, v17
	v_lshlrev_b32_e32 v17, 28, v18
	v_cmp_gt_i64_e32 vcc, 0, v[16:17]
	v_not_b32_e32 v17, v17
	v_ashrrev_i32_e32 v17, 31, v17
	v_and_b32_e32 v21, v21, v22
	;; [unrolled: 8-line block ×5, first 2 shown]
	v_xor_b32_e32 v22, vcc_hi, v17
	v_xor_b32_e32 v17, vcc_lo, v17
	v_and_b32_e32 v21, v21, v22
	v_and_b32_e32 v22, v19, v17
	v_lshlrev_b32_e32 v17, 24, v18
	v_cmp_gt_i64_e32 vcc, 0, v[16:17]
	v_not_b32_e32 v17, v17
	v_ashrrev_i32_e32 v17, 31, v17
	v_xor_b32_e32 v18, vcc_hi, v17
	v_xor_b32_e32 v17, vcc_lo, v17
	; wave barrier
	ds_read_b32 v65, v66 offset:8
	v_and_b32_e32 v19, v21, v18
	v_and_b32_e32 v18, v22, v17
	v_mbcnt_lo_u32_b32 v17, v18, 0
	v_mbcnt_hi_u32_b32 v67, v19, v17
	v_cmp_eq_u32_e32 vcc, 0, v67
	v_cmp_ne_u64_e64 s[16:17], 0, v[18:19]
	s_and_b64 s[20:21], s[16:17], vcc
	; wave barrier
	s_and_saveexec_b64 s[16:17], s[20:21]
	s_cbranch_execz .LBB222_89
; %bb.88:
	v_bcnt_u32_b32 v17, v18, 0
	v_bcnt_u32_b32 v17, v19, v17
	s_waitcnt lgkmcnt(0)
	v_add_u32_e32 v17, v65, v17
	ds_write_b32 v66, v17 offset:8
.LBB222_89:
	s_or_b64 exec, exec, s[16:17]
	v_cmp_ne_u16_e32 vcc, s19, v30
	v_cndmask_b32_e32 v17, v20, v30, vcc
	v_and_b32_sdwa v18, s18, v17 dst_sel:DWORD dst_unused:UNUSED_PAD src0_sel:DWORD src1_sel:WORD_0
	v_lshlrev_b32_e32 v17, 1, v18
	v_add_lshl_u32 v69, v24, v17, 2
	v_and_b32_e32 v17, 1, v18
	v_add_co_u32_e32 v19, vcc, -1, v17
	v_addc_co_u32_e64 v20, s[16:17], 0, -1, vcc
	v_cmp_ne_u32_e32 vcc, 0, v17
	v_xor_b32_e32 v17, vcc_hi, v20
	v_and_b32_e32 v20, exec_hi, v17
	v_lshlrev_b32_e32 v17, 30, v18
	v_xor_b32_e32 v19, vcc_lo, v19
	v_cmp_gt_i64_e32 vcc, 0, v[16:17]
	v_not_b32_e32 v17, v17
	v_ashrrev_i32_e32 v17, 31, v17
	v_and_b32_e32 v19, exec_lo, v19
	v_xor_b32_e32 v21, vcc_hi, v17
	v_xor_b32_e32 v17, vcc_lo, v17
	v_and_b32_e32 v19, v19, v17
	v_lshlrev_b32_e32 v17, 29, v18
	v_cmp_gt_i64_e32 vcc, 0, v[16:17]
	v_not_b32_e32 v17, v17
	v_ashrrev_i32_e32 v17, 31, v17
	v_and_b32_e32 v20, v20, v21
	v_xor_b32_e32 v21, vcc_hi, v17
	v_xor_b32_e32 v17, vcc_lo, v17
	v_and_b32_e32 v19, v19, v17
	v_lshlrev_b32_e32 v17, 28, v18
	v_cmp_gt_i64_e32 vcc, 0, v[16:17]
	v_not_b32_e32 v17, v17
	v_ashrrev_i32_e32 v17, 31, v17
	v_and_b32_e32 v20, v20, v21
	;; [unrolled: 8-line block ×5, first 2 shown]
	v_xor_b32_e32 v21, vcc_hi, v17
	v_xor_b32_e32 v17, vcc_lo, v17
	v_and_b32_e32 v19, v19, v17
	v_lshlrev_b32_e32 v17, 24, v18
	v_cmp_gt_i64_e32 vcc, 0, v[16:17]
	v_not_b32_e32 v16, v17
	v_ashrrev_i32_e32 v16, 31, v16
	v_xor_b32_e32 v17, vcc_hi, v16
	v_xor_b32_e32 v16, vcc_lo, v16
	; wave barrier
	ds_read_b32 v68, v69 offset:8
	v_and_b32_e32 v20, v20, v21
	v_and_b32_e32 v16, v19, v16
	;; [unrolled: 1-line block ×3, first 2 shown]
	v_mbcnt_lo_u32_b32 v18, v16, 0
	v_mbcnt_hi_u32_b32 v70, v17, v18
	v_cmp_eq_u32_e32 vcc, 0, v70
	v_cmp_ne_u64_e64 s[16:17], 0, v[16:17]
	s_and_b64 s[20:21], s[16:17], vcc
	; wave barrier
	s_and_saveexec_b64 s[16:17], s[20:21]
	s_cbranch_execz .LBB222_91
; %bb.90:
	v_bcnt_u32_b32 v16, v16, 0
	v_bcnt_u32_b32 v16, v17, v16
	s_waitcnt lgkmcnt(0)
	v_add_u32_e32 v16, v68, v16
	ds_write_b32 v69, v16 offset:8
.LBB222_91:
	s_or_b64 exec, exec, s[16:17]
	v_mov_b32_e32 v20, 0x7fff
	v_cmp_ne_u16_e32 vcc, s19, v29
	v_cndmask_b32_e32 v16, v20, v29, vcc
	v_and_b32_sdwa v18, s18, v16 dst_sel:DWORD dst_unused:UNUSED_PAD src0_sel:DWORD src1_sel:WORD_0
	v_and_b32_e32 v17, 1, v18
	v_add_co_u32_e32 v19, vcc, -1, v17
	v_addc_co_u32_e64 v21, s[16:17], 0, -1, vcc
	v_cmp_ne_u32_e32 vcc, 0, v17
	v_lshlrev_b32_e32 v16, 1, v18
	v_xor_b32_e32 v17, vcc_hi, v21
	v_add_lshl_u32 v72, v24, v16, 2
	v_mov_b32_e32 v16, 0
	v_and_b32_e32 v21, exec_hi, v17
	v_lshlrev_b32_e32 v17, 30, v18
	v_xor_b32_e32 v19, vcc_lo, v19
	v_cmp_gt_i64_e32 vcc, 0, v[16:17]
	v_not_b32_e32 v17, v17
	v_ashrrev_i32_e32 v17, 31, v17
	v_and_b32_e32 v19, exec_lo, v19
	v_xor_b32_e32 v22, vcc_hi, v17
	v_xor_b32_e32 v17, vcc_lo, v17
	v_and_b32_e32 v19, v19, v17
	v_lshlrev_b32_e32 v17, 29, v18
	v_cmp_gt_i64_e32 vcc, 0, v[16:17]
	v_not_b32_e32 v17, v17
	v_ashrrev_i32_e32 v17, 31, v17
	v_and_b32_e32 v21, v21, v22
	v_xor_b32_e32 v22, vcc_hi, v17
	v_xor_b32_e32 v17, vcc_lo, v17
	v_and_b32_e32 v19, v19, v17
	v_lshlrev_b32_e32 v17, 28, v18
	v_cmp_gt_i64_e32 vcc, 0, v[16:17]
	v_not_b32_e32 v17, v17
	v_ashrrev_i32_e32 v17, 31, v17
	v_and_b32_e32 v21, v21, v22
	;; [unrolled: 8-line block ×5, first 2 shown]
	v_xor_b32_e32 v22, vcc_hi, v17
	v_xor_b32_e32 v17, vcc_lo, v17
	v_and_b32_e32 v21, v21, v22
	v_and_b32_e32 v22, v19, v17
	v_lshlrev_b32_e32 v17, 24, v18
	v_cmp_gt_i64_e32 vcc, 0, v[16:17]
	v_not_b32_e32 v17, v17
	v_ashrrev_i32_e32 v17, 31, v17
	v_xor_b32_e32 v18, vcc_hi, v17
	v_xor_b32_e32 v17, vcc_lo, v17
	; wave barrier
	ds_read_b32 v71, v72 offset:8
	v_and_b32_e32 v19, v21, v18
	v_and_b32_e32 v18, v22, v17
	v_mbcnt_lo_u32_b32 v17, v18, 0
	v_mbcnt_hi_u32_b32 v73, v19, v17
	v_cmp_eq_u32_e32 vcc, 0, v73
	v_cmp_ne_u64_e64 s[16:17], 0, v[18:19]
	s_and_b64 s[20:21], s[16:17], vcc
	; wave barrier
	s_and_saveexec_b64 s[16:17], s[20:21]
	s_cbranch_execz .LBB222_93
; %bb.92:
	v_bcnt_u32_b32 v17, v18, 0
	v_bcnt_u32_b32 v17, v19, v17
	s_waitcnt lgkmcnt(0)
	v_add_u32_e32 v17, v71, v17
	ds_write_b32 v72, v17 offset:8
.LBB222_93:
	s_or_b64 exec, exec, s[16:17]
	v_cmp_ne_u16_e32 vcc, s19, v28
	v_cndmask_b32_e32 v17, v20, v28, vcc
	v_and_b32_sdwa v18, s18, v17 dst_sel:DWORD dst_unused:UNUSED_PAD src0_sel:DWORD src1_sel:WORD_0
	v_lshlrev_b32_e32 v17, 1, v18
	v_add_lshl_u32 v75, v24, v17, 2
	v_and_b32_e32 v17, 1, v18
	v_add_co_u32_e32 v19, vcc, -1, v17
	v_addc_co_u32_e64 v20, s[16:17], 0, -1, vcc
	v_cmp_ne_u32_e32 vcc, 0, v17
	v_xor_b32_e32 v17, vcc_hi, v20
	v_and_b32_e32 v20, exec_hi, v17
	v_lshlrev_b32_e32 v17, 30, v18
	v_xor_b32_e32 v19, vcc_lo, v19
	v_cmp_gt_i64_e32 vcc, 0, v[16:17]
	v_not_b32_e32 v17, v17
	v_ashrrev_i32_e32 v17, 31, v17
	v_and_b32_e32 v19, exec_lo, v19
	v_xor_b32_e32 v21, vcc_hi, v17
	v_xor_b32_e32 v17, vcc_lo, v17
	v_and_b32_e32 v19, v19, v17
	v_lshlrev_b32_e32 v17, 29, v18
	v_cmp_gt_i64_e32 vcc, 0, v[16:17]
	v_not_b32_e32 v17, v17
	v_ashrrev_i32_e32 v17, 31, v17
	v_and_b32_e32 v20, v20, v21
	v_xor_b32_e32 v21, vcc_hi, v17
	v_xor_b32_e32 v17, vcc_lo, v17
	v_and_b32_e32 v19, v19, v17
	v_lshlrev_b32_e32 v17, 28, v18
	v_cmp_gt_i64_e32 vcc, 0, v[16:17]
	v_not_b32_e32 v17, v17
	v_ashrrev_i32_e32 v17, 31, v17
	v_and_b32_e32 v20, v20, v21
	;; [unrolled: 8-line block ×5, first 2 shown]
	v_xor_b32_e32 v21, vcc_hi, v17
	v_xor_b32_e32 v17, vcc_lo, v17
	v_and_b32_e32 v19, v19, v17
	v_lshlrev_b32_e32 v17, 24, v18
	v_cmp_gt_i64_e32 vcc, 0, v[16:17]
	v_not_b32_e32 v16, v17
	v_ashrrev_i32_e32 v16, 31, v16
	v_xor_b32_e32 v17, vcc_hi, v16
	v_xor_b32_e32 v16, vcc_lo, v16
	; wave barrier
	ds_read_b32 v74, v75 offset:8
	v_and_b32_e32 v20, v20, v21
	v_and_b32_e32 v16, v19, v16
	;; [unrolled: 1-line block ×3, first 2 shown]
	v_mbcnt_lo_u32_b32 v18, v16, 0
	v_mbcnt_hi_u32_b32 v76, v17, v18
	v_cmp_eq_u32_e32 vcc, 0, v76
	v_cmp_ne_u64_e64 s[16:17], 0, v[16:17]
	s_and_b64 s[20:21], s[16:17], vcc
	; wave barrier
	s_and_saveexec_b64 s[16:17], s[20:21]
	s_cbranch_execz .LBB222_95
; %bb.94:
	v_bcnt_u32_b32 v16, v16, 0
	v_bcnt_u32_b32 v16, v17, v16
	s_waitcnt lgkmcnt(0)
	v_add_u32_e32 v16, v74, v16
	ds_write_b32 v75, v16 offset:8
.LBB222_95:
	s_or_b64 exec, exec, s[16:17]
	v_mov_b32_e32 v20, 0x7fff
	v_cmp_ne_u16_e32 vcc, s19, v27
	v_cndmask_b32_e32 v16, v20, v27, vcc
	v_and_b32_sdwa v18, s18, v16 dst_sel:DWORD dst_unused:UNUSED_PAD src0_sel:DWORD src1_sel:WORD_0
	v_and_b32_e32 v17, 1, v18
	v_add_co_u32_e32 v19, vcc, -1, v17
	v_addc_co_u32_e64 v21, s[16:17], 0, -1, vcc
	v_cmp_ne_u32_e32 vcc, 0, v17
	v_lshlrev_b32_e32 v16, 1, v18
	v_xor_b32_e32 v17, vcc_hi, v21
	v_add_lshl_u32 v78, v24, v16, 2
	v_mov_b32_e32 v16, 0
	v_and_b32_e32 v21, exec_hi, v17
	v_lshlrev_b32_e32 v17, 30, v18
	v_xor_b32_e32 v19, vcc_lo, v19
	v_cmp_gt_i64_e32 vcc, 0, v[16:17]
	v_not_b32_e32 v17, v17
	v_ashrrev_i32_e32 v17, 31, v17
	v_and_b32_e32 v19, exec_lo, v19
	v_xor_b32_e32 v22, vcc_hi, v17
	v_xor_b32_e32 v17, vcc_lo, v17
	v_and_b32_e32 v19, v19, v17
	v_lshlrev_b32_e32 v17, 29, v18
	v_cmp_gt_i64_e32 vcc, 0, v[16:17]
	v_not_b32_e32 v17, v17
	v_ashrrev_i32_e32 v17, 31, v17
	v_and_b32_e32 v21, v21, v22
	v_xor_b32_e32 v22, vcc_hi, v17
	v_xor_b32_e32 v17, vcc_lo, v17
	v_and_b32_e32 v19, v19, v17
	v_lshlrev_b32_e32 v17, 28, v18
	v_cmp_gt_i64_e32 vcc, 0, v[16:17]
	v_not_b32_e32 v17, v17
	v_ashrrev_i32_e32 v17, 31, v17
	v_and_b32_e32 v21, v21, v22
	;; [unrolled: 8-line block ×5, first 2 shown]
	v_xor_b32_e32 v22, vcc_hi, v17
	v_xor_b32_e32 v17, vcc_lo, v17
	v_and_b32_e32 v21, v21, v22
	v_and_b32_e32 v22, v19, v17
	v_lshlrev_b32_e32 v17, 24, v18
	v_cmp_gt_i64_e32 vcc, 0, v[16:17]
	v_not_b32_e32 v17, v17
	v_ashrrev_i32_e32 v17, 31, v17
	v_xor_b32_e32 v18, vcc_hi, v17
	v_xor_b32_e32 v17, vcc_lo, v17
	; wave barrier
	ds_read_b32 v77, v78 offset:8
	v_and_b32_e32 v19, v21, v18
	v_and_b32_e32 v18, v22, v17
	v_mbcnt_lo_u32_b32 v17, v18, 0
	v_mbcnt_hi_u32_b32 v79, v19, v17
	v_cmp_eq_u32_e32 vcc, 0, v79
	v_cmp_ne_u64_e64 s[16:17], 0, v[18:19]
	s_and_b64 s[20:21], s[16:17], vcc
	; wave barrier
	s_and_saveexec_b64 s[16:17], s[20:21]
	s_cbranch_execz .LBB222_97
; %bb.96:
	v_bcnt_u32_b32 v17, v18, 0
	v_bcnt_u32_b32 v17, v19, v17
	s_waitcnt lgkmcnt(0)
	v_add_u32_e32 v17, v77, v17
	ds_write_b32 v78, v17 offset:8
.LBB222_97:
	s_or_b64 exec, exec, s[16:17]
	v_cmp_ne_u16_e32 vcc, s19, v25
	v_cndmask_b32_e32 v17, v20, v25, vcc
	v_and_b32_sdwa v18, s18, v17 dst_sel:DWORD dst_unused:UNUSED_PAD src0_sel:DWORD src1_sel:WORD_0
	v_lshlrev_b32_e32 v17, 1, v18
	v_add_lshl_u32 v81, v24, v17, 2
	v_and_b32_e32 v17, 1, v18
	v_add_co_u32_e32 v19, vcc, -1, v17
	v_addc_co_u32_e64 v20, s[16:17], 0, -1, vcc
	v_cmp_ne_u32_e32 vcc, 0, v17
	v_xor_b32_e32 v17, vcc_hi, v20
	v_and_b32_e32 v20, exec_hi, v17
	v_lshlrev_b32_e32 v17, 30, v18
	v_xor_b32_e32 v19, vcc_lo, v19
	v_cmp_gt_i64_e32 vcc, 0, v[16:17]
	v_not_b32_e32 v17, v17
	v_ashrrev_i32_e32 v17, 31, v17
	v_and_b32_e32 v19, exec_lo, v19
	v_xor_b32_e32 v21, vcc_hi, v17
	v_xor_b32_e32 v17, vcc_lo, v17
	v_and_b32_e32 v19, v19, v17
	v_lshlrev_b32_e32 v17, 29, v18
	v_cmp_gt_i64_e32 vcc, 0, v[16:17]
	v_not_b32_e32 v17, v17
	v_ashrrev_i32_e32 v17, 31, v17
	v_and_b32_e32 v20, v20, v21
	v_xor_b32_e32 v21, vcc_hi, v17
	v_xor_b32_e32 v17, vcc_lo, v17
	v_and_b32_e32 v19, v19, v17
	v_lshlrev_b32_e32 v17, 28, v18
	v_cmp_gt_i64_e32 vcc, 0, v[16:17]
	v_not_b32_e32 v17, v17
	v_ashrrev_i32_e32 v17, 31, v17
	v_and_b32_e32 v20, v20, v21
	;; [unrolled: 8-line block ×5, first 2 shown]
	v_xor_b32_e32 v21, vcc_hi, v17
	v_xor_b32_e32 v17, vcc_lo, v17
	v_and_b32_e32 v19, v19, v17
	v_lshlrev_b32_e32 v17, 24, v18
	v_cmp_gt_i64_e32 vcc, 0, v[16:17]
	v_not_b32_e32 v16, v17
	v_ashrrev_i32_e32 v16, 31, v16
	v_xor_b32_e32 v17, vcc_hi, v16
	v_xor_b32_e32 v16, vcc_lo, v16
	; wave barrier
	ds_read_b32 v80, v81 offset:8
	v_and_b32_e32 v20, v20, v21
	v_and_b32_e32 v16, v19, v16
	;; [unrolled: 1-line block ×3, first 2 shown]
	v_mbcnt_lo_u32_b32 v18, v16, 0
	v_mbcnt_hi_u32_b32 v82, v17, v18
	v_cmp_eq_u32_e32 vcc, 0, v82
	v_cmp_ne_u64_e64 s[16:17], 0, v[16:17]
	v_or_b32_e32 v22, 8, v64
	v_lshrrev_b32_e32 v23, 6, v46
	v_min_u32_e32 v34, 64, v34
	s_and_b64 s[18:19], s[16:17], vcc
	; wave barrier
	s_and_saveexec_b64 s[16:17], s[18:19]
	s_cbranch_execz .LBB222_99
; %bb.98:
	v_bcnt_u32_b32 v16, v16, 0
	v_bcnt_u32_b32 v16, v17, v16
	s_waitcnt lgkmcnt(0)
	v_add_u32_e32 v16, v80, v16
	ds_write_b32 v81, v16 offset:8
.LBB222_99:
	s_or_b64 exec, exec, s[16:17]
	; wave barrier
	s_waitcnt lgkmcnt(0)
	s_barrier
	ds_read2_b32 v[18:19], v64 offset0:2 offset1:3
	ds_read2_b32 v[20:21], v22 offset0:2 offset1:3
	v_and_b32_e32 v17, 16, v26
	v_cmp_eq_u32_e32 vcc, 0, v17
	v_or_b32_e32 v17, 63, v34
	v_cmp_eq_u32_e64 s[16:17], v17, v46
	s_waitcnt lgkmcnt(1)
	v_add_u32_e32 v17, v19, v18
	v_and_b32_e32 v16, 15, v26
	s_waitcnt lgkmcnt(0)
	v_add3_u32 v17, v17, v20, v21
	v_cmp_eq_u32_e64 s[20:21], 0, v16
	v_cmp_lt_u32_e64 s[22:23], 1, v16
	v_mov_b32_dpp v21, v17 row_shr:1 row_mask:0xf bank_mask:0xf
	v_cndmask_b32_e64 v21, v21, 0, s[20:21]
	v_add_u32_e32 v17, v21, v17
	v_cmp_lt_u32_e64 s[26:27], 3, v16
	v_cmp_lt_u32_e64 s[28:29], 7, v16
	v_mov_b32_dpp v21, v17 row_shr:2 row_mask:0xf bank_mask:0xf
	v_cndmask_b32_e64 v21, 0, v21, s[22:23]
	v_add_u32_e32 v17, v17, v21
	v_bfe_i32 v35, v26, 4, 1
	v_cmp_lt_u32_e64 s[34:35], 31, v26
	v_mov_b32_dpp v21, v17 row_shr:4 row_mask:0xf bank_mask:0xf
	v_cndmask_b32_e64 v21, 0, v21, s[26:27]
	v_add_u32_e32 v17, v17, v21
	v_lshlrev_b32_e32 v23, 2, v23
	s_nop 0
	v_mov_b32_dpp v21, v17 row_shr:8 row_mask:0xf bank_mask:0xf
	v_cndmask_b32_e64 v16, 0, v21, s[28:29]
	v_add_u32_e32 v16, v17, v16
	s_nop 1
	v_mov_b32_dpp v17, v16 row_bcast:15 row_mask:0xf bank_mask:0xf
	v_and_b32_e32 v17, v35, v17
	v_add_u32_e32 v16, v16, v17
	s_nop 1
	v_mov_b32_dpp v17, v16 row_bcast:31 row_mask:0xf bank_mask:0xf
	v_cndmask_b32_e64 v17, 0, v17, s[34:35]
	v_add_u32_e32 v17, v16, v17
	s_and_saveexec_b64 s[18:19], s[16:17]
	s_cbranch_execz .LBB222_101
; %bb.100:
	ds_write_b32 v23, v17
.LBB222_101:
	s_or_b64 exec, exec, s[18:19]
	v_and_b32_e32 v16, 1, v26
	v_cmp_gt_u32_e64 s[24:25], 2, v46
	v_lshlrev_b32_e32 v21, 2, v46
	v_cmp_eq_u32_e64 s[18:19], 0, v16
	s_waitcnt lgkmcnt(0)
	s_barrier
	s_and_saveexec_b64 s[30:31], s[24:25]
	s_cbranch_execz .LBB222_103
; %bb.102:
	ds_read_b32 v16, v21
	s_waitcnt lgkmcnt(0)
	s_nop 0
	v_mov_b32_dpp v34, v16 row_shr:1 row_mask:0xf bank_mask:0xf
	v_cndmask_b32_e64 v34, v34, 0, s[18:19]
	v_add_u32_e32 v16, v34, v16
	ds_write_b32 v21, v16
.LBB222_103:
	s_or_b64 exec, exec, s[30:31]
	v_cmp_lt_u32_e64 s[30:31], 63, v46
	v_add_u32_e32 v34, -4, v23
	v_mov_b32_e32 v16, 0
	v_mov_b32_e32 v83, 0
	s_waitcnt lgkmcnt(0)
	s_barrier
	s_and_saveexec_b64 s[36:37], s[30:31]
	s_cbranch_execz .LBB222_105
; %bb.104:
	ds_read_b32 v83, v34
.LBB222_105:
	s_or_b64 exec, exec, s[36:37]
	v_add_u32_e32 v35, -1, v26
	v_and_b32_e32 v84, 64, v26
	v_cmp_lt_i32_e64 s[36:37], v35, v84
	v_cndmask_b32_e64 v35, v35, v26, s[36:37]
	v_lshlrev_b32_e32 v35, 2, v35
	s_waitcnt lgkmcnt(0)
	v_add_u32_e32 v17, v83, v17
	ds_bpermute_b32 v17, v35, v17
	v_cmp_eq_u32_e64 s[36:37], 0, v26
	v_cmp_eq_u32_e64 s[38:39], 0, v46
	v_and_or_b32 v36, v26, 63, v36
	v_lshlrev_b32_e32 v84, 1, v36
	s_waitcnt lgkmcnt(0)
	v_cndmask_b32_e64 v17, v17, v83, s[36:37]
	v_cndmask_b32_e64 v17, v17, 0, s[38:39]
	v_add_u32_e32 v18, v17, v18
	v_add_u32_e32 v19, v18, v19
	;; [unrolled: 1-line block ×3, first 2 shown]
	ds_write2_b32 v64, v17, v18 offset0:2 offset1:3
	ds_write2_b32 v22, v19, v20 offset0:2 offset1:3
	s_waitcnt lgkmcnt(0)
	s_barrier
	ds_read_b32 v17, v37 offset:8
	ds_read_b32 v18, v40 offset:8
	;; [unrolled: 1-line block ×8, first 2 shown]
	s_waitcnt lgkmcnt(7)
	v_add_u32_e32 v17, v17, v38
	s_waitcnt lgkmcnt(6)
	v_add3_u32 v18, v41, v39, v18
	s_waitcnt lgkmcnt(4)
	v_add3_u32 v38, v70, v68, v20
	v_lshlrev_b32_e32 v20, 1, v17
	v_add3_u32 v19, v67, v65, v19
	s_waitcnt lgkmcnt(0)
	s_barrier
	ds_write_b16 v20, v33
	v_lshlrev_b32_e32 v20, 1, v18
	ds_write_b16 v20, v32
	v_lshlrev_b32_e32 v20, 1, v19
	v_add3_u32 v39, v73, v71, v26
	ds_write_b16 v20, v31
	v_lshlrev_b32_e32 v20, 1, v38
	v_add3_u32 v37, v76, v74, v37
	;; [unrolled: 3-line block ×4, first 2 shown]
	ds_write_b16 v20, v28
	v_lshlrev_b32_e32 v20, 1, v40
	ds_write_b16 v20, v27
	v_lshlrev_b32_e32 v20, 1, v41
	v_lshlrev_b32_e32 v17, 3, v17
	s_min_u32 s40, s40, 8
	ds_write_b16 v20, v25
	s_waitcnt lgkmcnt(0)
	s_barrier
	ds_read_u16 v31, v84
	ds_read_u16 v30, v84 offset:128
	ds_read_u16 v29, v84 offset:256
	;; [unrolled: 1-line block ×7, first 2 shown]
	s_waitcnt lgkmcnt(0)
	s_barrier
	ds_write_b64 v17, v[12:13]
	v_lshlrev_b32_e32 v12, 3, v18
	s_lshl_b32 s40, -1, s40
	s_movk_i32 s50, 0x8000
	ds_write_b64 v12, v[14:15]
	v_lshlrev_b32_e32 v12, 3, v19
	s_not_b32 s49, s40
	v_lshrrev_b16_e32 v17, 8, v31
	v_mov_b32_e32 v18, 0x7f
	v_cmp_ne_u16_e64 s[40:41], s50, v31
	ds_write_b64 v12, v[8:9]
	v_lshlrev_b32_e32 v8, 3, v38
	v_cndmask_b32_e64 v17, v18, v17, s[40:41]
	ds_write_b64 v8, v[10:11]
	v_lshlrev_b32_e32 v8, 3, v39
	v_and_b32_sdwa v19, v17, s49 dst_sel:DWORD dst_unused:UNUSED_PAD src0_sel:WORD_0 src1_sel:DWORD
	ds_write_b64 v8, v[4:5]
	v_lshlrev_b32_e32 v4, 3, v37
	v_lshlrev_b32_e32 v17, 1, v19
	ds_write_b64 v4, v[6:7]
	v_lshlrev_b32_e32 v4, 3, v40
	v_add_lshl_u32 v32, v17, v24, 2
	v_and_b32_e32 v17, 1, v19
	v_lshlrev_b32_e32 v36, 3, v36
	ds_write_b64 v4, v[0:1]
	v_lshlrev_b32_e32 v0, 3, v41
	v_add_co_u32_e64 v33, s[40:41], -1, v17
	ds_write_b64 v0, v[2:3]
	s_waitcnt lgkmcnt(0)
	s_barrier
	ds_read2st64_b64 v[12:15], v36 offset1:1
	ds_read2st64_b64 v[8:11], v36 offset0:2 offset1:3
	ds_read2st64_b64 v[4:7], v36 offset0:4 offset1:5
	;; [unrolled: 1-line block ×3, first 2 shown]
	v_addc_co_u32_e64 v36, s[40:41], 0, -1, s[40:41]
	v_cmp_ne_u32_e64 s[40:41], 0, v17
	v_xor_b32_e32 v17, s41, v36
	v_and_b32_e32 v36, exec_hi, v17
	v_lshlrev_b32_e32 v17, 30, v19
	v_xor_b32_e32 v33, s40, v33
	v_cmp_gt_i64_e64 s[40:41], 0, v[16:17]
	v_not_b32_e32 v17, v17
	v_ashrrev_i32_e32 v17, 31, v17
	v_and_b32_e32 v33, exec_lo, v33
	v_xor_b32_e32 v37, s41, v17
	v_xor_b32_e32 v17, s40, v17
	v_and_b32_e32 v33, v33, v17
	v_lshlrev_b32_e32 v17, 29, v19
	v_cmp_gt_i64_e64 s[40:41], 0, v[16:17]
	v_not_b32_e32 v17, v17
	v_ashrrev_i32_e32 v17, 31, v17
	v_and_b32_e32 v36, v36, v37
	v_xor_b32_e32 v37, s41, v17
	v_xor_b32_e32 v17, s40, v17
	v_and_b32_e32 v33, v33, v17
	v_lshlrev_b32_e32 v17, 28, v19
	v_cmp_gt_i64_e64 s[40:41], 0, v[16:17]
	v_not_b32_e32 v17, v17
	v_ashrrev_i32_e32 v17, 31, v17
	v_and_b32_e32 v36, v36, v37
	;; [unrolled: 8-line block ×5, first 2 shown]
	v_xor_b32_e32 v37, s41, v17
	v_xor_b32_e32 v17, s40, v17
	v_and_b32_e32 v33, v33, v17
	v_lshlrev_b32_e32 v17, 24, v19
	s_waitcnt lgkmcnt(0)
	s_barrier
	ds_write2_b32 v64, v16, v16 offset0:2 offset1:3
	ds_write2_b32 v22, v16, v16 offset0:2 offset1:3
	v_cmp_gt_i64_e64 s[40:41], 0, v[16:17]
	v_not_b32_e32 v16, v17
	v_ashrrev_i32_e32 v16, 31, v16
	v_xor_b32_e32 v17, s41, v16
	v_xor_b32_e32 v16, s40, v16
	v_and_b32_e32 v36, v36, v37
	v_and_b32_e32 v16, v33, v16
	v_and_b32_e32 v17, v36, v17
	v_mbcnt_lo_u32_b32 v19, v16, 0
	v_mbcnt_hi_u32_b32 v33, v17, v19
	v_cmp_eq_u32_e64 s[40:41], 0, v33
	v_cmp_ne_u64_e64 s[42:43], 0, v[16:17]
	s_and_b64 s[42:43], s[42:43], s[40:41]
	s_waitcnt lgkmcnt(0)
	s_barrier
	s_waitcnt lgkmcnt(0)
	; wave barrier
	s_and_saveexec_b64 s[40:41], s[42:43]
	s_cbranch_execz .LBB222_107
; %bb.106:
	v_bcnt_u32_b32 v16, v16, 0
	v_bcnt_u32_b32 v16, v17, v16
	ds_write_b32 v32, v16 offset:8
.LBB222_107:
	s_or_b64 exec, exec, s[40:41]
	v_lshrrev_b16_e32 v16, 8, v30
	v_cmp_ne_u16_e64 s[40:41], s50, v30
	v_cndmask_b32_e64 v16, v18, v16, s[40:41]
	v_and_b32_e32 v18, s49, v16
	v_and_b32_e32 v17, 1, v18
	v_add_co_u32_e64 v19, s[40:41], -1, v17
	v_addc_co_u32_e64 v38, s[40:41], 0, -1, s[40:41]
	v_cmp_ne_u32_e64 s[40:41], 0, v17
	v_lshlrev_b32_e32 v16, 1, v18
	v_xor_b32_e32 v17, s41, v38
	v_add_lshl_u32 v37, v16, v24, 2
	v_mov_b32_e32 v16, 0
	v_and_b32_e32 v38, exec_hi, v17
	v_lshlrev_b32_e32 v17, 30, v18
	v_xor_b32_e32 v19, s40, v19
	v_cmp_gt_i64_e64 s[40:41], 0, v[16:17]
	v_not_b32_e32 v17, v17
	v_ashrrev_i32_e32 v17, 31, v17
	v_and_b32_e32 v19, exec_lo, v19
	v_xor_b32_e32 v39, s41, v17
	v_xor_b32_e32 v17, s40, v17
	v_and_b32_e32 v19, v19, v17
	v_lshlrev_b32_e32 v17, 29, v18
	v_cmp_gt_i64_e64 s[40:41], 0, v[16:17]
	v_not_b32_e32 v17, v17
	v_ashrrev_i32_e32 v17, 31, v17
	v_and_b32_e32 v38, v38, v39
	v_xor_b32_e32 v39, s41, v17
	v_xor_b32_e32 v17, s40, v17
	v_and_b32_e32 v19, v19, v17
	v_lshlrev_b32_e32 v17, 28, v18
	v_cmp_gt_i64_e64 s[40:41], 0, v[16:17]
	v_not_b32_e32 v17, v17
	v_ashrrev_i32_e32 v17, 31, v17
	v_and_b32_e32 v38, v38, v39
	;; [unrolled: 8-line block ×5, first 2 shown]
	v_xor_b32_e32 v39, s41, v17
	v_xor_b32_e32 v17, s40, v17
	v_and_b32_e32 v38, v38, v39
	v_and_b32_e32 v39, v19, v17
	v_lshlrev_b32_e32 v17, 24, v18
	v_cmp_gt_i64_e64 s[40:41], 0, v[16:17]
	v_not_b32_e32 v17, v17
	v_ashrrev_i32_e32 v17, 31, v17
	v_xor_b32_e32 v18, s41, v17
	v_xor_b32_e32 v17, s40, v17
	; wave barrier
	ds_read_b32 v36, v37 offset:8
	v_and_b32_e32 v19, v38, v18
	v_and_b32_e32 v18, v39, v17
	v_mbcnt_lo_u32_b32 v17, v18, 0
	v_mbcnt_hi_u32_b32 v38, v19, v17
	v_cmp_eq_u32_e64 s[40:41], 0, v38
	v_cmp_ne_u64_e64 s[42:43], 0, v[18:19]
	s_and_b64 s[42:43], s[42:43], s[40:41]
	; wave barrier
	s_and_saveexec_b64 s[40:41], s[42:43]
	s_cbranch_execz .LBB222_109
; %bb.108:
	v_bcnt_u32_b32 v17, v18, 0
	v_bcnt_u32_b32 v17, v19, v17
	s_waitcnt lgkmcnt(0)
	v_add_u32_e32 v17, v36, v17
	ds_write_b32 v37, v17 offset:8
.LBB222_109:
	s_or_b64 exec, exec, s[40:41]
	v_lshrrev_b16_e32 v17, 8, v29
	v_mov_b32_e32 v18, 0x7f
	v_cmp_ne_u16_e64 s[40:41], s50, v29
	v_cndmask_b32_e64 v17, v18, v17, s[40:41]
	v_and_b32_e32 v19, s49, v17
	v_lshlrev_b32_e32 v17, 1, v19
	v_add_lshl_u32 v40, v17, v24, 2
	v_and_b32_e32 v17, 1, v19
	v_add_co_u32_e64 v41, s[40:41], -1, v17
	v_addc_co_u32_e64 v46, s[40:41], 0, -1, s[40:41]
	v_cmp_ne_u32_e64 s[40:41], 0, v17
	v_xor_b32_e32 v17, s41, v46
	v_and_b32_e32 v46, exec_hi, v17
	v_lshlrev_b32_e32 v17, 30, v19
	v_xor_b32_e32 v41, s40, v41
	v_cmp_gt_i64_e64 s[40:41], 0, v[16:17]
	v_not_b32_e32 v17, v17
	v_ashrrev_i32_e32 v17, 31, v17
	v_and_b32_e32 v41, exec_lo, v41
	v_xor_b32_e32 v65, s41, v17
	v_xor_b32_e32 v17, s40, v17
	v_and_b32_e32 v41, v41, v17
	v_lshlrev_b32_e32 v17, 29, v19
	v_cmp_gt_i64_e64 s[40:41], 0, v[16:17]
	v_not_b32_e32 v17, v17
	v_ashrrev_i32_e32 v17, 31, v17
	v_and_b32_e32 v46, v46, v65
	v_xor_b32_e32 v65, s41, v17
	v_xor_b32_e32 v17, s40, v17
	v_and_b32_e32 v41, v41, v17
	v_lshlrev_b32_e32 v17, 28, v19
	v_cmp_gt_i64_e64 s[40:41], 0, v[16:17]
	v_not_b32_e32 v17, v17
	v_ashrrev_i32_e32 v17, 31, v17
	v_and_b32_e32 v46, v46, v65
	;; [unrolled: 8-line block ×5, first 2 shown]
	v_xor_b32_e32 v65, s41, v17
	v_xor_b32_e32 v17, s40, v17
	v_and_b32_e32 v41, v41, v17
	v_lshlrev_b32_e32 v17, 24, v19
	v_cmp_gt_i64_e64 s[40:41], 0, v[16:17]
	v_not_b32_e32 v16, v17
	v_ashrrev_i32_e32 v16, 31, v16
	v_xor_b32_e32 v17, s41, v16
	v_xor_b32_e32 v16, s40, v16
	; wave barrier
	ds_read_b32 v39, v40 offset:8
	v_and_b32_e32 v46, v46, v65
	v_and_b32_e32 v16, v41, v16
	;; [unrolled: 1-line block ×3, first 2 shown]
	v_mbcnt_lo_u32_b32 v19, v16, 0
	v_mbcnt_hi_u32_b32 v41, v17, v19
	v_cmp_eq_u32_e64 s[40:41], 0, v41
	v_cmp_ne_u64_e64 s[42:43], 0, v[16:17]
	s_and_b64 s[42:43], s[42:43], s[40:41]
	; wave barrier
	s_and_saveexec_b64 s[40:41], s[42:43]
	s_cbranch_execz .LBB222_111
; %bb.110:
	v_bcnt_u32_b32 v16, v16, 0
	v_bcnt_u32_b32 v16, v17, v16
	s_waitcnt lgkmcnt(0)
	v_add_u32_e32 v16, v39, v16
	ds_write_b32 v40, v16 offset:8
.LBB222_111:
	s_or_b64 exec, exec, s[40:41]
	v_lshrrev_b16_e32 v16, 8, v28
	v_cmp_ne_u16_e64 s[40:41], s50, v28
	v_cndmask_b32_e64 v16, v18, v16, s[40:41]
	v_and_b32_e32 v18, s49, v16
	v_and_b32_e32 v17, 1, v18
	v_add_co_u32_e64 v19, s[40:41], -1, v17
	v_addc_co_u32_e64 v66, s[40:41], 0, -1, s[40:41]
	v_cmp_ne_u32_e64 s[40:41], 0, v17
	v_lshlrev_b32_e32 v16, 1, v18
	v_xor_b32_e32 v17, s41, v66
	v_add_lshl_u32 v65, v16, v24, 2
	v_mov_b32_e32 v16, 0
	v_and_b32_e32 v66, exec_hi, v17
	v_lshlrev_b32_e32 v17, 30, v18
	v_xor_b32_e32 v19, s40, v19
	v_cmp_gt_i64_e64 s[40:41], 0, v[16:17]
	v_not_b32_e32 v17, v17
	v_ashrrev_i32_e32 v17, 31, v17
	v_and_b32_e32 v19, exec_lo, v19
	v_xor_b32_e32 v67, s41, v17
	v_xor_b32_e32 v17, s40, v17
	v_and_b32_e32 v19, v19, v17
	v_lshlrev_b32_e32 v17, 29, v18
	v_cmp_gt_i64_e64 s[40:41], 0, v[16:17]
	v_not_b32_e32 v17, v17
	v_ashrrev_i32_e32 v17, 31, v17
	v_and_b32_e32 v66, v66, v67
	v_xor_b32_e32 v67, s41, v17
	v_xor_b32_e32 v17, s40, v17
	v_and_b32_e32 v19, v19, v17
	v_lshlrev_b32_e32 v17, 28, v18
	v_cmp_gt_i64_e64 s[40:41], 0, v[16:17]
	v_not_b32_e32 v17, v17
	v_ashrrev_i32_e32 v17, 31, v17
	v_and_b32_e32 v66, v66, v67
	;; [unrolled: 8-line block ×5, first 2 shown]
	v_xor_b32_e32 v67, s41, v17
	v_xor_b32_e32 v17, s40, v17
	v_and_b32_e32 v66, v66, v67
	v_and_b32_e32 v67, v19, v17
	v_lshlrev_b32_e32 v17, 24, v18
	v_cmp_gt_i64_e64 s[40:41], 0, v[16:17]
	v_not_b32_e32 v17, v17
	v_ashrrev_i32_e32 v17, 31, v17
	v_xor_b32_e32 v18, s41, v17
	v_xor_b32_e32 v17, s40, v17
	; wave barrier
	ds_read_b32 v46, v65 offset:8
	v_and_b32_e32 v19, v66, v18
	v_and_b32_e32 v18, v67, v17
	v_mbcnt_lo_u32_b32 v17, v18, 0
	v_mbcnt_hi_u32_b32 v66, v19, v17
	v_cmp_eq_u32_e64 s[40:41], 0, v66
	v_cmp_ne_u64_e64 s[42:43], 0, v[18:19]
	s_and_b64 s[42:43], s[42:43], s[40:41]
	; wave barrier
	s_and_saveexec_b64 s[40:41], s[42:43]
	s_cbranch_execz .LBB222_113
; %bb.112:
	v_bcnt_u32_b32 v17, v18, 0
	v_bcnt_u32_b32 v17, v19, v17
	s_waitcnt lgkmcnt(0)
	v_add_u32_e32 v17, v46, v17
	ds_write_b32 v65, v17 offset:8
.LBB222_113:
	s_or_b64 exec, exec, s[40:41]
	v_lshrrev_b16_e32 v17, 8, v27
	v_mov_b32_e32 v18, 0x7f
	v_cmp_ne_u16_e64 s[40:41], s50, v27
	v_cndmask_b32_e64 v17, v18, v17, s[40:41]
	v_and_b32_e32 v19, s49, v17
	v_lshlrev_b32_e32 v17, 1, v19
	v_add_lshl_u32 v68, v17, v24, 2
	v_and_b32_e32 v17, 1, v19
	v_add_co_u32_e64 v69, s[40:41], -1, v17
	v_addc_co_u32_e64 v70, s[40:41], 0, -1, s[40:41]
	v_cmp_ne_u32_e64 s[40:41], 0, v17
	v_xor_b32_e32 v17, s41, v70
	v_and_b32_e32 v70, exec_hi, v17
	v_lshlrev_b32_e32 v17, 30, v19
	v_xor_b32_e32 v69, s40, v69
	v_cmp_gt_i64_e64 s[40:41], 0, v[16:17]
	v_not_b32_e32 v17, v17
	v_ashrrev_i32_e32 v17, 31, v17
	v_and_b32_e32 v69, exec_lo, v69
	v_xor_b32_e32 v71, s41, v17
	v_xor_b32_e32 v17, s40, v17
	v_and_b32_e32 v69, v69, v17
	v_lshlrev_b32_e32 v17, 29, v19
	v_cmp_gt_i64_e64 s[40:41], 0, v[16:17]
	v_not_b32_e32 v17, v17
	v_ashrrev_i32_e32 v17, 31, v17
	v_and_b32_e32 v70, v70, v71
	v_xor_b32_e32 v71, s41, v17
	v_xor_b32_e32 v17, s40, v17
	v_and_b32_e32 v69, v69, v17
	v_lshlrev_b32_e32 v17, 28, v19
	v_cmp_gt_i64_e64 s[40:41], 0, v[16:17]
	v_not_b32_e32 v17, v17
	v_ashrrev_i32_e32 v17, 31, v17
	v_and_b32_e32 v70, v70, v71
	;; [unrolled: 8-line block ×5, first 2 shown]
	v_xor_b32_e32 v71, s41, v17
	v_xor_b32_e32 v17, s40, v17
	v_and_b32_e32 v69, v69, v17
	v_lshlrev_b32_e32 v17, 24, v19
	v_cmp_gt_i64_e64 s[40:41], 0, v[16:17]
	v_not_b32_e32 v16, v17
	v_ashrrev_i32_e32 v16, 31, v16
	v_xor_b32_e32 v17, s41, v16
	v_xor_b32_e32 v16, s40, v16
	; wave barrier
	ds_read_b32 v67, v68 offset:8
	v_and_b32_e32 v70, v70, v71
	v_and_b32_e32 v16, v69, v16
	;; [unrolled: 1-line block ×3, first 2 shown]
	v_mbcnt_lo_u32_b32 v19, v16, 0
	v_mbcnt_hi_u32_b32 v69, v17, v19
	v_cmp_eq_u32_e64 s[40:41], 0, v69
	v_cmp_ne_u64_e64 s[42:43], 0, v[16:17]
	s_and_b64 s[42:43], s[42:43], s[40:41]
	; wave barrier
	s_and_saveexec_b64 s[40:41], s[42:43]
	s_cbranch_execz .LBB222_115
; %bb.114:
	v_bcnt_u32_b32 v16, v16, 0
	v_bcnt_u32_b32 v16, v17, v16
	s_waitcnt lgkmcnt(0)
	v_add_u32_e32 v16, v67, v16
	ds_write_b32 v68, v16 offset:8
.LBB222_115:
	s_or_b64 exec, exec, s[40:41]
	v_lshrrev_b16_e32 v16, 8, v26
	v_cmp_ne_u16_e64 s[40:41], s50, v26
	v_cndmask_b32_e64 v16, v18, v16, s[40:41]
	v_and_b32_e32 v18, s49, v16
	v_and_b32_e32 v17, 1, v18
	v_add_co_u32_e64 v19, s[40:41], -1, v17
	v_addc_co_u32_e64 v72, s[40:41], 0, -1, s[40:41]
	v_cmp_ne_u32_e64 s[40:41], 0, v17
	v_lshlrev_b32_e32 v16, 1, v18
	v_xor_b32_e32 v17, s41, v72
	v_add_lshl_u32 v71, v16, v24, 2
	v_mov_b32_e32 v16, 0
	v_and_b32_e32 v72, exec_hi, v17
	v_lshlrev_b32_e32 v17, 30, v18
	v_xor_b32_e32 v19, s40, v19
	v_cmp_gt_i64_e64 s[40:41], 0, v[16:17]
	v_not_b32_e32 v17, v17
	v_ashrrev_i32_e32 v17, 31, v17
	v_and_b32_e32 v19, exec_lo, v19
	v_xor_b32_e32 v73, s41, v17
	v_xor_b32_e32 v17, s40, v17
	v_and_b32_e32 v19, v19, v17
	v_lshlrev_b32_e32 v17, 29, v18
	v_cmp_gt_i64_e64 s[40:41], 0, v[16:17]
	v_not_b32_e32 v17, v17
	v_ashrrev_i32_e32 v17, 31, v17
	v_and_b32_e32 v72, v72, v73
	v_xor_b32_e32 v73, s41, v17
	v_xor_b32_e32 v17, s40, v17
	v_and_b32_e32 v19, v19, v17
	v_lshlrev_b32_e32 v17, 28, v18
	v_cmp_gt_i64_e64 s[40:41], 0, v[16:17]
	v_not_b32_e32 v17, v17
	v_ashrrev_i32_e32 v17, 31, v17
	v_and_b32_e32 v72, v72, v73
	;; [unrolled: 8-line block ×5, first 2 shown]
	v_xor_b32_e32 v73, s41, v17
	v_xor_b32_e32 v17, s40, v17
	v_and_b32_e32 v72, v72, v73
	v_and_b32_e32 v73, v19, v17
	v_lshlrev_b32_e32 v17, 24, v18
	v_cmp_gt_i64_e64 s[40:41], 0, v[16:17]
	v_not_b32_e32 v17, v17
	v_ashrrev_i32_e32 v17, 31, v17
	v_xor_b32_e32 v18, s41, v17
	v_xor_b32_e32 v17, s40, v17
	; wave barrier
	ds_read_b32 v70, v71 offset:8
	v_and_b32_e32 v19, v72, v18
	v_and_b32_e32 v18, v73, v17
	v_mbcnt_lo_u32_b32 v17, v18, 0
	v_mbcnt_hi_u32_b32 v72, v19, v17
	v_cmp_eq_u32_e64 s[40:41], 0, v72
	v_cmp_ne_u64_e64 s[42:43], 0, v[18:19]
	s_and_b64 s[42:43], s[42:43], s[40:41]
	; wave barrier
	s_and_saveexec_b64 s[40:41], s[42:43]
	s_cbranch_execz .LBB222_117
; %bb.116:
	v_bcnt_u32_b32 v17, v18, 0
	v_bcnt_u32_b32 v17, v19, v17
	s_waitcnt lgkmcnt(0)
	v_add_u32_e32 v17, v70, v17
	ds_write_b32 v71, v17 offset:8
.LBB222_117:
	s_or_b64 exec, exec, s[40:41]
	v_lshrrev_b16_e32 v17, 8, v25
	v_mov_b32_e32 v18, 0x7f
	v_cmp_ne_u16_e64 s[40:41], s50, v25
	v_cndmask_b32_e64 v17, v18, v17, s[40:41]
	v_and_b32_e32 v19, s49, v17
	v_lshlrev_b32_e32 v17, 1, v19
	v_add_lshl_u32 v74, v17, v24, 2
	v_and_b32_e32 v17, 1, v19
	v_add_co_u32_e64 v75, s[40:41], -1, v17
	v_addc_co_u32_e64 v76, s[40:41], 0, -1, s[40:41]
	v_cmp_ne_u32_e64 s[40:41], 0, v17
	v_xor_b32_e32 v17, s41, v76
	v_and_b32_e32 v76, exec_hi, v17
	v_lshlrev_b32_e32 v17, 30, v19
	v_xor_b32_e32 v75, s40, v75
	v_cmp_gt_i64_e64 s[40:41], 0, v[16:17]
	v_not_b32_e32 v17, v17
	v_ashrrev_i32_e32 v17, 31, v17
	v_and_b32_e32 v75, exec_lo, v75
	v_xor_b32_e32 v77, s41, v17
	v_xor_b32_e32 v17, s40, v17
	v_and_b32_e32 v75, v75, v17
	v_lshlrev_b32_e32 v17, 29, v19
	v_cmp_gt_i64_e64 s[40:41], 0, v[16:17]
	v_not_b32_e32 v17, v17
	v_ashrrev_i32_e32 v17, 31, v17
	v_and_b32_e32 v76, v76, v77
	v_xor_b32_e32 v77, s41, v17
	v_xor_b32_e32 v17, s40, v17
	v_and_b32_e32 v75, v75, v17
	v_lshlrev_b32_e32 v17, 28, v19
	v_cmp_gt_i64_e64 s[40:41], 0, v[16:17]
	v_not_b32_e32 v17, v17
	v_ashrrev_i32_e32 v17, 31, v17
	v_and_b32_e32 v76, v76, v77
	;; [unrolled: 8-line block ×5, first 2 shown]
	v_xor_b32_e32 v77, s41, v17
	v_xor_b32_e32 v17, s40, v17
	v_and_b32_e32 v75, v75, v17
	v_lshlrev_b32_e32 v17, 24, v19
	v_cmp_gt_i64_e64 s[40:41], 0, v[16:17]
	v_not_b32_e32 v16, v17
	v_ashrrev_i32_e32 v16, 31, v16
	v_xor_b32_e32 v17, s41, v16
	v_xor_b32_e32 v16, s40, v16
	; wave barrier
	ds_read_b32 v73, v74 offset:8
	v_and_b32_e32 v76, v76, v77
	v_and_b32_e32 v16, v75, v16
	v_and_b32_e32 v17, v76, v17
	v_mbcnt_lo_u32_b32 v19, v16, 0
	v_mbcnt_hi_u32_b32 v75, v17, v19
	v_cmp_eq_u32_e64 s[40:41], 0, v75
	v_cmp_ne_u64_e64 s[42:43], 0, v[16:17]
	s_and_b64 s[42:43], s[42:43], s[40:41]
	; wave barrier
	s_and_saveexec_b64 s[40:41], s[42:43]
	s_cbranch_execz .LBB222_119
; %bb.118:
	v_bcnt_u32_b32 v16, v16, 0
	v_bcnt_u32_b32 v16, v17, v16
	s_waitcnt lgkmcnt(0)
	v_add_u32_e32 v16, v73, v16
	ds_write_b32 v74, v16 offset:8
.LBB222_119:
	s_or_b64 exec, exec, s[40:41]
	v_lshrrev_b16_e32 v16, 8, v20
	v_cmp_ne_u16_e64 s[40:41], s50, v20
	v_cndmask_b32_e64 v16, v18, v16, s[40:41]
	v_and_b32_e32 v18, s49, v16
	v_and_b32_e32 v17, 1, v18
	v_add_co_u32_e64 v19, s[40:41], -1, v17
	v_addc_co_u32_e64 v77, s[40:41], 0, -1, s[40:41]
	v_cmp_ne_u32_e64 s[40:41], 0, v17
	v_lshlrev_b32_e32 v16, 1, v18
	v_xor_b32_e32 v17, s41, v77
	v_add_lshl_u32 v76, v16, v24, 2
	v_mov_b32_e32 v16, 0
	v_and_b32_e32 v77, exec_hi, v17
	v_lshlrev_b32_e32 v17, 30, v18
	v_xor_b32_e32 v19, s40, v19
	v_cmp_gt_i64_e64 s[40:41], 0, v[16:17]
	v_not_b32_e32 v17, v17
	v_ashrrev_i32_e32 v17, 31, v17
	v_and_b32_e32 v19, exec_lo, v19
	v_xor_b32_e32 v78, s41, v17
	v_xor_b32_e32 v17, s40, v17
	v_and_b32_e32 v19, v19, v17
	v_lshlrev_b32_e32 v17, 29, v18
	v_cmp_gt_i64_e64 s[40:41], 0, v[16:17]
	v_not_b32_e32 v17, v17
	v_ashrrev_i32_e32 v17, 31, v17
	v_and_b32_e32 v77, v77, v78
	v_xor_b32_e32 v78, s41, v17
	v_xor_b32_e32 v17, s40, v17
	v_and_b32_e32 v19, v19, v17
	v_lshlrev_b32_e32 v17, 28, v18
	v_cmp_gt_i64_e64 s[40:41], 0, v[16:17]
	v_not_b32_e32 v17, v17
	v_ashrrev_i32_e32 v17, 31, v17
	v_and_b32_e32 v77, v77, v78
	;; [unrolled: 8-line block ×5, first 2 shown]
	v_xor_b32_e32 v78, s41, v17
	v_xor_b32_e32 v17, s40, v17
	v_and_b32_e32 v19, v19, v17
	v_lshlrev_b32_e32 v17, 24, v18
	v_cmp_gt_i64_e64 s[40:41], 0, v[16:17]
	v_not_b32_e32 v16, v17
	v_ashrrev_i32_e32 v16, 31, v16
	v_xor_b32_e32 v17, s41, v16
	v_xor_b32_e32 v16, s40, v16
	; wave barrier
	ds_read_b32 v24, v76 offset:8
	v_and_b32_e32 v77, v77, v78
	v_and_b32_e32 v16, v19, v16
	;; [unrolled: 1-line block ×3, first 2 shown]
	v_mbcnt_lo_u32_b32 v18, v16, 0
	v_mbcnt_hi_u32_b32 v77, v17, v18
	v_cmp_eq_u32_e64 s[40:41], 0, v77
	v_cmp_ne_u64_e64 s[42:43], 0, v[16:17]
	s_and_b64 s[42:43], s[42:43], s[40:41]
	; wave barrier
	s_and_saveexec_b64 s[40:41], s[42:43]
	s_cbranch_execz .LBB222_121
; %bb.120:
	v_bcnt_u32_b32 v16, v16, 0
	v_bcnt_u32_b32 v16, v17, v16
	s_waitcnt lgkmcnt(0)
	v_add_u32_e32 v16, v24, v16
	ds_write_b32 v76, v16 offset:8
.LBB222_121:
	s_or_b64 exec, exec, s[40:41]
	; wave barrier
	s_waitcnt lgkmcnt(0)
	s_barrier
	ds_read2_b32 v[18:19], v64 offset0:2 offset1:3
	ds_read2_b32 v[16:17], v22 offset0:2 offset1:3
	s_waitcnt lgkmcnt(1)
	v_add_u32_e32 v78, v19, v18
	s_waitcnt lgkmcnt(0)
	v_add3_u32 v17, v78, v16, v17
	s_nop 1
	v_mov_b32_dpp v78, v17 row_shr:1 row_mask:0xf bank_mask:0xf
	v_cndmask_b32_e64 v78, v78, 0, s[20:21]
	v_add_u32_e32 v17, v78, v17
	s_nop 1
	v_mov_b32_dpp v78, v17 row_shr:2 row_mask:0xf bank_mask:0xf
	v_cndmask_b32_e64 v78, 0, v78, s[22:23]
	v_add_u32_e32 v17, v17, v78
	;; [unrolled: 4-line block ×4, first 2 shown]
	s_nop 1
	v_mov_b32_dpp v78, v17 row_bcast:15 row_mask:0xf bank_mask:0xf
	v_cndmask_b32_e64 v78, v78, 0, vcc
	v_add_u32_e32 v17, v17, v78
	s_nop 1
	v_mov_b32_dpp v78, v17 row_bcast:31 row_mask:0xf bank_mask:0xf
	v_cndmask_b32_e64 v78, 0, v78, s[34:35]
	v_add_u32_e32 v78, v17, v78
	s_and_saveexec_b64 s[20:21], s[16:17]
	s_cbranch_execz .LBB222_123
; %bb.122:
	ds_write_b32 v23, v78
.LBB222_123:
	s_or_b64 exec, exec, s[20:21]
	s_waitcnt lgkmcnt(0)
	s_barrier
	s_and_saveexec_b64 s[16:17], s[24:25]
	s_cbranch_execz .LBB222_125
; %bb.124:
	ds_read_b32 v17, v21
	s_waitcnt lgkmcnt(0)
	s_nop 0
	v_mov_b32_dpp v23, v17 row_shr:1 row_mask:0xf bank_mask:0xf
	v_cndmask_b32_e64 v23, v23, 0, s[18:19]
	v_add_u32_e32 v17, v23, v17
	ds_write_b32 v21, v17
.LBB222_125:
	s_or_b64 exec, exec, s[16:17]
	v_mov_b32_e32 v17, 0
	v_mov_b32_e32 v21, 0
	s_waitcnt lgkmcnt(0)
	s_barrier
	s_and_saveexec_b64 s[16:17], s[30:31]
	s_cbranch_execz .LBB222_127
; %bb.126:
	ds_read_b32 v21, v34
.LBB222_127:
	s_or_b64 exec, exec, s[16:17]
	s_waitcnt lgkmcnt(0)
	v_add_u32_e32 v23, v21, v78
	ds_bpermute_b32 v23, v35, v23
	v_lshlrev_b32_e32 v34, 3, v63
	s_mov_b32 s18, 0x5040100
	s_waitcnt lgkmcnt(0)
	v_cndmask_b32_e64 v21, v23, v21, s[36:37]
	v_cndmask_b32_e64 v21, v21, 0, s[38:39]
	v_add_u32_e32 v18, v21, v18
	v_add_u32_e32 v19, v18, v19
	;; [unrolled: 1-line block ×3, first 2 shown]
	ds_write2_b32 v64, v21, v18 offset0:2 offset1:3
	ds_write2_b32 v22, v19, v16 offset0:2 offset1:3
	s_waitcnt lgkmcnt(0)
	s_barrier
	ds_read_b32 v16, v76 offset:8
	ds_read_b32 v18, v74 offset:8
	;; [unrolled: 1-line block ×4, first 2 shown]
	s_waitcnt lgkmcnt(3)
	v_add3_u32 v16, v77, v24, v16
	ds_read_b32 v22, v65 offset:8
	ds_read_b32 v23, v40 offset:8
	;; [unrolled: 1-line block ×4, first 2 shown]
	s_waitcnt lgkmcnt(0)
	s_barrier
	v_add3_u32 v23, v41, v39, v23
	v_add3_u32 v24, v38, v36, v24
	v_add_u32_e32 v32, v32, v33
	v_lshlrev_b32_e32 v33, 1, v32
	ds_write_b16 v33, v31
	v_lshlrev_b32_e32 v31, 1, v24
	v_add3_u32 v22, v66, v46, v22
	ds_write_b16 v31, v30
	v_lshlrev_b32_e32 v30, 1, v23
	v_add3_u32 v21, v69, v67, v21
	;; [unrolled: 3-line block ×4, first 2 shown]
	ds_write_b16 v28, v27
	v_lshlrev_b32_e32 v27, 1, v19
	ds_write_b16 v27, v26
	v_lshlrev_b32_e32 v26, 1, v18
	;; [unrolled: 2-line block ×4, first 2 shown]
	s_waitcnt lgkmcnt(0)
	s_barrier
	v_lshlrev_b32_e32 v26, 3, v21
	v_lshlrev_b32_e32 v27, 3, v19
	;; [unrolled: 1-line block ×3, first 2 shown]
	ds_read_b128 v[18:21], v20
	v_mov_b32_e32 v40, -1
	v_mov_b32_e32 v41, 0x7fff
	v_lshlrev_b32_e32 v25, 3, v32
	v_lshlrev_b32_e32 v24, 3, v24
	s_waitcnt lgkmcnt(0)
	v_cmp_gt_i16_sdwa vcc, v18, v40 src0_sel:WORD_1 src1_sel:DWORD
	v_cndmask_b32_e32 v29, 0, v41, vcc
	v_cmp_lt_i16_e32 vcc, -1, v18
	v_cndmask_b32_e32 v30, 0, v41, vcc
	v_cmp_lt_i16_sdwa s[16:17], v19, v17 src0_sel:WORD_1 src1_sel:DWORD
	v_cmp_gt_i16_e32 vcc, 0, v19
	v_cndmask_b32_e64 v31, v41, 0, s[16:17]
	v_cndmask_b32_e64 v32, v41, 0, vcc
	v_lshlrev_b32_e32 v23, 3, v23
	v_lshlrev_b32_e32 v22, 3, v22
	v_xor_b32_e32 v32, v32, v19
	v_xor_b32_sdwa v19, v31, v19 dst_sel:DWORD dst_unused:UNUSED_PAD src0_sel:DWORD src1_sel:WORD_1
	v_lshlrev_b32_e32 v16, 3, v16
	v_perm_b32 v39, v19, v32, s18
	v_xor_b32_e32 v19, v30, v18
	v_xor_b32_sdwa v18, v29, v18 dst_sel:DWORD dst_unused:UNUSED_PAD src0_sel:DWORD src1_sel:WORD_1
	s_barrier
	ds_write_b64 v25, v[12:13]
	ds_write_b64 v24, v[14:15]
	;; [unrolled: 1-line block ×8, first 2 shown]
	s_waitcnt lgkmcnt(0)
	s_barrier
	ds_read2_b64 v[22:25], v34 offset1:1
	ds_read2_b64 v[26:29], v34 offset0:2 offset1:3
	ds_read2_b64 v[30:33], v34 offset0:4 offset1:5
	;; [unrolled: 1-line block ×3, first 2 shown]
	v_cmp_gt_i16_sdwa vcc, v20, v40 src0_sel:WORD_1 src1_sel:DWORD
	v_cndmask_b32_e32 v0, 0, v41, vcc
	v_cmp_lt_i16_e32 vcc, -1, v20
	v_cndmask_b32_e32 v1, 0, v41, vcc
	v_cmp_lt_i16_sdwa s[16:17], v21, v17 src0_sel:WORD_1 src1_sel:DWORD
	v_cmp_gt_i16_e32 vcc, 0, v21
	v_cndmask_b32_e64 v2, v41, 0, s[16:17]
	v_cndmask_b32_e64 v3, v41, 0, vcc
	v_xor_b32_e32 v3, v3, v21
	v_xor_b32_sdwa v2, v2, v21 dst_sel:DWORD dst_unused:UNUSED_PAD src0_sel:DWORD src1_sel:WORD_1
	v_xor_b32_e32 v1, v1, v20
	v_xor_b32_sdwa v0, v0, v20 dst_sel:DWORD dst_unused:UNUSED_PAD src0_sel:DWORD src1_sel:WORD_1
	v_perm_b32 v38, v18, v19, s18
	v_perm_b32 v41, v2, v3, s18
	v_perm_b32 v40, v0, v1, s18
.LBB222_128:
	s_waitcnt lgkmcnt(0)
	s_barrier
	ds_write_b128 v54, v[38:41]
	s_waitcnt lgkmcnt(0)
	s_barrier
	ds_read_u16 v8, v43 offset:256
	ds_read_u16 v7, v48 offset:512
	;; [unrolled: 1-line block ×7, first 2 shown]
	v_mov_b32_e32 v43, 0
	v_lshlrev_b64 v[0:1], 1, v[42:43]
	v_mov_b32_e32 v9, s44
	v_add_co_u32_e32 v0, vcc, s33, v0
	v_addc_co_u32_e32 v1, vcc, v9, v1, vcc
	s_and_saveexec_b64 s[16:17], s[0:1]
	s_cbranch_execnz .LBB222_147
; %bb.129:
	s_or_b64 exec, exec, s[16:17]
	s_and_saveexec_b64 s[16:17], s[2:3]
	s_cbranch_execnz .LBB222_148
.LBB222_130:
	s_or_b64 exec, exec, s[16:17]
	s_and_saveexec_b64 s[16:17], s[4:5]
	s_cbranch_execnz .LBB222_149
.LBB222_131:
	s_or_b64 exec, exec, s[16:17]
	s_and_saveexec_b64 s[16:17], s[6:7]
	s_cbranch_execnz .LBB222_150
.LBB222_132:
	s_or_b64 exec, exec, s[16:17]
	s_and_saveexec_b64 s[16:17], s[8:9]
	s_cbranch_execnz .LBB222_151
.LBB222_133:
	s_or_b64 exec, exec, s[16:17]
	s_and_saveexec_b64 s[16:17], s[10:11]
	s_cbranch_execnz .LBB222_152
.LBB222_134:
	s_or_b64 exec, exec, s[16:17]
	s_and_saveexec_b64 s[16:17], s[12:13]
	s_cbranch_execnz .LBB222_153
.LBB222_135:
	s_or_b64 exec, exec, s[16:17]
	s_and_saveexec_b64 s[16:17], s[14:15]
	s_cbranch_execz .LBB222_137
.LBB222_136:
	s_mul_i32 s18, s46, 0x380
	s_mov_b32 s19, 0
	s_lshl_b64 s[18:19], s[18:19], 1
	s_waitcnt lgkmcnt(1)
	v_mov_b32_e32 v3, s19
	v_add_co_u32_e32 v0, vcc, s18, v0
	v_addc_co_u32_e32 v1, vcc, v1, v3, vcc
	s_waitcnt lgkmcnt(0)
	global_store_short v[0:1], v2, off
.LBB222_137:
	s_or_b64 exec, exec, s[16:17]
	s_waitcnt lgkmcnt(0)
	s_barrier
	ds_write2_b64 v62, v[22:23], v[24:25] offset1:1
	ds_write2_b64 v62, v[26:27], v[28:29] offset0:2 offset1:3
	ds_write2_b64 v62, v[30:31], v[32:33] offset0:4 offset1:5
	;; [unrolled: 1-line block ×3, first 2 shown]
	s_waitcnt lgkmcnt(0)
	s_barrier
	ds_read_b64 v[14:15], v45 offset:1024
	ds_read_b64 v[12:13], v56 offset:2048
	;; [unrolled: 1-line block ×7, first 2 shown]
	v_mov_b32_e32 v45, 0
	v_lshlrev_b64 v[2:3], 3, v[44:45]
	v_mov_b32_e32 v16, s47
	v_add_co_u32_e32 v2, vcc, s45, v2
	v_addc_co_u32_e32 v3, vcc, v16, v3, vcc
	s_and_saveexec_b64 s[16:17], s[0:1]
	s_cbranch_execnz .LBB222_154
; %bb.138:
	s_or_b64 exec, exec, s[16:17]
	s_and_saveexec_b64 s[0:1], s[2:3]
	s_cbranch_execnz .LBB222_155
.LBB222_139:
	s_or_b64 exec, exec, s[0:1]
	s_and_saveexec_b64 s[0:1], s[4:5]
	s_cbranch_execnz .LBB222_156
.LBB222_140:
	s_or_b64 exec, exec, s[0:1]
	s_and_saveexec_b64 s[0:1], s[6:7]
	s_cbranch_execnz .LBB222_157
.LBB222_141:
	s_or_b64 exec, exec, s[0:1]
	s_and_saveexec_b64 s[0:1], s[8:9]
	s_cbranch_execnz .LBB222_158
.LBB222_142:
	s_or_b64 exec, exec, s[0:1]
	s_and_saveexec_b64 s[0:1], s[10:11]
	s_cbranch_execnz .LBB222_159
.LBB222_143:
	s_or_b64 exec, exec, s[0:1]
	s_and_saveexec_b64 s[0:1], s[12:13]
	s_cbranch_execnz .LBB222_160
.LBB222_144:
	s_or_b64 exec, exec, s[0:1]
	s_and_saveexec_b64 s[0:1], s[14:15]
	s_cbranch_execz .LBB222_146
.LBB222_145:
	s_mul_i32 s0, s48, 0x380
	s_mov_b32 s1, 0
	s_lshl_b64 s[0:1], s[0:1], 3
	s_waitcnt lgkmcnt(1)
	v_mov_b32_e32 v4, s1
	v_add_co_u32_e32 v2, vcc, s0, v2
	v_addc_co_u32_e32 v3, vcc, v3, v4, vcc
	s_waitcnt lgkmcnt(0)
	global_store_dwordx2 v[2:3], v[0:1], off
.LBB222_146:
	s_endpgm
.LBB222_147:
	ds_read_u16 v9, v47
	s_waitcnt lgkmcnt(0)
	global_store_short v[0:1], v9, off
	s_or_b64 exec, exec, s[16:17]
	s_and_saveexec_b64 s[16:17], s[2:3]
	s_cbranch_execz .LBB222_130
.LBB222_148:
	s_lshl_b32 s18, s46, 7
	s_mov_b32 s19, 0
	s_lshl_b64 s[18:19], s[18:19], 1
	v_mov_b32_e32 v9, s19
	v_add_co_u32_e32 v10, vcc, s18, v0
	v_addc_co_u32_e32 v11, vcc, v1, v9, vcc
	s_waitcnt lgkmcnt(6)
	global_store_short v[10:11], v8, off
	s_or_b64 exec, exec, s[16:17]
	s_and_saveexec_b64 s[16:17], s[4:5]
	s_cbranch_execz .LBB222_131
.LBB222_149:
	s_lshl_b32 s18, s46, 8
	s_mov_b32 s19, 0
	s_lshl_b64 s[18:19], s[18:19], 1
	v_mov_b32_e32 v9, s19
	s_waitcnt lgkmcnt(6)
	v_add_co_u32_e32 v8, vcc, s18, v0
	v_addc_co_u32_e32 v9, vcc, v1, v9, vcc
	s_waitcnt lgkmcnt(5)
	global_store_short v[8:9], v7, off
	s_or_b64 exec, exec, s[16:17]
	s_and_saveexec_b64 s[16:17], s[6:7]
	s_cbranch_execz .LBB222_132
.LBB222_150:
	s_mul_i32 s18, s46, 0x180
	s_mov_b32 s19, 0
	s_lshl_b64 s[18:19], s[18:19], 1
	s_waitcnt lgkmcnt(5)
	v_mov_b32_e32 v7, s19
	v_add_co_u32_e32 v8, vcc, s18, v0
	v_addc_co_u32_e32 v9, vcc, v1, v7, vcc
	s_waitcnt lgkmcnt(4)
	global_store_short v[8:9], v6, off
	s_or_b64 exec, exec, s[16:17]
	s_and_saveexec_b64 s[16:17], s[8:9]
	s_cbranch_execz .LBB222_133
.LBB222_151:
	s_lshl_b32 s18, s46, 9
	s_mov_b32 s19, 0
	s_lshl_b64 s[18:19], s[18:19], 1
	s_waitcnt lgkmcnt(5)
	v_mov_b32_e32 v7, s19
	s_waitcnt lgkmcnt(4)
	v_add_co_u32_e32 v6, vcc, s18, v0
	v_addc_co_u32_e32 v7, vcc, v1, v7, vcc
	s_waitcnt lgkmcnt(3)
	global_store_short v[6:7], v5, off
	s_or_b64 exec, exec, s[16:17]
	s_and_saveexec_b64 s[16:17], s[10:11]
	s_cbranch_execz .LBB222_134
.LBB222_152:
	s_mul_i32 s18, s46, 0x280
	s_mov_b32 s19, 0
	s_lshl_b64 s[18:19], s[18:19], 1
	s_waitcnt lgkmcnt(3)
	v_mov_b32_e32 v5, s19
	v_add_co_u32_e32 v6, vcc, s18, v0
	v_addc_co_u32_e32 v7, vcc, v1, v5, vcc
	s_waitcnt lgkmcnt(2)
	global_store_short v[6:7], v4, off
	s_or_b64 exec, exec, s[16:17]
	s_and_saveexec_b64 s[16:17], s[12:13]
	s_cbranch_execz .LBB222_135
.LBB222_153:
	s_mul_i32 s18, s46, 0x300
	s_mov_b32 s19, 0
	s_lshl_b64 s[18:19], s[18:19], 1
	s_waitcnt lgkmcnt(3)
	v_mov_b32_e32 v5, s19
	s_waitcnt lgkmcnt(2)
	v_add_co_u32_e32 v4, vcc, s18, v0
	v_addc_co_u32_e32 v5, vcc, v1, v5, vcc
	s_waitcnt lgkmcnt(1)
	global_store_short v[4:5], v3, off
	s_or_b64 exec, exec, s[16:17]
	s_and_saveexec_b64 s[16:17], s[14:15]
	s_cbranch_execnz .LBB222_136
	s_branch .LBB222_137
.LBB222_154:
	ds_read_b64 v[16:17], v55
	s_waitcnt lgkmcnt(0)
	global_store_dwordx2 v[2:3], v[16:17], off
	s_or_b64 exec, exec, s[16:17]
	s_and_saveexec_b64 s[0:1], s[2:3]
	s_cbranch_execz .LBB222_139
.LBB222_155:
	s_lshl_b32 s2, s48, 7
	s_mov_b32 s3, 0
	s_lshl_b64 s[2:3], s[2:3], 3
	v_mov_b32_e32 v17, s3
	v_add_co_u32_e32 v16, vcc, s2, v2
	v_addc_co_u32_e32 v17, vcc, v3, v17, vcc
	s_waitcnt lgkmcnt(6)
	global_store_dwordx2 v[16:17], v[14:15], off
	s_or_b64 exec, exec, s[0:1]
	s_and_saveexec_b64 s[0:1], s[4:5]
	s_cbranch_execz .LBB222_140
.LBB222_156:
	s_lshl_b32 s2, s48, 8
	s_mov_b32 s3, 0
	s_lshl_b64 s[2:3], s[2:3], 3
	s_waitcnt lgkmcnt(6)
	v_mov_b32_e32 v15, s3
	v_add_co_u32_e32 v14, vcc, s2, v2
	v_addc_co_u32_e32 v15, vcc, v3, v15, vcc
	s_waitcnt lgkmcnt(5)
	global_store_dwordx2 v[14:15], v[12:13], off
	s_or_b64 exec, exec, s[0:1]
	s_and_saveexec_b64 s[0:1], s[6:7]
	s_cbranch_execz .LBB222_141
.LBB222_157:
	s_mul_i32 s2, s48, 0x180
	s_mov_b32 s3, 0
	s_lshl_b64 s[2:3], s[2:3], 3
	s_waitcnt lgkmcnt(5)
	v_mov_b32_e32 v13, s3
	v_add_co_u32_e32 v12, vcc, s2, v2
	v_addc_co_u32_e32 v13, vcc, v3, v13, vcc
	s_waitcnt lgkmcnt(4)
	global_store_dwordx2 v[12:13], v[10:11], off
	s_or_b64 exec, exec, s[0:1]
	s_and_saveexec_b64 s[0:1], s[8:9]
	s_cbranch_execz .LBB222_142
.LBB222_158:
	s_lshl_b32 s2, s48, 9
	s_mov_b32 s3, 0
	s_lshl_b64 s[2:3], s[2:3], 3
	s_waitcnt lgkmcnt(4)
	v_mov_b32_e32 v11, s3
	v_add_co_u32_e32 v10, vcc, s2, v2
	v_addc_co_u32_e32 v11, vcc, v3, v11, vcc
	s_waitcnt lgkmcnt(3)
	global_store_dwordx2 v[10:11], v[8:9], off
	s_or_b64 exec, exec, s[0:1]
	s_and_saveexec_b64 s[0:1], s[10:11]
	s_cbranch_execz .LBB222_143
.LBB222_159:
	s_mul_i32 s2, s48, 0x280
	s_mov_b32 s3, 0
	s_lshl_b64 s[2:3], s[2:3], 3
	s_waitcnt lgkmcnt(3)
	v_mov_b32_e32 v9, s3
	v_add_co_u32_e32 v8, vcc, s2, v2
	v_addc_co_u32_e32 v9, vcc, v3, v9, vcc
	s_waitcnt lgkmcnt(2)
	global_store_dwordx2 v[8:9], v[6:7], off
	s_or_b64 exec, exec, s[0:1]
	s_and_saveexec_b64 s[0:1], s[12:13]
	s_cbranch_execz .LBB222_144
.LBB222_160:
	s_mul_i32 s2, s48, 0x300
	s_mov_b32 s3, 0
	s_lshl_b64 s[2:3], s[2:3], 3
	s_waitcnt lgkmcnt(2)
	v_mov_b32_e32 v7, s3
	v_add_co_u32_e32 v6, vcc, s2, v2
	v_addc_co_u32_e32 v7, vcc, v3, v7, vcc
	s_waitcnt lgkmcnt(1)
	global_store_dwordx2 v[6:7], v[4:5], off
	s_or_b64 exec, exec, s[0:1]
	s_and_saveexec_b64 s[0:1], s[14:15]
	s_cbranch_execnz .LBB222_145
	s_branch .LBB222_146
	.section	.rodata,"a",@progbits
	.p2align	6, 0x0
	.amdhsa_kernel _ZN2at6native18radixSortKVInPlaceILin2ELin1ELi128ELi8EN3c104HalfEljEEvNS_4cuda6detail10TensorInfoIT3_T5_EES8_S8_S8_NS6_IT4_S8_EES8_b
		.amdhsa_group_segment_fixed_size 8448
		.amdhsa_private_segment_fixed_size 0
		.amdhsa_kernarg_size 712
		.amdhsa_user_sgpr_count 6
		.amdhsa_user_sgpr_private_segment_buffer 1
		.amdhsa_user_sgpr_dispatch_ptr 0
		.amdhsa_user_sgpr_queue_ptr 0
		.amdhsa_user_sgpr_kernarg_segment_ptr 1
		.amdhsa_user_sgpr_dispatch_id 0
		.amdhsa_user_sgpr_flat_scratch_init 0
		.amdhsa_user_sgpr_kernarg_preload_length 0
		.amdhsa_user_sgpr_kernarg_preload_offset 0
		.amdhsa_user_sgpr_private_segment_size 0
		.amdhsa_uses_dynamic_stack 0
		.amdhsa_system_sgpr_private_segment_wavefront_offset 0
		.amdhsa_system_sgpr_workgroup_id_x 1
		.amdhsa_system_sgpr_workgroup_id_y 1
		.amdhsa_system_sgpr_workgroup_id_z 1
		.amdhsa_system_sgpr_workgroup_info 0
		.amdhsa_system_vgpr_workitem_id 2
		.amdhsa_next_free_vgpr 108
		.amdhsa_next_free_sgpr 53
		.amdhsa_accum_offset 108
		.amdhsa_reserve_vcc 1
		.amdhsa_reserve_flat_scratch 0
		.amdhsa_float_round_mode_32 0
		.amdhsa_float_round_mode_16_64 0
		.amdhsa_float_denorm_mode_32 3
		.amdhsa_float_denorm_mode_16_64 3
		.amdhsa_dx10_clamp 1
		.amdhsa_ieee_mode 1
		.amdhsa_fp16_overflow 0
		.amdhsa_tg_split 0
		.amdhsa_exception_fp_ieee_invalid_op 0
		.amdhsa_exception_fp_denorm_src 0
		.amdhsa_exception_fp_ieee_div_zero 0
		.amdhsa_exception_fp_ieee_overflow 0
		.amdhsa_exception_fp_ieee_underflow 0
		.amdhsa_exception_fp_ieee_inexact 0
		.amdhsa_exception_int_div_zero 0
	.end_amdhsa_kernel
	.section	.text._ZN2at6native18radixSortKVInPlaceILin2ELin1ELi128ELi8EN3c104HalfEljEEvNS_4cuda6detail10TensorInfoIT3_T5_EES8_S8_S8_NS6_IT4_S8_EES8_b,"axG",@progbits,_ZN2at6native18radixSortKVInPlaceILin2ELin1ELi128ELi8EN3c104HalfEljEEvNS_4cuda6detail10TensorInfoIT3_T5_EES8_S8_S8_NS6_IT4_S8_EES8_b,comdat
.Lfunc_end222:
	.size	_ZN2at6native18radixSortKVInPlaceILin2ELin1ELi128ELi8EN3c104HalfEljEEvNS_4cuda6detail10TensorInfoIT3_T5_EES8_S8_S8_NS6_IT4_S8_EES8_b, .Lfunc_end222-_ZN2at6native18radixSortKVInPlaceILin2ELin1ELi128ELi8EN3c104HalfEljEEvNS_4cuda6detail10TensorInfoIT3_T5_EES8_S8_S8_NS6_IT4_S8_EES8_b
                                        ; -- End function
	.section	.AMDGPU.csdata,"",@progbits
; Kernel info:
; codeLenInByte = 21276
; NumSgprs: 57
; NumVgprs: 108
; NumAgprs: 0
; TotalNumVgprs: 108
; ScratchSize: 0
; MemoryBound: 0
; FloatMode: 240
; IeeeMode: 1
; LDSByteSize: 8448 bytes/workgroup (compile time only)
; SGPRBlocks: 7
; VGPRBlocks: 13
; NumSGPRsForWavesPerEU: 57
; NumVGPRsForWavesPerEU: 108
; AccumOffset: 108
; Occupancy: 4
; WaveLimiterHint : 1
; COMPUTE_PGM_RSRC2:SCRATCH_EN: 0
; COMPUTE_PGM_RSRC2:USER_SGPR: 6
; COMPUTE_PGM_RSRC2:TRAP_HANDLER: 0
; COMPUTE_PGM_RSRC2:TGID_X_EN: 1
; COMPUTE_PGM_RSRC2:TGID_Y_EN: 1
; COMPUTE_PGM_RSRC2:TGID_Z_EN: 1
; COMPUTE_PGM_RSRC2:TIDIG_COMP_CNT: 2
; COMPUTE_PGM_RSRC3_GFX90A:ACCUM_OFFSET: 26
; COMPUTE_PGM_RSRC3_GFX90A:TG_SPLIT: 0
	.section	.text._ZN2at6native18radixSortKVInPlaceILin2ELin1ELi32ELi4EN3c104HalfEljEEvNS_4cuda6detail10TensorInfoIT3_T5_EES8_S8_S8_NS6_IT4_S8_EES8_b,"axG",@progbits,_ZN2at6native18radixSortKVInPlaceILin2ELin1ELi32ELi4EN3c104HalfEljEEvNS_4cuda6detail10TensorInfoIT3_T5_EES8_S8_S8_NS6_IT4_S8_EES8_b,comdat
	.protected	_ZN2at6native18radixSortKVInPlaceILin2ELin1ELi32ELi4EN3c104HalfEljEEvNS_4cuda6detail10TensorInfoIT3_T5_EES8_S8_S8_NS6_IT4_S8_EES8_b ; -- Begin function _ZN2at6native18radixSortKVInPlaceILin2ELin1ELi32ELi4EN3c104HalfEljEEvNS_4cuda6detail10TensorInfoIT3_T5_EES8_S8_S8_NS6_IT4_S8_EES8_b
	.globl	_ZN2at6native18radixSortKVInPlaceILin2ELin1ELi32ELi4EN3c104HalfEljEEvNS_4cuda6detail10TensorInfoIT3_T5_EES8_S8_S8_NS6_IT4_S8_EES8_b
	.p2align	8
	.type	_ZN2at6native18radixSortKVInPlaceILin2ELin1ELi32ELi4EN3c104HalfEljEEvNS_4cuda6detail10TensorInfoIT3_T5_EES8_S8_S8_NS6_IT4_S8_EES8_b,@function
_ZN2at6native18radixSortKVInPlaceILin2ELin1ELi32ELi4EN3c104HalfEljEEvNS_4cuda6detail10TensorInfoIT3_T5_EES8_S8_S8_NS6_IT4_S8_EES8_b: ; @_ZN2at6native18radixSortKVInPlaceILin2ELin1ELi32ELi4EN3c104HalfEljEEvNS_4cuda6detail10TensorInfoIT3_T5_EES8_S8_S8_NS6_IT4_S8_EES8_b
; %bb.0:
	s_load_dwordx2 s[0:1], s[4:5], 0x1c8
	s_load_dwordx4 s[24:27], s[4:5], 0xd8
	s_waitcnt lgkmcnt(0)
	s_mul_i32 s1, s1, s8
	s_add_i32 s1, s1, s7
	s_mul_i32 s8, s1, s0
	s_add_i32 s8, s8, s6
	s_cmp_ge_u32 s8, s24
	s_cbranch_scc1 .LBB223_60
; %bb.1:
	s_load_dword s2, s[4:5], 0x1b8
	s_load_dwordx2 s[0:1], s[4:5], 0x0
	s_add_u32 s6, s4, 0xe8
	s_addc_u32 s7, s5, 0
	s_mov_b32 s11, 0
	s_waitcnt lgkmcnt(0)
	s_cmp_lt_i32 s2, 2
	s_mov_b32 s10, s8
	s_cbranch_scc1 .LBB223_4
; %bb.2:
	s_add_i32 s10, s2, -1
	s_add_i32 s9, s2, 1
	s_lshl_b64 s[2:3], s[10:11], 2
	s_add_u32 s2, s2, s6
	s_addc_u32 s3, s3, s7
	s_add_u32 s2, s2, 8
	s_addc_u32 s3, s3, 0
	s_mov_b32 s10, s8
.LBB223_3:                              ; =>This Inner Loop Header: Depth=1
	s_load_dword s12, s[2:3], 0x0
	s_load_dword s14, s[2:3], 0x64
	s_mov_b32 s13, s10
	s_waitcnt lgkmcnt(0)
	v_cvt_f32_u32_e32 v1, s12
	s_sub_i32 s10, 0, s12
	v_rcp_iflag_f32_e32 v1, v1
	v_mul_f32_e32 v1, 0x4f7ffffe, v1
	v_cvt_u32_f32_e32 v1, v1
	v_readfirstlane_b32 s15, v1
	s_mul_i32 s10, s10, s15
	s_mul_hi_u32 s10, s15, s10
	s_add_i32 s15, s15, s10
	s_mul_hi_u32 s10, s13, s15
	s_mul_i32 s15, s10, s12
	s_sub_i32 s15, s13, s15
	s_add_i32 s16, s10, 1
	s_sub_i32 s17, s15, s12
	s_cmp_ge_u32 s15, s12
	s_cselect_b32 s10, s16, s10
	s_cselect_b32 s15, s17, s15
	s_add_i32 s16, s10, 1
	s_cmp_ge_u32 s15, s12
	s_cselect_b32 s10, s16, s10
	s_mul_i32 s12, s10, s12
	s_sub_i32 s12, s13, s12
	s_mul_i32 s12, s14, s12
	s_add_i32 s9, s9, -1
	s_add_i32 s11, s12, s11
	s_add_u32 s2, s2, -4
	s_addc_u32 s3, s3, -1
	s_cmp_gt_u32 s9, 2
	s_cbranch_scc1 .LBB223_3
.LBB223_4:
	s_load_dword s2, s[4:5], 0x6c
	s_load_dwordx2 s[28:29], s[4:5], 0x1c0
	s_mov_b32 s12, 0xffff
	s_mov_b32 s3, 0
	v_mul_lo_u32 v18, v0, s26
	s_waitcnt lgkmcnt(0)
	s_mul_i32 s2, s2, s8
	s_bitcmp1_b32 s29, 0
	s_cselect_b64 s[8:9], -1, 0
	s_and_b64 s[4:5], s[8:9], exec
	s_cselect_b32 s16, s12, 0x7fff
	s_lshl_b64 s[2:3], s[2:3], 1
	s_add_u32 s27, s0, s2
	s_addc_u32 s29, s1, s3
	v_cmp_gt_u32_e64 s[0:1], s25, v0
	v_mov_b32_e32 v2, s16
	s_and_saveexec_b64 s[2:3], s[0:1]
	s_cbranch_execz .LBB223_6
; %bb.5:
	v_mov_b32_e32 v19, 0
	v_lshlrev_b64 v[2:3], 1, v[18:19]
	v_mov_b32_e32 v1, s29
	v_add_co_u32_e32 v2, vcc, s27, v2
	v_addc_co_u32_e32 v3, vcc, v1, v3, vcc
	global_load_ushort v2, v[2:3], off
.LBB223_6:
	s_or_b64 exec, exec, s[2:3]
	v_or_b32_e32 v1, 32, v0
	v_cmp_gt_u32_e64 s[2:3], s25, v1
	v_mov_b32_e32 v3, s16
	s_and_saveexec_b64 s[4:5], s[2:3]
	s_cbranch_execz .LBB223_8
; %bb.7:
	v_mul_lo_u32 v4, v1, s26
	v_mov_b32_e32 v5, 0
	v_lshlrev_b64 v[4:5], 1, v[4:5]
	v_mov_b32_e32 v3, s29
	v_add_co_u32_e32 v4, vcc, s27, v4
	v_addc_co_u32_e32 v5, vcc, v3, v5, vcc
	global_load_ushort v3, v[4:5], off
.LBB223_8:
	s_or_b64 exec, exec, s[4:5]
	s_load_dwordx2 s[12:13], s[6:7], 0x0
	v_or_b32_e32 v14, 64, v0
	v_cmp_gt_u32_e64 s[4:5], s25, v14
	v_mov_b32_e32 v4, s16
	s_and_saveexec_b64 s[14:15], s[4:5]
	s_cbranch_execz .LBB223_10
; %bb.9:
	v_mul_lo_u32 v4, v14, s26
	v_mov_b32_e32 v5, 0
	v_lshlrev_b64 v[4:5], 1, v[4:5]
	v_mov_b32_e32 v6, s29
	v_add_co_u32_e32 v4, vcc, s27, v4
	v_addc_co_u32_e32 v5, vcc, v6, v5, vcc
	global_load_ushort v4, v[4:5], off
.LBB223_10:
	s_or_b64 exec, exec, s[14:15]
	s_load_dword s17, s[6:7], 0x6c
	v_or_b32_e32 v11, 0x60, v0
	v_cmp_gt_u32_e64 s[6:7], s25, v11
	v_mov_b32_e32 v5, s16
	s_and_saveexec_b64 s[14:15], s[6:7]
	s_cbranch_execz .LBB223_12
; %bb.11:
	v_mul_lo_u32 v6, v11, s26
	v_mov_b32_e32 v7, 0
	v_lshlrev_b64 v[6:7], 1, v[6:7]
	v_mov_b32_e32 v5, s29
	v_add_co_u32_e32 v6, vcc, s27, v6
	v_addc_co_u32_e32 v7, vcc, v5, v7, vcc
	global_load_ushort v5, v[6:7], off
.LBB223_12:
	s_or_b64 exec, exec, s[14:15]
	v_lshlrev_b32_e32 v34, 1, v0
	v_lshrrev_b32_e32 v13, 5, v14
	s_waitcnt vmcnt(0)
	ds_write_b16 v34, v2
	ds_write_b16 v34, v3 offset:64
	v_and_b32_e32 v2, 2, v13
	v_lshrrev_b32_e32 v12, 5, v11
	v_add_lshl_u32 v19, v2, v0, 1
	v_and_b32_e32 v2, 2, v12
	v_lshlrev_b32_e32 v10, 2, v0
	v_lshrrev_b32_e32 v15, 3, v0
	v_add_lshl_u32 v35, v2, v0, 1
	v_and_or_b32 v2, v15, 2, v10
	v_lshlrev_b32_e32 v36, 1, v2
	s_waitcnt lgkmcnt(0)
	s_mul_i32 s10, s17, s10
	ds_write_b16 v19, v4 offset:128
	ds_write_b16 v35, v5 offset:192
	s_waitcnt lgkmcnt(0)
	; wave barrier
	s_waitcnt lgkmcnt(0)
	ds_read_b64 v[22:23], v36
	s_add_i32 s16, s10, s11
	s_mov_b32 s17, 0
	s_lshl_b64 s[10:11], s[16:17], 3
	s_mov_b32 s16, s17
	s_add_u32 s33, s12, s10
	s_mov_b32 s18, s17
	s_mov_b32 s19, s17
	;; [unrolled: 1-line block ×6, first 2 shown]
	v_pk_mov_b32 v[2:3], s[16:17], s[16:17] op_sel:[0,1]
	s_addc_u32 s38, s13, s11
	v_pk_mov_b32 v[4:5], s[18:19], s[18:19] op_sel:[0,1]
	v_pk_mov_b32 v[6:7], s[20:21], s[20:21] op_sel:[0,1]
	;; [unrolled: 1-line block ×3, first 2 shown]
	v_pk_mov_b32 v[2:3], 0, 0
	v_mul_lo_u32 v20, v0, s28
	s_waitcnt lgkmcnt(0)
	; wave barrier
	s_waitcnt lgkmcnt(0)
	s_and_saveexec_b64 s[10:11], s[0:1]
	s_cbranch_execnz .LBB223_33
; %bb.13:
	s_or_b64 exec, exec, s[10:11]
	s_and_saveexec_b64 s[10:11], s[2:3]
	s_cbranch_execnz .LBB223_34
.LBB223_14:
	s_or_b64 exec, exec, s[10:11]
	s_and_saveexec_b64 s[10:11], s[4:5]
	s_cbranch_execz .LBB223_16
.LBB223_15:
	v_mul_lo_u32 v6, v14, s28
	v_mov_b32_e32 v7, 0
	v_lshlrev_b64 v[6:7], 3, v[6:7]
	v_mov_b32_e32 v14, s38
	v_add_co_u32_e32 v6, vcc, s33, v6
	v_addc_co_u32_e32 v7, vcc, v14, v7, vcc
	global_load_dwordx2 v[6:7], v[6:7], off
.LBB223_16:
	s_or_b64 exec, exec, s[10:11]
	s_xor_b64 s[24:25], s[8:9], -1
	v_lshrrev_b32_e32 v14, 5, v1
	s_and_saveexec_b64 s[8:9], s[6:7]
	s_cbranch_execz .LBB223_18
; %bb.17:
	v_mul_lo_u32 v8, v11, s28
	v_mov_b32_e32 v9, 0
	v_lshlrev_b64 v[8:9], 3, v[8:9]
	v_mov_b32_e32 v11, s38
	v_add_co_u32_e32 v8, vcc, s33, v8
	v_addc_co_u32_e32 v9, vcc, v11, v9, vcc
	global_load_dwordx2 v[8:9], v[8:9], off
.LBB223_18:
	s_or_b64 exec, exec, s[8:9]
	v_mbcnt_lo_u32_b32 v11, -1, 0
	v_mbcnt_hi_u32_b32 v11, -1, v11
	v_lshlrev_b32_e32 v37, 3, v0
	v_add_lshl_u32 v21, v14, v0, 3
	v_add_lshl_u32 v38, v13, v0, 3
	;; [unrolled: 1-line block ×4, first 2 shown]
	s_getpc_b64 s[8:9]
	s_add_u32 s8, s8, _ZN7rocprim17ROCPRIM_400000_NS16block_radix_sortI6__halfLj32ELj4ElLj1ELj1ELj0ELNS0_26block_radix_rank_algorithmE1ELNS0_18block_padding_hintE2ELNS0_4arch9wavefront6targetE1EE19radix_bits_per_passE@rel32@lo+4
	s_addc_u32 s9, s9, _ZN7rocprim17ROCPRIM_400000_NS16block_radix_sortI6__halfLj32ELj4ElLj1ELj1ELj0ELNS0_26block_radix_rank_algorithmE1ELNS0_18block_padding_hintE2ELNS0_4arch9wavefront6targetE1EE19radix_bits_per_passE@rel32@hi+12
	v_and_b32_e32 v12, 15, v11
	s_waitcnt vmcnt(0)
	ds_write_b64 v37, v[2:3]
	ds_write_b64 v21, v[4:5] offset:256
	ds_write_b64 v38, v[6:7] offset:512
	;; [unrolled: 1-line block ×3, first 2 shown]
	s_waitcnt lgkmcnt(0)
	; wave barrier
	s_waitcnt lgkmcnt(0)
	ds_read2_b64 v[2:5], v40 offset1:1
	ds_read2_b64 v[6:9], v40 offset0:2 offset1:3
	s_load_dword s39, s[8:9], 0x0
	v_cmp_eq_u32_e64 s[10:11], 0, v12
	v_cmp_lt_u32_e64 s[12:13], 1, v12
	v_cmp_lt_u32_e64 s[14:15], 3, v12
	;; [unrolled: 1-line block ×3, first 2 shown]
	v_and_b32_e32 v12, 16, v11
	v_cmp_eq_u32_e64 s[18:19], 0, v12
	v_add_u32_e32 v12, -1, v11
	v_and_b32_e32 v13, 0x60, v11
	v_cmp_lt_i32_e32 vcc, v12, v13
	s_movk_i32 s8, 0x100
	v_cndmask_b32_e32 v12, v12, v11, vcc
	v_cmp_gt_u32_e64 s[8:9], s8, v0
	v_lshlrev_b32_e32 v43, 5, v0
	s_mov_b32 s40, 0
	v_cmp_eq_u32_e64 s[20:21], 31, v0
	v_lshlrev_b32_e32 v44, 2, v12
	v_cmp_eq_u32_e64 s[22:23], 0, v11
	v_lshlrev_b32_e32 v42, 1, v10
	v_lshlrev_b32_e32 v41, 3, v10
	s_and_b64 vcc, exec, s[24:25]
	v_add_u32_e64 v45, 7, 2
	s_waitcnt lgkmcnt(0)
	; wave barrier
	s_waitcnt lgkmcnt(0)
	s_cbranch_vccz .LBB223_35
; %bb.19:
	v_mov_b32_e32 v46, 0xffff8000
	v_cmp_lt_i16_e32 vcc, -1, v22
	v_cndmask_b32_e32 v10, -1, v46, vcc
	v_xor_b32_e32 v32, v10, v22
	v_mov_b32_e32 v10, -1
	v_cmp_gt_i16_sdwa vcc, v22, v10 src0_sel:WORD_1 src1_sel:DWORD
	v_cndmask_b32_e32 v11, -1, v46, vcc
	v_cmp_lt_i16_e32 vcc, -1, v23
	v_xor_b32_sdwa v57, v11, v22 dst_sel:DWORD dst_unused:UNUSED_PAD src0_sel:DWORD src1_sel:WORD_1
	v_cndmask_b32_e32 v11, -1, v46, vcc
	v_cmp_gt_i16_sdwa vcc, v23, v10 src0_sel:WORD_1 src1_sel:DWORD
	v_cndmask_b32_e32 v10, -1, v46, vcc
	v_xor_b32_e32 v33, v11, v23
	v_xor_b32_sdwa v58, v10, v23 dst_sel:DWORD dst_unused:UNUSED_PAD src0_sel:DWORD src1_sel:WORD_1
	v_and_b32_e32 v47, 14, v45
	v_mov_b32_e32 v48, 0
	s_movk_i32 s41, 0x7fff
	s_movk_i32 s42, 0xe0
	v_pk_mov_b32 v[10:11], v[2:3], v[2:3] op_sel:[0,1]
	v_pk_mov_b32 v[12:13], v[4:5], v[4:5] op_sel:[0,1]
	;; [unrolled: 1-line block ×4, first 2 shown]
	s_branch .LBB223_21
.LBB223_20:                             ;   in Loop: Header=BB223_21 Depth=1
	v_lshlrev_b32_e32 v10, 1, v53
	s_waitcnt lgkmcnt(0)
	; wave barrier
	ds_write_b16 v10, v52
	v_lshlrev_b32_e32 v10, 1, v54
	ds_write_b16 v10, v51
	v_lshlrev_b32_e32 v10, 1, v55
	;; [unrolled: 2-line block ×4, first 2 shown]
	s_waitcnt lgkmcnt(0)
	; wave barrier
	s_waitcnt lgkmcnt(0)
	ds_read_b64 v[32:33], v42
	s_waitcnt lgkmcnt(0)
	; wave barrier
	s_waitcnt lgkmcnt(0)
	ds_write_b64 v10, v[30:31]
	v_lshlrev_b32_e32 v10, 3, v54
	ds_write_b64 v10, v[28:29]
	v_lshlrev_b32_e32 v10, 3, v55
	ds_write_b64 v10, v[26:27]
	v_lshlrev_b32_e32 v10, 3, v56
	ds_write_b64 v10, v[24:25]
	s_waitcnt lgkmcnt(0)
	; wave barrier
	s_waitcnt lgkmcnt(0)
	ds_read2_b64 v[10:13], v41 offset1:1
	ds_read2_b64 v[14:17], v41 offset0:2 offset1:3
	s_add_i32 s40, s40, 4
	v_lshrrev_b32_e32 v57, 16, v32
	v_lshrrev_b32_e32 v58, 16, v33
	s_waitcnt lgkmcnt(0)
	; wave barrier
	s_waitcnt lgkmcnt(0)
	s_cbranch_execz .LBB223_32
.LBB223_21:                             ; =>This Loop Header: Depth=1
                                        ;     Child Loop BB223_24 Depth 2
	v_pk_mov_b32 v[24:25], v[16:17], v[16:17] op_sel:[0,1]
	v_pk_mov_b32 v[26:27], v[14:15], v[14:15] op_sel:[0,1]
	;; [unrolled: 1-line block ×4, first 2 shown]
	v_mov_b32_e32 v52, v32
	v_mov_b32_e32 v51, v57
	;; [unrolled: 1-line block ×4, first 2 shown]
	s_and_saveexec_b64 s[24:25], s[8:9]
	s_cbranch_execz .LBB223_28
; %bb.22:                               ;   in Loop: Header=BB223_21 Depth=1
	s_mov_b32 s43, 0
	s_mov_b64 s[30:31], 0
	v_pk_mov_b32 v[10:11], v[0:1], v[0:1] op_sel:[0,1]
	s_branch .LBB223_24
.LBB223_23:                             ;   in Loop: Header=BB223_24 Depth=2
	s_or_b64 exec, exec, s[36:37]
	s_add_i32 s43, s43, 2
	v_cmp_eq_u32_e32 vcc, s43, v47
	v_add_u32_e32 v11, 64, v11
	s_or_b64 s[30:31], vcc, s[30:31]
	v_add_u32_e32 v10, 64, v10
	s_andn2_b64 exec, exec, s[30:31]
	s_cbranch_execz .LBB223_28
.LBB223_24:                             ;   Parent Loop BB223_21 Depth=1
                                        ; =>  This Inner Loop Header: Depth=2
	s_or_b32 s34, s43, 1
	v_cmp_le_u32_e64 s[34:35], s34, 7
	v_cmp_le_u32_e64 s[44:45], s43, 7
	s_and_saveexec_b64 s[36:37], s[44:45]
	s_cbranch_execz .LBB223_26
; %bb.25:                               ;   in Loop: Header=BB223_24 Depth=2
	v_lshlrev_b32_e32 v12, 2, v10
	ds_write_b32 v12, v48
.LBB223_26:                             ;   in Loop: Header=BB223_24 Depth=2
	s_or_b64 exec, exec, s[36:37]
	s_and_saveexec_b64 s[36:37], s[34:35]
	s_cbranch_execz .LBB223_23
; %bb.27:                               ;   in Loop: Header=BB223_24 Depth=2
	v_lshlrev_b32_e32 v12, 2, v11
	ds_write_b32 v12, v48
	s_branch .LBB223_23
.LBB223_28:                             ;   in Loop: Header=BB223_21 Depth=1
	s_or_b64 exec, exec, s[24:25]
	s_sub_i32 s24, 16, s40
	s_min_u32 s24, s39, s24
	v_cmp_ne_u16_e32 vcc, s41, v52
	s_lshl_b32 s24, -1, s24
	v_cndmask_b32_e32 v10, v46, v52, vcc
	s_not_b32 s24, s24
	v_lshrrev_b32_sdwa v10, s40, v10 dst_sel:DWORD dst_unused:UNUSED_PAD src0_sel:DWORD src1_sel:WORD_0
	v_and_b32_e32 v10, s24, v10
	v_lshrrev_b32_e32 v11, 3, v10
	v_lshlrev_b32_e32 v10, 5, v10
	v_and_or_b32 v10, v10, s42, v0
	v_lshlrev_b32_e32 v10, 1, v10
	v_add_lshl_u32 v33, v10, v11, 1
	ds_read_u16 v32, v33
	v_cmp_ne_u16_e32 vcc, s41, v51
	s_waitcnt lgkmcnt(0)
	v_add_u16_e32 v10, 1, v32
	ds_write_b16 v33, v10
	v_cndmask_b32_e32 v10, v46, v51, vcc
	v_lshrrev_b32_sdwa v10, s40, v10 dst_sel:DWORD dst_unused:UNUSED_PAD src0_sel:DWORD src1_sel:WORD_0
	v_and_b32_e32 v10, s24, v10
	v_lshrrev_b32_e32 v11, 3, v10
	v_lshlrev_b32_e32 v10, 5, v10
	v_and_or_b32 v10, v10, s42, v0
	v_lshlrev_b32_e32 v10, 1, v10
	v_add_lshl_u32 v53, v10, v11, 1
	ds_read_u16 v54, v53
	v_cmp_ne_u16_e32 vcc, s41, v50
	s_waitcnt lgkmcnt(0)
	v_add_u16_e32 v10, 1, v54
	ds_write_b16 v53, v10
	v_cndmask_b32_e32 v10, v46, v50, vcc
	;; [unrolled: 13-line block ×3, first 2 shown]
	v_lshrrev_b32_sdwa v10, s40, v10 dst_sel:DWORD dst_unused:UNUSED_PAD src0_sel:DWORD src1_sel:WORD_0
	v_and_b32_e32 v10, s24, v10
	v_lshrrev_b32_e32 v11, 3, v10
	v_lshlrev_b32_e32 v10, 5, v10
	v_and_or_b32 v10, v10, s42, v0
	v_lshlrev_b32_e32 v10, 1, v10
	v_add_lshl_u32 v58, v10, v11, 1
	ds_read_u16 v57, v58
	s_waitcnt lgkmcnt(0)
	v_add_u16_e32 v10, 1, v57
	ds_write_b16 v58, v10
	s_waitcnt lgkmcnt(0)
	; wave barrier
	s_waitcnt lgkmcnt(0)
	ds_read2_b32 v[16:17], v43 offset1:1
	ds_read2_b32 v[14:15], v43 offset0:2 offset1:3
	ds_read2_b32 v[10:11], v43 offset0:4 offset1:5
	;; [unrolled: 1-line block ×3, first 2 shown]
	s_waitcnt lgkmcnt(3)
	v_add_u32_e32 v59, v17, v16
	s_waitcnt lgkmcnt(2)
	v_add3_u32 v59, v59, v14, v15
	s_waitcnt lgkmcnt(1)
	v_add3_u32 v59, v59, v10, v11
	;; [unrolled: 2-line block ×3, first 2 shown]
	s_nop 1
	v_mov_b32_dpp v59, v13 row_shr:1 row_mask:0xf bank_mask:0xf
	v_cndmask_b32_e64 v59, v59, 0, s[10:11]
	v_add_u32_e32 v13, v59, v13
	s_nop 1
	v_mov_b32_dpp v59, v13 row_shr:2 row_mask:0xf bank_mask:0xf
	v_cndmask_b32_e64 v59, 0, v59, s[12:13]
	v_add_u32_e32 v13, v13, v59
	;; [unrolled: 4-line block ×4, first 2 shown]
	s_nop 1
	v_mov_b32_dpp v59, v13 row_bcast:15 row_mask:0xf bank_mask:0xf
	v_cndmask_b32_e64 v59, v59, 0, s[18:19]
	v_add_u32_e32 v13, v13, v59
	s_and_saveexec_b64 s[24:25], s[20:21]
	s_cbranch_execz .LBB223_30
; %bb.29:                               ;   in Loop: Header=BB223_21 Depth=1
	ds_write_b32 v48, v13 offset:1024
.LBB223_30:                             ;   in Loop: Header=BB223_21 Depth=1
	s_or_b64 exec, exec, s[24:25]
	ds_bpermute_b32 v13, v44, v13
	s_waitcnt lgkmcnt(0)
	; wave barrier
	s_waitcnt lgkmcnt(0)
	ds_read_b32 v59, v48 offset:1024
	s_cmp_gt_u32 s40, 11
	v_cndmask_b32_e64 v13, v13, 0, s[22:23]
	s_waitcnt lgkmcnt(0)
	v_lshl_add_u32 v13, v59, 16, v13
	v_add_u32_e32 v16, v13, v16
	v_add_u32_e32 v17, v16, v17
	ds_write2_b32 v43, v13, v16 offset1:1
	v_add_u32_e32 v13, v17, v14
	v_add_u32_e32 v14, v13, v15
	;; [unrolled: 1-line block ×5, first 2 shown]
	ds_write2_b32 v43, v17, v13 offset0:2 offset1:3
	ds_write2_b32 v43, v14, v10 offset0:4 offset1:5
	;; [unrolled: 1-line block ×3, first 2 shown]
	s_waitcnt lgkmcnt(0)
	; wave barrier
	s_waitcnt lgkmcnt(0)
	ds_read_u16 v10, v33
	ds_read_u16 v11, v53
	;; [unrolled: 1-line block ×4, first 2 shown]
	s_waitcnt lgkmcnt(3)
	v_add_u32_sdwa v53, v10, v32 dst_sel:DWORD dst_unused:UNUSED_PAD src0_sel:DWORD src1_sel:WORD_0
	s_waitcnt lgkmcnt(2)
	v_add_u32_sdwa v54, v11, v54 dst_sel:DWORD dst_unused:UNUSED_PAD src0_sel:DWORD src1_sel:WORD_0
	;; [unrolled: 2-line block ×4, first 2 shown]
	s_cbranch_scc0 .LBB223_20
; %bb.31:
                                        ; implicit-def: $vgpr16_vgpr17
                                        ; implicit-def: $vgpr12_vgpr13
                                        ; implicit-def: $sgpr40
                                        ; implicit-def: $vgpr32
                                        ; implicit-def: $vgpr57
                                        ; implicit-def: $vgpr58
.LBB223_32:
	v_lshlrev_b32_e32 v10, 1, v53
	s_waitcnt lgkmcnt(0)
	; wave barrier
	ds_write_b16 v10, v52
	v_lshlrev_b32_e32 v10, 1, v54
	ds_write_b16 v10, v51
	v_lshlrev_b32_e32 v10, 1, v55
	;; [unrolled: 2-line block ×3, first 2 shown]
	ds_write_b16 v10, v49
	s_waitcnt lgkmcnt(0)
	; wave barrier
	s_waitcnt lgkmcnt(0)
	ds_read_b64 v[32:33], v42
	v_lshlrev_b32_e32 v10, 3, v53
	v_lshlrev_b32_e32 v11, 3, v54
	;; [unrolled: 1-line block ×4, first 2 shown]
	s_waitcnt lgkmcnt(0)
	; wave barrier
	s_waitcnt lgkmcnt(0)
	ds_write_b64 v10, v[30:31]
	ds_write_b64 v11, v[28:29]
	;; [unrolled: 1-line block ×4, first 2 shown]
	v_mov_b32_e32 v25, 0xffff8000
	v_cmp_gt_i16_e32 vcc, 0, v32
	v_mov_b32_e32 v27, 0
	s_waitcnt lgkmcnt(0)
	; wave barrier
	s_waitcnt lgkmcnt(0)
	ds_read2_b64 v[10:13], v41 offset1:1
	ds_read2_b64 v[14:17], v41 offset0:2 offset1:3
	v_mov_b32_e32 v24, -1
	v_cndmask_b32_e32 v26, -1, v25, vcc
	v_cmp_lt_i16_sdwa vcc, v32, v27 src0_sel:WORD_1 src1_sel:DWORD
	v_cndmask_b32_e32 v27, -1, v25, vcc
	v_cmp_lt_i16_e32 vcc, -1, v33
	v_cmp_gt_i16_sdwa s[24:25], v33, v24 src0_sel:WORD_1 src1_sel:DWORD
	v_cndmask_b32_e64 v28, v25, -1, vcc
	v_cndmask_b32_e64 v24, v25, -1, s[24:25]
	v_xor_b32_sdwa v24, v24, v33 dst_sel:DWORD dst_unused:UNUSED_PAD src0_sel:DWORD src1_sel:WORD_1
	v_xor_b32_e32 v25, v28, v33
	s_mov_b32 s24, 0x5040100
	v_perm_b32 v25, v24, v25, s24
	v_xor_b32_sdwa v24, v27, v32 dst_sel:DWORD dst_unused:UNUSED_PAD src0_sel:DWORD src1_sel:WORD_1
	v_xor_b32_e32 v26, v26, v32
	v_perm_b32 v24, v24, v26, s24
	s_branch .LBB223_50
.LBB223_33:
	v_mov_b32_e32 v21, 0
	v_lshlrev_b64 v[2:3], 3, v[20:21]
	v_mov_b32_e32 v4, s38
	v_add_co_u32_e32 v2, vcc, s33, v2
	v_addc_co_u32_e32 v3, vcc, v4, v3, vcc
	global_load_dwordx2 v[2:3], v[2:3], off
	v_mov_b32_e32 v4, v21
	v_mov_b32_e32 v5, v21
	;; [unrolled: 1-line block ×6, first 2 shown]
	s_or_b64 exec, exec, s[10:11]
	s_and_saveexec_b64 s[10:11], s[2:3]
	s_cbranch_execz .LBB223_14
.LBB223_34:
	v_mul_lo_u32 v4, v1, s28
	v_mov_b32_e32 v5, 0
	v_lshlrev_b64 v[4:5], 3, v[4:5]
	v_mov_b32_e32 v16, s38
	v_add_co_u32_e32 v4, vcc, s33, v4
	v_addc_co_u32_e32 v5, vcc, v16, v5, vcc
	global_load_dwordx2 v[4:5], v[4:5], off
	s_or_b64 exec, exec, s[10:11]
	s_and_saveexec_b64 s[10:11], s[4:5]
	s_cbranch_execnz .LBB223_15
	s_branch .LBB223_16
.LBB223_35:
                                        ; implicit-def: $vgpr16_vgpr17
                                        ; implicit-def: $vgpr12_vgpr13
                                        ; implicit-def: $vgpr24_vgpr25
	s_cbranch_execz .LBB223_50
; %bb.36:
	v_mov_b32_e32 v26, 0x7fff
	v_cmp_gt_i16_e32 vcc, 0, v22
	v_mov_b32_e32 v27, 0
	s_waitcnt lgkmcnt(1)
	v_cndmask_b32_e64 v10, v26, 0, vcc
	v_cmp_lt_i16_sdwa s[24:25], v22, v27 src0_sel:WORD_1 src1_sel:DWORD
	v_xor_b32_e32 v24, v10, v22
	v_cndmask_b32_e64 v10, v26, 0, s[24:25]
	v_cmp_gt_i16_e32 vcc, 0, v23
	v_cmp_lt_i16_sdwa s[24:25], v23, v27 src0_sel:WORD_1 src1_sel:DWORD
	v_xor_b32_sdwa v46, v10, v22 dst_sel:DWORD dst_unused:UNUSED_PAD src0_sel:DWORD src1_sel:WORD_1
	v_cndmask_b32_e64 v10, v26, 0, vcc
	v_cndmask_b32_e64 v11, v26, 0, s[24:25]
	s_mov_b32 s24, 0x5040100
	v_perm_b32 v10, v11, v10, s24
	s_mov_b32 s40, 0
	v_xor_b32_e32 v25, v10, v23
	v_and_b32_e32 v22, 14, v45
	s_movk_i32 s41, 0x8000
	s_movk_i32 s42, 0xe0
	s_branch .LBB223_38
.LBB223_37:                             ;   in Loop: Header=BB223_38 Depth=1
	v_lshlrev_b32_e32 v2, 1, v30
	s_waitcnt lgkmcnt(0)
	; wave barrier
	ds_write_b16 v2, v28
	v_lshlrev_b32_e32 v2, 1, v31
	ds_write_b16 v2, v23
	v_lshlrev_b32_e32 v2, 1, v32
	;; [unrolled: 2-line block ×4, first 2 shown]
	s_waitcnt lgkmcnt(0)
	; wave barrier
	s_waitcnt lgkmcnt(0)
	ds_read_b64 v[24:25], v42
	s_waitcnt lgkmcnt(0)
	; wave barrier
	s_waitcnt lgkmcnt(0)
	ds_write_b64 v2, v[16:17]
	v_lshlrev_b32_e32 v2, 3, v31
	ds_write_b64 v2, v[14:15]
	v_lshlrev_b32_e32 v2, 3, v32
	;; [unrolled: 2-line block ×3, first 2 shown]
	ds_write_b64 v2, v[10:11]
	s_waitcnt lgkmcnt(0)
	; wave barrier
	s_waitcnt lgkmcnt(0)
	ds_read2_b64 v[2:5], v41 offset1:1
	ds_read2_b64 v[6:9], v41 offset0:2 offset1:3
	s_add_i32 s40, s40, 4
	v_lshrrev_b32_e32 v46, 16, v24
	s_waitcnt lgkmcnt(0)
	; wave barrier
	s_waitcnt lgkmcnt(0)
	s_cbranch_execz .LBB223_49
.LBB223_38:                             ; =>This Loop Header: Depth=1
                                        ;     Child Loop BB223_41 Depth 2
	v_pk_mov_b32 v[10:11], v[8:9], v[8:9] op_sel:[0,1]
	v_pk_mov_b32 v[12:13], v[6:7], v[6:7] op_sel:[0,1]
	s_waitcnt lgkmcnt(0)
	v_pk_mov_b32 v[14:15], v[4:5], v[4:5] op_sel:[0,1]
	v_pk_mov_b32 v[16:17], v[2:3], v[2:3] op_sel:[0,1]
	v_mov_b32_e32 v28, v24
	v_mov_b32_e32 v23, v46
	s_and_saveexec_b64 s[24:25], s[8:9]
	s_cbranch_execz .LBB223_45
; %bb.39:                               ;   in Loop: Header=BB223_38 Depth=1
	s_mov_b32 s43, 0
	s_mov_b64 s[30:31], 0
	v_pk_mov_b32 v[2:3], v[0:1], v[0:1] op_sel:[0,1]
	s_branch .LBB223_41
.LBB223_40:                             ;   in Loop: Header=BB223_41 Depth=2
	s_or_b64 exec, exec, s[36:37]
	s_add_i32 s43, s43, 2
	v_cmp_eq_u32_e32 vcc, s43, v22
	v_add_u32_e32 v3, 64, v3
	s_or_b64 s[30:31], vcc, s[30:31]
	v_add_u32_e32 v2, 64, v2
	s_andn2_b64 exec, exec, s[30:31]
	s_cbranch_execz .LBB223_45
.LBB223_41:                             ;   Parent Loop BB223_38 Depth=1
                                        ; =>  This Inner Loop Header: Depth=2
	s_or_b32 s34, s43, 1
	v_cmp_le_u32_e64 s[34:35], s34, 7
	v_cmp_le_u32_e64 s[44:45], s43, 7
	s_and_saveexec_b64 s[36:37], s[44:45]
	s_cbranch_execz .LBB223_43
; %bb.42:                               ;   in Loop: Header=BB223_41 Depth=2
	v_lshlrev_b32_e32 v4, 2, v2
	ds_write_b32 v4, v27
.LBB223_43:                             ;   in Loop: Header=BB223_41 Depth=2
	s_or_b64 exec, exec, s[36:37]
	s_and_saveexec_b64 s[36:37], s[34:35]
	s_cbranch_execz .LBB223_40
; %bb.44:                               ;   in Loop: Header=BB223_41 Depth=2
	v_lshlrev_b32_e32 v4, 2, v3
	ds_write_b32 v4, v27
	s_branch .LBB223_40
.LBB223_45:                             ;   in Loop: Header=BB223_38 Depth=1
	s_or_b64 exec, exec, s[24:25]
	s_sub_i32 s24, 16, s40
	s_min_u32 s24, s39, s24
	v_cmp_ne_u16_e32 vcc, s41, v28
	s_lshl_b32 s24, -1, s24
	v_cndmask_b32_e32 v2, v26, v28, vcc
	s_not_b32 s24, s24
	v_lshrrev_b32_sdwa v2, s40, v2 dst_sel:DWORD dst_unused:UNUSED_PAD src0_sel:DWORD src1_sel:WORD_0
	v_and_b32_e32 v2, s24, v2
	v_lshrrev_b32_e32 v3, 3, v2
	v_lshlrev_b32_e32 v2, 5, v2
	v_and_or_b32 v2, v2, s42, v0
	v_lshlrev_b32_e32 v2, 1, v2
	v_add_lshl_u32 v30, v2, v3, 1
	ds_read_u16 v24, v30
	v_cmp_ne_u16_e32 vcc, s41, v23
	v_lshrrev_b32_e32 v29, 16, v25
	s_waitcnt lgkmcnt(0)
	v_add_u16_e32 v2, 1, v24
	ds_write_b16 v30, v2
	v_cndmask_b32_e32 v2, v26, v23, vcc
	v_lshrrev_b32_sdwa v2, s40, v2 dst_sel:DWORD dst_unused:UNUSED_PAD src0_sel:DWORD src1_sel:WORD_0
	v_and_b32_e32 v2, s24, v2
	v_lshrrev_b32_e32 v3, 3, v2
	v_lshlrev_b32_e32 v2, 5, v2
	v_and_or_b32 v2, v2, s42, v0
	v_lshlrev_b32_e32 v2, 1, v2
	v_add_lshl_u32 v32, v2, v3, 1
	ds_read_u16 v31, v32
	v_cmp_ne_u16_e32 vcc, s41, v25
	s_waitcnt lgkmcnt(0)
	v_add_u16_e32 v2, 1, v31
	ds_write_b16 v32, v2
	v_cndmask_b32_e32 v2, v26, v25, vcc
	v_lshrrev_b32_sdwa v2, s40, v2 dst_sel:DWORD dst_unused:UNUSED_PAD src0_sel:DWORD src1_sel:WORD_0
	v_and_b32_e32 v2, s24, v2
	v_lshrrev_b32_e32 v3, 3, v2
	v_lshlrev_b32_e32 v2, 5, v2
	v_and_or_b32 v2, v2, s42, v0
	v_lshlrev_b32_e32 v2, 1, v2
	v_add_lshl_u32 v45, v2, v3, 1
	ds_read_u16 v33, v45
	v_cmp_ne_u16_e32 vcc, s41, v29
	s_waitcnt lgkmcnt(0)
	v_add_u16_e32 v2, 1, v33
	ds_write_b16 v45, v2
	v_cndmask_b32_e32 v2, v26, v29, vcc
	v_lshrrev_b32_sdwa v2, s40, v2 dst_sel:DWORD dst_unused:UNUSED_PAD src0_sel:DWORD src1_sel:WORD_0
	v_and_b32_e32 v2, s24, v2
	v_lshrrev_b32_e32 v3, 3, v2
	v_lshlrev_b32_e32 v2, 5, v2
	v_and_or_b32 v2, v2, s42, v0
	v_lshlrev_b32_e32 v2, 1, v2
	v_add_lshl_u32 v47, v2, v3, 1
	ds_read_u16 v46, v47
	s_waitcnt lgkmcnt(0)
	v_add_u16_e32 v2, 1, v46
	ds_write_b16 v47, v2
	s_waitcnt lgkmcnt(0)
	; wave barrier
	s_waitcnt lgkmcnt(0)
	ds_read2_b32 v[8:9], v43 offset1:1
	ds_read2_b32 v[6:7], v43 offset0:2 offset1:3
	ds_read2_b32 v[2:3], v43 offset0:4 offset1:5
	;; [unrolled: 1-line block ×3, first 2 shown]
	s_waitcnt lgkmcnt(3)
	v_add_u32_e32 v48, v9, v8
	s_waitcnt lgkmcnt(2)
	v_add3_u32 v48, v48, v6, v7
	s_waitcnt lgkmcnt(1)
	v_add3_u32 v48, v48, v2, v3
	s_waitcnt lgkmcnt(0)
	v_add3_u32 v5, v48, v4, v5
	s_nop 1
	v_mov_b32_dpp v48, v5 row_shr:1 row_mask:0xf bank_mask:0xf
	v_cndmask_b32_e64 v48, v48, 0, s[10:11]
	v_add_u32_e32 v5, v48, v5
	s_nop 1
	v_mov_b32_dpp v48, v5 row_shr:2 row_mask:0xf bank_mask:0xf
	v_cndmask_b32_e64 v48, 0, v48, s[12:13]
	v_add_u32_e32 v5, v5, v48
	;; [unrolled: 4-line block ×4, first 2 shown]
	s_nop 1
	v_mov_b32_dpp v48, v5 row_bcast:15 row_mask:0xf bank_mask:0xf
	v_cndmask_b32_e64 v48, v48, 0, s[18:19]
	v_add_u32_e32 v5, v5, v48
	s_and_saveexec_b64 s[24:25], s[20:21]
	s_cbranch_execz .LBB223_47
; %bb.46:                               ;   in Loop: Header=BB223_38 Depth=1
	ds_write_b32 v27, v5 offset:1024
.LBB223_47:                             ;   in Loop: Header=BB223_38 Depth=1
	s_or_b64 exec, exec, s[24:25]
	ds_bpermute_b32 v5, v44, v5
	s_waitcnt lgkmcnt(0)
	; wave barrier
	s_waitcnt lgkmcnt(0)
	ds_read_b32 v48, v27 offset:1024
	s_cmp_gt_u32 s40, 11
	v_cndmask_b32_e64 v5, v5, 0, s[22:23]
	s_waitcnt lgkmcnt(0)
	v_lshl_add_u32 v5, v48, 16, v5
	v_add_u32_e32 v8, v5, v8
	v_add_u32_e32 v9, v8, v9
	ds_write2_b32 v43, v5, v8 offset1:1
	v_add_u32_e32 v5, v9, v6
	v_add_u32_e32 v6, v5, v7
	;; [unrolled: 1-line block ×5, first 2 shown]
	ds_write2_b32 v43, v9, v5 offset0:2 offset1:3
	ds_write2_b32 v43, v6, v2 offset0:4 offset1:5
	;; [unrolled: 1-line block ×3, first 2 shown]
	s_waitcnt lgkmcnt(0)
	; wave barrier
	s_waitcnt lgkmcnt(0)
	ds_read_u16 v2, v30
	ds_read_u16 v3, v32
	;; [unrolled: 1-line block ×4, first 2 shown]
	v_mov_b32_e32 v45, v25
	s_waitcnt lgkmcnt(3)
	v_add_u32_sdwa v30, v2, v24 dst_sel:DWORD dst_unused:UNUSED_PAD src0_sel:DWORD src1_sel:WORD_0
	s_waitcnt lgkmcnt(2)
	v_add_u32_sdwa v31, v3, v31 dst_sel:DWORD dst_unused:UNUSED_PAD src0_sel:DWORD src1_sel:WORD_0
	;; [unrolled: 2-line block ×4, first 2 shown]
	s_cbranch_scc0 .LBB223_37
; %bb.48:
                                        ; implicit-def: $vgpr8_vgpr9
                                        ; implicit-def: $vgpr4_vgpr5
                                        ; implicit-def: $vgpr25
                                        ; implicit-def: $sgpr40
                                        ; implicit-def: $vgpr46
.LBB223_49:
	v_lshlrev_b32_e32 v0, 1, v30
	s_waitcnt lgkmcnt(0)
	; wave barrier
	ds_write_b16 v0, v28
	v_lshlrev_b32_e32 v0, 1, v31
	ds_write_b16 v0, v23
	v_lshlrev_b32_e32 v0, 1, v32
	;; [unrolled: 2-line block ×3, first 2 shown]
	ds_write_b16 v0, v29
	s_waitcnt lgkmcnt(0)
	; wave barrier
	s_waitcnt lgkmcnt(0)
	ds_read_b64 v[0:1], v42
	v_lshlrev_b32_e32 v2, 3, v30
	v_lshlrev_b32_e32 v3, 3, v31
	;; [unrolled: 1-line block ×4, first 2 shown]
	s_waitcnt lgkmcnt(0)
	; wave barrier
	s_waitcnt lgkmcnt(0)
	ds_write_b64 v2, v[16:17]
	ds_write_b64 v3, v[14:15]
	;; [unrolled: 1-line block ×4, first 2 shown]
	v_mov_b32_e32 v3, 0x7fff
	v_cmp_lt_i16_e32 vcc, -1, v0
	v_mov_b32_e32 v5, -1
	s_waitcnt lgkmcnt(0)
	; wave barrier
	s_waitcnt lgkmcnt(0)
	ds_read2_b64 v[10:13], v41 offset1:1
	ds_read2_b64 v[14:17], v41 offset0:2 offset1:3
	v_mov_b32_e32 v2, 0
	v_cndmask_b32_e32 v4, 0, v3, vcc
	v_cmp_gt_i16_sdwa vcc, v0, v5 src0_sel:WORD_1 src1_sel:DWORD
	v_cndmask_b32_e32 v5, 0, v3, vcc
	v_cmp_gt_i16_e32 vcc, 0, v1
	v_cmp_lt_i16_sdwa s[8:9], v1, v2 src0_sel:WORD_1 src1_sel:DWORD
	v_cndmask_b32_e64 v6, v3, 0, vcc
	v_cndmask_b32_e64 v2, v3, 0, s[8:9]
	v_xor_b32_sdwa v2, v2, v1 dst_sel:DWORD dst_unused:UNUSED_PAD src0_sel:DWORD src1_sel:WORD_1
	v_xor_b32_e32 v1, v6, v1
	s_mov_b32 s8, 0x5040100
	v_perm_b32 v25, v2, v1, s8
	v_xor_b32_sdwa v1, v5, v0 dst_sel:DWORD dst_unused:UNUSED_PAD src0_sel:DWORD src1_sel:WORD_1
	v_xor_b32_e32 v0, v4, v0
	v_perm_b32 v24, v1, v0, s8
.LBB223_50:
	s_waitcnt lgkmcnt(0)
	; wave barrier
	s_waitcnt lgkmcnt(0)
	ds_write_b64 v36, v[24:25]
	s_waitcnt lgkmcnt(0)
	; wave barrier
	s_waitcnt lgkmcnt(0)
	ds_read_u16 v4, v34 offset:64
	ds_read_u16 v3, v19 offset:128
	ds_read_u16 v2, v35 offset:192
	v_mov_b32_e32 v19, 0
	v_lshlrev_b64 v[0:1], 1, v[18:19]
	v_mov_b32_e32 v5, s29
	v_add_co_u32_e32 v0, vcc, s27, v0
	v_addc_co_u32_e32 v1, vcc, v5, v1, vcc
	s_and_saveexec_b64 s[8:9], s[0:1]
	s_cbranch_execnz .LBB223_61
; %bb.51:
	s_or_b64 exec, exec, s[8:9]
	s_and_saveexec_b64 s[8:9], s[2:3]
	s_cbranch_execnz .LBB223_62
.LBB223_52:
	s_or_b64 exec, exec, s[8:9]
	s_and_saveexec_b64 s[8:9], s[4:5]
	s_cbranch_execnz .LBB223_63
.LBB223_53:
	s_or_b64 exec, exec, s[8:9]
	s_and_saveexec_b64 s[8:9], s[6:7]
	s_cbranch_execz .LBB223_55
.LBB223_54:
	s_mul_i32 s10, s26, 0x60
	s_mov_b32 s11, 0
	s_lshl_b64 s[10:11], s[10:11], 1
	s_waitcnt lgkmcnt(1)
	v_mov_b32_e32 v3, s11
	v_add_co_u32_e32 v0, vcc, s10, v0
	v_addc_co_u32_e32 v1, vcc, v1, v3, vcc
	s_waitcnt lgkmcnt(0)
	global_store_short v[0:1], v2, off
.LBB223_55:
	s_or_b64 exec, exec, s[8:9]
	s_waitcnt lgkmcnt(0)
	; wave barrier
	s_waitcnt lgkmcnt(0)
	ds_write2_b64 v40, v[10:11], v[12:13] offset1:1
	ds_write2_b64 v40, v[14:15], v[16:17] offset0:2 offset1:3
	s_waitcnt lgkmcnt(0)
	; wave barrier
	s_waitcnt lgkmcnt(0)
	ds_read_b64 v[6:7], v21 offset:256
	ds_read_b64 v[4:5], v38 offset:512
	;; [unrolled: 1-line block ×3, first 2 shown]
	v_mov_b32_e32 v21, 0
	v_lshlrev_b64 v[2:3], 3, v[20:21]
	v_mov_b32_e32 v8, s38
	v_add_co_u32_e32 v2, vcc, s33, v2
	v_addc_co_u32_e32 v3, vcc, v8, v3, vcc
	s_and_saveexec_b64 s[8:9], s[0:1]
	s_cbranch_execnz .LBB223_64
; %bb.56:
	s_or_b64 exec, exec, s[8:9]
	s_and_saveexec_b64 s[0:1], s[2:3]
	s_cbranch_execnz .LBB223_65
.LBB223_57:
	s_or_b64 exec, exec, s[0:1]
	s_and_saveexec_b64 s[0:1], s[4:5]
	s_cbranch_execnz .LBB223_66
.LBB223_58:
	s_or_b64 exec, exec, s[0:1]
	s_and_saveexec_b64 s[0:1], s[6:7]
	s_cbranch_execz .LBB223_60
.LBB223_59:
	s_mul_i32 s0, s28, 0x60
	s_mov_b32 s1, 0
	s_lshl_b64 s[0:1], s[0:1], 3
	s_waitcnt lgkmcnt(1)
	v_mov_b32_e32 v4, s1
	v_add_co_u32_e32 v2, vcc, s0, v2
	v_addc_co_u32_e32 v3, vcc, v3, v4, vcc
	s_waitcnt lgkmcnt(0)
	global_store_dwordx2 v[2:3], v[0:1], off
.LBB223_60:
	s_endpgm
.LBB223_61:
	ds_read_u16 v5, v34
	s_waitcnt lgkmcnt(0)
	global_store_short v[0:1], v5, off
	s_or_b64 exec, exec, s[8:9]
	s_and_saveexec_b64 s[8:9], s[2:3]
	s_cbranch_execz .LBB223_52
.LBB223_62:
	s_lshl_b32 s10, s26, 5
	s_mov_b32 s11, 0
	s_lshl_b64 s[10:11], s[10:11], 1
	v_mov_b32_e32 v5, s11
	v_add_co_u32_e32 v6, vcc, s10, v0
	v_addc_co_u32_e32 v7, vcc, v1, v5, vcc
	s_waitcnt lgkmcnt(2)
	global_store_short v[6:7], v4, off
	s_or_b64 exec, exec, s[8:9]
	s_and_saveexec_b64 s[8:9], s[4:5]
	s_cbranch_execz .LBB223_53
.LBB223_63:
	s_lshl_b32 s10, s26, 6
	s_mov_b32 s11, 0
	s_lshl_b64 s[10:11], s[10:11], 1
	v_mov_b32_e32 v5, s11
	s_waitcnt lgkmcnt(2)
	v_add_co_u32_e32 v4, vcc, s10, v0
	v_addc_co_u32_e32 v5, vcc, v1, v5, vcc
	s_waitcnt lgkmcnt(1)
	global_store_short v[4:5], v3, off
	s_or_b64 exec, exec, s[8:9]
	s_and_saveexec_b64 s[8:9], s[6:7]
	s_cbranch_execnz .LBB223_54
	s_branch .LBB223_55
.LBB223_64:
	ds_read_b64 v[8:9], v37
	s_waitcnt lgkmcnt(0)
	global_store_dwordx2 v[2:3], v[8:9], off
	s_or_b64 exec, exec, s[8:9]
	s_and_saveexec_b64 s[0:1], s[2:3]
	s_cbranch_execz .LBB223_57
.LBB223_65:
	s_lshl_b32 s2, s28, 5
	s_mov_b32 s3, 0
	s_lshl_b64 s[2:3], s[2:3], 3
	v_mov_b32_e32 v9, s3
	v_add_co_u32_e32 v8, vcc, s2, v2
	v_addc_co_u32_e32 v9, vcc, v3, v9, vcc
	s_waitcnt lgkmcnt(2)
	global_store_dwordx2 v[8:9], v[6:7], off
	s_or_b64 exec, exec, s[0:1]
	s_and_saveexec_b64 s[0:1], s[4:5]
	s_cbranch_execz .LBB223_58
.LBB223_66:
	s_lshl_b32 s2, s28, 6
	s_mov_b32 s3, 0
	s_lshl_b64 s[2:3], s[2:3], 3
	s_waitcnt lgkmcnt(2)
	v_mov_b32_e32 v7, s3
	v_add_co_u32_e32 v6, vcc, s2, v2
	v_addc_co_u32_e32 v7, vcc, v3, v7, vcc
	s_waitcnt lgkmcnt(1)
	global_store_dwordx2 v[6:7], v[4:5], off
	s_or_b64 exec, exec, s[0:1]
	s_and_saveexec_b64 s[0:1], s[6:7]
	s_cbranch_execnz .LBB223_59
	s_branch .LBB223_60
	.section	.rodata,"a",@progbits
	.p2align	6, 0x0
	.amdhsa_kernel _ZN2at6native18radixSortKVInPlaceILin2ELin1ELi32ELi4EN3c104HalfEljEEvNS_4cuda6detail10TensorInfoIT3_T5_EES8_S8_S8_NS6_IT4_S8_EES8_b
		.amdhsa_group_segment_fixed_size 1056
		.amdhsa_private_segment_fixed_size 0
		.amdhsa_kernarg_size 712
		.amdhsa_user_sgpr_count 6
		.amdhsa_user_sgpr_private_segment_buffer 1
		.amdhsa_user_sgpr_dispatch_ptr 0
		.amdhsa_user_sgpr_queue_ptr 0
		.amdhsa_user_sgpr_kernarg_segment_ptr 1
		.amdhsa_user_sgpr_dispatch_id 0
		.amdhsa_user_sgpr_flat_scratch_init 0
		.amdhsa_user_sgpr_kernarg_preload_length 0
		.amdhsa_user_sgpr_kernarg_preload_offset 0
		.amdhsa_user_sgpr_private_segment_size 0
		.amdhsa_uses_dynamic_stack 0
		.amdhsa_system_sgpr_private_segment_wavefront_offset 0
		.amdhsa_system_sgpr_workgroup_id_x 1
		.amdhsa_system_sgpr_workgroup_id_y 1
		.amdhsa_system_sgpr_workgroup_id_z 1
		.amdhsa_system_sgpr_workgroup_info 0
		.amdhsa_system_vgpr_workitem_id 0
		.amdhsa_next_free_vgpr 60
		.amdhsa_next_free_sgpr 46
		.amdhsa_accum_offset 60
		.amdhsa_reserve_vcc 1
		.amdhsa_reserve_flat_scratch 0
		.amdhsa_float_round_mode_32 0
		.amdhsa_float_round_mode_16_64 0
		.amdhsa_float_denorm_mode_32 3
		.amdhsa_float_denorm_mode_16_64 3
		.amdhsa_dx10_clamp 1
		.amdhsa_ieee_mode 1
		.amdhsa_fp16_overflow 0
		.amdhsa_tg_split 0
		.amdhsa_exception_fp_ieee_invalid_op 0
		.amdhsa_exception_fp_denorm_src 0
		.amdhsa_exception_fp_ieee_div_zero 0
		.amdhsa_exception_fp_ieee_overflow 0
		.amdhsa_exception_fp_ieee_underflow 0
		.amdhsa_exception_fp_ieee_inexact 0
		.amdhsa_exception_int_div_zero 0
	.end_amdhsa_kernel
	.section	.text._ZN2at6native18radixSortKVInPlaceILin2ELin1ELi32ELi4EN3c104HalfEljEEvNS_4cuda6detail10TensorInfoIT3_T5_EES8_S8_S8_NS6_IT4_S8_EES8_b,"axG",@progbits,_ZN2at6native18radixSortKVInPlaceILin2ELin1ELi32ELi4EN3c104HalfEljEEvNS_4cuda6detail10TensorInfoIT3_T5_EES8_S8_S8_NS6_IT4_S8_EES8_b,comdat
.Lfunc_end223:
	.size	_ZN2at6native18radixSortKVInPlaceILin2ELin1ELi32ELi4EN3c104HalfEljEEvNS_4cuda6detail10TensorInfoIT3_T5_EES8_S8_S8_NS6_IT4_S8_EES8_b, .Lfunc_end223-_ZN2at6native18radixSortKVInPlaceILin2ELin1ELi32ELi4EN3c104HalfEljEEvNS_4cuda6detail10TensorInfoIT3_T5_EES8_S8_S8_NS6_IT4_S8_EES8_b
                                        ; -- End function
	.section	.AMDGPU.csdata,"",@progbits
; Kernel info:
; codeLenInByte = 4932
; NumSgprs: 50
; NumVgprs: 60
; NumAgprs: 0
; TotalNumVgprs: 60
; ScratchSize: 0
; MemoryBound: 0
; FloatMode: 240
; IeeeMode: 1
; LDSByteSize: 1056 bytes/workgroup (compile time only)
; SGPRBlocks: 6
; VGPRBlocks: 7
; NumSGPRsForWavesPerEU: 50
; NumVGPRsForWavesPerEU: 60
; AccumOffset: 60
; Occupancy: 8
; WaveLimiterHint : 1
; COMPUTE_PGM_RSRC2:SCRATCH_EN: 0
; COMPUTE_PGM_RSRC2:USER_SGPR: 6
; COMPUTE_PGM_RSRC2:TRAP_HANDLER: 0
; COMPUTE_PGM_RSRC2:TGID_X_EN: 1
; COMPUTE_PGM_RSRC2:TGID_Y_EN: 1
; COMPUTE_PGM_RSRC2:TGID_Z_EN: 1
; COMPUTE_PGM_RSRC2:TIDIG_COMP_CNT: 0
; COMPUTE_PGM_RSRC3_GFX90A:ACCUM_OFFSET: 14
; COMPUTE_PGM_RSRC3_GFX90A:TG_SPLIT: 0
	.section	.text._ZN2at6native18radixSortKVInPlaceILin2ELin1ELi16ELi2EN3c104HalfEljEEvNS_4cuda6detail10TensorInfoIT3_T5_EES8_S8_S8_NS6_IT4_S8_EES8_b,"axG",@progbits,_ZN2at6native18radixSortKVInPlaceILin2ELin1ELi16ELi2EN3c104HalfEljEEvNS_4cuda6detail10TensorInfoIT3_T5_EES8_S8_S8_NS6_IT4_S8_EES8_b,comdat
	.protected	_ZN2at6native18radixSortKVInPlaceILin2ELin1ELi16ELi2EN3c104HalfEljEEvNS_4cuda6detail10TensorInfoIT3_T5_EES8_S8_S8_NS6_IT4_S8_EES8_b ; -- Begin function _ZN2at6native18radixSortKVInPlaceILin2ELin1ELi16ELi2EN3c104HalfEljEEvNS_4cuda6detail10TensorInfoIT3_T5_EES8_S8_S8_NS6_IT4_S8_EES8_b
	.globl	_ZN2at6native18radixSortKVInPlaceILin2ELin1ELi16ELi2EN3c104HalfEljEEvNS_4cuda6detail10TensorInfoIT3_T5_EES8_S8_S8_NS6_IT4_S8_EES8_b
	.p2align	8
	.type	_ZN2at6native18radixSortKVInPlaceILin2ELin1ELi16ELi2EN3c104HalfEljEEvNS_4cuda6detail10TensorInfoIT3_T5_EES8_S8_S8_NS6_IT4_S8_EES8_b,@function
_ZN2at6native18radixSortKVInPlaceILin2ELin1ELi16ELi2EN3c104HalfEljEEvNS_4cuda6detail10TensorInfoIT3_T5_EES8_S8_S8_NS6_IT4_S8_EES8_b: ; @_ZN2at6native18radixSortKVInPlaceILin2ELin1ELi16ELi2EN3c104HalfEljEEvNS_4cuda6detail10TensorInfoIT3_T5_EES8_S8_S8_NS6_IT4_S8_EES8_b
; %bb.0:
	s_load_dwordx2 s[0:1], s[4:5], 0x1c8
	s_load_dwordx4 s[16:19], s[4:5], 0xd8
	s_waitcnt lgkmcnt(0)
	s_mul_i32 s1, s1, s8
	s_add_i32 s1, s1, s7
	s_mul_i32 s10, s1, s0
	s_add_i32 s10, s10, s6
	s_cmp_ge_u32 s10, s16
	s_cbranch_scc1 .LBB224_50
; %bb.1:
	s_load_dword s8, s[4:5], 0x1b8
	s_load_dwordx2 s[0:1], s[4:5], 0x0
	s_add_u32 s2, s4, 0xe8
	s_addc_u32 s3, s5, 0
	s_mov_b32 s7, 0
	s_waitcnt lgkmcnt(0)
	s_cmp_lt_i32 s8, 2
	s_mov_b32 s6, s10
	s_cbranch_scc1 .LBB224_4
; %bb.2:
	s_add_i32 s6, s8, -1
	s_add_i32 s11, s8, 1
	s_lshl_b64 s[8:9], s[6:7], 2
	s_add_u32 s6, s8, s2
	s_addc_u32 s9, s9, s3
	s_add_u32 s8, s6, 8
	s_addc_u32 s9, s9, 0
	s_mov_b32 s6, s10
.LBB224_3:                              ; =>This Inner Loop Header: Depth=1
	s_load_dword s12, s[8:9], 0x0
	s_load_dword s14, s[8:9], 0x64
	s_mov_b32 s13, s6
	s_waitcnt lgkmcnt(0)
	v_cvt_f32_u32_e32 v1, s12
	s_sub_i32 s6, 0, s12
	v_rcp_iflag_f32_e32 v1, v1
	v_mul_f32_e32 v1, 0x4f7ffffe, v1
	v_cvt_u32_f32_e32 v1, v1
	v_readfirstlane_b32 s15, v1
	s_mul_i32 s6, s6, s15
	s_mul_hi_u32 s6, s15, s6
	s_add_i32 s15, s15, s6
	s_mul_hi_u32 s6, s13, s15
	s_mul_i32 s15, s6, s12
	s_sub_i32 s15, s13, s15
	s_add_i32 s16, s6, 1
	s_sub_i32 s19, s15, s12
	s_cmp_ge_u32 s15, s12
	s_cselect_b32 s6, s16, s6
	s_cselect_b32 s15, s19, s15
	s_add_i32 s16, s6, 1
	s_cmp_ge_u32 s15, s12
	s_cselect_b32 s6, s16, s6
	s_mul_i32 s12, s6, s12
	s_sub_i32 s12, s13, s12
	s_mul_i32 s12, s14, s12
	s_add_i32 s11, s11, -1
	s_add_i32 s7, s12, s7
	s_add_u32 s8, s8, -4
	s_addc_u32 s9, s9, -1
	s_cmp_gt_u32 s11, 2
	s_cbranch_scc1 .LBB224_3
.LBB224_4:
	s_load_dword s8, s[4:5], 0x6c
	s_load_dwordx2 s[20:21], s[4:5], 0x1c0
	s_mov_b32 s14, 0xffff
	s_mov_b32 s11, 0
	v_mul_lo_u32 v10, v0, s18
	s_waitcnt lgkmcnt(0)
	s_mul_i32 s10, s8, s10
	s_bitcmp1_b32 s21, 0
	s_load_dwordx2 s[8:9], s[2:3], 0x0
	s_cselect_b64 s[4:5], -1, 0
	s_and_b64 s[12:13], s[4:5], exec
	s_cselect_b32 s12, s14, 0x7fff
	s_lshl_b64 s[10:11], s[10:11], 1
	s_add_u32 s19, s0, s10
	s_addc_u32 s21, s1, s11
	v_cmp_gt_u32_e64 s[0:1], s17, v0
	v_mov_b32_e32 v2, s12
	s_and_saveexec_b64 s[10:11], s[0:1]
	s_cbranch_execz .LBB224_6
; %bb.5:
	v_mov_b32_e32 v11, 0
	v_lshlrev_b64 v[2:3], 1, v[10:11]
	v_mov_b32_e32 v1, s21
	v_add_co_u32_e32 v2, vcc, s19, v2
	v_addc_co_u32_e32 v3, vcc, v1, v3, vcc
	global_load_ushort v2, v[2:3], off
.LBB224_6:
	s_or_b64 exec, exec, s[10:11]
	s_load_dword s13, s[2:3], 0x6c
	v_or_b32_e32 v1, 16, v0
	v_cmp_gt_u32_e64 s[2:3], s17, v1
	v_mov_b32_e32 v3, s12
	s_and_saveexec_b64 s[10:11], s[2:3]
	s_cbranch_execz .LBB224_8
; %bb.7:
	v_mul_lo_u32 v4, v1, s18
	v_mov_b32_e32 v5, 0
	v_lshlrev_b64 v[4:5], 1, v[4:5]
	v_mov_b32_e32 v3, s21
	v_add_co_u32_e32 v4, vcc, s19, v4
	v_addc_co_u32_e32 v5, vcc, v3, v5, vcc
	global_load_ushort v3, v[4:5], off
.LBB224_8:
	s_or_b64 exec, exec, s[10:11]
	v_lshlrev_b32_e32 v22, 1, v0
	v_lshlrev_b32_e32 v11, 2, v0
	s_waitcnt lgkmcnt(0)
	s_mul_i32 s6, s13, s6
	s_waitcnt vmcnt(0)
	ds_write_b16 v22, v2
	ds_write_b16 v22, v3 offset:32
	s_waitcnt lgkmcnt(0)
	; wave barrier
	s_waitcnt lgkmcnt(0)
	ds_read_u16 v28, v11
	ds_read_u16 v27, v11 offset:2
	s_add_i32 s12, s6, s7
	s_mov_b32 s13, 0
	s_lshl_b64 s[6:7], s[12:13], 3
	s_mov_b32 s12, s13
	s_add_u32 s30, s8, s6
	s_mov_b32 s14, s13
	s_mov_b32 s15, s13
	v_pk_mov_b32 v[2:3], s[12:13], s[12:13] op_sel:[0,1]
	s_addc_u32 s31, s9, s7
	v_pk_mov_b32 v[4:5], s[14:15], s[14:15] op_sel:[0,1]
	v_pk_mov_b32 v[2:3], 0, 0
	v_mul_lo_u32 v12, v0, s20
	s_waitcnt lgkmcnt(0)
	; wave barrier
	s_waitcnt lgkmcnt(0)
	s_and_saveexec_b64 s[6:7], s[0:1]
	s_cbranch_execz .LBB224_10
; %bb.9:
	v_mov_b32_e32 v13, 0
	v_lshlrev_b64 v[2:3], 3, v[12:13]
	v_mov_b32_e32 v4, s31
	v_add_co_u32_e32 v2, vcc, s30, v2
	v_addc_co_u32_e32 v3, vcc, v4, v3, vcc
	global_load_dwordx2 v[2:3], v[2:3], off
	v_mov_b32_e32 v4, v13
	v_mov_b32_e32 v5, v13
.LBB224_10:
	s_or_b64 exec, exec, s[6:7]
	s_xor_b64 s[22:23], s[4:5], -1
	s_and_saveexec_b64 s[4:5], s[2:3]
	s_cbranch_execz .LBB224_12
; %bb.11:
	v_mul_lo_u32 v4, v1, s20
	v_mov_b32_e32 v5, 0
	v_lshlrev_b64 v[4:5], 3, v[4:5]
	v_mov_b32_e32 v6, s31
	v_add_co_u32_e32 v4, vcc, s30, v4
	v_addc_co_u32_e32 v5, vcc, v6, v5, vcc
	global_load_dwordx2 v[4:5], v[4:5], off
.LBB224_12:
	s_or_b64 exec, exec, s[4:5]
	v_mbcnt_lo_u32_b32 v6, -1, 0
	v_lshlrev_b32_e32 v23, 3, v0
	v_lshlrev_b32_e32 v13, 3, v22
	s_getpc_b64 s[4:5]
	s_add_u32 s4, s4, _ZN7rocprim17ROCPRIM_400000_NS16block_radix_sortI6__halfLj16ELj2ElLj1ELj1ELj0ELNS0_26block_radix_rank_algorithmE1ELNS0_18block_padding_hintE2ELNS0_4arch9wavefront6targetE1EE19radix_bits_per_passE@rel32@lo+4
	s_addc_u32 s5, s5, _ZN7rocprim17ROCPRIM_400000_NS16block_radix_sortI6__halfLj16ELj2ElLj1ELj1ELj0ELNS0_26block_radix_rank_algorithmE1ELNS0_18block_padding_hintE2ELNS0_4arch9wavefront6targetE1EE19radix_bits_per_passE@rel32@hi+12
	v_mbcnt_hi_u32_b32 v6, -1, v6
	s_waitcnt vmcnt(0)
	ds_write2_b64 v23, v[2:3], v[4:5] offset1:16
	s_waitcnt lgkmcnt(0)
	; wave barrier
	s_waitcnt lgkmcnt(0)
	ds_read2_b64 v[2:5], v13 offset1:1
	s_load_dword s33, s[4:5], 0x0
	v_and_b32_e32 v7, 15, v6
	v_cmp_eq_u32_e64 s[6:7], 0, v7
	v_cmp_lt_u32_e64 s[8:9], 1, v7
	v_cmp_lt_u32_e64 s[10:11], 3, v7
	;; [unrolled: 1-line block ×3, first 2 shown]
	v_add_u32_e32 v7, -1, v6
	v_and_b32_e32 v8, 0x70, v6
	v_cmp_lt_i32_e32 vcc, v7, v8
	s_movk_i32 s4, 0x80
	v_cndmask_b32_e32 v7, v7, v6, vcc
	v_cmp_gt_u32_e64 s[4:5], s4, v0
	v_lshlrev_b32_e32 v24, 5, v0
	s_mov_b32 s34, 0
	v_cmp_eq_u32_e64 s[14:15], 15, v0
	s_movk_i32 s35, 0x70
	v_lshlrev_b32_e32 v26, 2, v7
	v_cmp_eq_u32_e64 s[16:17], 0, v6
	v_lshlrev_b32_e32 v25, 1, v22
	s_and_b64 vcc, exec, s[22:23]
	v_add_u32_e64 v29, 7, 2
	s_waitcnt lgkmcnt(0)
	; wave barrier
	s_waitcnt lgkmcnt(0)
	s_cbranch_vccz .LBB224_27
; %bb.13:
	v_mov_b32_e32 v30, 0xffff8000
	v_cmp_lt_i16_e32 vcc, -1, v28
	v_cndmask_b32_e32 v6, -1, v30, vcc
	v_cmp_lt_i16_e32 vcc, -1, v27
	v_xor_b32_e32 v20, v6, v28
	v_cndmask_b32_e32 v6, -1, v30, vcc
	v_xor_b32_e32 v21, v6, v27
	v_and_b32_e32 v31, 14, v29
	v_mov_b32_e32 v32, 0
	s_movk_i32 s36, 0x7fff
	v_pk_mov_b32 v[6:7], v[2:3], v[2:3] op_sel:[0,1]
	v_pk_mov_b32 v[8:9], v[4:5], v[4:5] op_sel:[0,1]
	s_branch .LBB224_15
.LBB224_14:                             ;   in Loop: Header=BB224_15 Depth=1
	v_lshlrev_b32_e32 v6, 1, v18
	s_waitcnt lgkmcnt(0)
	; wave barrier
	ds_write_b16 v6, v34
	v_lshlrev_b32_e32 v6, 1, v19
	ds_write_b16 v6, v33
	v_lshlrev_b32_e32 v6, 3, v18
	s_waitcnt lgkmcnt(0)
	; wave barrier
	s_waitcnt lgkmcnt(0)
	ds_read_u16 v20, v25
	ds_read_u16 v21, v25 offset:2
	s_waitcnt lgkmcnt(0)
	; wave barrier
	s_waitcnt lgkmcnt(0)
	ds_write_b64 v6, v[16:17]
	v_lshlrev_b32_e32 v6, 3, v19
	ds_write_b64 v6, v[14:15]
	s_waitcnt lgkmcnt(0)
	; wave barrier
	s_waitcnt lgkmcnt(0)
	ds_read2_b64 v[6:9], v13 offset1:1
	s_add_i32 s34, s34, 4
	s_waitcnt lgkmcnt(0)
	; wave barrier
	s_waitcnt lgkmcnt(0)
	s_cbranch_execz .LBB224_26
.LBB224_15:                             ; =>This Loop Header: Depth=1
                                        ;     Child Loop BB224_18 Depth 2
	v_pk_mov_b32 v[14:15], v[8:9], v[8:9] op_sel:[0,1]
	v_pk_mov_b32 v[16:17], v[6:7], v[6:7] op_sel:[0,1]
	v_mov_b32_e32 v34, v20
	v_mov_b32_e32 v33, v21
	s_and_saveexec_b64 s[22:23], s[4:5]
	s_cbranch_execz .LBB224_22
; %bb.16:                               ;   in Loop: Header=BB224_15 Depth=1
	s_mov_b32 s37, 0
	s_mov_b64 s[24:25], 0
	v_pk_mov_b32 v[6:7], v[0:1], v[0:1] op_sel:[0,1]
	s_branch .LBB224_18
.LBB224_17:                             ;   in Loop: Header=BB224_18 Depth=2
	s_or_b64 exec, exec, s[28:29]
	s_add_i32 s37, s37, 2
	v_cmp_eq_u32_e32 vcc, s37, v31
	v_add_u32_e32 v7, 32, v7
	s_or_b64 s[24:25], vcc, s[24:25]
	v_add_u32_e32 v6, 32, v6
	s_andn2_b64 exec, exec, s[24:25]
	s_cbranch_execz .LBB224_22
.LBB224_18:                             ;   Parent Loop BB224_15 Depth=1
                                        ; =>  This Inner Loop Header: Depth=2
	s_or_b32 s26, s37, 1
	v_cmp_le_u32_e64 s[26:27], s26, 7
	v_cmp_le_u32_e64 s[38:39], s37, 7
	s_and_saveexec_b64 s[28:29], s[38:39]
	s_cbranch_execz .LBB224_20
; %bb.19:                               ;   in Loop: Header=BB224_18 Depth=2
	v_lshlrev_b32_e32 v8, 2, v6
	ds_write_b32 v8, v32
.LBB224_20:                             ;   in Loop: Header=BB224_18 Depth=2
	s_or_b64 exec, exec, s[28:29]
	s_and_saveexec_b64 s[28:29], s[26:27]
	s_cbranch_execz .LBB224_17
; %bb.21:                               ;   in Loop: Header=BB224_18 Depth=2
	v_lshlrev_b32_e32 v8, 2, v7
	ds_write_b32 v8, v32
	s_branch .LBB224_17
.LBB224_22:                             ;   in Loop: Header=BB224_15 Depth=1
	s_or_b64 exec, exec, s[22:23]
	s_sub_i32 s22, 16, s34
	s_min_u32 s22, s33, s22
	v_cmp_ne_u16_e32 vcc, s36, v34
	s_lshl_b32 s22, -1, s22
	v_cndmask_b32_e32 v6, v30, v34, vcc
	s_not_b32 s22, s22
	v_lshrrev_b32_sdwa v6, s34, v6 dst_sel:DWORD dst_unused:UNUSED_PAD src0_sel:DWORD src1_sel:WORD_0
	v_and_b32_e32 v6, s22, v6
	v_lshrrev_b32_e32 v7, 3, v6
	v_lshlrev_b32_e32 v6, 4, v6
	v_and_or_b32 v6, v6, s35, v0
	v_lshlrev_b32_e32 v6, 1, v6
	v_add_lshl_u32 v36, v6, v7, 1
	ds_read_u16 v35, v36
	v_cmp_ne_u16_e32 vcc, s36, v33
	s_waitcnt lgkmcnt(0)
	v_add_u16_e32 v6, 1, v35
	ds_write_b16 v36, v6
	v_cndmask_b32_e32 v6, v30, v33, vcc
	v_lshrrev_b32_sdwa v6, s34, v6 dst_sel:DWORD dst_unused:UNUSED_PAD src0_sel:DWORD src1_sel:WORD_0
	v_and_b32_e32 v6, s22, v6
	v_lshrrev_b32_e32 v7, 3, v6
	v_lshlrev_b32_e32 v6, 4, v6
	v_and_or_b32 v6, v6, s35, v0
	v_lshlrev_b32_e32 v6, 1, v6
	v_add_lshl_u32 v38, v6, v7, 1
	ds_read_u16 v37, v38
	s_waitcnt lgkmcnt(0)
	v_add_u16_e32 v6, 1, v37
	ds_write_b16 v38, v6
	s_waitcnt lgkmcnt(0)
	; wave barrier
	s_waitcnt lgkmcnt(0)
	ds_read2_b32 v[20:21], v24 offset1:1
	ds_read2_b32 v[18:19], v24 offset0:2 offset1:3
	ds_read2_b32 v[6:7], v24 offset0:4 offset1:5
	;; [unrolled: 1-line block ×3, first 2 shown]
	s_waitcnt lgkmcnt(3)
	v_add_u32_e32 v39, v21, v20
	s_waitcnt lgkmcnt(2)
	v_add3_u32 v39, v39, v18, v19
	s_waitcnt lgkmcnt(1)
	v_add3_u32 v39, v39, v6, v7
	;; [unrolled: 2-line block ×3, first 2 shown]
	s_nop 1
	v_mov_b32_dpp v39, v9 row_shr:1 row_mask:0xf bank_mask:0xf
	v_cndmask_b32_e64 v39, v39, 0, s[6:7]
	v_add_u32_e32 v9, v39, v9
	s_nop 1
	v_mov_b32_dpp v39, v9 row_shr:2 row_mask:0xf bank_mask:0xf
	v_cndmask_b32_e64 v39, 0, v39, s[8:9]
	v_add_u32_e32 v9, v9, v39
	s_nop 1
	v_mov_b32_dpp v39, v9 row_shr:4 row_mask:0xf bank_mask:0xf
	v_cndmask_b32_e64 v39, 0, v39, s[10:11]
	v_add_u32_e32 v9, v9, v39
	s_nop 1
	v_mov_b32_dpp v39, v9 row_shr:8 row_mask:0xf bank_mask:0xf
	v_cndmask_b32_e64 v39, 0, v39, s[12:13]
	v_add_u32_e32 v9, v9, v39
	s_and_saveexec_b64 s[22:23], s[14:15]
	s_cbranch_execz .LBB224_24
; %bb.23:                               ;   in Loop: Header=BB224_15 Depth=1
	ds_write_b32 v32, v9 offset:512
.LBB224_24:                             ;   in Loop: Header=BB224_15 Depth=1
	s_or_b64 exec, exec, s[22:23]
	ds_bpermute_b32 v9, v26, v9
	s_waitcnt lgkmcnt(0)
	; wave barrier
	s_waitcnt lgkmcnt(0)
	ds_read_b32 v39, v32 offset:512
	s_cmp_gt_u32 s34, 11
	v_cndmask_b32_e64 v9, v9, 0, s[16:17]
	s_waitcnt lgkmcnt(0)
	v_lshl_add_u32 v9, v39, 16, v9
	v_add_u32_e32 v20, v9, v20
	v_add_u32_e32 v21, v20, v21
	ds_write2_b32 v24, v9, v20 offset1:1
	v_add_u32_e32 v9, v21, v18
	v_add_u32_e32 v18, v9, v19
	;; [unrolled: 1-line block ×5, first 2 shown]
	ds_write2_b32 v24, v21, v9 offset0:2 offset1:3
	ds_write2_b32 v24, v18, v6 offset0:4 offset1:5
	;; [unrolled: 1-line block ×3, first 2 shown]
	s_waitcnt lgkmcnt(0)
	; wave barrier
	s_waitcnt lgkmcnt(0)
	ds_read_u16 v6, v36
	ds_read_u16 v7, v38
	s_waitcnt lgkmcnt(1)
	v_add_u32_sdwa v18, v6, v35 dst_sel:DWORD dst_unused:UNUSED_PAD src0_sel:DWORD src1_sel:WORD_0
	s_waitcnt lgkmcnt(0)
	v_add_u32_sdwa v19, v7, v37 dst_sel:DWORD dst_unused:UNUSED_PAD src0_sel:DWORD src1_sel:WORD_0
	s_cbranch_scc0 .LBB224_14
; %bb.25:
                                        ; implicit-def: $vgpr8_vgpr9
                                        ; implicit-def: $sgpr34
                                        ; implicit-def: $vgpr20
                                        ; implicit-def: $vgpr21
.LBB224_26:
	v_lshlrev_b32_e32 v6, 1, v18
	s_waitcnt lgkmcnt(0)
	; wave barrier
	ds_write_b16 v6, v34
	v_lshlrev_b32_e32 v6, 1, v19
	ds_write_b16 v6, v33
	s_waitcnt lgkmcnt(0)
	; wave barrier
	s_waitcnt lgkmcnt(0)
	v_lshlrev_b32_e32 v6, 3, v18
	ds_read_b32 v18, v25
	v_lshlrev_b32_e32 v7, 3, v19
	s_waitcnt lgkmcnt(0)
	; wave barrier
	s_waitcnt lgkmcnt(0)
	ds_write_b64 v6, v[16:17]
	ds_write_b64 v7, v[14:15]
	s_waitcnt lgkmcnt(0)
	; wave barrier
	s_waitcnt lgkmcnt(0)
	ds_read2_b64 v[6:9], v13 offset1:1
	v_mov_b32_e32 v14, -1
	v_mov_b32_e32 v15, 0xffff8000
	v_cmp_lt_i16_e32 vcc, -1, v18
	v_cmp_gt_i16_sdwa s[22:23], v18, v14 src0_sel:WORD_1 src1_sel:DWORD
	v_cndmask_b32_e64 v16, v15, -1, vcc
	v_cndmask_b32_e64 v14, v15, -1, s[22:23]
	s_mov_b32 s22, 0x5040100
	v_perm_b32 v14, v14, v16, s22
	v_xor_b32_e32 v14, v14, v18
	s_branch .LBB224_42
.LBB224_27:
                                        ; implicit-def: $vgpr8_vgpr9
                                        ; implicit-def: $vgpr14
	s_cbranch_execz .LBB224_42
; %bb.28:
	v_mov_b32_e32 v18, 0x7fff
	v_cmp_gt_i16_e32 vcc, 0, v28
	s_waitcnt lgkmcnt(0)
	v_cndmask_b32_e64 v6, v18, 0, vcc
	v_cmp_gt_i16_e32 vcc, 0, v27
	v_xor_b32_e32 v16, v6, v28
	v_cndmask_b32_e64 v6, v18, 0, vcc
	s_mov_b32 s34, 0
	v_xor_b32_e32 v17, v6, v27
	v_and_b32_e32 v19, 14, v29
	v_mov_b32_e32 v20, 0
	s_movk_i32 s35, 0x8000
	s_movk_i32 s36, 0x70
	s_branch .LBB224_30
.LBB224_29:                             ;   in Loop: Header=BB224_30 Depth=1
	v_lshlrev_b32_e32 v2, 1, v14
	s_waitcnt lgkmcnt(0)
	; wave barrier
	ds_write_b16 v2, v27
	v_lshlrev_b32_e32 v2, 1, v15
	ds_write_b16 v2, v21
	v_lshlrev_b32_e32 v2, 3, v14
	s_waitcnt lgkmcnt(0)
	; wave barrier
	s_waitcnt lgkmcnt(0)
	ds_read_u16 v16, v25
	ds_read_u16 v17, v25 offset:2
	s_waitcnt lgkmcnt(0)
	; wave barrier
	s_waitcnt lgkmcnt(0)
	ds_write_b64 v2, v[8:9]
	v_lshlrev_b32_e32 v2, 3, v15
	ds_write_b64 v2, v[6:7]
	s_waitcnt lgkmcnt(0)
	; wave barrier
	s_waitcnt lgkmcnt(0)
	ds_read2_b64 v[2:5], v13 offset1:1
	s_add_i32 s34, s34, 4
	s_waitcnt lgkmcnt(0)
	; wave barrier
	s_waitcnt lgkmcnt(0)
	s_cbranch_execz .LBB224_41
.LBB224_30:                             ; =>This Loop Header: Depth=1
                                        ;     Child Loop BB224_33 Depth 2
	v_pk_mov_b32 v[6:7], v[4:5], v[4:5] op_sel:[0,1]
	v_pk_mov_b32 v[8:9], v[2:3], v[2:3] op_sel:[0,1]
	v_mov_b32_e32 v27, v16
	v_mov_b32_e32 v21, v17
	s_and_saveexec_b64 s[22:23], s[4:5]
	s_cbranch_execz .LBB224_37
; %bb.31:                               ;   in Loop: Header=BB224_30 Depth=1
	s_mov_b32 s37, 0
	s_mov_b64 s[24:25], 0
	v_pk_mov_b32 v[2:3], v[0:1], v[0:1] op_sel:[0,1]
	s_branch .LBB224_33
.LBB224_32:                             ;   in Loop: Header=BB224_33 Depth=2
	s_or_b64 exec, exec, s[28:29]
	s_add_i32 s37, s37, 2
	v_cmp_eq_u32_e32 vcc, s37, v19
	v_add_u32_e32 v3, 32, v3
	s_or_b64 s[24:25], vcc, s[24:25]
	v_add_u32_e32 v2, 32, v2
	s_andn2_b64 exec, exec, s[24:25]
	s_cbranch_execz .LBB224_37
.LBB224_33:                             ;   Parent Loop BB224_30 Depth=1
                                        ; =>  This Inner Loop Header: Depth=2
	s_or_b32 s26, s37, 1
	v_cmp_le_u32_e64 s[26:27], s26, 7
	v_cmp_le_u32_e64 s[38:39], s37, 7
	s_and_saveexec_b64 s[28:29], s[38:39]
	s_cbranch_execz .LBB224_35
; %bb.34:                               ;   in Loop: Header=BB224_33 Depth=2
	v_lshlrev_b32_e32 v4, 2, v2
	ds_write_b32 v4, v20
.LBB224_35:                             ;   in Loop: Header=BB224_33 Depth=2
	s_or_b64 exec, exec, s[28:29]
	s_and_saveexec_b64 s[28:29], s[26:27]
	s_cbranch_execz .LBB224_32
; %bb.36:                               ;   in Loop: Header=BB224_33 Depth=2
	v_lshlrev_b32_e32 v4, 2, v3
	ds_write_b32 v4, v20
	s_branch .LBB224_32
.LBB224_37:                             ;   in Loop: Header=BB224_30 Depth=1
	s_or_b64 exec, exec, s[22:23]
	s_sub_i32 s22, 16, s34
	s_min_u32 s22, s33, s22
	v_cmp_ne_u16_e32 vcc, s35, v27
	s_lshl_b32 s22, -1, s22
	v_cndmask_b32_e32 v2, v18, v27, vcc
	s_not_b32 s22, s22
	v_lshrrev_b32_sdwa v2, s34, v2 dst_sel:DWORD dst_unused:UNUSED_PAD src0_sel:DWORD src1_sel:WORD_0
	v_and_b32_e32 v2, s22, v2
	v_lshrrev_b32_e32 v3, 3, v2
	v_lshlrev_b32_e32 v2, 4, v2
	v_and_or_b32 v2, v2, s36, v0
	v_lshlrev_b32_e32 v2, 1, v2
	v_add_lshl_u32 v29, v2, v3, 1
	ds_read_u16 v28, v29
	v_cmp_ne_u16_e32 vcc, s35, v21
	s_waitcnt lgkmcnt(0)
	v_add_u16_e32 v2, 1, v28
	ds_write_b16 v29, v2
	v_cndmask_b32_e32 v2, v18, v21, vcc
	v_lshrrev_b32_sdwa v2, s34, v2 dst_sel:DWORD dst_unused:UNUSED_PAD src0_sel:DWORD src1_sel:WORD_0
	v_and_b32_e32 v2, s22, v2
	v_lshrrev_b32_e32 v3, 3, v2
	v_lshlrev_b32_e32 v2, 4, v2
	v_and_or_b32 v2, v2, s36, v0
	v_lshlrev_b32_e32 v2, 1, v2
	v_add_lshl_u32 v31, v2, v3, 1
	ds_read_u16 v30, v31
	s_waitcnt lgkmcnt(0)
	v_add_u16_e32 v2, 1, v30
	ds_write_b16 v31, v2
	s_waitcnt lgkmcnt(0)
	; wave barrier
	s_waitcnt lgkmcnt(0)
	ds_read2_b32 v[16:17], v24 offset1:1
	ds_read2_b32 v[14:15], v24 offset0:2 offset1:3
	ds_read2_b32 v[2:3], v24 offset0:4 offset1:5
	;; [unrolled: 1-line block ×3, first 2 shown]
	s_waitcnt lgkmcnt(3)
	v_add_u32_e32 v32, v17, v16
	s_waitcnt lgkmcnt(2)
	v_add3_u32 v32, v32, v14, v15
	s_waitcnt lgkmcnt(1)
	v_add3_u32 v32, v32, v2, v3
	;; [unrolled: 2-line block ×3, first 2 shown]
	s_nop 1
	v_mov_b32_dpp v32, v5 row_shr:1 row_mask:0xf bank_mask:0xf
	v_cndmask_b32_e64 v32, v32, 0, s[6:7]
	v_add_u32_e32 v5, v32, v5
	s_nop 1
	v_mov_b32_dpp v32, v5 row_shr:2 row_mask:0xf bank_mask:0xf
	v_cndmask_b32_e64 v32, 0, v32, s[8:9]
	v_add_u32_e32 v5, v5, v32
	;; [unrolled: 4-line block ×4, first 2 shown]
	s_and_saveexec_b64 s[22:23], s[14:15]
	s_cbranch_execz .LBB224_39
; %bb.38:                               ;   in Loop: Header=BB224_30 Depth=1
	ds_write_b32 v20, v5 offset:512
.LBB224_39:                             ;   in Loop: Header=BB224_30 Depth=1
	s_or_b64 exec, exec, s[22:23]
	ds_bpermute_b32 v5, v26, v5
	s_waitcnt lgkmcnt(0)
	; wave barrier
	s_waitcnt lgkmcnt(0)
	ds_read_b32 v32, v20 offset:512
	s_cmp_gt_u32 s34, 11
	v_cndmask_b32_e64 v5, v5, 0, s[16:17]
	s_waitcnt lgkmcnt(0)
	v_lshl_add_u32 v5, v32, 16, v5
	v_add_u32_e32 v16, v5, v16
	v_add_u32_e32 v17, v16, v17
	ds_write2_b32 v24, v5, v16 offset1:1
	v_add_u32_e32 v5, v17, v14
	v_add_u32_e32 v14, v5, v15
	;; [unrolled: 1-line block ×5, first 2 shown]
	ds_write2_b32 v24, v17, v5 offset0:2 offset1:3
	ds_write2_b32 v24, v14, v2 offset0:4 offset1:5
	;; [unrolled: 1-line block ×3, first 2 shown]
	s_waitcnt lgkmcnt(0)
	; wave barrier
	s_waitcnt lgkmcnt(0)
	ds_read_u16 v2, v29
	ds_read_u16 v3, v31
	s_waitcnt lgkmcnt(1)
	v_add_u32_sdwa v14, v2, v28 dst_sel:DWORD dst_unused:UNUSED_PAD src0_sel:DWORD src1_sel:WORD_0
	s_waitcnt lgkmcnt(0)
	v_add_u32_sdwa v15, v3, v30 dst_sel:DWORD dst_unused:UNUSED_PAD src0_sel:DWORD src1_sel:WORD_0
	s_cbranch_scc0 .LBB224_29
; %bb.40:
                                        ; implicit-def: $vgpr4_vgpr5
                                        ; implicit-def: $sgpr34
                                        ; implicit-def: $vgpr16
                                        ; implicit-def: $vgpr17
.LBB224_41:
	v_lshlrev_b32_e32 v0, 1, v14
	s_waitcnt lgkmcnt(0)
	; wave barrier
	ds_write_b16 v0, v27
	v_lshlrev_b32_e32 v0, 1, v15
	ds_write_b16 v0, v21
	s_waitcnt lgkmcnt(0)
	; wave barrier
	s_waitcnt lgkmcnt(0)
	ds_read_b32 v2, v25
	v_lshlrev_b32_e32 v0, 3, v14
	v_lshlrev_b32_e32 v1, 3, v15
	s_waitcnt lgkmcnt(0)
	; wave barrier
	s_waitcnt lgkmcnt(0)
	ds_write_b64 v0, v[8:9]
	ds_write_b64 v1, v[6:7]
	s_waitcnt lgkmcnt(0)
	; wave barrier
	s_waitcnt lgkmcnt(0)
	ds_read2_b64 v[6:9], v13 offset1:1
	v_mov_b32_e32 v0, 0
	v_mov_b32_e32 v1, 0x7fff
	v_cmp_gt_i16_e32 vcc, 0, v2
	v_cmp_lt_i16_sdwa s[4:5], v2, v0 src0_sel:WORD_1 src1_sel:DWORD
	v_cndmask_b32_e64 v3, v1, 0, vcc
	v_cndmask_b32_e64 v0, v1, 0, s[4:5]
	s_mov_b32 s4, 0x5040100
	v_perm_b32 v0, v0, v3, s4
	v_xor_b32_e32 v14, v0, v2
.LBB224_42:
	s_waitcnt lgkmcnt(0)
	; wave barrier
	s_waitcnt lgkmcnt(0)
	ds_write_b32 v11, v14
	s_waitcnt lgkmcnt(0)
	; wave barrier
	s_waitcnt lgkmcnt(0)
	ds_read_u16 v2, v22 offset:32
	v_mov_b32_e32 v11, 0
	v_lshlrev_b64 v[0:1], 1, v[10:11]
	v_mov_b32_e32 v3, s21
	v_add_co_u32_e32 v0, vcc, s19, v0
	v_addc_co_u32_e32 v1, vcc, v3, v1, vcc
	s_and_saveexec_b64 s[4:5], s[0:1]
	s_cbranch_execz .LBB224_44
; %bb.43:
	ds_read_u16 v3, v22
	s_waitcnt lgkmcnt(0)
	global_store_short v[0:1], v3, off
.LBB224_44:
	s_or_b64 exec, exec, s[4:5]
	s_and_saveexec_b64 s[4:5], s[2:3]
	s_cbranch_execz .LBB224_46
; %bb.45:
	s_lshl_b32 s6, s18, 4
	s_mov_b32 s7, 0
	s_lshl_b64 s[6:7], s[6:7], 1
	v_mov_b32_e32 v3, s7
	v_add_co_u32_e32 v0, vcc, s6, v0
	v_addc_co_u32_e32 v1, vcc, v1, v3, vcc
	s_waitcnt lgkmcnt(0)
	global_store_short v[0:1], v2, off
.LBB224_46:
	s_or_b64 exec, exec, s[4:5]
	s_waitcnt lgkmcnt(0)
	; wave barrier
	s_waitcnt lgkmcnt(0)
	ds_write2_b64 v13, v[6:7], v[8:9] offset1:1
	s_waitcnt lgkmcnt(0)
	; wave barrier
	s_waitcnt lgkmcnt(0)
	ds_read_b64 v[0:1], v23 offset:128
	v_mov_b32_e32 v13, 0
	v_lshlrev_b64 v[2:3], 3, v[12:13]
	v_mov_b32_e32 v4, s31
	v_add_co_u32_e32 v2, vcc, s30, v2
	v_addc_co_u32_e32 v3, vcc, v4, v3, vcc
	s_and_saveexec_b64 s[4:5], s[0:1]
	s_cbranch_execz .LBB224_48
; %bb.47:
	ds_read_b64 v[4:5], v23
	s_waitcnt lgkmcnt(0)
	global_store_dwordx2 v[2:3], v[4:5], off
.LBB224_48:
	s_or_b64 exec, exec, s[4:5]
	s_and_saveexec_b64 s[0:1], s[2:3]
	s_cbranch_execz .LBB224_50
; %bb.49:
	s_lshl_b32 s0, s20, 4
	s_mov_b32 s1, 0
	s_lshl_b64 s[0:1], s[0:1], 3
	v_mov_b32_e32 v4, s1
	v_add_co_u32_e32 v2, vcc, s0, v2
	v_addc_co_u32_e32 v3, vcc, v3, v4, vcc
	s_waitcnt lgkmcnt(0)
	global_store_dwordx2 v[2:3], v[0:1], off
.LBB224_50:
	s_endpgm
	.section	.rodata,"a",@progbits
	.p2align	6, 0x0
	.amdhsa_kernel _ZN2at6native18radixSortKVInPlaceILin2ELin1ELi16ELi2EN3c104HalfEljEEvNS_4cuda6detail10TensorInfoIT3_T5_EES8_S8_S8_NS6_IT4_S8_EES8_b
		.amdhsa_group_segment_fixed_size 528
		.amdhsa_private_segment_fixed_size 0
		.amdhsa_kernarg_size 712
		.amdhsa_user_sgpr_count 6
		.amdhsa_user_sgpr_private_segment_buffer 1
		.amdhsa_user_sgpr_dispatch_ptr 0
		.amdhsa_user_sgpr_queue_ptr 0
		.amdhsa_user_sgpr_kernarg_segment_ptr 1
		.amdhsa_user_sgpr_dispatch_id 0
		.amdhsa_user_sgpr_flat_scratch_init 0
		.amdhsa_user_sgpr_kernarg_preload_length 0
		.amdhsa_user_sgpr_kernarg_preload_offset 0
		.amdhsa_user_sgpr_private_segment_size 0
		.amdhsa_uses_dynamic_stack 0
		.amdhsa_system_sgpr_private_segment_wavefront_offset 0
		.amdhsa_system_sgpr_workgroup_id_x 1
		.amdhsa_system_sgpr_workgroup_id_y 1
		.amdhsa_system_sgpr_workgroup_id_z 1
		.amdhsa_system_sgpr_workgroup_info 0
		.amdhsa_system_vgpr_workitem_id 0
		.amdhsa_next_free_vgpr 40
		.amdhsa_next_free_sgpr 40
		.amdhsa_accum_offset 40
		.amdhsa_reserve_vcc 1
		.amdhsa_reserve_flat_scratch 0
		.amdhsa_float_round_mode_32 0
		.amdhsa_float_round_mode_16_64 0
		.amdhsa_float_denorm_mode_32 3
		.amdhsa_float_denorm_mode_16_64 3
		.amdhsa_dx10_clamp 1
		.amdhsa_ieee_mode 1
		.amdhsa_fp16_overflow 0
		.amdhsa_tg_split 0
		.amdhsa_exception_fp_ieee_invalid_op 0
		.amdhsa_exception_fp_denorm_src 0
		.amdhsa_exception_fp_ieee_div_zero 0
		.amdhsa_exception_fp_ieee_overflow 0
		.amdhsa_exception_fp_ieee_underflow 0
		.amdhsa_exception_fp_ieee_inexact 0
		.amdhsa_exception_int_div_zero 0
	.end_amdhsa_kernel
	.section	.text._ZN2at6native18radixSortKVInPlaceILin2ELin1ELi16ELi2EN3c104HalfEljEEvNS_4cuda6detail10TensorInfoIT3_T5_EES8_S8_S8_NS6_IT4_S8_EES8_b,"axG",@progbits,_ZN2at6native18radixSortKVInPlaceILin2ELin1ELi16ELi2EN3c104HalfEljEEvNS_4cuda6detail10TensorInfoIT3_T5_EES8_S8_S8_NS6_IT4_S8_EES8_b,comdat
.Lfunc_end224:
	.size	_ZN2at6native18radixSortKVInPlaceILin2ELin1ELi16ELi2EN3c104HalfEljEEvNS_4cuda6detail10TensorInfoIT3_T5_EES8_S8_S8_NS6_IT4_S8_EES8_b, .Lfunc_end224-_ZN2at6native18radixSortKVInPlaceILin2ELin1ELi16ELi2EN3c104HalfEljEEvNS_4cuda6detail10TensorInfoIT3_T5_EES8_S8_S8_NS6_IT4_S8_EES8_b
                                        ; -- End function
	.section	.AMDGPU.csdata,"",@progbits
; Kernel info:
; codeLenInByte = 3232
; NumSgprs: 44
; NumVgprs: 40
; NumAgprs: 0
; TotalNumVgprs: 40
; ScratchSize: 0
; MemoryBound: 0
; FloatMode: 240
; IeeeMode: 1
; LDSByteSize: 528 bytes/workgroup (compile time only)
; SGPRBlocks: 5
; VGPRBlocks: 4
; NumSGPRsForWavesPerEU: 44
; NumVGPRsForWavesPerEU: 40
; AccumOffset: 40
; Occupancy: 8
; WaveLimiterHint : 1
; COMPUTE_PGM_RSRC2:SCRATCH_EN: 0
; COMPUTE_PGM_RSRC2:USER_SGPR: 6
; COMPUTE_PGM_RSRC2:TRAP_HANDLER: 0
; COMPUTE_PGM_RSRC2:TGID_X_EN: 1
; COMPUTE_PGM_RSRC2:TGID_Y_EN: 1
; COMPUTE_PGM_RSRC2:TGID_Z_EN: 1
; COMPUTE_PGM_RSRC2:TIDIG_COMP_CNT: 0
; COMPUTE_PGM_RSRC3_GFX90A:ACCUM_OFFSET: 9
; COMPUTE_PGM_RSRC3_GFX90A:TG_SPLIT: 0
	.section	.text._ZN2at6native18radixSortKVInPlaceILi2ELin1ELi512ELi8EN3c104HalfEljEEvNS_4cuda6detail10TensorInfoIT3_T5_EES8_S8_S8_NS6_IT4_S8_EES8_b,"axG",@progbits,_ZN2at6native18radixSortKVInPlaceILi2ELin1ELi512ELi8EN3c104HalfEljEEvNS_4cuda6detail10TensorInfoIT3_T5_EES8_S8_S8_NS6_IT4_S8_EES8_b,comdat
	.protected	_ZN2at6native18radixSortKVInPlaceILi2ELin1ELi512ELi8EN3c104HalfEljEEvNS_4cuda6detail10TensorInfoIT3_T5_EES8_S8_S8_NS6_IT4_S8_EES8_b ; -- Begin function _ZN2at6native18radixSortKVInPlaceILi2ELin1ELi512ELi8EN3c104HalfEljEEvNS_4cuda6detail10TensorInfoIT3_T5_EES8_S8_S8_NS6_IT4_S8_EES8_b
	.globl	_ZN2at6native18radixSortKVInPlaceILi2ELin1ELi512ELi8EN3c104HalfEljEEvNS_4cuda6detail10TensorInfoIT3_T5_EES8_S8_S8_NS6_IT4_S8_EES8_b
	.p2align	8
	.type	_ZN2at6native18radixSortKVInPlaceILi2ELin1ELi512ELi8EN3c104HalfEljEEvNS_4cuda6detail10TensorInfoIT3_T5_EES8_S8_S8_NS6_IT4_S8_EES8_b,@function
_ZN2at6native18radixSortKVInPlaceILi2ELin1ELi512ELi8EN3c104HalfEljEEvNS_4cuda6detail10TensorInfoIT3_T5_EES8_S8_S8_NS6_IT4_S8_EES8_b: ; @_ZN2at6native18radixSortKVInPlaceILi2ELin1ELi512ELi8EN3c104HalfEljEEvNS_4cuda6detail10TensorInfoIT3_T5_EES8_S8_S8_NS6_IT4_S8_EES8_b
; %bb.0:
	s_load_dwordx2 s[0:1], s[4:5], 0x1c8
	s_load_dwordx4 s[48:51], s[4:5], 0xd8
	s_add_u32 s54, s4, 0x1c8
	s_addc_u32 s55, s5, 0
	s_waitcnt lgkmcnt(0)
	s_mul_i32 s1, s1, s8
	s_add_i32 s1, s1, s7
	s_mul_i32 s8, s1, s0
	s_add_i32 s8, s8, s6
	s_cmp_ge_u32 s8, s48
	s_cbranch_scc1 .LBB225_146
; %bb.1:
	s_load_dword s9, s[4:5], 0xc
	s_load_dwordx2 s[0:1], s[4:5], 0x6c
	s_load_dword s6, s[4:5], 0x1b8
	s_add_u32 s14, s4, 0xe8
	s_load_dwordx2 s[2:3], s[4:5], 0x0
	s_waitcnt lgkmcnt(0)
	v_cvt_f32_u32_e32 v1, s9
	s_addc_u32 s15, s5, 0
	s_sub_i32 s7, 0, s9
	s_mov_b32 s17, 0
	v_rcp_iflag_f32_e32 v1, v1
	s_mov_b32 s16, s8
	v_mul_f32_e32 v1, 0x4f7ffffe, v1
	v_cvt_u32_f32_e32 v1, v1
	v_readfirstlane_b32 s10, v1
	s_mul_i32 s7, s7, s10
	s_mul_hi_u32 s7, s10, s7
	s_add_i32 s10, s10, s7
	s_mul_hi_u32 s10, s8, s10
	s_cmp_lt_i32 s6, 2
	s_cbranch_scc1 .LBB225_4
; %bb.2:
	s_add_i32 s16, s6, -1
	s_add_i32 s11, s6, 1
	s_lshl_b64 s[6:7], s[16:17], 2
	s_add_u32 s6, s6, s14
	s_addc_u32 s7, s7, s15
	s_add_u32 s6, s6, 8
	s_addc_u32 s7, s7, 0
	s_mov_b32 s16, s8
.LBB225_3:                              ; =>This Inner Loop Header: Depth=1
	s_load_dword s12, s[6:7], 0x0
	s_load_dword s18, s[6:7], 0x64
	s_mov_b32 s13, s16
	s_waitcnt lgkmcnt(0)
	v_cvt_f32_u32_e32 v1, s12
	s_sub_i32 s16, 0, s12
	v_rcp_iflag_f32_e32 v1, v1
	v_mul_f32_e32 v1, 0x4f7ffffe, v1
	v_cvt_u32_f32_e32 v1, v1
	v_readfirstlane_b32 s19, v1
	s_mul_i32 s16, s16, s19
	s_mul_hi_u32 s16, s19, s16
	s_add_i32 s19, s19, s16
	s_mul_hi_u32 s16, s13, s19
	s_mul_i32 s19, s16, s12
	s_sub_i32 s19, s13, s19
	s_add_i32 s20, s16, 1
	s_sub_i32 s21, s19, s12
	s_cmp_ge_u32 s19, s12
	s_cselect_b32 s16, s20, s16
	s_cselect_b32 s19, s21, s19
	s_add_i32 s20, s16, 1
	s_cmp_ge_u32 s19, s12
	s_cselect_b32 s16, s20, s16
	s_mul_i32 s12, s16, s12
	s_sub_i32 s12, s13, s12
	s_mul_i32 s12, s18, s12
	s_add_i32 s11, s11, -1
	s_add_i32 s17, s12, s17
	s_add_u32 s6, s6, -4
	s_addc_u32 s7, s7, -1
	s_cmp_gt_u32 s11, 2
	s_cbranch_scc1 .LBB225_3
.LBB225_4:
	s_mul_i32 s6, s10, s9
	s_sub_i32 s6, s8, s6
	s_add_i32 s7, s10, 1
	s_sub_i32 s11, s6, s9
	s_cmp_ge_u32 s6, s9
	s_cselect_b32 s7, s7, s10
	s_cselect_b32 s6, s11, s6
	s_add_i32 s10, s7, 1
	s_cmp_ge_u32 s6, s9
	s_cselect_b32 s6, s10, s7
	s_load_dwordx2 s[52:53], s[4:5], 0x1c0
	s_mul_i32 s7, s6, s9
	s_sub_i32 s4, s8, s7
	s_mul_i32 s4, s4, s1
	s_mul_i32 s0, s6, s0
	s_add_i32 s0, s0, s4
	s_waitcnt lgkmcnt(0)
	s_bitcmp1_b32 s53, 0
	s_cselect_b64 s[34:35], -1, 0
	s_mov_b32 s1, 0xffff
	s_and_b64 s[4:5], s[34:35], exec
	s_cselect_b32 s22, s1, 0x7fff
	s_mov_b32 s1, 0
	s_lshl_b64 s[0:1], s[0:1], 1
	s_add_u32 s33, s2, s0
	v_and_b32_e32 v46, 0x3ff, v0
	s_addc_u32 s48, s3, s1
	v_cmp_gt_u32_e64 s[0:1], s49, v46
	v_mov_b32_e32 v1, s22
	v_mul_lo_u32 v42, v46, s50
	s_and_saveexec_b64 s[2:3], s[0:1]
	s_cbranch_execz .LBB225_6
; %bb.5:
	v_mov_b32_e32 v43, 0
	v_lshlrev_b64 v[2:3], 1, v[42:43]
	v_mov_b32_e32 v1, s48
	v_add_co_u32_e32 v2, vcc, s33, v2
	v_addc_co_u32_e32 v3, vcc, v1, v3, vcc
	global_load_ushort v1, v[2:3], off
.LBB225_6:
	s_or_b64 exec, exec, s[2:3]
	v_add_u32_e32 v36, 0x200, v46
	v_cmp_gt_u32_e64 s[2:3], s49, v36
	v_mov_b32_e32 v2, s22
	s_and_saveexec_b64 s[4:5], s[2:3]
	s_cbranch_execz .LBB225_8
; %bb.7:
	v_mul_lo_u32 v2, v36, s50
	v_mov_b32_e32 v3, 0
	v_lshlrev_b64 v[2:3], 1, v[2:3]
	v_mov_b32_e32 v4, s48
	v_add_co_u32_e32 v2, vcc, s33, v2
	v_addc_co_u32_e32 v3, vcc, v4, v3, vcc
	global_load_ushort v2, v[2:3], off
.LBB225_8:
	s_or_b64 exec, exec, s[4:5]
	v_or_b32_e32 v35, 0x400, v46
	v_cmp_gt_u32_e64 s[4:5], s49, v35
	v_mov_b32_e32 v3, s22
	s_and_saveexec_b64 s[6:7], s[4:5]
	s_cbranch_execz .LBB225_10
; %bb.9:
	v_mul_lo_u32 v4, v35, s50
	v_mov_b32_e32 v5, 0
	v_lshlrev_b64 v[4:5], 1, v[4:5]
	v_mov_b32_e32 v3, s48
	v_add_co_u32_e32 v4, vcc, s33, v4
	v_addc_co_u32_e32 v5, vcc, v3, v5, vcc
	global_load_ushort v3, v[4:5], off
.LBB225_10:
	s_or_b64 exec, exec, s[6:7]
	v_add_u32_e32 v33, 0x600, v46
	v_cmp_gt_u32_e64 s[6:7], s49, v33
	v_mov_b32_e32 v4, s22
	s_and_saveexec_b64 s[8:9], s[6:7]
	s_cbranch_execz .LBB225_12
; %bb.11:
	v_mul_lo_u32 v4, v33, s50
	v_mov_b32_e32 v5, 0
	v_lshlrev_b64 v[4:5], 1, v[4:5]
	v_mov_b32_e32 v6, s48
	v_add_co_u32_e32 v4, vcc, s33, v4
	v_addc_co_u32_e32 v5, vcc, v6, v5, vcc
	global_load_ushort v4, v[4:5], off
.LBB225_12:
	s_or_b64 exec, exec, s[8:9]
	v_or_b32_e32 v30, 0x800, v46
	v_cmp_gt_u32_e64 s[8:9], s49, v30
	v_mov_b32_e32 v5, s22
	s_and_saveexec_b64 s[10:11], s[8:9]
	s_cbranch_execz .LBB225_14
; %bb.13:
	v_mul_lo_u32 v6, v30, s50
	v_mov_b32_e32 v7, 0
	v_lshlrev_b64 v[6:7], 1, v[6:7]
	v_mov_b32_e32 v5, s48
	v_add_co_u32_e32 v6, vcc, s33, v6
	v_addc_co_u32_e32 v7, vcc, v5, v7, vcc
	global_load_ushort v5, v[6:7], off
.LBB225_14:
	s_or_b64 exec, exec, s[10:11]
	v_add_u32_e32 v28, 0xa00, v46
	v_cmp_gt_u32_e64 s[10:11], s49, v28
	v_mov_b32_e32 v6, s22
	s_and_saveexec_b64 s[12:13], s[10:11]
	s_cbranch_execz .LBB225_16
; %bb.15:
	v_mul_lo_u32 v6, v28, s50
	v_mov_b32_e32 v7, 0
	v_lshlrev_b64 v[6:7], 1, v[6:7]
	v_mov_b32_e32 v8, s48
	v_add_co_u32_e32 v6, vcc, s33, v6
	v_addc_co_u32_e32 v7, vcc, v8, v7, vcc
	global_load_ushort v6, v[6:7], off
.LBB225_16:
	s_or_b64 exec, exec, s[12:13]
	s_load_dwordx2 s[18:19], s[14:15], 0x0
	v_or_b32_e32 v26, 0xc00, v46
	v_cmp_gt_u32_e64 s[12:13], s49, v26
	v_mov_b32_e32 v7, s22
	s_and_saveexec_b64 s[20:21], s[12:13]
	s_cbranch_execz .LBB225_18
; %bb.17:
	v_mul_lo_u32 v8, v26, s50
	v_mov_b32_e32 v9, 0
	v_lshlrev_b64 v[8:9], 1, v[8:9]
	v_mov_b32_e32 v7, s48
	v_add_co_u32_e32 v8, vcc, s33, v8
	v_addc_co_u32_e32 v9, vcc, v7, v9, vcc
	global_load_ushort v7, v[8:9], off
.LBB225_18:
	s_or_b64 exec, exec, s[20:21]
	s_load_dword s23, s[14:15], 0x6c
	v_add_u32_e32 v22, 0xe00, v46
	v_cmp_gt_u32_e64 s[14:15], s49, v22
	v_mov_b32_e32 v8, s22
	s_and_saveexec_b64 s[20:21], s[14:15]
	s_cbranch_execz .LBB225_20
; %bb.19:
	v_mul_lo_u32 v8, v22, s50
	v_mov_b32_e32 v9, 0
	v_lshlrev_b64 v[8:9], 1, v[8:9]
	v_mov_b32_e32 v10, s48
	v_add_co_u32_e32 v8, vcc, s33, v8
	v_addc_co_u32_e32 v9, vcc, v10, v9, vcc
	global_load_ushort v8, v[8:9], off
.LBB225_20:
	s_or_b64 exec, exec, s[20:21]
	v_lshrrev_b32_e32 v34, 5, v46
	v_and_b32_e32 v9, 30, v34
	v_add_lshl_u32 v47, v9, v46, 1
	v_lshrrev_b32_e32 v32, 5, v36
	s_waitcnt vmcnt(0)
	ds_write_b16 v47, v1
	v_and_b32_e32 v1, 62, v32
	v_lshrrev_b32_e32 v31, 5, v35
	v_add_lshl_u32 v43, v1, v46, 1
	v_and_b32_e32 v1, 62, v31
	v_lshrrev_b32_e32 v29, 5, v33
	v_add_lshl_u32 v48, v1, v46, 1
	;; [unrolled: 3-line block ×5, first 2 shown]
	v_and_b32_e32 v1, 0x7e, v23
	v_add_lshl_u32 v52, v1, v46, 1
	v_lshrrev_b32_e32 v1, 5, v22
	ds_write_b16 v43, v2 offset:1024
	v_and_b32_e32 v2, 0xfe, v1
	v_lshrrev_b32_e32 v24, 2, v46
	v_add_lshl_u32 v53, v2, v46, 1
	v_lshlrev_b32_e32 v63, 3, v46
	v_and_b32_e32 v2, 0xfe, v24
	s_waitcnt lgkmcnt(0)
	s_mul_i32 s16, s23, s16
	v_add_lshl_u32 v54, v2, v63, 1
	s_add_i32 s16, s16, s17
	s_mov_b32 s17, 0
	ds_write_b16 v48, v3 offset:2048
	ds_write_b16 v49, v4 offset:3072
	;; [unrolled: 1-line block ×6, first 2 shown]
	s_waitcnt lgkmcnt(0)
	s_barrier
	ds_read_b128 v[18:21], v54
	s_lshl_b64 s[20:21], s[16:17], 3
	s_add_u32 s49, s18, s20
	s_mov_b32 s16, s17
	s_addc_u32 s51, s19, s21
	s_mov_b32 s18, s17
	s_mov_b32 s19, s17
	;; [unrolled: 1-line block ×14, first 2 shown]
	v_pk_mov_b32 v[2:3], s[16:17], s[16:17] op_sel:[0,1]
	v_pk_mov_b32 v[4:5], s[18:19], s[18:19] op_sel:[0,1]
	;; [unrolled: 1-line block ×8, first 2 shown]
	v_pk_mov_b32 v[2:3], 0, 0
	v_mul_lo_u32 v44, v46, s52
	s_waitcnt lgkmcnt(0)
	s_barrier
	s_and_saveexec_b64 s[16:17], s[0:1]
	s_cbranch_execnz .LBB225_75
; %bb.21:
	s_or_b64 exec, exec, s[16:17]
	s_and_saveexec_b64 s[16:17], s[2:3]
	s_cbranch_execnz .LBB225_76
.LBB225_22:
	s_or_b64 exec, exec, s[16:17]
	s_and_saveexec_b64 s[16:17], s[4:5]
	s_cbranch_execnz .LBB225_77
.LBB225_23:
	s_or_b64 exec, exec, s[16:17]
	s_and_saveexec_b64 s[16:17], s[6:7]
	s_cbranch_execnz .LBB225_78
.LBB225_24:
	s_or_b64 exec, exec, s[16:17]
	s_and_saveexec_b64 s[16:17], s[8:9]
	s_cbranch_execnz .LBB225_79
.LBB225_25:
	s_or_b64 exec, exec, s[16:17]
	s_and_saveexec_b64 s[16:17], s[10:11]
	s_cbranch_execnz .LBB225_80
.LBB225_26:
	s_or_b64 exec, exec, s[16:17]
	s_and_saveexec_b64 s[16:17], s[12:13]
	s_cbranch_execnz .LBB225_81
.LBB225_27:
	s_or_b64 exec, exec, s[16:17]
	s_xor_b64 s[16:17], s[34:35], -1
	s_and_saveexec_b64 s[18:19], s[14:15]
	s_cbranch_execz .LBB225_29
.LBB225_28:
	v_mul_lo_u32 v16, v22, s52
	v_mov_b32_e32 v17, 0
	v_lshlrev_b64 v[16:17], 3, v[16:17]
	v_mov_b32_e32 v22, s51
	v_add_co_u32_e32 v16, vcc, s49, v16
	v_addc_co_u32_e32 v17, vcc, v22, v17, vcc
	global_load_dwordx2 v[16:17], v[16:17], off
.LBB225_29:
	s_or_b64 exec, exec, s[18:19]
	v_add_lshl_u32 v55, v34, v46, 3
	v_add_lshl_u32 v45, v32, v46, 3
	v_add_lshl_u32 v56, v31, v46, 3
	v_add_lshl_u32 v57, v29, v46, 3
	v_add_lshl_u32 v58, v27, v46, 3
	v_add_lshl_u32 v59, v25, v46, 3
	v_add_lshl_u32 v60, v23, v46, 3
	v_add_lshl_u32 v61, v1, v46, 3
	v_add_lshl_u32 v62, v24, v63, 3
	s_waitcnt vmcnt(0)
	ds_write_b64 v55, v[2:3]
	ds_write_b64 v45, v[4:5] offset:4096
	ds_write_b64 v56, v[6:7] offset:8192
	;; [unrolled: 1-line block ×7, first 2 shown]
	s_waitcnt lgkmcnt(0)
	s_barrier
	ds_read2_b64 v[14:17], v62 offset1:1
	ds_read2_b64 v[10:13], v62 offset0:2 offset1:3
	ds_read2_b64 v[6:9], v62 offset0:4 offset1:5
	;; [unrolled: 1-line block ×3, first 2 shown]
	s_and_b64 vcc, exec, s[16:17]
	v_bfe_u32 v65, v0, 10, 10
	v_bfe_u32 v66, v0, 20, 10
	v_mbcnt_lo_u32_b32 v67, -1, 0
	v_lshlrev_b32_e32 v64, 4, v46
	s_waitcnt lgkmcnt(0)
	s_barrier
	s_cbranch_vccz .LBB225_82
; %bb.30:
	s_movk_i32 s16, 0x8000
	v_pk_ashrrev_i16 v24, 15, v18 op_sel_hi:[0,1]
	v_or_b32_e32 v25, 0xffff8000, v24
	v_or_b32_sdwa v24, v24, s16 dst_sel:DWORD dst_unused:UNUSED_PAD src0_sel:WORD_1 src1_sel:DWORD
	v_pk_ashrrev_i16 v22, 15, v19 op_sel_hi:[0,1]
	v_xor_b32_sdwa v26, v24, v18 dst_sel:DWORD dst_unused:UNUSED_PAD src0_sel:DWORD src1_sel:WORD_1
	v_pk_ashrrev_i16 v24, 15, v21 op_sel_hi:[0,1]
	v_pk_ashrrev_i16 v28, 15, v20 op_sel_hi:[0,1]
	v_mbcnt_hi_u32_b32 v76, -1, v67
	v_and_b32_e32 v40, 0x3c0, v46
	v_or_b32_e32 v23, 0xffff8000, v22
	v_or_b32_sdwa v22, v22, s16 dst_sel:DWORD dst_unused:UNUSED_PAD src0_sel:WORD_1 src1_sel:DWORD
	v_xor_b32_e32 v27, v25, v18
	v_or_b32_e32 v25, 0xffff8000, v24
	v_or_b32_e32 v29, 0xffff8000, v28
	v_or_b32_sdwa v24, v24, s16 dst_sel:DWORD dst_unused:UNUSED_PAD src0_sel:WORD_1 src1_sel:DWORD
	v_or_b32_sdwa v28, v28, s16 dst_sel:DWORD dst_unused:UNUSED_PAD src0_sel:WORD_1 src1_sel:DWORD
	v_add_u32_e32 v0, v76, v40
	v_xor_b32_sdwa v22, v22, v19 dst_sel:DWORD dst_unused:UNUSED_PAD src0_sel:DWORD src1_sel:WORD_1
	v_xor_b32_e32 v23, v23, v19
	v_xor_b32_sdwa v28, v28, v20 dst_sel:DWORD dst_unused:UNUSED_PAD src0_sel:DWORD src1_sel:WORD_1
	v_xor_b32_sdwa v24, v24, v21 dst_sel:DWORD dst_unused:UNUSED_PAD src0_sel:DWORD src1_sel:WORD_1
	v_xor_b32_e32 v29, v29, v20
	v_xor_b32_e32 v25, v25, v21
	s_mov_b32 s16, 0x5040100
	v_lshlrev_b32_e32 v1, 4, v0
	v_perm_b32 v25, v24, v25, s16
	v_perm_b32 v24, v28, v29, s16
	;; [unrolled: 1-line block ×4, first 2 shown]
	v_and_b32_e32 v82, 0x1e00, v63
	ds_write_b128 v1, v[22:25]
	v_or_b32_e32 v1, v76, v82
	v_lshlrev_b32_e32 v22, 1, v1
	v_lshlrev_b32_e32 v0, 6, v0
	; wave barrier
	ds_read_u16 v79, v22
	ds_read_u16 v78, v22 offset:128
	ds_read_u16 v77, v22 offset:256
	;; [unrolled: 1-line block ×7, first 2 shown]
	s_waitcnt lgkmcnt(0)
	s_barrier
	ds_write2_b64 v0, v[14:15], v[16:17] offset1:1
	ds_write2_b64 v0, v[10:11], v[12:13] offset0:2 offset1:3
	ds_write2_b64 v0, v[6:7], v[8:9] offset0:4 offset1:5
	;; [unrolled: 1-line block ×3, first 2 shown]
	v_lshlrev_b32_e32 v0, 3, v1
	; wave barrier
	ds_read2st64_b64 v[34:37], v0 offset1:1
	ds_read2st64_b64 v[30:33], v0 offset0:2 offset1:3
	ds_read2st64_b64 v[26:29], v0 offset0:4 offset1:5
	;; [unrolled: 1-line block ×3, first 2 shown]
	s_waitcnt lgkmcnt(0)
	s_barrier
	s_load_dword s18, s[54:55], 0xc
	s_getpc_b64 s[16:17]
	s_add_u32 s16, s16, _ZN7rocprim17ROCPRIM_400000_NS16block_radix_sortI6__halfLj512ELj8ElLj1ELj1ELj0ELNS0_26block_radix_rank_algorithmE1ELNS0_18block_padding_hintE2ELNS0_4arch9wavefront6targetE1EE19radix_bits_per_passE@rel32@lo+4
	s_addc_u32 s17, s17, _ZN7rocprim17ROCPRIM_400000_NS16block_radix_sortI6__halfLj512ELj8ElLj1ELj1ELj0ELNS0_26block_radix_rank_algorithmE1ELNS0_18block_padding_hintE2ELNS0_4arch9wavefront6targetE1EE19radix_bits_per_passE@rel32@hi+12
	s_load_dword s44, s[16:17], 0x0
	s_movk_i32 s19, 0x7fff
	v_mov_b32_e32 v41, 0xffff8000
	s_waitcnt lgkmcnt(0)
	s_lshr_b32 s16, s18, 16
	s_and_b32 s17, s18, 0xffff
	v_mad_u32_u24 v1, v66, s16, v65
	v_mad_u64_u32 v[38:39], s[16:17], v1, s17, v[46:47]
	s_min_u32 s16, s44, 16
	s_lshl_b32 s16, -1, s16
	v_cmp_ne_u16_e32 vcc, s19, v79
	s_not_b32 s18, s16
	v_cndmask_b32_e32 v1, v41, v79, vcc
	v_lshrrev_b32_e32 v68, 6, v38
	v_and_b32_sdwa v38, s18, v1 dst_sel:DWORD dst_unused:UNUSED_PAD src0_sel:DWORD src1_sel:WORD_0
	v_lshlrev_b32_e32 v1, 3, v38
	v_add_lshl_u32 v83, v68, v1, 2
	v_and_b32_e32 v1, 1, v38
	v_add_co_u32_e32 v39, vcc, -1, v1
	v_addc_co_u32_e64 v69, s[16:17], 0, -1, vcc
	v_cmp_ne_u32_e32 vcc, 0, v1
	v_xor_b32_e32 v1, vcc_hi, v69
	v_mov_b32_e32 v0, 0
	v_and_b32_e32 v69, exec_hi, v1
	v_lshlrev_b32_e32 v1, 30, v38
	v_xor_b32_e32 v39, vcc_lo, v39
	v_cmp_gt_i64_e32 vcc, 0, v[0:1]
	v_not_b32_e32 v1, v1
	v_ashrrev_i32_e32 v1, 31, v1
	v_and_b32_e32 v39, exec_lo, v39
	v_xor_b32_e32 v70, vcc_hi, v1
	v_xor_b32_e32 v1, vcc_lo, v1
	v_and_b32_e32 v39, v39, v1
	v_lshlrev_b32_e32 v1, 29, v38
	v_cmp_gt_i64_e32 vcc, 0, v[0:1]
	v_not_b32_e32 v1, v1
	v_ashrrev_i32_e32 v1, 31, v1
	v_and_b32_e32 v69, v69, v70
	v_xor_b32_e32 v70, vcc_hi, v1
	v_xor_b32_e32 v1, vcc_lo, v1
	v_and_b32_e32 v39, v39, v1
	v_lshlrev_b32_e32 v1, 28, v38
	v_cmp_gt_i64_e32 vcc, 0, v[0:1]
	v_not_b32_e32 v1, v1
	v_ashrrev_i32_e32 v1, 31, v1
	v_and_b32_e32 v69, v69, v70
	;; [unrolled: 8-line block ×5, first 2 shown]
	v_xor_b32_e32 v70, vcc_hi, v1
	v_xor_b32_e32 v1, vcc_lo, v1
	v_and_b32_e32 v69, v69, v70
	v_and_b32_e32 v70, v39, v1
	v_lshlrev_b32_e32 v1, 24, v38
	v_cmp_gt_i64_e32 vcc, 0, v[0:1]
	v_not_b32_e32 v1, v1
	v_ashrrev_i32_e32 v1, 31, v1
	v_xor_b32_e32 v38, vcc_hi, v1
	v_xor_b32_e32 v1, vcc_lo, v1
	v_and_b32_e32 v39, v69, v38
	v_and_b32_e32 v38, v70, v1
	v_mbcnt_lo_u32_b32 v1, v38, 0
	v_mbcnt_hi_u32_b32 v84, v39, v1
	v_cmp_eq_u32_e32 vcc, 0, v84
	v_cmp_ne_u64_e64 s[16:17], 0, v[38:39]
	s_and_b64 s[20:21], s[16:17], vcc
	ds_write2_b32 v64, v0, v0 offset0:8 offset1:9
	ds_write2_b32 v64, v0, v0 offset0:10 offset1:11
	s_waitcnt lgkmcnt(0)
	s_barrier
	s_waitcnt lgkmcnt(0)
	; wave barrier
	s_and_saveexec_b64 s[16:17], s[20:21]
	s_cbranch_execz .LBB225_32
; %bb.31:
	v_bcnt_u32_b32 v1, v38, 0
	v_bcnt_u32_b32 v1, v39, v1
	ds_write_b32 v83, v1 offset:32
.LBB225_32:
	s_or_b64 exec, exec, s[16:17]
	v_cmp_ne_u16_e32 vcc, s19, v78
	v_cndmask_b32_e32 v1, v41, v78, vcc
	v_and_b32_sdwa v38, s18, v1 dst_sel:DWORD dst_unused:UNUSED_PAD src0_sel:DWORD src1_sel:WORD_0
	v_lshlrev_b32_e32 v1, 3, v38
	v_add_lshl_u32 v86, v68, v1, 2
	v_and_b32_e32 v1, 1, v38
	v_add_co_u32_e32 v39, vcc, -1, v1
	v_addc_co_u32_e64 v41, s[16:17], 0, -1, vcc
	v_cmp_ne_u32_e32 vcc, 0, v1
	v_xor_b32_e32 v1, vcc_hi, v41
	v_and_b32_e32 v41, exec_hi, v1
	v_lshlrev_b32_e32 v1, 30, v38
	v_xor_b32_e32 v39, vcc_lo, v39
	v_cmp_gt_i64_e32 vcc, 0, v[0:1]
	v_not_b32_e32 v1, v1
	v_ashrrev_i32_e32 v1, 31, v1
	v_and_b32_e32 v39, exec_lo, v39
	v_xor_b32_e32 v69, vcc_hi, v1
	v_xor_b32_e32 v1, vcc_lo, v1
	v_and_b32_e32 v39, v39, v1
	v_lshlrev_b32_e32 v1, 29, v38
	v_cmp_gt_i64_e32 vcc, 0, v[0:1]
	v_not_b32_e32 v1, v1
	v_ashrrev_i32_e32 v1, 31, v1
	v_and_b32_e32 v41, v41, v69
	v_xor_b32_e32 v69, vcc_hi, v1
	v_xor_b32_e32 v1, vcc_lo, v1
	v_and_b32_e32 v39, v39, v1
	v_lshlrev_b32_e32 v1, 28, v38
	v_cmp_gt_i64_e32 vcc, 0, v[0:1]
	v_not_b32_e32 v1, v1
	v_ashrrev_i32_e32 v1, 31, v1
	v_and_b32_e32 v41, v41, v69
	;; [unrolled: 8-line block ×5, first 2 shown]
	v_xor_b32_e32 v69, vcc_hi, v1
	v_xor_b32_e32 v1, vcc_lo, v1
	v_and_b32_e32 v39, v39, v1
	v_lshlrev_b32_e32 v1, 24, v38
	v_cmp_gt_i64_e32 vcc, 0, v[0:1]
	v_not_b32_e32 v0, v1
	v_ashrrev_i32_e32 v0, 31, v0
	v_xor_b32_e32 v1, vcc_hi, v0
	v_xor_b32_e32 v0, vcc_lo, v0
	; wave barrier
	ds_read_b32 v85, v86 offset:32
	v_and_b32_e32 v41, v41, v69
	v_and_b32_e32 v0, v39, v0
	;; [unrolled: 1-line block ×3, first 2 shown]
	v_mbcnt_lo_u32_b32 v38, v0, 0
	v_mbcnt_hi_u32_b32 v87, v1, v38
	v_cmp_eq_u32_e32 vcc, 0, v87
	v_cmp_ne_u64_e64 s[16:17], 0, v[0:1]
	s_and_b64 s[20:21], s[16:17], vcc
	; wave barrier
	s_and_saveexec_b64 s[16:17], s[20:21]
	s_cbranch_execz .LBB225_34
; %bb.33:
	v_bcnt_u32_b32 v0, v0, 0
	v_bcnt_u32_b32 v0, v1, v0
	s_waitcnt lgkmcnt(0)
	v_add_u32_e32 v0, v85, v0
	ds_write_b32 v86, v0 offset:32
.LBB225_34:
	s_or_b64 exec, exec, s[16:17]
	v_mov_b32_e32 v41, 0xffff8000
	v_cmp_ne_u16_e32 vcc, s19, v77
	v_cndmask_b32_e32 v0, v41, v77, vcc
	v_and_b32_sdwa v38, s18, v0 dst_sel:DWORD dst_unused:UNUSED_PAD src0_sel:DWORD src1_sel:WORD_0
	v_and_b32_e32 v1, 1, v38
	v_add_co_u32_e32 v39, vcc, -1, v1
	v_addc_co_u32_e64 v69, s[16:17], 0, -1, vcc
	v_cmp_ne_u32_e32 vcc, 0, v1
	v_lshlrev_b32_e32 v0, 3, v38
	v_xor_b32_e32 v1, vcc_hi, v69
	v_add_lshl_u32 v89, v68, v0, 2
	v_mov_b32_e32 v0, 0
	v_and_b32_e32 v69, exec_hi, v1
	v_lshlrev_b32_e32 v1, 30, v38
	v_xor_b32_e32 v39, vcc_lo, v39
	v_cmp_gt_i64_e32 vcc, 0, v[0:1]
	v_not_b32_e32 v1, v1
	v_ashrrev_i32_e32 v1, 31, v1
	v_and_b32_e32 v39, exec_lo, v39
	v_xor_b32_e32 v70, vcc_hi, v1
	v_xor_b32_e32 v1, vcc_lo, v1
	v_and_b32_e32 v39, v39, v1
	v_lshlrev_b32_e32 v1, 29, v38
	v_cmp_gt_i64_e32 vcc, 0, v[0:1]
	v_not_b32_e32 v1, v1
	v_ashrrev_i32_e32 v1, 31, v1
	v_and_b32_e32 v69, v69, v70
	v_xor_b32_e32 v70, vcc_hi, v1
	v_xor_b32_e32 v1, vcc_lo, v1
	v_and_b32_e32 v39, v39, v1
	v_lshlrev_b32_e32 v1, 28, v38
	v_cmp_gt_i64_e32 vcc, 0, v[0:1]
	v_not_b32_e32 v1, v1
	v_ashrrev_i32_e32 v1, 31, v1
	v_and_b32_e32 v69, v69, v70
	;; [unrolled: 8-line block ×5, first 2 shown]
	v_xor_b32_e32 v70, vcc_hi, v1
	v_xor_b32_e32 v1, vcc_lo, v1
	v_and_b32_e32 v69, v69, v70
	v_and_b32_e32 v70, v39, v1
	v_lshlrev_b32_e32 v1, 24, v38
	v_cmp_gt_i64_e32 vcc, 0, v[0:1]
	v_not_b32_e32 v1, v1
	v_ashrrev_i32_e32 v1, 31, v1
	v_xor_b32_e32 v38, vcc_hi, v1
	v_xor_b32_e32 v1, vcc_lo, v1
	; wave barrier
	ds_read_b32 v88, v89 offset:32
	v_and_b32_e32 v39, v69, v38
	v_and_b32_e32 v38, v70, v1
	v_mbcnt_lo_u32_b32 v1, v38, 0
	v_mbcnt_hi_u32_b32 v90, v39, v1
	v_cmp_eq_u32_e32 vcc, 0, v90
	v_cmp_ne_u64_e64 s[16:17], 0, v[38:39]
	s_and_b64 s[20:21], s[16:17], vcc
	; wave barrier
	s_and_saveexec_b64 s[16:17], s[20:21]
	s_cbranch_execz .LBB225_36
; %bb.35:
	v_bcnt_u32_b32 v1, v38, 0
	v_bcnt_u32_b32 v1, v39, v1
	s_waitcnt lgkmcnt(0)
	v_add_u32_e32 v1, v88, v1
	ds_write_b32 v89, v1 offset:32
.LBB225_36:
	s_or_b64 exec, exec, s[16:17]
	v_cmp_ne_u16_e32 vcc, s19, v75
	v_cndmask_b32_e32 v1, v41, v75, vcc
	v_and_b32_sdwa v38, s18, v1 dst_sel:DWORD dst_unused:UNUSED_PAD src0_sel:DWORD src1_sel:WORD_0
	v_lshlrev_b32_e32 v1, 3, v38
	v_add_lshl_u32 v92, v68, v1, 2
	v_and_b32_e32 v1, 1, v38
	v_add_co_u32_e32 v39, vcc, -1, v1
	v_addc_co_u32_e64 v41, s[16:17], 0, -1, vcc
	v_cmp_ne_u32_e32 vcc, 0, v1
	v_xor_b32_e32 v1, vcc_hi, v41
	v_and_b32_e32 v41, exec_hi, v1
	v_lshlrev_b32_e32 v1, 30, v38
	v_xor_b32_e32 v39, vcc_lo, v39
	v_cmp_gt_i64_e32 vcc, 0, v[0:1]
	v_not_b32_e32 v1, v1
	v_ashrrev_i32_e32 v1, 31, v1
	v_and_b32_e32 v39, exec_lo, v39
	v_xor_b32_e32 v69, vcc_hi, v1
	v_xor_b32_e32 v1, vcc_lo, v1
	v_and_b32_e32 v39, v39, v1
	v_lshlrev_b32_e32 v1, 29, v38
	v_cmp_gt_i64_e32 vcc, 0, v[0:1]
	v_not_b32_e32 v1, v1
	v_ashrrev_i32_e32 v1, 31, v1
	v_and_b32_e32 v41, v41, v69
	v_xor_b32_e32 v69, vcc_hi, v1
	v_xor_b32_e32 v1, vcc_lo, v1
	v_and_b32_e32 v39, v39, v1
	v_lshlrev_b32_e32 v1, 28, v38
	v_cmp_gt_i64_e32 vcc, 0, v[0:1]
	v_not_b32_e32 v1, v1
	v_ashrrev_i32_e32 v1, 31, v1
	v_and_b32_e32 v41, v41, v69
	v_xor_b32_e32 v69, vcc_hi, v1
	v_xor_b32_e32 v1, vcc_lo, v1
	v_and_b32_e32 v39, v39, v1
	v_lshlrev_b32_e32 v1, 27, v38
	v_cmp_gt_i64_e32 vcc, 0, v[0:1]
	v_not_b32_e32 v1, v1
	v_ashrrev_i32_e32 v1, 31, v1
	v_and_b32_e32 v41, v41, v69
	v_xor_b32_e32 v69, vcc_hi, v1
	v_xor_b32_e32 v1, vcc_lo, v1
	v_and_b32_e32 v39, v39, v1
	v_lshlrev_b32_e32 v1, 26, v38
	v_cmp_gt_i64_e32 vcc, 0, v[0:1]
	v_not_b32_e32 v1, v1
	v_ashrrev_i32_e32 v1, 31, v1
	v_and_b32_e32 v41, v41, v69
	v_xor_b32_e32 v69, vcc_hi, v1
	v_xor_b32_e32 v1, vcc_lo, v1
	v_and_b32_e32 v39, v39, v1
	v_lshlrev_b32_e32 v1, 25, v38
	v_cmp_gt_i64_e32 vcc, 0, v[0:1]
	v_not_b32_e32 v1, v1
	v_ashrrev_i32_e32 v1, 31, v1
	v_and_b32_e32 v41, v41, v69
	v_xor_b32_e32 v69, vcc_hi, v1
	v_xor_b32_e32 v1, vcc_lo, v1
	v_and_b32_e32 v39, v39, v1
	v_lshlrev_b32_e32 v1, 24, v38
	v_cmp_gt_i64_e32 vcc, 0, v[0:1]
	v_not_b32_e32 v0, v1
	v_ashrrev_i32_e32 v0, 31, v0
	v_xor_b32_e32 v1, vcc_hi, v0
	v_xor_b32_e32 v0, vcc_lo, v0
	; wave barrier
	ds_read_b32 v91, v92 offset:32
	v_and_b32_e32 v41, v41, v69
	v_and_b32_e32 v0, v39, v0
	;; [unrolled: 1-line block ×3, first 2 shown]
	v_mbcnt_lo_u32_b32 v38, v0, 0
	v_mbcnt_hi_u32_b32 v93, v1, v38
	v_cmp_eq_u32_e32 vcc, 0, v93
	v_cmp_ne_u64_e64 s[16:17], 0, v[0:1]
	s_and_b64 s[20:21], s[16:17], vcc
	; wave barrier
	s_and_saveexec_b64 s[16:17], s[20:21]
	s_cbranch_execz .LBB225_38
; %bb.37:
	v_bcnt_u32_b32 v0, v0, 0
	v_bcnt_u32_b32 v0, v1, v0
	s_waitcnt lgkmcnt(0)
	v_add_u32_e32 v0, v91, v0
	ds_write_b32 v92, v0 offset:32
.LBB225_38:
	s_or_b64 exec, exec, s[16:17]
	v_mov_b32_e32 v41, 0xffff8000
	v_cmp_ne_u16_e32 vcc, s19, v74
	v_cndmask_b32_e32 v0, v41, v74, vcc
	v_and_b32_sdwa v38, s18, v0 dst_sel:DWORD dst_unused:UNUSED_PAD src0_sel:DWORD src1_sel:WORD_0
	v_and_b32_e32 v1, 1, v38
	v_add_co_u32_e32 v39, vcc, -1, v1
	v_addc_co_u32_e64 v69, s[16:17], 0, -1, vcc
	v_cmp_ne_u32_e32 vcc, 0, v1
	v_lshlrev_b32_e32 v0, 3, v38
	v_xor_b32_e32 v1, vcc_hi, v69
	v_add_lshl_u32 v95, v68, v0, 2
	v_mov_b32_e32 v0, 0
	v_and_b32_e32 v69, exec_hi, v1
	v_lshlrev_b32_e32 v1, 30, v38
	v_xor_b32_e32 v39, vcc_lo, v39
	v_cmp_gt_i64_e32 vcc, 0, v[0:1]
	v_not_b32_e32 v1, v1
	v_ashrrev_i32_e32 v1, 31, v1
	v_and_b32_e32 v39, exec_lo, v39
	v_xor_b32_e32 v70, vcc_hi, v1
	v_xor_b32_e32 v1, vcc_lo, v1
	v_and_b32_e32 v39, v39, v1
	v_lshlrev_b32_e32 v1, 29, v38
	v_cmp_gt_i64_e32 vcc, 0, v[0:1]
	v_not_b32_e32 v1, v1
	v_ashrrev_i32_e32 v1, 31, v1
	v_and_b32_e32 v69, v69, v70
	v_xor_b32_e32 v70, vcc_hi, v1
	v_xor_b32_e32 v1, vcc_lo, v1
	v_and_b32_e32 v39, v39, v1
	v_lshlrev_b32_e32 v1, 28, v38
	v_cmp_gt_i64_e32 vcc, 0, v[0:1]
	v_not_b32_e32 v1, v1
	v_ashrrev_i32_e32 v1, 31, v1
	v_and_b32_e32 v69, v69, v70
	;; [unrolled: 8-line block ×5, first 2 shown]
	v_xor_b32_e32 v70, vcc_hi, v1
	v_xor_b32_e32 v1, vcc_lo, v1
	v_and_b32_e32 v69, v69, v70
	v_and_b32_e32 v70, v39, v1
	v_lshlrev_b32_e32 v1, 24, v38
	v_cmp_gt_i64_e32 vcc, 0, v[0:1]
	v_not_b32_e32 v1, v1
	v_ashrrev_i32_e32 v1, 31, v1
	v_xor_b32_e32 v38, vcc_hi, v1
	v_xor_b32_e32 v1, vcc_lo, v1
	; wave barrier
	ds_read_b32 v94, v95 offset:32
	v_and_b32_e32 v39, v69, v38
	v_and_b32_e32 v38, v70, v1
	v_mbcnt_lo_u32_b32 v1, v38, 0
	v_mbcnt_hi_u32_b32 v96, v39, v1
	v_cmp_eq_u32_e32 vcc, 0, v96
	v_cmp_ne_u64_e64 s[16:17], 0, v[38:39]
	s_and_b64 s[20:21], s[16:17], vcc
	; wave barrier
	s_and_saveexec_b64 s[16:17], s[20:21]
	s_cbranch_execz .LBB225_40
; %bb.39:
	v_bcnt_u32_b32 v1, v38, 0
	v_bcnt_u32_b32 v1, v39, v1
	s_waitcnt lgkmcnt(0)
	v_add_u32_e32 v1, v94, v1
	ds_write_b32 v95, v1 offset:32
.LBB225_40:
	s_or_b64 exec, exec, s[16:17]
	v_cmp_ne_u16_e32 vcc, s19, v73
	v_cndmask_b32_e32 v1, v41, v73, vcc
	v_and_b32_sdwa v38, s18, v1 dst_sel:DWORD dst_unused:UNUSED_PAD src0_sel:DWORD src1_sel:WORD_0
	v_lshlrev_b32_e32 v1, 3, v38
	v_add_lshl_u32 v98, v68, v1, 2
	v_and_b32_e32 v1, 1, v38
	v_add_co_u32_e32 v39, vcc, -1, v1
	v_addc_co_u32_e64 v41, s[16:17], 0, -1, vcc
	v_cmp_ne_u32_e32 vcc, 0, v1
	v_xor_b32_e32 v1, vcc_hi, v41
	v_and_b32_e32 v41, exec_hi, v1
	v_lshlrev_b32_e32 v1, 30, v38
	v_xor_b32_e32 v39, vcc_lo, v39
	v_cmp_gt_i64_e32 vcc, 0, v[0:1]
	v_not_b32_e32 v1, v1
	v_ashrrev_i32_e32 v1, 31, v1
	v_and_b32_e32 v39, exec_lo, v39
	v_xor_b32_e32 v69, vcc_hi, v1
	v_xor_b32_e32 v1, vcc_lo, v1
	v_and_b32_e32 v39, v39, v1
	v_lshlrev_b32_e32 v1, 29, v38
	v_cmp_gt_i64_e32 vcc, 0, v[0:1]
	v_not_b32_e32 v1, v1
	v_ashrrev_i32_e32 v1, 31, v1
	v_and_b32_e32 v41, v41, v69
	v_xor_b32_e32 v69, vcc_hi, v1
	v_xor_b32_e32 v1, vcc_lo, v1
	v_and_b32_e32 v39, v39, v1
	v_lshlrev_b32_e32 v1, 28, v38
	v_cmp_gt_i64_e32 vcc, 0, v[0:1]
	v_not_b32_e32 v1, v1
	v_ashrrev_i32_e32 v1, 31, v1
	v_and_b32_e32 v41, v41, v69
	;; [unrolled: 8-line block ×5, first 2 shown]
	v_xor_b32_e32 v69, vcc_hi, v1
	v_xor_b32_e32 v1, vcc_lo, v1
	v_and_b32_e32 v39, v39, v1
	v_lshlrev_b32_e32 v1, 24, v38
	v_cmp_gt_i64_e32 vcc, 0, v[0:1]
	v_not_b32_e32 v0, v1
	v_ashrrev_i32_e32 v0, 31, v0
	v_xor_b32_e32 v1, vcc_hi, v0
	v_xor_b32_e32 v0, vcc_lo, v0
	; wave barrier
	ds_read_b32 v97, v98 offset:32
	v_and_b32_e32 v41, v41, v69
	v_and_b32_e32 v0, v39, v0
	v_and_b32_e32 v1, v41, v1
	v_mbcnt_lo_u32_b32 v38, v0, 0
	v_mbcnt_hi_u32_b32 v99, v1, v38
	v_cmp_eq_u32_e32 vcc, 0, v99
	v_cmp_ne_u64_e64 s[16:17], 0, v[0:1]
	s_and_b64 s[20:21], s[16:17], vcc
	; wave barrier
	s_and_saveexec_b64 s[16:17], s[20:21]
	s_cbranch_execz .LBB225_42
; %bb.41:
	v_bcnt_u32_b32 v0, v0, 0
	v_bcnt_u32_b32 v0, v1, v0
	s_waitcnt lgkmcnt(0)
	v_add_u32_e32 v0, v97, v0
	ds_write_b32 v98, v0 offset:32
.LBB225_42:
	s_or_b64 exec, exec, s[16:17]
	v_mov_b32_e32 v41, 0xffff8000
	v_cmp_ne_u16_e32 vcc, s19, v72
	v_cndmask_b32_e32 v0, v41, v72, vcc
	v_and_b32_sdwa v38, s18, v0 dst_sel:DWORD dst_unused:UNUSED_PAD src0_sel:DWORD src1_sel:WORD_0
	v_and_b32_e32 v1, 1, v38
	v_add_co_u32_e32 v39, vcc, -1, v1
	v_addc_co_u32_e64 v69, s[16:17], 0, -1, vcc
	v_cmp_ne_u32_e32 vcc, 0, v1
	v_lshlrev_b32_e32 v0, 3, v38
	v_xor_b32_e32 v1, vcc_hi, v69
	v_add_lshl_u32 v101, v68, v0, 2
	v_mov_b32_e32 v0, 0
	v_and_b32_e32 v69, exec_hi, v1
	v_lshlrev_b32_e32 v1, 30, v38
	v_xor_b32_e32 v39, vcc_lo, v39
	v_cmp_gt_i64_e32 vcc, 0, v[0:1]
	v_not_b32_e32 v1, v1
	v_ashrrev_i32_e32 v1, 31, v1
	v_and_b32_e32 v39, exec_lo, v39
	v_xor_b32_e32 v70, vcc_hi, v1
	v_xor_b32_e32 v1, vcc_lo, v1
	v_and_b32_e32 v39, v39, v1
	v_lshlrev_b32_e32 v1, 29, v38
	v_cmp_gt_i64_e32 vcc, 0, v[0:1]
	v_not_b32_e32 v1, v1
	v_ashrrev_i32_e32 v1, 31, v1
	v_and_b32_e32 v69, v69, v70
	v_xor_b32_e32 v70, vcc_hi, v1
	v_xor_b32_e32 v1, vcc_lo, v1
	v_and_b32_e32 v39, v39, v1
	v_lshlrev_b32_e32 v1, 28, v38
	v_cmp_gt_i64_e32 vcc, 0, v[0:1]
	v_not_b32_e32 v1, v1
	v_ashrrev_i32_e32 v1, 31, v1
	v_and_b32_e32 v69, v69, v70
	;; [unrolled: 8-line block ×5, first 2 shown]
	v_xor_b32_e32 v70, vcc_hi, v1
	v_xor_b32_e32 v1, vcc_lo, v1
	v_and_b32_e32 v69, v69, v70
	v_and_b32_e32 v70, v39, v1
	v_lshlrev_b32_e32 v1, 24, v38
	v_cmp_gt_i64_e32 vcc, 0, v[0:1]
	v_not_b32_e32 v1, v1
	v_ashrrev_i32_e32 v1, 31, v1
	v_xor_b32_e32 v38, vcc_hi, v1
	v_xor_b32_e32 v1, vcc_lo, v1
	; wave barrier
	ds_read_b32 v100, v101 offset:32
	v_and_b32_e32 v39, v69, v38
	v_and_b32_e32 v38, v70, v1
	v_mbcnt_lo_u32_b32 v1, v38, 0
	v_mbcnt_hi_u32_b32 v102, v39, v1
	v_cmp_eq_u32_e32 vcc, 0, v102
	v_cmp_ne_u64_e64 s[16:17], 0, v[38:39]
	s_and_b64 s[20:21], s[16:17], vcc
	; wave barrier
	s_and_saveexec_b64 s[16:17], s[20:21]
	s_cbranch_execz .LBB225_44
; %bb.43:
	v_bcnt_u32_b32 v1, v38, 0
	v_bcnt_u32_b32 v1, v39, v1
	s_waitcnt lgkmcnt(0)
	v_add_u32_e32 v1, v100, v1
	ds_write_b32 v101, v1 offset:32
.LBB225_44:
	s_or_b64 exec, exec, s[16:17]
	v_cmp_ne_u16_e32 vcc, s19, v71
	v_cndmask_b32_e32 v1, v41, v71, vcc
	v_and_b32_sdwa v38, s18, v1 dst_sel:DWORD dst_unused:UNUSED_PAD src0_sel:DWORD src1_sel:WORD_0
	v_lshlrev_b32_e32 v1, 3, v38
	v_add_lshl_u32 v104, v68, v1, 2
	v_and_b32_e32 v1, 1, v38
	v_add_co_u32_e32 v39, vcc, -1, v1
	v_min_u32_e32 v80, 0x1c0, v40
	v_addc_co_u32_e64 v40, s[16:17], 0, -1, vcc
	v_cmp_ne_u32_e32 vcc, 0, v1
	v_xor_b32_e32 v1, vcc_hi, v40
	v_and_b32_e32 v40, exec_hi, v1
	v_lshlrev_b32_e32 v1, 30, v38
	v_xor_b32_e32 v39, vcc_lo, v39
	v_cmp_gt_i64_e32 vcc, 0, v[0:1]
	v_not_b32_e32 v1, v1
	v_ashrrev_i32_e32 v1, 31, v1
	v_and_b32_e32 v39, exec_lo, v39
	v_xor_b32_e32 v41, vcc_hi, v1
	v_xor_b32_e32 v1, vcc_lo, v1
	v_and_b32_e32 v39, v39, v1
	v_lshlrev_b32_e32 v1, 29, v38
	v_cmp_gt_i64_e32 vcc, 0, v[0:1]
	v_not_b32_e32 v1, v1
	v_ashrrev_i32_e32 v1, 31, v1
	v_and_b32_e32 v40, v40, v41
	v_xor_b32_e32 v41, vcc_hi, v1
	v_xor_b32_e32 v1, vcc_lo, v1
	v_and_b32_e32 v39, v39, v1
	v_lshlrev_b32_e32 v1, 28, v38
	v_cmp_gt_i64_e32 vcc, 0, v[0:1]
	v_not_b32_e32 v1, v1
	v_ashrrev_i32_e32 v1, 31, v1
	v_and_b32_e32 v40, v40, v41
	;; [unrolled: 8-line block ×5, first 2 shown]
	v_xor_b32_e32 v41, vcc_hi, v1
	v_xor_b32_e32 v1, vcc_lo, v1
	v_and_b32_e32 v39, v39, v1
	v_lshlrev_b32_e32 v1, 24, v38
	v_cmp_gt_i64_e32 vcc, 0, v[0:1]
	v_not_b32_e32 v0, v1
	v_ashrrev_i32_e32 v0, 31, v0
	v_xor_b32_e32 v1, vcc_hi, v0
	v_xor_b32_e32 v0, vcc_lo, v0
	; wave barrier
	ds_read_b32 v103, v104 offset:32
	v_and_b32_e32 v40, v40, v41
	v_and_b32_e32 v0, v39, v0
	v_and_b32_e32 v1, v40, v1
	v_mbcnt_lo_u32_b32 v38, v0, 0
	v_mbcnt_hi_u32_b32 v105, v1, v38
	v_cmp_eq_u32_e32 vcc, 0, v105
	v_cmp_ne_u64_e64 s[16:17], 0, v[0:1]
	v_add_u32_e32 v69, 32, v64
	v_lshrrev_b32_e32 v70, 6, v46
	s_and_b64 s[18:19], s[16:17], vcc
	; wave barrier
	s_and_saveexec_b64 s[16:17], s[18:19]
	s_cbranch_execz .LBB225_46
; %bb.45:
	v_bcnt_u32_b32 v0, v0, 0
	v_bcnt_u32_b32 v0, v1, v0
	s_waitcnt lgkmcnt(0)
	v_add_u32_e32 v0, v103, v0
	ds_write_b32 v104, v0 offset:32
.LBB225_46:
	s_or_b64 exec, exec, s[16:17]
	; wave barrier
	s_waitcnt lgkmcnt(0)
	s_barrier
	ds_read2_b32 v[38:39], v64 offset0:8 offset1:9
	ds_read2_b32 v[40:41], v69 offset0:2 offset1:3
	v_and_b32_e32 v1, 16, v76
	v_cmp_eq_u32_e32 vcc, 0, v1
	v_or_b32_e32 v1, 63, v80
	v_cmp_eq_u32_e64 s[16:17], v1, v46
	s_waitcnt lgkmcnt(1)
	v_add_u32_e32 v1, v39, v38
	v_and_b32_e32 v0, 15, v76
	s_waitcnt lgkmcnt(0)
	v_add3_u32 v1, v1, v40, v41
	v_cmp_eq_u32_e64 s[24:25], 0, v0
	v_cmp_lt_u32_e64 s[26:27], 1, v0
	v_mov_b32_dpp v41, v1 row_shr:1 row_mask:0xf bank_mask:0xf
	v_cndmask_b32_e64 v41, v41, 0, s[24:25]
	v_add_u32_e32 v1, v41, v1
	v_cmp_lt_u32_e64 s[30:31], 3, v0
	v_cmp_lt_u32_e64 s[34:35], 7, v0
	v_mov_b32_dpp v41, v1 row_shr:2 row_mask:0xf bank_mask:0xf
	v_cndmask_b32_e64 v41, 0, v41, s[26:27]
	v_add_u32_e32 v1, v1, v41
	v_bfe_i32 v81, v76, 4, 1
	v_cmp_lt_u32_e64 s[36:37], 31, v76
	v_mov_b32_dpp v41, v1 row_shr:4 row_mask:0xf bank_mask:0xf
	v_cndmask_b32_e64 v41, 0, v41, s[30:31]
	v_add_u32_e32 v1, v1, v41
	v_lshlrev_b32_e32 v70, 2, v70
	s_nop 0
	v_mov_b32_dpp v41, v1 row_shr:8 row_mask:0xf bank_mask:0xf
	v_cndmask_b32_e64 v0, 0, v41, s[34:35]
	v_add_u32_e32 v0, v1, v0
	s_nop 1
	v_mov_b32_dpp v1, v0 row_bcast:15 row_mask:0xf bank_mask:0xf
	v_and_b32_e32 v1, v81, v1
	v_add_u32_e32 v0, v0, v1
	s_nop 1
	v_mov_b32_dpp v1, v0 row_bcast:31 row_mask:0xf bank_mask:0xf
	v_cndmask_b32_e64 v1, 0, v1, s[36:37]
	v_add_u32_e32 v1, v0, v1
	s_and_saveexec_b64 s[18:19], s[16:17]
	s_cbranch_execz .LBB225_48
; %bb.47:
	ds_write_b32 v70, v1
.LBB225_48:
	s_or_b64 exec, exec, s[18:19]
	v_and_b32_e32 v0, 7, v76
	v_cmp_gt_u32_e64 s[28:29], 8, v46
	v_lshlrev_b32_e32 v41, 2, v46
	v_cmp_eq_u32_e64 s[22:23], 0, v0
	v_cmp_lt_u32_e64 s[20:21], 1, v0
	v_cmp_lt_u32_e64 s[18:19], 3, v0
	s_waitcnt lgkmcnt(0)
	s_barrier
	s_and_saveexec_b64 s[38:39], s[28:29]
	s_cbranch_execz .LBB225_50
; %bb.49:
	ds_read_b32 v0, v41
	s_waitcnt lgkmcnt(0)
	s_nop 0
	v_mov_b32_dpp v80, v0 row_shr:1 row_mask:0xf bank_mask:0xf
	v_cndmask_b32_e64 v80, v80, 0, s[22:23]
	v_add_u32_e32 v0, v80, v0
	s_nop 1
	v_mov_b32_dpp v80, v0 row_shr:2 row_mask:0xf bank_mask:0xf
	v_cndmask_b32_e64 v80, 0, v80, s[20:21]
	v_add_u32_e32 v0, v0, v80
	;; [unrolled: 4-line block ×3, first 2 shown]
	ds_write_b32 v41, v0
.LBB225_50:
	s_or_b64 exec, exec, s[38:39]
	v_cmp_lt_u32_e64 s[38:39], 63, v46
	v_add_u32_e32 v80, -4, v70
	v_mov_b32_e32 v0, 0
	v_mov_b32_e32 v106, 0
	s_waitcnt lgkmcnt(0)
	s_barrier
	s_and_saveexec_b64 s[40:41], s[38:39]
	s_cbranch_execz .LBB225_52
; %bb.51:
	ds_read_b32 v106, v80
.LBB225_52:
	s_or_b64 exec, exec, s[40:41]
	v_add_u32_e32 v81, -1, v76
	v_and_b32_e32 v107, 64, v76
	v_cmp_lt_i32_e64 s[40:41], v81, v107
	v_cndmask_b32_e64 v81, v81, v76, s[40:41]
	v_lshlrev_b32_e32 v81, 2, v81
	s_waitcnt lgkmcnt(0)
	v_add_u32_e32 v1, v106, v1
	ds_bpermute_b32 v1, v81, v1
	v_cmp_eq_u32_e64 s[40:41], 0, v76
	v_cmp_eq_u32_e64 s[42:43], 0, v46
	v_and_or_b32 v82, v76, 63, v82
	v_lshlrev_b32_e32 v107, 1, v82
	s_waitcnt lgkmcnt(0)
	v_cndmask_b32_e64 v1, v1, v106, s[40:41]
	v_cndmask_b32_e64 v1, v1, 0, s[42:43]
	v_add_u32_e32 v38, v1, v38
	v_add_u32_e32 v39, v38, v39
	;; [unrolled: 1-line block ×3, first 2 shown]
	ds_write2_b32 v64, v1, v38 offset0:8 offset1:9
	ds_write2_b32 v69, v39, v40 offset0:2 offset1:3
	s_waitcnt lgkmcnt(0)
	s_barrier
	ds_read_b32 v1, v83 offset:32
	ds_read_b32 v38, v86 offset:32
	;; [unrolled: 1-line block ×8, first 2 shown]
	s_waitcnt lgkmcnt(7)
	v_add_u32_e32 v1, v1, v84
	s_waitcnt lgkmcnt(6)
	v_add3_u32 v38, v87, v85, v38
	s_waitcnt lgkmcnt(4)
	v_add3_u32 v84, v93, v91, v40
	v_lshlrev_b32_e32 v40, 1, v1
	v_add3_u32 v39, v90, v88, v39
	s_waitcnt lgkmcnt(0)
	s_barrier
	ds_write_b16 v40, v79
	v_lshlrev_b32_e32 v40, 1, v38
	ds_write_b16 v40, v78
	v_lshlrev_b32_e32 v40, 1, v39
	v_add3_u32 v85, v96, v94, v76
	ds_write_b16 v40, v77
	v_lshlrev_b32_e32 v40, 1, v84
	v_add3_u32 v83, v99, v97, v83
	ds_write_b16 v40, v75
	v_lshlrev_b32_e32 v40, 1, v85
	v_add3_u32 v86, v102, v100, v86
	ds_write_b16 v40, v74
	v_lshlrev_b32_e32 v40, 1, v83
	v_add3_u32 v87, v105, v103, v89
	ds_write_b16 v40, v73
	v_lshlrev_b32_e32 v40, 1, v86
	ds_write_b16 v40, v72
	v_lshlrev_b32_e32 v40, 1, v87
	v_lshlrev_b32_e32 v1, 3, v1
	ds_write_b16 v40, v71
	s_waitcnt lgkmcnt(0)
	s_barrier
	ds_read_u16 v77, v107
	ds_read_u16 v76, v107 offset:128
	ds_read_u16 v75, v107 offset:256
	;; [unrolled: 1-line block ×7, first 2 shown]
	s_waitcnt lgkmcnt(0)
	s_barrier
	ds_write_b64 v1, v[34:35]
	v_lshlrev_b32_e32 v1, 3, v38
	ds_write_b64 v1, v[36:37]
	v_lshlrev_b32_e32 v1, 3, v39
	;; [unrolled: 2-line block ×6, first 2 shown]
	s_min_u32 s44, s44, 8
	ds_write_b64 v1, v[22:23]
	v_lshlrev_b32_e32 v1, 3, v87
	s_lshl_b32 s44, -1, s44
	s_movk_i32 s56, 0x7fff
	ds_write_b64 v1, v[24:25]
	s_not_b32 s53, s44
	v_lshrrev_b16_e32 v1, 8, v77
	v_mov_b32_e32 v38, 0x80
	v_cmp_ne_u16_e64 s[44:45], s56, v77
	v_cndmask_b32_e64 v1, v38, v1, s[44:45]
	v_and_b32_sdwa v39, v1, s53 dst_sel:DWORD dst_unused:UNUSED_PAD src0_sel:WORD_0 src1_sel:DWORD
	v_lshlrev_b32_e32 v1, 3, v39
	v_add_lshl_u32 v78, v1, v68, 2
	v_and_b32_e32 v1, 1, v39
	v_lshlrev_b32_e32 v82, 3, v82
	v_add_co_u32_e64 v79, s[44:45], -1, v1
	s_waitcnt lgkmcnt(0)
	s_barrier
	ds_read2st64_b64 v[34:37], v82 offset1:1
	ds_read2st64_b64 v[30:33], v82 offset0:2 offset1:3
	ds_read2st64_b64 v[26:29], v82 offset0:4 offset1:5
	;; [unrolled: 1-line block ×3, first 2 shown]
	v_addc_co_u32_e64 v82, s[44:45], 0, -1, s[44:45]
	v_cmp_ne_u32_e64 s[44:45], 0, v1
	v_xor_b32_e32 v1, s45, v82
	v_and_b32_e32 v82, exec_hi, v1
	v_lshlrev_b32_e32 v1, 30, v39
	v_xor_b32_e32 v79, s44, v79
	v_cmp_gt_i64_e64 s[44:45], 0, v[0:1]
	v_not_b32_e32 v1, v1
	v_ashrrev_i32_e32 v1, 31, v1
	v_and_b32_e32 v79, exec_lo, v79
	v_xor_b32_e32 v83, s45, v1
	v_xor_b32_e32 v1, s44, v1
	v_and_b32_e32 v79, v79, v1
	v_lshlrev_b32_e32 v1, 29, v39
	v_cmp_gt_i64_e64 s[44:45], 0, v[0:1]
	v_not_b32_e32 v1, v1
	v_ashrrev_i32_e32 v1, 31, v1
	v_and_b32_e32 v82, v82, v83
	v_xor_b32_e32 v83, s45, v1
	v_xor_b32_e32 v1, s44, v1
	v_and_b32_e32 v79, v79, v1
	v_lshlrev_b32_e32 v1, 28, v39
	v_cmp_gt_i64_e64 s[44:45], 0, v[0:1]
	v_not_b32_e32 v1, v1
	v_ashrrev_i32_e32 v1, 31, v1
	v_and_b32_e32 v82, v82, v83
	;; [unrolled: 8-line block ×5, first 2 shown]
	v_xor_b32_e32 v83, s45, v1
	v_xor_b32_e32 v1, s44, v1
	v_and_b32_e32 v79, v79, v1
	v_lshlrev_b32_e32 v1, 24, v39
	s_waitcnt lgkmcnt(0)
	s_barrier
	ds_write2_b32 v64, v0, v0 offset0:8 offset1:9
	ds_write2_b32 v69, v0, v0 offset0:2 offset1:3
	v_cmp_gt_i64_e64 s[44:45], 0, v[0:1]
	v_not_b32_e32 v0, v1
	v_ashrrev_i32_e32 v0, 31, v0
	v_xor_b32_e32 v1, s45, v0
	v_xor_b32_e32 v0, s44, v0
	v_and_b32_e32 v82, v82, v83
	v_and_b32_e32 v0, v79, v0
	;; [unrolled: 1-line block ×3, first 2 shown]
	v_mbcnt_lo_u32_b32 v39, v0, 0
	v_mbcnt_hi_u32_b32 v79, v1, v39
	v_cmp_eq_u32_e64 s[44:45], 0, v79
	v_cmp_ne_u64_e64 s[46:47], 0, v[0:1]
	s_and_b64 s[46:47], s[46:47], s[44:45]
	s_waitcnt lgkmcnt(0)
	s_barrier
	s_waitcnt lgkmcnt(0)
	; wave barrier
	s_and_saveexec_b64 s[44:45], s[46:47]
	s_cbranch_execz .LBB225_54
; %bb.53:
	v_bcnt_u32_b32 v0, v0, 0
	v_bcnt_u32_b32 v0, v1, v0
	ds_write_b32 v78, v0 offset:32
.LBB225_54:
	s_or_b64 exec, exec, s[44:45]
	v_lshrrev_b16_e32 v0, 8, v76
	v_cmp_ne_u16_e64 s[44:45], s56, v76
	v_cndmask_b32_e64 v0, v38, v0, s[44:45]
	v_and_b32_e32 v38, s53, v0
	v_and_b32_e32 v1, 1, v38
	v_add_co_u32_e64 v39, s[44:45], -1, v1
	v_addc_co_u32_e64 v84, s[44:45], 0, -1, s[44:45]
	v_cmp_ne_u32_e64 s[44:45], 0, v1
	v_lshlrev_b32_e32 v0, 3, v38
	v_xor_b32_e32 v1, s45, v84
	v_add_lshl_u32 v83, v0, v68, 2
	v_mov_b32_e32 v0, 0
	v_and_b32_e32 v84, exec_hi, v1
	v_lshlrev_b32_e32 v1, 30, v38
	v_xor_b32_e32 v39, s44, v39
	v_cmp_gt_i64_e64 s[44:45], 0, v[0:1]
	v_not_b32_e32 v1, v1
	v_ashrrev_i32_e32 v1, 31, v1
	v_and_b32_e32 v39, exec_lo, v39
	v_xor_b32_e32 v85, s45, v1
	v_xor_b32_e32 v1, s44, v1
	v_and_b32_e32 v39, v39, v1
	v_lshlrev_b32_e32 v1, 29, v38
	v_cmp_gt_i64_e64 s[44:45], 0, v[0:1]
	v_not_b32_e32 v1, v1
	v_ashrrev_i32_e32 v1, 31, v1
	v_and_b32_e32 v84, v84, v85
	v_xor_b32_e32 v85, s45, v1
	v_xor_b32_e32 v1, s44, v1
	v_and_b32_e32 v39, v39, v1
	v_lshlrev_b32_e32 v1, 28, v38
	v_cmp_gt_i64_e64 s[44:45], 0, v[0:1]
	v_not_b32_e32 v1, v1
	v_ashrrev_i32_e32 v1, 31, v1
	v_and_b32_e32 v84, v84, v85
	;; [unrolled: 8-line block ×5, first 2 shown]
	v_xor_b32_e32 v85, s45, v1
	v_xor_b32_e32 v1, s44, v1
	v_and_b32_e32 v84, v84, v85
	v_and_b32_e32 v85, v39, v1
	v_lshlrev_b32_e32 v1, 24, v38
	v_cmp_gt_i64_e64 s[44:45], 0, v[0:1]
	v_not_b32_e32 v1, v1
	v_ashrrev_i32_e32 v1, 31, v1
	v_xor_b32_e32 v38, s45, v1
	v_xor_b32_e32 v1, s44, v1
	; wave barrier
	ds_read_b32 v82, v83 offset:32
	v_and_b32_e32 v39, v84, v38
	v_and_b32_e32 v38, v85, v1
	v_mbcnt_lo_u32_b32 v1, v38, 0
	v_mbcnt_hi_u32_b32 v84, v39, v1
	v_cmp_eq_u32_e64 s[44:45], 0, v84
	v_cmp_ne_u64_e64 s[46:47], 0, v[38:39]
	s_and_b64 s[46:47], s[46:47], s[44:45]
	; wave barrier
	s_and_saveexec_b64 s[44:45], s[46:47]
	s_cbranch_execz .LBB225_56
; %bb.55:
	v_bcnt_u32_b32 v1, v38, 0
	v_bcnt_u32_b32 v1, v39, v1
	s_waitcnt lgkmcnt(0)
	v_add_u32_e32 v1, v82, v1
	ds_write_b32 v83, v1 offset:32
.LBB225_56:
	s_or_b64 exec, exec, s[44:45]
	v_lshrrev_b16_e32 v1, 8, v75
	v_mov_b32_e32 v38, 0x80
	v_cmp_ne_u16_e64 s[44:45], s56, v75
	v_cndmask_b32_e64 v1, v38, v1, s[44:45]
	v_and_b32_e32 v39, s53, v1
	v_lshlrev_b32_e32 v1, 3, v39
	v_add_lshl_u32 v86, v1, v68, 2
	v_and_b32_e32 v1, 1, v39
	v_add_co_u32_e64 v87, s[44:45], -1, v1
	v_addc_co_u32_e64 v88, s[44:45], 0, -1, s[44:45]
	v_cmp_ne_u32_e64 s[44:45], 0, v1
	v_xor_b32_e32 v1, s45, v88
	v_and_b32_e32 v88, exec_hi, v1
	v_lshlrev_b32_e32 v1, 30, v39
	v_xor_b32_e32 v87, s44, v87
	v_cmp_gt_i64_e64 s[44:45], 0, v[0:1]
	v_not_b32_e32 v1, v1
	v_ashrrev_i32_e32 v1, 31, v1
	v_and_b32_e32 v87, exec_lo, v87
	v_xor_b32_e32 v89, s45, v1
	v_xor_b32_e32 v1, s44, v1
	v_and_b32_e32 v87, v87, v1
	v_lshlrev_b32_e32 v1, 29, v39
	v_cmp_gt_i64_e64 s[44:45], 0, v[0:1]
	v_not_b32_e32 v1, v1
	v_ashrrev_i32_e32 v1, 31, v1
	v_and_b32_e32 v88, v88, v89
	v_xor_b32_e32 v89, s45, v1
	v_xor_b32_e32 v1, s44, v1
	v_and_b32_e32 v87, v87, v1
	v_lshlrev_b32_e32 v1, 28, v39
	v_cmp_gt_i64_e64 s[44:45], 0, v[0:1]
	v_not_b32_e32 v1, v1
	v_ashrrev_i32_e32 v1, 31, v1
	v_and_b32_e32 v88, v88, v89
	;; [unrolled: 8-line block ×5, first 2 shown]
	v_xor_b32_e32 v89, s45, v1
	v_xor_b32_e32 v1, s44, v1
	v_and_b32_e32 v87, v87, v1
	v_lshlrev_b32_e32 v1, 24, v39
	v_cmp_gt_i64_e64 s[44:45], 0, v[0:1]
	v_not_b32_e32 v0, v1
	v_ashrrev_i32_e32 v0, 31, v0
	v_xor_b32_e32 v1, s45, v0
	v_xor_b32_e32 v0, s44, v0
	; wave barrier
	ds_read_b32 v85, v86 offset:32
	v_and_b32_e32 v88, v88, v89
	v_and_b32_e32 v0, v87, v0
	;; [unrolled: 1-line block ×3, first 2 shown]
	v_mbcnt_lo_u32_b32 v39, v0, 0
	v_mbcnt_hi_u32_b32 v87, v1, v39
	v_cmp_eq_u32_e64 s[44:45], 0, v87
	v_cmp_ne_u64_e64 s[46:47], 0, v[0:1]
	s_and_b64 s[46:47], s[46:47], s[44:45]
	; wave barrier
	s_and_saveexec_b64 s[44:45], s[46:47]
	s_cbranch_execz .LBB225_58
; %bb.57:
	v_bcnt_u32_b32 v0, v0, 0
	v_bcnt_u32_b32 v0, v1, v0
	s_waitcnt lgkmcnt(0)
	v_add_u32_e32 v0, v85, v0
	ds_write_b32 v86, v0 offset:32
.LBB225_58:
	s_or_b64 exec, exec, s[44:45]
	v_lshrrev_b16_e32 v0, 8, v74
	v_cmp_ne_u16_e64 s[44:45], s56, v74
	v_cndmask_b32_e64 v0, v38, v0, s[44:45]
	v_and_b32_e32 v38, s53, v0
	v_and_b32_e32 v1, 1, v38
	v_add_co_u32_e64 v39, s[44:45], -1, v1
	v_addc_co_u32_e64 v90, s[44:45], 0, -1, s[44:45]
	v_cmp_ne_u32_e64 s[44:45], 0, v1
	v_lshlrev_b32_e32 v0, 3, v38
	v_xor_b32_e32 v1, s45, v90
	v_add_lshl_u32 v89, v0, v68, 2
	v_mov_b32_e32 v0, 0
	v_and_b32_e32 v90, exec_hi, v1
	v_lshlrev_b32_e32 v1, 30, v38
	v_xor_b32_e32 v39, s44, v39
	v_cmp_gt_i64_e64 s[44:45], 0, v[0:1]
	v_not_b32_e32 v1, v1
	v_ashrrev_i32_e32 v1, 31, v1
	v_and_b32_e32 v39, exec_lo, v39
	v_xor_b32_e32 v91, s45, v1
	v_xor_b32_e32 v1, s44, v1
	v_and_b32_e32 v39, v39, v1
	v_lshlrev_b32_e32 v1, 29, v38
	v_cmp_gt_i64_e64 s[44:45], 0, v[0:1]
	v_not_b32_e32 v1, v1
	v_ashrrev_i32_e32 v1, 31, v1
	v_and_b32_e32 v90, v90, v91
	v_xor_b32_e32 v91, s45, v1
	v_xor_b32_e32 v1, s44, v1
	v_and_b32_e32 v39, v39, v1
	v_lshlrev_b32_e32 v1, 28, v38
	v_cmp_gt_i64_e64 s[44:45], 0, v[0:1]
	v_not_b32_e32 v1, v1
	v_ashrrev_i32_e32 v1, 31, v1
	v_and_b32_e32 v90, v90, v91
	;; [unrolled: 8-line block ×5, first 2 shown]
	v_xor_b32_e32 v91, s45, v1
	v_xor_b32_e32 v1, s44, v1
	v_and_b32_e32 v90, v90, v91
	v_and_b32_e32 v91, v39, v1
	v_lshlrev_b32_e32 v1, 24, v38
	v_cmp_gt_i64_e64 s[44:45], 0, v[0:1]
	v_not_b32_e32 v1, v1
	v_ashrrev_i32_e32 v1, 31, v1
	v_xor_b32_e32 v38, s45, v1
	v_xor_b32_e32 v1, s44, v1
	; wave barrier
	ds_read_b32 v88, v89 offset:32
	v_and_b32_e32 v39, v90, v38
	v_and_b32_e32 v38, v91, v1
	v_mbcnt_lo_u32_b32 v1, v38, 0
	v_mbcnt_hi_u32_b32 v90, v39, v1
	v_cmp_eq_u32_e64 s[44:45], 0, v90
	v_cmp_ne_u64_e64 s[46:47], 0, v[38:39]
	s_and_b64 s[46:47], s[46:47], s[44:45]
	; wave barrier
	s_and_saveexec_b64 s[44:45], s[46:47]
	s_cbranch_execz .LBB225_60
; %bb.59:
	v_bcnt_u32_b32 v1, v38, 0
	v_bcnt_u32_b32 v1, v39, v1
	s_waitcnt lgkmcnt(0)
	v_add_u32_e32 v1, v88, v1
	ds_write_b32 v89, v1 offset:32
.LBB225_60:
	s_or_b64 exec, exec, s[44:45]
	v_lshrrev_b16_e32 v1, 8, v73
	v_mov_b32_e32 v38, 0x80
	v_cmp_ne_u16_e64 s[44:45], s56, v73
	v_cndmask_b32_e64 v1, v38, v1, s[44:45]
	v_and_b32_e32 v39, s53, v1
	v_lshlrev_b32_e32 v1, 3, v39
	v_add_lshl_u32 v92, v1, v68, 2
	v_and_b32_e32 v1, 1, v39
	v_add_co_u32_e64 v93, s[44:45], -1, v1
	v_addc_co_u32_e64 v94, s[44:45], 0, -1, s[44:45]
	v_cmp_ne_u32_e64 s[44:45], 0, v1
	v_xor_b32_e32 v1, s45, v94
	v_and_b32_e32 v94, exec_hi, v1
	v_lshlrev_b32_e32 v1, 30, v39
	v_xor_b32_e32 v93, s44, v93
	v_cmp_gt_i64_e64 s[44:45], 0, v[0:1]
	v_not_b32_e32 v1, v1
	v_ashrrev_i32_e32 v1, 31, v1
	v_and_b32_e32 v93, exec_lo, v93
	v_xor_b32_e32 v95, s45, v1
	v_xor_b32_e32 v1, s44, v1
	v_and_b32_e32 v93, v93, v1
	v_lshlrev_b32_e32 v1, 29, v39
	v_cmp_gt_i64_e64 s[44:45], 0, v[0:1]
	v_not_b32_e32 v1, v1
	v_ashrrev_i32_e32 v1, 31, v1
	v_and_b32_e32 v94, v94, v95
	v_xor_b32_e32 v95, s45, v1
	v_xor_b32_e32 v1, s44, v1
	v_and_b32_e32 v93, v93, v1
	v_lshlrev_b32_e32 v1, 28, v39
	v_cmp_gt_i64_e64 s[44:45], 0, v[0:1]
	v_not_b32_e32 v1, v1
	v_ashrrev_i32_e32 v1, 31, v1
	v_and_b32_e32 v94, v94, v95
	;; [unrolled: 8-line block ×5, first 2 shown]
	v_xor_b32_e32 v95, s45, v1
	v_xor_b32_e32 v1, s44, v1
	v_and_b32_e32 v93, v93, v1
	v_lshlrev_b32_e32 v1, 24, v39
	v_cmp_gt_i64_e64 s[44:45], 0, v[0:1]
	v_not_b32_e32 v0, v1
	v_ashrrev_i32_e32 v0, 31, v0
	v_xor_b32_e32 v1, s45, v0
	v_xor_b32_e32 v0, s44, v0
	; wave barrier
	ds_read_b32 v91, v92 offset:32
	v_and_b32_e32 v94, v94, v95
	v_and_b32_e32 v0, v93, v0
	;; [unrolled: 1-line block ×3, first 2 shown]
	v_mbcnt_lo_u32_b32 v39, v0, 0
	v_mbcnt_hi_u32_b32 v93, v1, v39
	v_cmp_eq_u32_e64 s[44:45], 0, v93
	v_cmp_ne_u64_e64 s[46:47], 0, v[0:1]
	s_and_b64 s[46:47], s[46:47], s[44:45]
	; wave barrier
	s_and_saveexec_b64 s[44:45], s[46:47]
	s_cbranch_execz .LBB225_62
; %bb.61:
	v_bcnt_u32_b32 v0, v0, 0
	v_bcnt_u32_b32 v0, v1, v0
	s_waitcnt lgkmcnt(0)
	v_add_u32_e32 v0, v91, v0
	ds_write_b32 v92, v0 offset:32
.LBB225_62:
	s_or_b64 exec, exec, s[44:45]
	v_lshrrev_b16_e32 v0, 8, v72
	v_cmp_ne_u16_e64 s[44:45], s56, v72
	v_cndmask_b32_e64 v0, v38, v0, s[44:45]
	v_and_b32_e32 v38, s53, v0
	v_and_b32_e32 v1, 1, v38
	v_add_co_u32_e64 v39, s[44:45], -1, v1
	v_addc_co_u32_e64 v96, s[44:45], 0, -1, s[44:45]
	v_cmp_ne_u32_e64 s[44:45], 0, v1
	v_lshlrev_b32_e32 v0, 3, v38
	v_xor_b32_e32 v1, s45, v96
	v_add_lshl_u32 v95, v0, v68, 2
	v_mov_b32_e32 v0, 0
	v_and_b32_e32 v96, exec_hi, v1
	v_lshlrev_b32_e32 v1, 30, v38
	v_xor_b32_e32 v39, s44, v39
	v_cmp_gt_i64_e64 s[44:45], 0, v[0:1]
	v_not_b32_e32 v1, v1
	v_ashrrev_i32_e32 v1, 31, v1
	v_and_b32_e32 v39, exec_lo, v39
	v_xor_b32_e32 v97, s45, v1
	v_xor_b32_e32 v1, s44, v1
	v_and_b32_e32 v39, v39, v1
	v_lshlrev_b32_e32 v1, 29, v38
	v_cmp_gt_i64_e64 s[44:45], 0, v[0:1]
	v_not_b32_e32 v1, v1
	v_ashrrev_i32_e32 v1, 31, v1
	v_and_b32_e32 v96, v96, v97
	v_xor_b32_e32 v97, s45, v1
	v_xor_b32_e32 v1, s44, v1
	v_and_b32_e32 v39, v39, v1
	v_lshlrev_b32_e32 v1, 28, v38
	v_cmp_gt_i64_e64 s[44:45], 0, v[0:1]
	v_not_b32_e32 v1, v1
	v_ashrrev_i32_e32 v1, 31, v1
	v_and_b32_e32 v96, v96, v97
	;; [unrolled: 8-line block ×5, first 2 shown]
	v_xor_b32_e32 v97, s45, v1
	v_xor_b32_e32 v1, s44, v1
	v_and_b32_e32 v96, v96, v97
	v_and_b32_e32 v97, v39, v1
	v_lshlrev_b32_e32 v1, 24, v38
	v_cmp_gt_i64_e64 s[44:45], 0, v[0:1]
	v_not_b32_e32 v1, v1
	v_ashrrev_i32_e32 v1, 31, v1
	v_xor_b32_e32 v38, s45, v1
	v_xor_b32_e32 v1, s44, v1
	; wave barrier
	ds_read_b32 v94, v95 offset:32
	v_and_b32_e32 v39, v96, v38
	v_and_b32_e32 v38, v97, v1
	v_mbcnt_lo_u32_b32 v1, v38, 0
	v_mbcnt_hi_u32_b32 v96, v39, v1
	v_cmp_eq_u32_e64 s[44:45], 0, v96
	v_cmp_ne_u64_e64 s[46:47], 0, v[38:39]
	s_and_b64 s[46:47], s[46:47], s[44:45]
	; wave barrier
	s_and_saveexec_b64 s[44:45], s[46:47]
	s_cbranch_execz .LBB225_64
; %bb.63:
	v_bcnt_u32_b32 v1, v38, 0
	v_bcnt_u32_b32 v1, v39, v1
	s_waitcnt lgkmcnt(0)
	v_add_u32_e32 v1, v94, v1
	ds_write_b32 v95, v1 offset:32
.LBB225_64:
	s_or_b64 exec, exec, s[44:45]
	v_lshrrev_b16_e32 v1, 8, v71
	v_mov_b32_e32 v38, 0x80
	v_cmp_ne_u16_e64 s[44:45], s56, v71
	v_cndmask_b32_e64 v1, v38, v1, s[44:45]
	v_and_b32_e32 v39, s53, v1
	v_lshlrev_b32_e32 v1, 3, v39
	v_add_lshl_u32 v98, v1, v68, 2
	v_and_b32_e32 v1, 1, v39
	v_add_co_u32_e64 v99, s[44:45], -1, v1
	v_addc_co_u32_e64 v100, s[44:45], 0, -1, s[44:45]
	v_cmp_ne_u32_e64 s[44:45], 0, v1
	v_xor_b32_e32 v1, s45, v100
	v_and_b32_e32 v100, exec_hi, v1
	v_lshlrev_b32_e32 v1, 30, v39
	v_xor_b32_e32 v99, s44, v99
	v_cmp_gt_i64_e64 s[44:45], 0, v[0:1]
	v_not_b32_e32 v1, v1
	v_ashrrev_i32_e32 v1, 31, v1
	v_and_b32_e32 v99, exec_lo, v99
	v_xor_b32_e32 v101, s45, v1
	v_xor_b32_e32 v1, s44, v1
	v_and_b32_e32 v99, v99, v1
	v_lshlrev_b32_e32 v1, 29, v39
	v_cmp_gt_i64_e64 s[44:45], 0, v[0:1]
	v_not_b32_e32 v1, v1
	v_ashrrev_i32_e32 v1, 31, v1
	v_and_b32_e32 v100, v100, v101
	v_xor_b32_e32 v101, s45, v1
	v_xor_b32_e32 v1, s44, v1
	v_and_b32_e32 v99, v99, v1
	v_lshlrev_b32_e32 v1, 28, v39
	v_cmp_gt_i64_e64 s[44:45], 0, v[0:1]
	v_not_b32_e32 v1, v1
	v_ashrrev_i32_e32 v1, 31, v1
	v_and_b32_e32 v100, v100, v101
	;; [unrolled: 8-line block ×5, first 2 shown]
	v_xor_b32_e32 v101, s45, v1
	v_xor_b32_e32 v1, s44, v1
	v_and_b32_e32 v99, v99, v1
	v_lshlrev_b32_e32 v1, 24, v39
	v_cmp_gt_i64_e64 s[44:45], 0, v[0:1]
	v_not_b32_e32 v0, v1
	v_ashrrev_i32_e32 v0, 31, v0
	v_xor_b32_e32 v1, s45, v0
	v_xor_b32_e32 v0, s44, v0
	; wave barrier
	ds_read_b32 v97, v98 offset:32
	v_and_b32_e32 v100, v100, v101
	v_and_b32_e32 v0, v99, v0
	;; [unrolled: 1-line block ×3, first 2 shown]
	v_mbcnt_lo_u32_b32 v39, v0, 0
	v_mbcnt_hi_u32_b32 v99, v1, v39
	v_cmp_eq_u32_e64 s[44:45], 0, v99
	v_cmp_ne_u64_e64 s[46:47], 0, v[0:1]
	s_and_b64 s[46:47], s[46:47], s[44:45]
	; wave barrier
	s_and_saveexec_b64 s[44:45], s[46:47]
	s_cbranch_execz .LBB225_66
; %bb.65:
	v_bcnt_u32_b32 v0, v0, 0
	v_bcnt_u32_b32 v0, v1, v0
	s_waitcnt lgkmcnt(0)
	v_add_u32_e32 v0, v97, v0
	ds_write_b32 v98, v0 offset:32
.LBB225_66:
	s_or_b64 exec, exec, s[44:45]
	v_lshrrev_b16_e32 v0, 8, v40
	v_cmp_ne_u16_e64 s[44:45], s56, v40
	v_cndmask_b32_e64 v0, v38, v0, s[44:45]
	v_and_b32_e32 v38, s53, v0
	v_and_b32_e32 v1, 1, v38
	v_add_co_u32_e64 v39, s[44:45], -1, v1
	v_addc_co_u32_e64 v101, s[44:45], 0, -1, s[44:45]
	v_cmp_ne_u32_e64 s[44:45], 0, v1
	v_lshlrev_b32_e32 v0, 3, v38
	v_xor_b32_e32 v1, s45, v101
	v_add_lshl_u32 v100, v0, v68, 2
	v_mov_b32_e32 v0, 0
	v_and_b32_e32 v101, exec_hi, v1
	v_lshlrev_b32_e32 v1, 30, v38
	v_xor_b32_e32 v39, s44, v39
	v_cmp_gt_i64_e64 s[44:45], 0, v[0:1]
	v_not_b32_e32 v1, v1
	v_ashrrev_i32_e32 v1, 31, v1
	v_and_b32_e32 v39, exec_lo, v39
	v_xor_b32_e32 v102, s45, v1
	v_xor_b32_e32 v1, s44, v1
	v_and_b32_e32 v39, v39, v1
	v_lshlrev_b32_e32 v1, 29, v38
	v_cmp_gt_i64_e64 s[44:45], 0, v[0:1]
	v_not_b32_e32 v1, v1
	v_ashrrev_i32_e32 v1, 31, v1
	v_and_b32_e32 v101, v101, v102
	v_xor_b32_e32 v102, s45, v1
	v_xor_b32_e32 v1, s44, v1
	v_and_b32_e32 v39, v39, v1
	v_lshlrev_b32_e32 v1, 28, v38
	v_cmp_gt_i64_e64 s[44:45], 0, v[0:1]
	v_not_b32_e32 v1, v1
	v_ashrrev_i32_e32 v1, 31, v1
	v_and_b32_e32 v101, v101, v102
	;; [unrolled: 8-line block ×5, first 2 shown]
	v_xor_b32_e32 v102, s45, v1
	v_xor_b32_e32 v1, s44, v1
	v_and_b32_e32 v39, v39, v1
	v_lshlrev_b32_e32 v1, 24, v38
	v_cmp_gt_i64_e64 s[44:45], 0, v[0:1]
	v_not_b32_e32 v0, v1
	v_ashrrev_i32_e32 v0, 31, v0
	v_xor_b32_e32 v1, s45, v0
	v_xor_b32_e32 v0, s44, v0
	; wave barrier
	ds_read_b32 v68, v100 offset:32
	v_and_b32_e32 v101, v101, v102
	v_and_b32_e32 v0, v39, v0
	v_and_b32_e32 v1, v101, v1
	v_mbcnt_lo_u32_b32 v38, v0, 0
	v_mbcnt_hi_u32_b32 v101, v1, v38
	v_cmp_eq_u32_e64 s[44:45], 0, v101
	v_cmp_ne_u64_e64 s[46:47], 0, v[0:1]
	s_and_b64 s[46:47], s[46:47], s[44:45]
	; wave barrier
	s_and_saveexec_b64 s[44:45], s[46:47]
	s_cbranch_execz .LBB225_68
; %bb.67:
	v_bcnt_u32_b32 v0, v0, 0
	v_bcnt_u32_b32 v0, v1, v0
	s_waitcnt lgkmcnt(0)
	v_add_u32_e32 v0, v68, v0
	ds_write_b32 v100, v0 offset:32
.LBB225_68:
	s_or_b64 exec, exec, s[44:45]
	; wave barrier
	s_waitcnt lgkmcnt(0)
	s_barrier
	ds_read2_b32 v[38:39], v64 offset0:8 offset1:9
	ds_read2_b32 v[0:1], v69 offset0:2 offset1:3
	s_waitcnt lgkmcnt(1)
	v_add_u32_e32 v102, v39, v38
	s_waitcnt lgkmcnt(0)
	v_add3_u32 v1, v102, v0, v1
	s_nop 1
	v_mov_b32_dpp v102, v1 row_shr:1 row_mask:0xf bank_mask:0xf
	v_cndmask_b32_e64 v102, v102, 0, s[24:25]
	v_add_u32_e32 v1, v102, v1
	s_nop 1
	v_mov_b32_dpp v102, v1 row_shr:2 row_mask:0xf bank_mask:0xf
	v_cndmask_b32_e64 v102, 0, v102, s[26:27]
	v_add_u32_e32 v1, v1, v102
	;; [unrolled: 4-line block ×4, first 2 shown]
	s_nop 1
	v_mov_b32_dpp v102, v1 row_bcast:15 row_mask:0xf bank_mask:0xf
	v_cndmask_b32_e64 v102, v102, 0, vcc
	v_add_u32_e32 v1, v1, v102
	s_nop 1
	v_mov_b32_dpp v102, v1 row_bcast:31 row_mask:0xf bank_mask:0xf
	v_cndmask_b32_e64 v102, 0, v102, s[36:37]
	v_add_u32_e32 v102, v1, v102
	s_and_saveexec_b64 s[24:25], s[16:17]
	s_cbranch_execz .LBB225_70
; %bb.69:
	ds_write_b32 v70, v102
.LBB225_70:
	s_or_b64 exec, exec, s[24:25]
	s_waitcnt lgkmcnt(0)
	s_barrier
	s_and_saveexec_b64 s[16:17], s[28:29]
	s_cbranch_execz .LBB225_72
; %bb.71:
	ds_read_b32 v1, v41
	s_waitcnt lgkmcnt(0)
	s_nop 0
	v_mov_b32_dpp v70, v1 row_shr:1 row_mask:0xf bank_mask:0xf
	v_cndmask_b32_e64 v70, v70, 0, s[22:23]
	v_add_u32_e32 v1, v70, v1
	s_nop 1
	v_mov_b32_dpp v70, v1 row_shr:2 row_mask:0xf bank_mask:0xf
	v_cndmask_b32_e64 v70, 0, v70, s[20:21]
	v_add_u32_e32 v1, v1, v70
	s_nop 1
	v_mov_b32_dpp v70, v1 row_shr:4 row_mask:0xf bank_mask:0xf
	v_cndmask_b32_e64 v70, 0, v70, s[18:19]
	v_add_u32_e32 v1, v1, v70
	ds_write_b32 v41, v1
.LBB225_72:
	s_or_b64 exec, exec, s[16:17]
	v_mov_b32_e32 v1, 0
	v_mov_b32_e32 v41, 0
	s_waitcnt lgkmcnt(0)
	s_barrier
	s_and_saveexec_b64 s[16:17], s[38:39]
	s_cbranch_execz .LBB225_74
; %bb.73:
	ds_read_b32 v41, v80
.LBB225_74:
	s_or_b64 exec, exec, s[16:17]
	s_waitcnt lgkmcnt(0)
	v_add_u32_e32 v70, v41, v102
	ds_bpermute_b32 v70, v81, v70
	s_mov_b32 s18, 0x5040100
	s_waitcnt lgkmcnt(0)
	v_cndmask_b32_e64 v41, v70, v41, s[40:41]
	v_cndmask_b32_e64 v41, v41, 0, s[42:43]
	v_add_u32_e32 v38, v41, v38
	v_add_u32_e32 v39, v38, v39
	;; [unrolled: 1-line block ×3, first 2 shown]
	ds_write2_b32 v64, v41, v38 offset0:8 offset1:9
	ds_write2_b32 v69, v39, v0 offset0:2 offset1:3
	s_waitcnt lgkmcnt(0)
	s_barrier
	ds_read_b32 v0, v100 offset:32
	ds_read_b32 v38, v98 offset:32
	;; [unrolled: 1-line block ×4, first 2 shown]
	s_waitcnt lgkmcnt(3)
	v_add3_u32 v0, v101, v68, v0
	ds_read_b32 v68, v89 offset:32
	ds_read_b32 v69, v86 offset:32
	;; [unrolled: 1-line block ×4, first 2 shown]
	s_waitcnt lgkmcnt(0)
	s_barrier
	v_add3_u32 v69, v87, v85, v69
	v_add3_u32 v70, v84, v82, v70
	v_add_u32_e32 v78, v78, v79
	v_lshlrev_b32_e32 v79, 1, v78
	ds_write_b16 v79, v77
	v_lshlrev_b32_e32 v77, 1, v70
	v_add3_u32 v68, v90, v88, v68
	ds_write_b16 v77, v76
	v_lshlrev_b32_e32 v76, 1, v69
	v_add3_u32 v41, v93, v91, v41
	;; [unrolled: 3-line block ×4, first 2 shown]
	ds_write_b16 v74, v73
	v_lshlrev_b32_e32 v73, 1, v39
	ds_write_b16 v73, v72
	v_lshlrev_b32_e32 v72, 1, v38
	ds_write_b16 v72, v71
	v_lshlrev_b32_e32 v71, 1, v0
	ds_write_b16 v71, v40
	v_lshlrev_b32_e32 v40, 1, v63
	s_waitcnt lgkmcnt(0)
	s_barrier
	v_lshlrev_b32_e32 v72, 3, v41
	v_lshlrev_b32_e32 v73, 3, v39
	;; [unrolled: 1-line block ×3, first 2 shown]
	ds_read_b128 v[38:41], v40
	v_mov_b32_e32 v77, 0xffff8000
	v_lshlrev_b32_e32 v71, 3, v78
	v_lshlrev_b32_e32 v75, 3, v63
	;; [unrolled: 1-line block ×3, first 2 shown]
	s_waitcnt lgkmcnt(0)
	v_cmp_lt_i16_sdwa vcc, v38, v1 src0_sel:WORD_1 src1_sel:DWORD
	v_cndmask_b32_e32 v78, -1, v77, vcc
	v_cmp_gt_i16_e32 vcc, 0, v38
	v_lshlrev_b32_e32 v69, 3, v69
	v_lshlrev_b32_e32 v68, 3, v68
	;; [unrolled: 1-line block ×3, first 2 shown]
	v_cndmask_b32_e32 v79, -1, v77, vcc
	v_cmp_lt_i16_e32 vcc, -1, v39
	s_barrier
	ds_write_b64 v71, v[34:35]
	ds_write_b64 v70, v[36:37]
	;; [unrolled: 1-line block ×8, first 2 shown]
	s_waitcnt lgkmcnt(0)
	s_barrier
	ds_read2_b64 v[22:25], v75 offset1:1
	ds_read2_b64 v[26:29], v75 offset0:2 offset1:3
	ds_read2_b64 v[30:33], v75 offset0:4 offset1:5
	ds_read2_b64 v[34:37], v75 offset0:6 offset1:7
	v_mov_b32_e32 v76, -1
	v_cndmask_b32_e64 v81, v77, -1, vcc
	v_cmp_lt_i16_sdwa vcc, v40, v1 src0_sel:WORD_1 src1_sel:DWORD
	v_cmp_gt_i16_sdwa s[16:17], v39, v76 src0_sel:WORD_1 src1_sel:DWORD
	v_cndmask_b32_e32 v0, -1, v77, vcc
	v_cmp_gt_i16_e32 vcc, 0, v40
	v_cndmask_b32_e64 v80, v77, -1, s[16:17]
	v_cndmask_b32_e32 v1, -1, v77, vcc
	v_cmp_gt_i16_sdwa s[16:17], v41, v76 src0_sel:WORD_1 src1_sel:DWORD
	v_cmp_lt_i16_e32 vcc, -1, v41
	v_cndmask_b32_e64 v68, v77, -1, s[16:17]
	v_cndmask_b32_e64 v69, v77, -1, vcc
	v_xor_b32_e32 v81, v81, v39
	v_xor_b32_sdwa v39, v80, v39 dst_sel:DWORD dst_unused:UNUSED_PAD src0_sel:DWORD src1_sel:WORD_1
	v_xor_b32_e32 v79, v79, v38
	v_xor_b32_sdwa v38, v78, v38 dst_sel:DWORD dst_unused:UNUSED_PAD src0_sel:DWORD src1_sel:WORD_1
	v_xor_b32_e32 v69, v69, v41
	v_xor_b32_sdwa v41, v68, v41 dst_sel:DWORD dst_unused:UNUSED_PAD src0_sel:DWORD src1_sel:WORD_1
	v_xor_b32_e32 v1, v1, v40
	v_xor_b32_sdwa v0, v0, v40 dst_sel:DWORD dst_unused:UNUSED_PAD src0_sel:DWORD src1_sel:WORD_1
	v_perm_b32 v39, v39, v81, s18
	v_perm_b32 v38, v38, v79, s18
	;; [unrolled: 1-line block ×4, first 2 shown]
	s_branch .LBB225_128
.LBB225_75:
	v_mov_b32_e32 v45, 0
	v_lshlrev_b64 v[2:3], 3, v[44:45]
	v_mov_b32_e32 v4, s51
	v_add_co_u32_e32 v2, vcc, s49, v2
	v_addc_co_u32_e32 v3, vcc, v4, v3, vcc
	global_load_dwordx2 v[2:3], v[2:3], off
	v_mov_b32_e32 v4, v45
	v_mov_b32_e32 v5, v45
	;; [unrolled: 1-line block ×14, first 2 shown]
	s_or_b64 exec, exec, s[16:17]
	s_and_saveexec_b64 s[16:17], s[2:3]
	s_cbranch_execz .LBB225_22
.LBB225_76:
	v_mul_lo_u32 v4, v36, s52
	v_mov_b32_e32 v5, 0
	v_lshlrev_b64 v[4:5], 3, v[4:5]
	v_mov_b32_e32 v36, s51
	v_add_co_u32_e32 v4, vcc, s49, v4
	v_addc_co_u32_e32 v5, vcc, v36, v5, vcc
	global_load_dwordx2 v[4:5], v[4:5], off
	s_or_b64 exec, exec, s[16:17]
	s_and_saveexec_b64 s[16:17], s[4:5]
	s_cbranch_execz .LBB225_23
.LBB225_77:
	v_mul_lo_u32 v6, v35, s52
	v_mov_b32_e32 v7, 0
	v_lshlrev_b64 v[6:7], 3, v[6:7]
	v_mov_b32_e32 v35, s51
	v_add_co_u32_e32 v6, vcc, s49, v6
	v_addc_co_u32_e32 v7, vcc, v35, v7, vcc
	global_load_dwordx2 v[6:7], v[6:7], off
	s_or_b64 exec, exec, s[16:17]
	s_and_saveexec_b64 s[16:17], s[6:7]
	s_cbranch_execz .LBB225_24
.LBB225_78:
	v_mul_lo_u32 v8, v33, s52
	v_mov_b32_e32 v9, 0
	v_lshlrev_b64 v[8:9], 3, v[8:9]
	v_mov_b32_e32 v33, s51
	v_add_co_u32_e32 v8, vcc, s49, v8
	v_addc_co_u32_e32 v9, vcc, v33, v9, vcc
	global_load_dwordx2 v[8:9], v[8:9], off
	s_or_b64 exec, exec, s[16:17]
	s_and_saveexec_b64 s[16:17], s[8:9]
	s_cbranch_execz .LBB225_25
.LBB225_79:
	v_mul_lo_u32 v10, v30, s52
	v_mov_b32_e32 v11, 0
	v_lshlrev_b64 v[10:11], 3, v[10:11]
	v_mov_b32_e32 v30, s51
	v_add_co_u32_e32 v10, vcc, s49, v10
	v_addc_co_u32_e32 v11, vcc, v30, v11, vcc
	global_load_dwordx2 v[10:11], v[10:11], off
	s_or_b64 exec, exec, s[16:17]
	s_and_saveexec_b64 s[16:17], s[10:11]
	s_cbranch_execz .LBB225_26
.LBB225_80:
	v_mul_lo_u32 v12, v28, s52
	v_mov_b32_e32 v13, 0
	v_lshlrev_b64 v[12:13], 3, v[12:13]
	v_mov_b32_e32 v28, s51
	v_add_co_u32_e32 v12, vcc, s49, v12
	v_addc_co_u32_e32 v13, vcc, v28, v13, vcc
	global_load_dwordx2 v[12:13], v[12:13], off
	s_or_b64 exec, exec, s[16:17]
	s_and_saveexec_b64 s[16:17], s[12:13]
	s_cbranch_execz .LBB225_27
.LBB225_81:
	v_mul_lo_u32 v14, v26, s52
	v_mov_b32_e32 v15, 0
	v_lshlrev_b64 v[14:15], 3, v[14:15]
	v_mov_b32_e32 v26, s51
	v_add_co_u32_e32 v14, vcc, s49, v14
	v_addc_co_u32_e32 v15, vcc, v26, v15, vcc
	global_load_dwordx2 v[14:15], v[14:15], off
	s_or_b64 exec, exec, s[16:17]
	s_xor_b64 s[16:17], s[34:35], -1
	s_and_saveexec_b64 s[18:19], s[14:15]
	s_cbranch_execnz .LBB225_28
	s_branch .LBB225_29
.LBB225_82:
                                        ; implicit-def: $vgpr36_vgpr37
                                        ; implicit-def: $vgpr32_vgpr33
                                        ; implicit-def: $vgpr28_vgpr29
                                        ; implicit-def: $vgpr24_vgpr25
                                        ; implicit-def: $vgpr40_vgpr41
	s_cbranch_execz .LBB225_128
; %bb.83:
	s_waitcnt lgkmcnt(3)
	v_mov_b32_e32 v22, 0
	s_waitcnt lgkmcnt(0)
	v_mov_b32_e32 v35, 0x7fff
	v_cmp_gt_i16_e32 vcc, 0, v19
	v_cmp_lt_i16_sdwa s[16:17], v19, v22 src0_sel:WORD_1 src1_sel:DWORD
	v_cndmask_b32_e64 v23, v35, 0, vcc
	v_cmp_gt_i16_e32 vcc, 0, v18
	v_cndmask_b32_e64 v25, v35, 0, s[16:17]
	v_cmp_lt_i16_sdwa s[16:17], v18, v22 src0_sel:WORD_1 src1_sel:DWORD
	v_cndmask_b32_e64 v24, v35, 0, vcc
	v_cndmask_b32_e64 v27, v35, 0, s[16:17]
	v_cmp_gt_i16_e32 vcc, 0, v21
	v_cmp_lt_i16_sdwa s[16:17], v21, v22 src0_sel:WORD_1 src1_sel:DWORD
	v_xor_b32_sdwa v25, v25, v19 dst_sel:DWORD dst_unused:UNUSED_PAD src0_sel:DWORD src1_sel:WORD_1
	v_xor_b32_e32 v19, v23, v19
	v_cndmask_b32_e64 v23, v35, 0, vcc
	v_cmp_gt_i16_e32 vcc, 0, v20
	v_cndmask_b32_e64 v28, v35, 0, s[16:17]
	v_cmp_lt_i16_sdwa s[16:17], v20, v22 src0_sel:WORD_1 src1_sel:DWORD
	v_mbcnt_hi_u32_b32 v26, -1, v67
	v_and_b32_e32 v34, 0x3c0, v46
	v_xor_b32_sdwa v27, v27, v18 dst_sel:DWORD dst_unused:UNUSED_PAD src0_sel:DWORD src1_sel:WORD_1
	v_xor_b32_e32 v18, v24, v18
	v_cndmask_b32_e64 v24, v35, 0, vcc
	v_cndmask_b32_e64 v29, v35, 0, s[16:17]
	v_add_u32_e32 v0, v26, v34
	v_xor_b32_sdwa v29, v29, v20 dst_sel:DWORD dst_unused:UNUSED_PAD src0_sel:DWORD src1_sel:WORD_1
	v_xor_b32_sdwa v28, v28, v21 dst_sel:DWORD dst_unused:UNUSED_PAD src0_sel:DWORD src1_sel:WORD_1
	v_xor_b32_e32 v20, v24, v20
	v_xor_b32_e32 v21, v23, v21
	s_mov_b32 s16, 0x5040100
	v_lshlrev_b32_e32 v1, 4, v0
	v_perm_b32 v21, v28, v21, s16
	v_perm_b32 v20, v29, v20, s16
	;; [unrolled: 1-line block ×4, first 2 shown]
	v_and_b32_e32 v36, 0x1e00, v63
	ds_write_b128 v1, v[18:21]
	v_or_b32_e32 v1, v26, v36
	v_lshlrev_b32_e32 v18, 1, v1
	v_lshlrev_b32_e32 v0, 6, v0
	; wave barrier
	ds_read_u16 v33, v18
	ds_read_u16 v32, v18 offset:128
	ds_read_u16 v31, v18 offset:256
	;; [unrolled: 1-line block ×7, first 2 shown]
	s_waitcnt lgkmcnt(0)
	s_barrier
	ds_write2_b64 v0, v[14:15], v[16:17] offset1:1
	ds_write2_b64 v0, v[10:11], v[12:13] offset0:2 offset1:3
	ds_write2_b64 v0, v[6:7], v[8:9] offset0:4 offset1:5
	;; [unrolled: 1-line block ×3, first 2 shown]
	v_lshlrev_b32_e32 v0, 3, v1
	; wave barrier
	ds_read2st64_b64 v[12:15], v0 offset1:1
	ds_read2st64_b64 v[8:11], v0 offset0:2 offset1:3
	ds_read2st64_b64 v[4:7], v0 offset0:4 offset1:5
	;; [unrolled: 1-line block ×3, first 2 shown]
	s_waitcnt lgkmcnt(0)
	s_barrier
	s_load_dword s18, s[54:55], 0xc
	s_getpc_b64 s[16:17]
	s_add_u32 s16, s16, _ZN7rocprim17ROCPRIM_400000_NS16block_radix_sortI6__halfLj512ELj8ElLj1ELj1ELj0ELNS0_26block_radix_rank_algorithmE1ELNS0_18block_padding_hintE2ELNS0_4arch9wavefront6targetE1EE19radix_bits_per_passE@rel32@lo+4
	s_addc_u32 s17, s17, _ZN7rocprim17ROCPRIM_400000_NS16block_radix_sortI6__halfLj512ELj8ElLj1ELj1ELj0ELNS0_26block_radix_rank_algorithmE1ELNS0_18block_padding_hintE2ELNS0_4arch9wavefront6targetE1EE19radix_bits_per_passE@rel32@hi+12
	s_load_dword s44, s[16:17], 0x0
	s_movk_i32 s19, 0x8000
	v_cmp_ne_u16_e32 vcc, s19, v33
	s_waitcnt lgkmcnt(0)
	s_lshr_b32 s16, s18, 16
	s_and_b32 s17, s18, 0xffff
	v_mad_u32_u24 v16, v66, s16, v65
	v_mad_u64_u32 v[16:17], s[16:17], v16, s17, v[46:47]
	s_min_u32 s16, s44, 16
	s_lshl_b32 s16, -1, s16
	v_lshrrev_b32_e32 v24, 6, v16
	s_not_b32 s18, s16
	v_cndmask_b32_e32 v16, v35, v33, vcc
	v_and_b32_sdwa v16, s18, v16 dst_sel:DWORD dst_unused:UNUSED_PAD src0_sel:DWORD src1_sel:WORD_0
	v_lshlrev_b32_e32 v17, 3, v16
	v_add_lshl_u32 v37, v24, v17, 2
	v_and_b32_e32 v17, 1, v16
	v_add_co_u32_e32 v18, vcc, -1, v17
	v_addc_co_u32_e64 v19, s[16:17], 0, -1, vcc
	v_cmp_ne_u32_e32 vcc, 0, v17
	v_lshlrev_b32_e32 v23, 30, v16
	v_xor_b32_e32 v17, vcc_hi, v19
	v_not_b32_e32 v19, v23
	v_xor_b32_e32 v18, vcc_lo, v18
	v_cmp_gt_i64_e32 vcc, 0, v[22:23]
	v_ashrrev_i32_e32 v19, 31, v19
	v_and_b32_e32 v18, exec_lo, v18
	v_xor_b32_e32 v20, vcc_hi, v19
	v_xor_b32_e32 v19, vcc_lo, v19
	v_lshlrev_b32_e32 v23, 29, v16
	v_and_b32_e32 v18, v18, v19
	v_not_b32_e32 v19, v23
	v_and_b32_e32 v17, exec_hi, v17
	v_cmp_gt_i64_e32 vcc, 0, v[22:23]
	v_ashrrev_i32_e32 v19, 31, v19
	v_and_b32_e32 v17, v17, v20
	v_xor_b32_e32 v20, vcc_hi, v19
	v_xor_b32_e32 v19, vcc_lo, v19
	v_lshlrev_b32_e32 v23, 28, v16
	v_and_b32_e32 v18, v18, v19
	v_not_b32_e32 v19, v23
	v_cmp_gt_i64_e32 vcc, 0, v[22:23]
	v_ashrrev_i32_e32 v19, 31, v19
	v_and_b32_e32 v17, v17, v20
	v_xor_b32_e32 v20, vcc_hi, v19
	v_xor_b32_e32 v19, vcc_lo, v19
	v_lshlrev_b32_e32 v23, 27, v16
	v_and_b32_e32 v18, v18, v19
	v_not_b32_e32 v19, v23
	;; [unrolled: 8-line block ×3, first 2 shown]
	v_cmp_gt_i64_e32 vcc, 0, v[22:23]
	v_ashrrev_i32_e32 v19, 31, v19
	v_and_b32_e32 v17, v17, v20
	v_xor_b32_e32 v20, vcc_hi, v19
	v_xor_b32_e32 v19, vcc_lo, v19
	v_lshlrev_b32_e32 v23, 25, v16
	v_and_b32_e32 v18, v18, v19
	v_cmp_gt_i64_e32 vcc, 0, v[22:23]
	v_not_b32_e32 v19, v23
	v_lshlrev_b32_e32 v23, 24, v16
	v_ashrrev_i32_e32 v19, 31, v19
	v_not_b32_e32 v16, v23
	v_and_b32_e32 v17, v17, v20
	v_xor_b32_e32 v20, vcc_hi, v19
	v_xor_b32_e32 v19, vcc_lo, v19
	v_cmp_gt_i64_e32 vcc, 0, v[22:23]
	v_ashrrev_i32_e32 v16, 31, v16
	v_and_b32_e32 v18, v18, v19
	v_xor_b32_e32 v19, vcc_hi, v16
	v_xor_b32_e32 v16, vcc_lo, v16
	v_and_b32_e32 v17, v17, v20
	v_and_b32_e32 v16, v18, v16
	v_and_b32_e32 v17, v17, v19
	v_mbcnt_lo_u32_b32 v18, v16, 0
	v_mbcnt_hi_u32_b32 v38, v17, v18
	v_cmp_eq_u32_e32 vcc, 0, v38
	v_cmp_ne_u64_e64 s[16:17], 0, v[16:17]
	s_and_b64 s[20:21], s[16:17], vcc
	ds_write2_b32 v64, v22, v22 offset0:8 offset1:9
	ds_write2_b32 v64, v22, v22 offset0:10 offset1:11
	s_waitcnt lgkmcnt(0)
	s_barrier
	s_waitcnt lgkmcnt(0)
	; wave barrier
	s_and_saveexec_b64 s[16:17], s[20:21]
	s_cbranch_execz .LBB225_85
; %bb.84:
	v_bcnt_u32_b32 v16, v16, 0
	v_bcnt_u32_b32 v16, v17, v16
	ds_write_b32 v37, v16 offset:32
.LBB225_85:
	s_or_b64 exec, exec, s[16:17]
	v_cmp_ne_u16_e32 vcc, s19, v32
	v_cndmask_b32_e32 v16, v35, v32, vcc
	v_and_b32_sdwa v16, s18, v16 dst_sel:DWORD dst_unused:UNUSED_PAD src0_sel:DWORD src1_sel:WORD_0
	v_lshlrev_b32_e32 v17, 3, v16
	v_add_lshl_u32 v40, v24, v17, 2
	v_and_b32_e32 v17, 1, v16
	v_add_co_u32_e32 v18, vcc, -1, v17
	v_addc_co_u32_e64 v19, s[16:17], 0, -1, vcc
	v_cmp_ne_u32_e32 vcc, 0, v17
	v_lshlrev_b32_e32 v23, 30, v16
	v_xor_b32_e32 v17, vcc_hi, v19
	v_not_b32_e32 v19, v23
	v_xor_b32_e32 v18, vcc_lo, v18
	v_cmp_gt_i64_e32 vcc, 0, v[22:23]
	v_ashrrev_i32_e32 v19, 31, v19
	v_and_b32_e32 v18, exec_lo, v18
	v_xor_b32_e32 v20, vcc_hi, v19
	v_xor_b32_e32 v19, vcc_lo, v19
	v_lshlrev_b32_e32 v23, 29, v16
	v_and_b32_e32 v18, v18, v19
	v_not_b32_e32 v19, v23
	v_and_b32_e32 v17, exec_hi, v17
	v_cmp_gt_i64_e32 vcc, 0, v[22:23]
	v_ashrrev_i32_e32 v19, 31, v19
	v_and_b32_e32 v17, v17, v20
	v_xor_b32_e32 v20, vcc_hi, v19
	v_xor_b32_e32 v19, vcc_lo, v19
	v_lshlrev_b32_e32 v23, 28, v16
	v_and_b32_e32 v18, v18, v19
	v_not_b32_e32 v19, v23
	v_cmp_gt_i64_e32 vcc, 0, v[22:23]
	v_ashrrev_i32_e32 v19, 31, v19
	v_and_b32_e32 v17, v17, v20
	v_xor_b32_e32 v20, vcc_hi, v19
	v_xor_b32_e32 v19, vcc_lo, v19
	v_lshlrev_b32_e32 v23, 27, v16
	v_and_b32_e32 v18, v18, v19
	v_not_b32_e32 v19, v23
	;; [unrolled: 8-line block ×3, first 2 shown]
	v_cmp_gt_i64_e32 vcc, 0, v[22:23]
	v_ashrrev_i32_e32 v19, 31, v19
	v_and_b32_e32 v17, v17, v20
	v_xor_b32_e32 v20, vcc_hi, v19
	v_xor_b32_e32 v19, vcc_lo, v19
	v_lshlrev_b32_e32 v23, 25, v16
	v_and_b32_e32 v18, v18, v19
	v_cmp_gt_i64_e32 vcc, 0, v[22:23]
	v_not_b32_e32 v19, v23
	v_lshlrev_b32_e32 v23, 24, v16
	v_ashrrev_i32_e32 v19, 31, v19
	v_not_b32_e32 v16, v23
	v_and_b32_e32 v17, v17, v20
	v_xor_b32_e32 v20, vcc_hi, v19
	v_xor_b32_e32 v19, vcc_lo, v19
	v_cmp_gt_i64_e32 vcc, 0, v[22:23]
	v_ashrrev_i32_e32 v16, 31, v16
	v_and_b32_e32 v18, v18, v19
	v_xor_b32_e32 v19, vcc_hi, v16
	v_xor_b32_e32 v16, vcc_lo, v16
	; wave barrier
	ds_read_b32 v39, v40 offset:32
	v_and_b32_e32 v17, v17, v20
	v_and_b32_e32 v16, v18, v16
	;; [unrolled: 1-line block ×3, first 2 shown]
	v_mbcnt_lo_u32_b32 v18, v16, 0
	v_mbcnt_hi_u32_b32 v41, v17, v18
	v_cmp_eq_u32_e32 vcc, 0, v41
	v_cmp_ne_u64_e64 s[16:17], 0, v[16:17]
	s_and_b64 s[20:21], s[16:17], vcc
	; wave barrier
	s_and_saveexec_b64 s[16:17], s[20:21]
	s_cbranch_execz .LBB225_87
; %bb.86:
	v_bcnt_u32_b32 v16, v16, 0
	v_bcnt_u32_b32 v16, v17, v16
	s_waitcnt lgkmcnt(0)
	v_add_u32_e32 v16, v39, v16
	ds_write_b32 v40, v16 offset:32
.LBB225_87:
	s_or_b64 exec, exec, s[16:17]
	v_mov_b32_e32 v20, 0x7fff
	v_cmp_ne_u16_e32 vcc, s19, v31
	v_cndmask_b32_e32 v16, v20, v31, vcc
	v_and_b32_sdwa v18, s18, v16 dst_sel:DWORD dst_unused:UNUSED_PAD src0_sel:DWORD src1_sel:WORD_0
	v_and_b32_e32 v17, 1, v18
	v_add_co_u32_e32 v19, vcc, -1, v17
	v_addc_co_u32_e64 v21, s[16:17], 0, -1, vcc
	v_cmp_ne_u32_e32 vcc, 0, v17
	v_lshlrev_b32_e32 v16, 3, v18
	v_xor_b32_e32 v17, vcc_hi, v21
	v_add_lshl_u32 v66, v24, v16, 2
	v_mov_b32_e32 v16, 0
	v_and_b32_e32 v21, exec_hi, v17
	v_lshlrev_b32_e32 v17, 30, v18
	v_xor_b32_e32 v19, vcc_lo, v19
	v_cmp_gt_i64_e32 vcc, 0, v[16:17]
	v_not_b32_e32 v17, v17
	v_ashrrev_i32_e32 v17, 31, v17
	v_and_b32_e32 v19, exec_lo, v19
	v_xor_b32_e32 v22, vcc_hi, v17
	v_xor_b32_e32 v17, vcc_lo, v17
	v_and_b32_e32 v19, v19, v17
	v_lshlrev_b32_e32 v17, 29, v18
	v_cmp_gt_i64_e32 vcc, 0, v[16:17]
	v_not_b32_e32 v17, v17
	v_ashrrev_i32_e32 v17, 31, v17
	v_and_b32_e32 v21, v21, v22
	v_xor_b32_e32 v22, vcc_hi, v17
	v_xor_b32_e32 v17, vcc_lo, v17
	v_and_b32_e32 v19, v19, v17
	v_lshlrev_b32_e32 v17, 28, v18
	v_cmp_gt_i64_e32 vcc, 0, v[16:17]
	v_not_b32_e32 v17, v17
	v_ashrrev_i32_e32 v17, 31, v17
	v_and_b32_e32 v21, v21, v22
	;; [unrolled: 8-line block ×5, first 2 shown]
	v_xor_b32_e32 v22, vcc_hi, v17
	v_xor_b32_e32 v17, vcc_lo, v17
	v_and_b32_e32 v21, v21, v22
	v_and_b32_e32 v22, v19, v17
	v_lshlrev_b32_e32 v17, 24, v18
	v_cmp_gt_i64_e32 vcc, 0, v[16:17]
	v_not_b32_e32 v17, v17
	v_ashrrev_i32_e32 v17, 31, v17
	v_xor_b32_e32 v18, vcc_hi, v17
	v_xor_b32_e32 v17, vcc_lo, v17
	; wave barrier
	ds_read_b32 v65, v66 offset:32
	v_and_b32_e32 v19, v21, v18
	v_and_b32_e32 v18, v22, v17
	v_mbcnt_lo_u32_b32 v17, v18, 0
	v_mbcnt_hi_u32_b32 v67, v19, v17
	v_cmp_eq_u32_e32 vcc, 0, v67
	v_cmp_ne_u64_e64 s[16:17], 0, v[18:19]
	s_and_b64 s[20:21], s[16:17], vcc
	; wave barrier
	s_and_saveexec_b64 s[16:17], s[20:21]
	s_cbranch_execz .LBB225_89
; %bb.88:
	v_bcnt_u32_b32 v17, v18, 0
	v_bcnt_u32_b32 v17, v19, v17
	s_waitcnt lgkmcnt(0)
	v_add_u32_e32 v17, v65, v17
	ds_write_b32 v66, v17 offset:32
.LBB225_89:
	s_or_b64 exec, exec, s[16:17]
	v_cmp_ne_u16_e32 vcc, s19, v30
	v_cndmask_b32_e32 v17, v20, v30, vcc
	v_and_b32_sdwa v18, s18, v17 dst_sel:DWORD dst_unused:UNUSED_PAD src0_sel:DWORD src1_sel:WORD_0
	v_lshlrev_b32_e32 v17, 3, v18
	v_add_lshl_u32 v69, v24, v17, 2
	v_and_b32_e32 v17, 1, v18
	v_add_co_u32_e32 v19, vcc, -1, v17
	v_addc_co_u32_e64 v20, s[16:17], 0, -1, vcc
	v_cmp_ne_u32_e32 vcc, 0, v17
	v_xor_b32_e32 v17, vcc_hi, v20
	v_and_b32_e32 v20, exec_hi, v17
	v_lshlrev_b32_e32 v17, 30, v18
	v_xor_b32_e32 v19, vcc_lo, v19
	v_cmp_gt_i64_e32 vcc, 0, v[16:17]
	v_not_b32_e32 v17, v17
	v_ashrrev_i32_e32 v17, 31, v17
	v_and_b32_e32 v19, exec_lo, v19
	v_xor_b32_e32 v21, vcc_hi, v17
	v_xor_b32_e32 v17, vcc_lo, v17
	v_and_b32_e32 v19, v19, v17
	v_lshlrev_b32_e32 v17, 29, v18
	v_cmp_gt_i64_e32 vcc, 0, v[16:17]
	v_not_b32_e32 v17, v17
	v_ashrrev_i32_e32 v17, 31, v17
	v_and_b32_e32 v20, v20, v21
	v_xor_b32_e32 v21, vcc_hi, v17
	v_xor_b32_e32 v17, vcc_lo, v17
	v_and_b32_e32 v19, v19, v17
	v_lshlrev_b32_e32 v17, 28, v18
	v_cmp_gt_i64_e32 vcc, 0, v[16:17]
	v_not_b32_e32 v17, v17
	v_ashrrev_i32_e32 v17, 31, v17
	v_and_b32_e32 v20, v20, v21
	;; [unrolled: 8-line block ×5, first 2 shown]
	v_xor_b32_e32 v21, vcc_hi, v17
	v_xor_b32_e32 v17, vcc_lo, v17
	v_and_b32_e32 v19, v19, v17
	v_lshlrev_b32_e32 v17, 24, v18
	v_cmp_gt_i64_e32 vcc, 0, v[16:17]
	v_not_b32_e32 v16, v17
	v_ashrrev_i32_e32 v16, 31, v16
	v_xor_b32_e32 v17, vcc_hi, v16
	v_xor_b32_e32 v16, vcc_lo, v16
	; wave barrier
	ds_read_b32 v68, v69 offset:32
	v_and_b32_e32 v20, v20, v21
	v_and_b32_e32 v16, v19, v16
	;; [unrolled: 1-line block ×3, first 2 shown]
	v_mbcnt_lo_u32_b32 v18, v16, 0
	v_mbcnt_hi_u32_b32 v70, v17, v18
	v_cmp_eq_u32_e32 vcc, 0, v70
	v_cmp_ne_u64_e64 s[16:17], 0, v[16:17]
	s_and_b64 s[20:21], s[16:17], vcc
	; wave barrier
	s_and_saveexec_b64 s[16:17], s[20:21]
	s_cbranch_execz .LBB225_91
; %bb.90:
	v_bcnt_u32_b32 v16, v16, 0
	v_bcnt_u32_b32 v16, v17, v16
	s_waitcnt lgkmcnt(0)
	v_add_u32_e32 v16, v68, v16
	ds_write_b32 v69, v16 offset:32
.LBB225_91:
	s_or_b64 exec, exec, s[16:17]
	v_mov_b32_e32 v20, 0x7fff
	v_cmp_ne_u16_e32 vcc, s19, v29
	v_cndmask_b32_e32 v16, v20, v29, vcc
	v_and_b32_sdwa v18, s18, v16 dst_sel:DWORD dst_unused:UNUSED_PAD src0_sel:DWORD src1_sel:WORD_0
	v_and_b32_e32 v17, 1, v18
	v_add_co_u32_e32 v19, vcc, -1, v17
	v_addc_co_u32_e64 v21, s[16:17], 0, -1, vcc
	v_cmp_ne_u32_e32 vcc, 0, v17
	v_lshlrev_b32_e32 v16, 3, v18
	v_xor_b32_e32 v17, vcc_hi, v21
	v_add_lshl_u32 v72, v24, v16, 2
	v_mov_b32_e32 v16, 0
	v_and_b32_e32 v21, exec_hi, v17
	v_lshlrev_b32_e32 v17, 30, v18
	v_xor_b32_e32 v19, vcc_lo, v19
	v_cmp_gt_i64_e32 vcc, 0, v[16:17]
	v_not_b32_e32 v17, v17
	v_ashrrev_i32_e32 v17, 31, v17
	v_and_b32_e32 v19, exec_lo, v19
	v_xor_b32_e32 v22, vcc_hi, v17
	v_xor_b32_e32 v17, vcc_lo, v17
	v_and_b32_e32 v19, v19, v17
	v_lshlrev_b32_e32 v17, 29, v18
	v_cmp_gt_i64_e32 vcc, 0, v[16:17]
	v_not_b32_e32 v17, v17
	v_ashrrev_i32_e32 v17, 31, v17
	v_and_b32_e32 v21, v21, v22
	v_xor_b32_e32 v22, vcc_hi, v17
	v_xor_b32_e32 v17, vcc_lo, v17
	v_and_b32_e32 v19, v19, v17
	v_lshlrev_b32_e32 v17, 28, v18
	v_cmp_gt_i64_e32 vcc, 0, v[16:17]
	v_not_b32_e32 v17, v17
	v_ashrrev_i32_e32 v17, 31, v17
	v_and_b32_e32 v21, v21, v22
	;; [unrolled: 8-line block ×5, first 2 shown]
	v_xor_b32_e32 v22, vcc_hi, v17
	v_xor_b32_e32 v17, vcc_lo, v17
	v_and_b32_e32 v21, v21, v22
	v_and_b32_e32 v22, v19, v17
	v_lshlrev_b32_e32 v17, 24, v18
	v_cmp_gt_i64_e32 vcc, 0, v[16:17]
	v_not_b32_e32 v17, v17
	v_ashrrev_i32_e32 v17, 31, v17
	v_xor_b32_e32 v18, vcc_hi, v17
	v_xor_b32_e32 v17, vcc_lo, v17
	; wave barrier
	ds_read_b32 v71, v72 offset:32
	v_and_b32_e32 v19, v21, v18
	v_and_b32_e32 v18, v22, v17
	v_mbcnt_lo_u32_b32 v17, v18, 0
	v_mbcnt_hi_u32_b32 v73, v19, v17
	v_cmp_eq_u32_e32 vcc, 0, v73
	v_cmp_ne_u64_e64 s[16:17], 0, v[18:19]
	s_and_b64 s[20:21], s[16:17], vcc
	; wave barrier
	s_and_saveexec_b64 s[16:17], s[20:21]
	s_cbranch_execz .LBB225_93
; %bb.92:
	v_bcnt_u32_b32 v17, v18, 0
	v_bcnt_u32_b32 v17, v19, v17
	s_waitcnt lgkmcnt(0)
	v_add_u32_e32 v17, v71, v17
	ds_write_b32 v72, v17 offset:32
.LBB225_93:
	s_or_b64 exec, exec, s[16:17]
	v_cmp_ne_u16_e32 vcc, s19, v28
	v_cndmask_b32_e32 v17, v20, v28, vcc
	v_and_b32_sdwa v18, s18, v17 dst_sel:DWORD dst_unused:UNUSED_PAD src0_sel:DWORD src1_sel:WORD_0
	v_lshlrev_b32_e32 v17, 3, v18
	v_add_lshl_u32 v75, v24, v17, 2
	v_and_b32_e32 v17, 1, v18
	v_add_co_u32_e32 v19, vcc, -1, v17
	v_addc_co_u32_e64 v20, s[16:17], 0, -1, vcc
	v_cmp_ne_u32_e32 vcc, 0, v17
	v_xor_b32_e32 v17, vcc_hi, v20
	v_and_b32_e32 v20, exec_hi, v17
	v_lshlrev_b32_e32 v17, 30, v18
	v_xor_b32_e32 v19, vcc_lo, v19
	v_cmp_gt_i64_e32 vcc, 0, v[16:17]
	v_not_b32_e32 v17, v17
	v_ashrrev_i32_e32 v17, 31, v17
	v_and_b32_e32 v19, exec_lo, v19
	v_xor_b32_e32 v21, vcc_hi, v17
	v_xor_b32_e32 v17, vcc_lo, v17
	v_and_b32_e32 v19, v19, v17
	v_lshlrev_b32_e32 v17, 29, v18
	v_cmp_gt_i64_e32 vcc, 0, v[16:17]
	v_not_b32_e32 v17, v17
	v_ashrrev_i32_e32 v17, 31, v17
	v_and_b32_e32 v20, v20, v21
	v_xor_b32_e32 v21, vcc_hi, v17
	v_xor_b32_e32 v17, vcc_lo, v17
	v_and_b32_e32 v19, v19, v17
	v_lshlrev_b32_e32 v17, 28, v18
	v_cmp_gt_i64_e32 vcc, 0, v[16:17]
	v_not_b32_e32 v17, v17
	v_ashrrev_i32_e32 v17, 31, v17
	v_and_b32_e32 v20, v20, v21
	;; [unrolled: 8-line block ×5, first 2 shown]
	v_xor_b32_e32 v21, vcc_hi, v17
	v_xor_b32_e32 v17, vcc_lo, v17
	v_and_b32_e32 v19, v19, v17
	v_lshlrev_b32_e32 v17, 24, v18
	v_cmp_gt_i64_e32 vcc, 0, v[16:17]
	v_not_b32_e32 v16, v17
	v_ashrrev_i32_e32 v16, 31, v16
	v_xor_b32_e32 v17, vcc_hi, v16
	v_xor_b32_e32 v16, vcc_lo, v16
	; wave barrier
	ds_read_b32 v74, v75 offset:32
	v_and_b32_e32 v20, v20, v21
	v_and_b32_e32 v16, v19, v16
	;; [unrolled: 1-line block ×3, first 2 shown]
	v_mbcnt_lo_u32_b32 v18, v16, 0
	v_mbcnt_hi_u32_b32 v76, v17, v18
	v_cmp_eq_u32_e32 vcc, 0, v76
	v_cmp_ne_u64_e64 s[16:17], 0, v[16:17]
	s_and_b64 s[20:21], s[16:17], vcc
	; wave barrier
	s_and_saveexec_b64 s[16:17], s[20:21]
	s_cbranch_execz .LBB225_95
; %bb.94:
	v_bcnt_u32_b32 v16, v16, 0
	v_bcnt_u32_b32 v16, v17, v16
	s_waitcnt lgkmcnt(0)
	v_add_u32_e32 v16, v74, v16
	ds_write_b32 v75, v16 offset:32
.LBB225_95:
	s_or_b64 exec, exec, s[16:17]
	v_mov_b32_e32 v20, 0x7fff
	v_cmp_ne_u16_e32 vcc, s19, v27
	v_cndmask_b32_e32 v16, v20, v27, vcc
	v_and_b32_sdwa v18, s18, v16 dst_sel:DWORD dst_unused:UNUSED_PAD src0_sel:DWORD src1_sel:WORD_0
	v_and_b32_e32 v17, 1, v18
	v_add_co_u32_e32 v19, vcc, -1, v17
	v_addc_co_u32_e64 v21, s[16:17], 0, -1, vcc
	v_cmp_ne_u32_e32 vcc, 0, v17
	v_lshlrev_b32_e32 v16, 3, v18
	v_xor_b32_e32 v17, vcc_hi, v21
	v_add_lshl_u32 v78, v24, v16, 2
	v_mov_b32_e32 v16, 0
	v_and_b32_e32 v21, exec_hi, v17
	v_lshlrev_b32_e32 v17, 30, v18
	v_xor_b32_e32 v19, vcc_lo, v19
	v_cmp_gt_i64_e32 vcc, 0, v[16:17]
	v_not_b32_e32 v17, v17
	v_ashrrev_i32_e32 v17, 31, v17
	v_and_b32_e32 v19, exec_lo, v19
	v_xor_b32_e32 v22, vcc_hi, v17
	v_xor_b32_e32 v17, vcc_lo, v17
	v_and_b32_e32 v19, v19, v17
	v_lshlrev_b32_e32 v17, 29, v18
	v_cmp_gt_i64_e32 vcc, 0, v[16:17]
	v_not_b32_e32 v17, v17
	v_ashrrev_i32_e32 v17, 31, v17
	v_and_b32_e32 v21, v21, v22
	v_xor_b32_e32 v22, vcc_hi, v17
	v_xor_b32_e32 v17, vcc_lo, v17
	v_and_b32_e32 v19, v19, v17
	v_lshlrev_b32_e32 v17, 28, v18
	v_cmp_gt_i64_e32 vcc, 0, v[16:17]
	v_not_b32_e32 v17, v17
	v_ashrrev_i32_e32 v17, 31, v17
	v_and_b32_e32 v21, v21, v22
	;; [unrolled: 8-line block ×5, first 2 shown]
	v_xor_b32_e32 v22, vcc_hi, v17
	v_xor_b32_e32 v17, vcc_lo, v17
	v_and_b32_e32 v21, v21, v22
	v_and_b32_e32 v22, v19, v17
	v_lshlrev_b32_e32 v17, 24, v18
	v_cmp_gt_i64_e32 vcc, 0, v[16:17]
	v_not_b32_e32 v17, v17
	v_ashrrev_i32_e32 v17, 31, v17
	v_xor_b32_e32 v18, vcc_hi, v17
	v_xor_b32_e32 v17, vcc_lo, v17
	; wave barrier
	ds_read_b32 v77, v78 offset:32
	v_and_b32_e32 v19, v21, v18
	v_and_b32_e32 v18, v22, v17
	v_mbcnt_lo_u32_b32 v17, v18, 0
	v_mbcnt_hi_u32_b32 v79, v19, v17
	v_cmp_eq_u32_e32 vcc, 0, v79
	v_cmp_ne_u64_e64 s[16:17], 0, v[18:19]
	s_and_b64 s[20:21], s[16:17], vcc
	; wave barrier
	s_and_saveexec_b64 s[16:17], s[20:21]
	s_cbranch_execz .LBB225_97
; %bb.96:
	v_bcnt_u32_b32 v17, v18, 0
	v_bcnt_u32_b32 v17, v19, v17
	s_waitcnt lgkmcnt(0)
	v_add_u32_e32 v17, v77, v17
	ds_write_b32 v78, v17 offset:32
.LBB225_97:
	s_or_b64 exec, exec, s[16:17]
	v_cmp_ne_u16_e32 vcc, s19, v25
	v_cndmask_b32_e32 v17, v20, v25, vcc
	v_and_b32_sdwa v18, s18, v17 dst_sel:DWORD dst_unused:UNUSED_PAD src0_sel:DWORD src1_sel:WORD_0
	v_lshlrev_b32_e32 v17, 3, v18
	v_add_lshl_u32 v81, v24, v17, 2
	v_and_b32_e32 v17, 1, v18
	v_add_co_u32_e32 v19, vcc, -1, v17
	v_addc_co_u32_e64 v20, s[16:17], 0, -1, vcc
	v_cmp_ne_u32_e32 vcc, 0, v17
	v_xor_b32_e32 v17, vcc_hi, v20
	v_and_b32_e32 v20, exec_hi, v17
	v_lshlrev_b32_e32 v17, 30, v18
	v_xor_b32_e32 v19, vcc_lo, v19
	v_cmp_gt_i64_e32 vcc, 0, v[16:17]
	v_not_b32_e32 v17, v17
	v_ashrrev_i32_e32 v17, 31, v17
	v_and_b32_e32 v19, exec_lo, v19
	v_xor_b32_e32 v21, vcc_hi, v17
	v_xor_b32_e32 v17, vcc_lo, v17
	v_and_b32_e32 v19, v19, v17
	v_lshlrev_b32_e32 v17, 29, v18
	v_cmp_gt_i64_e32 vcc, 0, v[16:17]
	v_not_b32_e32 v17, v17
	v_ashrrev_i32_e32 v17, 31, v17
	v_and_b32_e32 v20, v20, v21
	v_xor_b32_e32 v21, vcc_hi, v17
	v_xor_b32_e32 v17, vcc_lo, v17
	v_and_b32_e32 v19, v19, v17
	v_lshlrev_b32_e32 v17, 28, v18
	v_cmp_gt_i64_e32 vcc, 0, v[16:17]
	v_not_b32_e32 v17, v17
	v_ashrrev_i32_e32 v17, 31, v17
	v_and_b32_e32 v20, v20, v21
	;; [unrolled: 8-line block ×5, first 2 shown]
	v_xor_b32_e32 v21, vcc_hi, v17
	v_xor_b32_e32 v17, vcc_lo, v17
	v_and_b32_e32 v19, v19, v17
	v_lshlrev_b32_e32 v17, 24, v18
	v_cmp_gt_i64_e32 vcc, 0, v[16:17]
	v_not_b32_e32 v16, v17
	v_ashrrev_i32_e32 v16, 31, v16
	v_xor_b32_e32 v17, vcc_hi, v16
	v_xor_b32_e32 v16, vcc_lo, v16
	; wave barrier
	ds_read_b32 v80, v81 offset:32
	v_and_b32_e32 v20, v20, v21
	v_and_b32_e32 v16, v19, v16
	;; [unrolled: 1-line block ×3, first 2 shown]
	v_mbcnt_lo_u32_b32 v18, v16, 0
	v_mbcnt_hi_u32_b32 v82, v17, v18
	v_cmp_eq_u32_e32 vcc, 0, v82
	v_cmp_ne_u64_e64 s[16:17], 0, v[16:17]
	v_add_u32_e32 v22, 32, v64
	v_lshrrev_b32_e32 v23, 6, v46
	v_min_u32_e32 v34, 0x1c0, v34
	s_and_b64 s[18:19], s[16:17], vcc
	; wave barrier
	s_and_saveexec_b64 s[16:17], s[18:19]
	s_cbranch_execz .LBB225_99
; %bb.98:
	v_bcnt_u32_b32 v16, v16, 0
	v_bcnt_u32_b32 v16, v17, v16
	s_waitcnt lgkmcnt(0)
	v_add_u32_e32 v16, v80, v16
	ds_write_b32 v81, v16 offset:32
.LBB225_99:
	s_or_b64 exec, exec, s[16:17]
	; wave barrier
	s_waitcnt lgkmcnt(0)
	s_barrier
	ds_read2_b32 v[18:19], v64 offset0:8 offset1:9
	ds_read2_b32 v[20:21], v22 offset0:2 offset1:3
	v_and_b32_e32 v17, 16, v26
	v_cmp_eq_u32_e32 vcc, 0, v17
	v_or_b32_e32 v17, 63, v34
	v_cmp_eq_u32_e64 s[16:17], v17, v46
	s_waitcnt lgkmcnt(1)
	v_add_u32_e32 v17, v19, v18
	v_and_b32_e32 v16, 15, v26
	s_waitcnt lgkmcnt(0)
	v_add3_u32 v17, v17, v20, v21
	v_cmp_eq_u32_e64 s[24:25], 0, v16
	v_cmp_lt_u32_e64 s[26:27], 1, v16
	v_mov_b32_dpp v21, v17 row_shr:1 row_mask:0xf bank_mask:0xf
	v_cndmask_b32_e64 v21, v21, 0, s[24:25]
	v_add_u32_e32 v17, v21, v17
	v_cmp_lt_u32_e64 s[30:31], 3, v16
	v_cmp_lt_u32_e64 s[34:35], 7, v16
	v_mov_b32_dpp v21, v17 row_shr:2 row_mask:0xf bank_mask:0xf
	v_cndmask_b32_e64 v21, 0, v21, s[26:27]
	v_add_u32_e32 v17, v17, v21
	v_bfe_i32 v35, v26, 4, 1
	v_cmp_lt_u32_e64 s[36:37], 31, v26
	v_mov_b32_dpp v21, v17 row_shr:4 row_mask:0xf bank_mask:0xf
	v_cndmask_b32_e64 v21, 0, v21, s[30:31]
	v_add_u32_e32 v17, v17, v21
	v_lshlrev_b32_e32 v23, 2, v23
	s_nop 0
	v_mov_b32_dpp v21, v17 row_shr:8 row_mask:0xf bank_mask:0xf
	v_cndmask_b32_e64 v16, 0, v21, s[34:35]
	v_add_u32_e32 v16, v17, v16
	s_nop 1
	v_mov_b32_dpp v17, v16 row_bcast:15 row_mask:0xf bank_mask:0xf
	v_and_b32_e32 v17, v35, v17
	v_add_u32_e32 v16, v16, v17
	s_nop 1
	v_mov_b32_dpp v17, v16 row_bcast:31 row_mask:0xf bank_mask:0xf
	v_cndmask_b32_e64 v17, 0, v17, s[36:37]
	v_add_u32_e32 v17, v16, v17
	s_and_saveexec_b64 s[18:19], s[16:17]
	s_cbranch_execz .LBB225_101
; %bb.100:
	ds_write_b32 v23, v17
.LBB225_101:
	s_or_b64 exec, exec, s[18:19]
	v_and_b32_e32 v16, 7, v26
	v_cmp_gt_u32_e64 s[28:29], 8, v46
	v_lshlrev_b32_e32 v21, 2, v46
	v_cmp_eq_u32_e64 s[22:23], 0, v16
	v_cmp_lt_u32_e64 s[20:21], 1, v16
	v_cmp_lt_u32_e64 s[18:19], 3, v16
	s_waitcnt lgkmcnt(0)
	s_barrier
	s_and_saveexec_b64 s[38:39], s[28:29]
	s_cbranch_execz .LBB225_103
; %bb.102:
	ds_read_b32 v16, v21
	s_waitcnt lgkmcnt(0)
	s_nop 0
	v_mov_b32_dpp v34, v16 row_shr:1 row_mask:0xf bank_mask:0xf
	v_cndmask_b32_e64 v34, v34, 0, s[22:23]
	v_add_u32_e32 v16, v34, v16
	s_nop 1
	v_mov_b32_dpp v34, v16 row_shr:2 row_mask:0xf bank_mask:0xf
	v_cndmask_b32_e64 v34, 0, v34, s[20:21]
	v_add_u32_e32 v16, v16, v34
	s_nop 1
	v_mov_b32_dpp v34, v16 row_shr:4 row_mask:0xf bank_mask:0xf
	v_cndmask_b32_e64 v34, 0, v34, s[18:19]
	v_add_u32_e32 v16, v16, v34
	ds_write_b32 v21, v16
.LBB225_103:
	s_or_b64 exec, exec, s[38:39]
	v_cmp_lt_u32_e64 s[38:39], 63, v46
	v_add_u32_e32 v34, -4, v23
	v_mov_b32_e32 v16, 0
	v_mov_b32_e32 v83, 0
	s_waitcnt lgkmcnt(0)
	s_barrier
	s_and_saveexec_b64 s[40:41], s[38:39]
	s_cbranch_execz .LBB225_105
; %bb.104:
	ds_read_b32 v83, v34
.LBB225_105:
	s_or_b64 exec, exec, s[40:41]
	v_add_u32_e32 v35, -1, v26
	v_and_b32_e32 v84, 64, v26
	v_cmp_lt_i32_e64 s[40:41], v35, v84
	v_cndmask_b32_e64 v35, v35, v26, s[40:41]
	v_lshlrev_b32_e32 v35, 2, v35
	s_waitcnt lgkmcnt(0)
	v_add_u32_e32 v17, v83, v17
	ds_bpermute_b32 v17, v35, v17
	v_cmp_eq_u32_e64 s[40:41], 0, v26
	v_cmp_eq_u32_e64 s[42:43], 0, v46
	v_and_or_b32 v36, v26, 63, v36
	v_lshlrev_b32_e32 v84, 1, v36
	s_waitcnt lgkmcnt(0)
	v_cndmask_b32_e64 v17, v17, v83, s[40:41]
	v_cndmask_b32_e64 v17, v17, 0, s[42:43]
	v_add_u32_e32 v18, v17, v18
	v_add_u32_e32 v19, v18, v19
	;; [unrolled: 1-line block ×3, first 2 shown]
	ds_write2_b32 v64, v17, v18 offset0:8 offset1:9
	ds_write2_b32 v22, v19, v20 offset0:2 offset1:3
	s_waitcnt lgkmcnt(0)
	s_barrier
	ds_read_b32 v17, v37 offset:32
	ds_read_b32 v18, v40 offset:32
	;; [unrolled: 1-line block ×8, first 2 shown]
	s_waitcnt lgkmcnt(7)
	v_add_u32_e32 v17, v17, v38
	s_waitcnt lgkmcnt(6)
	v_add3_u32 v18, v41, v39, v18
	s_waitcnt lgkmcnt(4)
	v_add3_u32 v38, v70, v68, v20
	v_lshlrev_b32_e32 v20, 1, v17
	v_add3_u32 v19, v67, v65, v19
	s_waitcnt lgkmcnt(0)
	s_barrier
	ds_write_b16 v20, v33
	v_lshlrev_b32_e32 v20, 1, v18
	ds_write_b16 v20, v32
	v_lshlrev_b32_e32 v20, 1, v19
	v_add3_u32 v39, v73, v71, v26
	ds_write_b16 v20, v31
	v_lshlrev_b32_e32 v20, 1, v38
	v_add3_u32 v37, v76, v74, v37
	ds_write_b16 v20, v30
	v_lshlrev_b32_e32 v20, 1, v39
	v_add3_u32 v40, v79, v77, v40
	ds_write_b16 v20, v29
	v_lshlrev_b32_e32 v20, 1, v37
	v_add3_u32 v41, v82, v80, v46
	ds_write_b16 v20, v28
	v_lshlrev_b32_e32 v20, 1, v40
	ds_write_b16 v20, v27
	v_lshlrev_b32_e32 v20, 1, v41
	v_lshlrev_b32_e32 v17, 3, v17
	s_min_u32 s44, s44, 8
	ds_write_b16 v20, v25
	s_waitcnt lgkmcnt(0)
	s_barrier
	ds_read_u16 v31, v84
	ds_read_u16 v30, v84 offset:128
	ds_read_u16 v29, v84 offset:256
	;; [unrolled: 1-line block ×7, first 2 shown]
	s_waitcnt lgkmcnt(0)
	s_barrier
	ds_write_b64 v17, v[12:13]
	v_lshlrev_b32_e32 v12, 3, v18
	s_lshl_b32 s44, -1, s44
	s_movk_i32 s54, 0x8000
	ds_write_b64 v12, v[14:15]
	v_lshlrev_b32_e32 v12, 3, v19
	s_not_b32 s53, s44
	v_lshrrev_b16_e32 v17, 8, v31
	v_mov_b32_e32 v18, 0x7f
	v_cmp_ne_u16_e64 s[44:45], s54, v31
	ds_write_b64 v12, v[8:9]
	v_lshlrev_b32_e32 v8, 3, v38
	v_cndmask_b32_e64 v17, v18, v17, s[44:45]
	ds_write_b64 v8, v[10:11]
	v_lshlrev_b32_e32 v8, 3, v39
	v_and_b32_sdwa v19, v17, s53 dst_sel:DWORD dst_unused:UNUSED_PAD src0_sel:WORD_0 src1_sel:DWORD
	ds_write_b64 v8, v[4:5]
	v_lshlrev_b32_e32 v4, 3, v37
	v_lshlrev_b32_e32 v17, 3, v19
	ds_write_b64 v4, v[6:7]
	v_lshlrev_b32_e32 v4, 3, v40
	v_add_lshl_u32 v32, v17, v24, 2
	v_and_b32_e32 v17, 1, v19
	v_lshlrev_b32_e32 v36, 3, v36
	ds_write_b64 v4, v[0:1]
	v_lshlrev_b32_e32 v0, 3, v41
	v_add_co_u32_e64 v33, s[44:45], -1, v17
	ds_write_b64 v0, v[2:3]
	s_waitcnt lgkmcnt(0)
	s_barrier
	ds_read2st64_b64 v[12:15], v36 offset1:1
	ds_read2st64_b64 v[8:11], v36 offset0:2 offset1:3
	ds_read2st64_b64 v[4:7], v36 offset0:4 offset1:5
	ds_read2st64_b64 v[0:3], v36 offset0:6 offset1:7
	v_addc_co_u32_e64 v36, s[44:45], 0, -1, s[44:45]
	v_cmp_ne_u32_e64 s[44:45], 0, v17
	v_xor_b32_e32 v17, s45, v36
	v_and_b32_e32 v36, exec_hi, v17
	v_lshlrev_b32_e32 v17, 30, v19
	v_xor_b32_e32 v33, s44, v33
	v_cmp_gt_i64_e64 s[44:45], 0, v[16:17]
	v_not_b32_e32 v17, v17
	v_ashrrev_i32_e32 v17, 31, v17
	v_and_b32_e32 v33, exec_lo, v33
	v_xor_b32_e32 v37, s45, v17
	v_xor_b32_e32 v17, s44, v17
	v_and_b32_e32 v33, v33, v17
	v_lshlrev_b32_e32 v17, 29, v19
	v_cmp_gt_i64_e64 s[44:45], 0, v[16:17]
	v_not_b32_e32 v17, v17
	v_ashrrev_i32_e32 v17, 31, v17
	v_and_b32_e32 v36, v36, v37
	v_xor_b32_e32 v37, s45, v17
	v_xor_b32_e32 v17, s44, v17
	v_and_b32_e32 v33, v33, v17
	v_lshlrev_b32_e32 v17, 28, v19
	v_cmp_gt_i64_e64 s[44:45], 0, v[16:17]
	v_not_b32_e32 v17, v17
	v_ashrrev_i32_e32 v17, 31, v17
	v_and_b32_e32 v36, v36, v37
	;; [unrolled: 8-line block ×5, first 2 shown]
	v_xor_b32_e32 v37, s45, v17
	v_xor_b32_e32 v17, s44, v17
	v_and_b32_e32 v33, v33, v17
	v_lshlrev_b32_e32 v17, 24, v19
	s_waitcnt lgkmcnt(0)
	s_barrier
	ds_write2_b32 v64, v16, v16 offset0:8 offset1:9
	ds_write2_b32 v22, v16, v16 offset0:2 offset1:3
	v_cmp_gt_i64_e64 s[44:45], 0, v[16:17]
	v_not_b32_e32 v16, v17
	v_ashrrev_i32_e32 v16, 31, v16
	v_xor_b32_e32 v17, s45, v16
	v_xor_b32_e32 v16, s44, v16
	v_and_b32_e32 v36, v36, v37
	v_and_b32_e32 v16, v33, v16
	;; [unrolled: 1-line block ×3, first 2 shown]
	v_mbcnt_lo_u32_b32 v19, v16, 0
	v_mbcnt_hi_u32_b32 v33, v17, v19
	v_cmp_eq_u32_e64 s[44:45], 0, v33
	v_cmp_ne_u64_e64 s[46:47], 0, v[16:17]
	s_and_b64 s[46:47], s[46:47], s[44:45]
	s_waitcnt lgkmcnt(0)
	s_barrier
	s_waitcnt lgkmcnt(0)
	; wave barrier
	s_and_saveexec_b64 s[44:45], s[46:47]
	s_cbranch_execz .LBB225_107
; %bb.106:
	v_bcnt_u32_b32 v16, v16, 0
	v_bcnt_u32_b32 v16, v17, v16
	ds_write_b32 v32, v16 offset:32
.LBB225_107:
	s_or_b64 exec, exec, s[44:45]
	v_lshrrev_b16_e32 v16, 8, v30
	v_cmp_ne_u16_e64 s[44:45], s54, v30
	v_cndmask_b32_e64 v16, v18, v16, s[44:45]
	v_and_b32_e32 v18, s53, v16
	v_and_b32_e32 v17, 1, v18
	v_add_co_u32_e64 v19, s[44:45], -1, v17
	v_addc_co_u32_e64 v38, s[44:45], 0, -1, s[44:45]
	v_cmp_ne_u32_e64 s[44:45], 0, v17
	v_lshlrev_b32_e32 v16, 3, v18
	v_xor_b32_e32 v17, s45, v38
	v_add_lshl_u32 v37, v16, v24, 2
	v_mov_b32_e32 v16, 0
	v_and_b32_e32 v38, exec_hi, v17
	v_lshlrev_b32_e32 v17, 30, v18
	v_xor_b32_e32 v19, s44, v19
	v_cmp_gt_i64_e64 s[44:45], 0, v[16:17]
	v_not_b32_e32 v17, v17
	v_ashrrev_i32_e32 v17, 31, v17
	v_and_b32_e32 v19, exec_lo, v19
	v_xor_b32_e32 v39, s45, v17
	v_xor_b32_e32 v17, s44, v17
	v_and_b32_e32 v19, v19, v17
	v_lshlrev_b32_e32 v17, 29, v18
	v_cmp_gt_i64_e64 s[44:45], 0, v[16:17]
	v_not_b32_e32 v17, v17
	v_ashrrev_i32_e32 v17, 31, v17
	v_and_b32_e32 v38, v38, v39
	v_xor_b32_e32 v39, s45, v17
	v_xor_b32_e32 v17, s44, v17
	v_and_b32_e32 v19, v19, v17
	v_lshlrev_b32_e32 v17, 28, v18
	v_cmp_gt_i64_e64 s[44:45], 0, v[16:17]
	v_not_b32_e32 v17, v17
	v_ashrrev_i32_e32 v17, 31, v17
	v_and_b32_e32 v38, v38, v39
	v_xor_b32_e32 v39, s45, v17
	v_xor_b32_e32 v17, s44, v17
	v_and_b32_e32 v19, v19, v17
	v_lshlrev_b32_e32 v17, 27, v18
	v_cmp_gt_i64_e64 s[44:45], 0, v[16:17]
	v_not_b32_e32 v17, v17
	v_ashrrev_i32_e32 v17, 31, v17
	v_and_b32_e32 v38, v38, v39
	v_xor_b32_e32 v39, s45, v17
	v_xor_b32_e32 v17, s44, v17
	v_and_b32_e32 v19, v19, v17
	v_lshlrev_b32_e32 v17, 26, v18
	v_cmp_gt_i64_e64 s[44:45], 0, v[16:17]
	v_not_b32_e32 v17, v17
	v_ashrrev_i32_e32 v17, 31, v17
	v_and_b32_e32 v38, v38, v39
	v_xor_b32_e32 v39, s45, v17
	v_xor_b32_e32 v17, s44, v17
	v_and_b32_e32 v19, v19, v17
	v_lshlrev_b32_e32 v17, 25, v18
	v_cmp_gt_i64_e64 s[44:45], 0, v[16:17]
	v_not_b32_e32 v17, v17
	v_ashrrev_i32_e32 v17, 31, v17
	v_and_b32_e32 v38, v38, v39
	v_xor_b32_e32 v39, s45, v17
	v_xor_b32_e32 v17, s44, v17
	v_and_b32_e32 v38, v38, v39
	v_and_b32_e32 v39, v19, v17
	v_lshlrev_b32_e32 v17, 24, v18
	v_cmp_gt_i64_e64 s[44:45], 0, v[16:17]
	v_not_b32_e32 v17, v17
	v_ashrrev_i32_e32 v17, 31, v17
	v_xor_b32_e32 v18, s45, v17
	v_xor_b32_e32 v17, s44, v17
	; wave barrier
	ds_read_b32 v36, v37 offset:32
	v_and_b32_e32 v19, v38, v18
	v_and_b32_e32 v18, v39, v17
	v_mbcnt_lo_u32_b32 v17, v18, 0
	v_mbcnt_hi_u32_b32 v38, v19, v17
	v_cmp_eq_u32_e64 s[44:45], 0, v38
	v_cmp_ne_u64_e64 s[46:47], 0, v[18:19]
	s_and_b64 s[46:47], s[46:47], s[44:45]
	; wave barrier
	s_and_saveexec_b64 s[44:45], s[46:47]
	s_cbranch_execz .LBB225_109
; %bb.108:
	v_bcnt_u32_b32 v17, v18, 0
	v_bcnt_u32_b32 v17, v19, v17
	s_waitcnt lgkmcnt(0)
	v_add_u32_e32 v17, v36, v17
	ds_write_b32 v37, v17 offset:32
.LBB225_109:
	s_or_b64 exec, exec, s[44:45]
	v_lshrrev_b16_e32 v17, 8, v29
	v_mov_b32_e32 v18, 0x7f
	v_cmp_ne_u16_e64 s[44:45], s54, v29
	v_cndmask_b32_e64 v17, v18, v17, s[44:45]
	v_and_b32_e32 v19, s53, v17
	v_lshlrev_b32_e32 v17, 3, v19
	v_add_lshl_u32 v40, v17, v24, 2
	v_and_b32_e32 v17, 1, v19
	v_add_co_u32_e64 v41, s[44:45], -1, v17
	v_addc_co_u32_e64 v46, s[44:45], 0, -1, s[44:45]
	v_cmp_ne_u32_e64 s[44:45], 0, v17
	v_xor_b32_e32 v17, s45, v46
	v_and_b32_e32 v46, exec_hi, v17
	v_lshlrev_b32_e32 v17, 30, v19
	v_xor_b32_e32 v41, s44, v41
	v_cmp_gt_i64_e64 s[44:45], 0, v[16:17]
	v_not_b32_e32 v17, v17
	v_ashrrev_i32_e32 v17, 31, v17
	v_and_b32_e32 v41, exec_lo, v41
	v_xor_b32_e32 v65, s45, v17
	v_xor_b32_e32 v17, s44, v17
	v_and_b32_e32 v41, v41, v17
	v_lshlrev_b32_e32 v17, 29, v19
	v_cmp_gt_i64_e64 s[44:45], 0, v[16:17]
	v_not_b32_e32 v17, v17
	v_ashrrev_i32_e32 v17, 31, v17
	v_and_b32_e32 v46, v46, v65
	v_xor_b32_e32 v65, s45, v17
	v_xor_b32_e32 v17, s44, v17
	v_and_b32_e32 v41, v41, v17
	v_lshlrev_b32_e32 v17, 28, v19
	v_cmp_gt_i64_e64 s[44:45], 0, v[16:17]
	v_not_b32_e32 v17, v17
	v_ashrrev_i32_e32 v17, 31, v17
	v_and_b32_e32 v46, v46, v65
	;; [unrolled: 8-line block ×5, first 2 shown]
	v_xor_b32_e32 v65, s45, v17
	v_xor_b32_e32 v17, s44, v17
	v_and_b32_e32 v41, v41, v17
	v_lshlrev_b32_e32 v17, 24, v19
	v_cmp_gt_i64_e64 s[44:45], 0, v[16:17]
	v_not_b32_e32 v16, v17
	v_ashrrev_i32_e32 v16, 31, v16
	v_xor_b32_e32 v17, s45, v16
	v_xor_b32_e32 v16, s44, v16
	; wave barrier
	ds_read_b32 v39, v40 offset:32
	v_and_b32_e32 v46, v46, v65
	v_and_b32_e32 v16, v41, v16
	;; [unrolled: 1-line block ×3, first 2 shown]
	v_mbcnt_lo_u32_b32 v19, v16, 0
	v_mbcnt_hi_u32_b32 v41, v17, v19
	v_cmp_eq_u32_e64 s[44:45], 0, v41
	v_cmp_ne_u64_e64 s[46:47], 0, v[16:17]
	s_and_b64 s[46:47], s[46:47], s[44:45]
	; wave barrier
	s_and_saveexec_b64 s[44:45], s[46:47]
	s_cbranch_execz .LBB225_111
; %bb.110:
	v_bcnt_u32_b32 v16, v16, 0
	v_bcnt_u32_b32 v16, v17, v16
	s_waitcnt lgkmcnt(0)
	v_add_u32_e32 v16, v39, v16
	ds_write_b32 v40, v16 offset:32
.LBB225_111:
	s_or_b64 exec, exec, s[44:45]
	v_lshrrev_b16_e32 v16, 8, v28
	v_cmp_ne_u16_e64 s[44:45], s54, v28
	v_cndmask_b32_e64 v16, v18, v16, s[44:45]
	v_and_b32_e32 v18, s53, v16
	v_and_b32_e32 v17, 1, v18
	v_add_co_u32_e64 v19, s[44:45], -1, v17
	v_addc_co_u32_e64 v66, s[44:45], 0, -1, s[44:45]
	v_cmp_ne_u32_e64 s[44:45], 0, v17
	v_lshlrev_b32_e32 v16, 3, v18
	v_xor_b32_e32 v17, s45, v66
	v_add_lshl_u32 v65, v16, v24, 2
	v_mov_b32_e32 v16, 0
	v_and_b32_e32 v66, exec_hi, v17
	v_lshlrev_b32_e32 v17, 30, v18
	v_xor_b32_e32 v19, s44, v19
	v_cmp_gt_i64_e64 s[44:45], 0, v[16:17]
	v_not_b32_e32 v17, v17
	v_ashrrev_i32_e32 v17, 31, v17
	v_and_b32_e32 v19, exec_lo, v19
	v_xor_b32_e32 v67, s45, v17
	v_xor_b32_e32 v17, s44, v17
	v_and_b32_e32 v19, v19, v17
	v_lshlrev_b32_e32 v17, 29, v18
	v_cmp_gt_i64_e64 s[44:45], 0, v[16:17]
	v_not_b32_e32 v17, v17
	v_ashrrev_i32_e32 v17, 31, v17
	v_and_b32_e32 v66, v66, v67
	v_xor_b32_e32 v67, s45, v17
	v_xor_b32_e32 v17, s44, v17
	v_and_b32_e32 v19, v19, v17
	v_lshlrev_b32_e32 v17, 28, v18
	v_cmp_gt_i64_e64 s[44:45], 0, v[16:17]
	v_not_b32_e32 v17, v17
	v_ashrrev_i32_e32 v17, 31, v17
	v_and_b32_e32 v66, v66, v67
	;; [unrolled: 8-line block ×5, first 2 shown]
	v_xor_b32_e32 v67, s45, v17
	v_xor_b32_e32 v17, s44, v17
	v_and_b32_e32 v66, v66, v67
	v_and_b32_e32 v67, v19, v17
	v_lshlrev_b32_e32 v17, 24, v18
	v_cmp_gt_i64_e64 s[44:45], 0, v[16:17]
	v_not_b32_e32 v17, v17
	v_ashrrev_i32_e32 v17, 31, v17
	v_xor_b32_e32 v18, s45, v17
	v_xor_b32_e32 v17, s44, v17
	; wave barrier
	ds_read_b32 v46, v65 offset:32
	v_and_b32_e32 v19, v66, v18
	v_and_b32_e32 v18, v67, v17
	v_mbcnt_lo_u32_b32 v17, v18, 0
	v_mbcnt_hi_u32_b32 v66, v19, v17
	v_cmp_eq_u32_e64 s[44:45], 0, v66
	v_cmp_ne_u64_e64 s[46:47], 0, v[18:19]
	s_and_b64 s[46:47], s[46:47], s[44:45]
	; wave barrier
	s_and_saveexec_b64 s[44:45], s[46:47]
	s_cbranch_execz .LBB225_113
; %bb.112:
	v_bcnt_u32_b32 v17, v18, 0
	v_bcnt_u32_b32 v17, v19, v17
	s_waitcnt lgkmcnt(0)
	v_add_u32_e32 v17, v46, v17
	ds_write_b32 v65, v17 offset:32
.LBB225_113:
	s_or_b64 exec, exec, s[44:45]
	v_lshrrev_b16_e32 v17, 8, v27
	v_mov_b32_e32 v18, 0x7f
	v_cmp_ne_u16_e64 s[44:45], s54, v27
	v_cndmask_b32_e64 v17, v18, v17, s[44:45]
	v_and_b32_e32 v19, s53, v17
	v_lshlrev_b32_e32 v17, 3, v19
	v_add_lshl_u32 v68, v17, v24, 2
	v_and_b32_e32 v17, 1, v19
	v_add_co_u32_e64 v69, s[44:45], -1, v17
	v_addc_co_u32_e64 v70, s[44:45], 0, -1, s[44:45]
	v_cmp_ne_u32_e64 s[44:45], 0, v17
	v_xor_b32_e32 v17, s45, v70
	v_and_b32_e32 v70, exec_hi, v17
	v_lshlrev_b32_e32 v17, 30, v19
	v_xor_b32_e32 v69, s44, v69
	v_cmp_gt_i64_e64 s[44:45], 0, v[16:17]
	v_not_b32_e32 v17, v17
	v_ashrrev_i32_e32 v17, 31, v17
	v_and_b32_e32 v69, exec_lo, v69
	v_xor_b32_e32 v71, s45, v17
	v_xor_b32_e32 v17, s44, v17
	v_and_b32_e32 v69, v69, v17
	v_lshlrev_b32_e32 v17, 29, v19
	v_cmp_gt_i64_e64 s[44:45], 0, v[16:17]
	v_not_b32_e32 v17, v17
	v_ashrrev_i32_e32 v17, 31, v17
	v_and_b32_e32 v70, v70, v71
	v_xor_b32_e32 v71, s45, v17
	v_xor_b32_e32 v17, s44, v17
	v_and_b32_e32 v69, v69, v17
	v_lshlrev_b32_e32 v17, 28, v19
	v_cmp_gt_i64_e64 s[44:45], 0, v[16:17]
	v_not_b32_e32 v17, v17
	v_ashrrev_i32_e32 v17, 31, v17
	v_and_b32_e32 v70, v70, v71
	;; [unrolled: 8-line block ×5, first 2 shown]
	v_xor_b32_e32 v71, s45, v17
	v_xor_b32_e32 v17, s44, v17
	v_and_b32_e32 v69, v69, v17
	v_lshlrev_b32_e32 v17, 24, v19
	v_cmp_gt_i64_e64 s[44:45], 0, v[16:17]
	v_not_b32_e32 v16, v17
	v_ashrrev_i32_e32 v16, 31, v16
	v_xor_b32_e32 v17, s45, v16
	v_xor_b32_e32 v16, s44, v16
	; wave barrier
	ds_read_b32 v67, v68 offset:32
	v_and_b32_e32 v70, v70, v71
	v_and_b32_e32 v16, v69, v16
	;; [unrolled: 1-line block ×3, first 2 shown]
	v_mbcnt_lo_u32_b32 v19, v16, 0
	v_mbcnt_hi_u32_b32 v69, v17, v19
	v_cmp_eq_u32_e64 s[44:45], 0, v69
	v_cmp_ne_u64_e64 s[46:47], 0, v[16:17]
	s_and_b64 s[46:47], s[46:47], s[44:45]
	; wave barrier
	s_and_saveexec_b64 s[44:45], s[46:47]
	s_cbranch_execz .LBB225_115
; %bb.114:
	v_bcnt_u32_b32 v16, v16, 0
	v_bcnt_u32_b32 v16, v17, v16
	s_waitcnt lgkmcnt(0)
	v_add_u32_e32 v16, v67, v16
	ds_write_b32 v68, v16 offset:32
.LBB225_115:
	s_or_b64 exec, exec, s[44:45]
	v_lshrrev_b16_e32 v16, 8, v26
	v_cmp_ne_u16_e64 s[44:45], s54, v26
	v_cndmask_b32_e64 v16, v18, v16, s[44:45]
	v_and_b32_e32 v18, s53, v16
	v_and_b32_e32 v17, 1, v18
	v_add_co_u32_e64 v19, s[44:45], -1, v17
	v_addc_co_u32_e64 v72, s[44:45], 0, -1, s[44:45]
	v_cmp_ne_u32_e64 s[44:45], 0, v17
	v_lshlrev_b32_e32 v16, 3, v18
	v_xor_b32_e32 v17, s45, v72
	v_add_lshl_u32 v71, v16, v24, 2
	v_mov_b32_e32 v16, 0
	v_and_b32_e32 v72, exec_hi, v17
	v_lshlrev_b32_e32 v17, 30, v18
	v_xor_b32_e32 v19, s44, v19
	v_cmp_gt_i64_e64 s[44:45], 0, v[16:17]
	v_not_b32_e32 v17, v17
	v_ashrrev_i32_e32 v17, 31, v17
	v_and_b32_e32 v19, exec_lo, v19
	v_xor_b32_e32 v73, s45, v17
	v_xor_b32_e32 v17, s44, v17
	v_and_b32_e32 v19, v19, v17
	v_lshlrev_b32_e32 v17, 29, v18
	v_cmp_gt_i64_e64 s[44:45], 0, v[16:17]
	v_not_b32_e32 v17, v17
	v_ashrrev_i32_e32 v17, 31, v17
	v_and_b32_e32 v72, v72, v73
	v_xor_b32_e32 v73, s45, v17
	v_xor_b32_e32 v17, s44, v17
	v_and_b32_e32 v19, v19, v17
	v_lshlrev_b32_e32 v17, 28, v18
	v_cmp_gt_i64_e64 s[44:45], 0, v[16:17]
	v_not_b32_e32 v17, v17
	v_ashrrev_i32_e32 v17, 31, v17
	v_and_b32_e32 v72, v72, v73
	;; [unrolled: 8-line block ×5, first 2 shown]
	v_xor_b32_e32 v73, s45, v17
	v_xor_b32_e32 v17, s44, v17
	v_and_b32_e32 v72, v72, v73
	v_and_b32_e32 v73, v19, v17
	v_lshlrev_b32_e32 v17, 24, v18
	v_cmp_gt_i64_e64 s[44:45], 0, v[16:17]
	v_not_b32_e32 v17, v17
	v_ashrrev_i32_e32 v17, 31, v17
	v_xor_b32_e32 v18, s45, v17
	v_xor_b32_e32 v17, s44, v17
	; wave barrier
	ds_read_b32 v70, v71 offset:32
	v_and_b32_e32 v19, v72, v18
	v_and_b32_e32 v18, v73, v17
	v_mbcnt_lo_u32_b32 v17, v18, 0
	v_mbcnt_hi_u32_b32 v72, v19, v17
	v_cmp_eq_u32_e64 s[44:45], 0, v72
	v_cmp_ne_u64_e64 s[46:47], 0, v[18:19]
	s_and_b64 s[46:47], s[46:47], s[44:45]
	; wave barrier
	s_and_saveexec_b64 s[44:45], s[46:47]
	s_cbranch_execz .LBB225_117
; %bb.116:
	v_bcnt_u32_b32 v17, v18, 0
	v_bcnt_u32_b32 v17, v19, v17
	s_waitcnt lgkmcnt(0)
	v_add_u32_e32 v17, v70, v17
	ds_write_b32 v71, v17 offset:32
.LBB225_117:
	s_or_b64 exec, exec, s[44:45]
	v_lshrrev_b16_e32 v17, 8, v25
	v_mov_b32_e32 v18, 0x7f
	v_cmp_ne_u16_e64 s[44:45], s54, v25
	v_cndmask_b32_e64 v17, v18, v17, s[44:45]
	v_and_b32_e32 v19, s53, v17
	v_lshlrev_b32_e32 v17, 3, v19
	v_add_lshl_u32 v74, v17, v24, 2
	v_and_b32_e32 v17, 1, v19
	v_add_co_u32_e64 v75, s[44:45], -1, v17
	v_addc_co_u32_e64 v76, s[44:45], 0, -1, s[44:45]
	v_cmp_ne_u32_e64 s[44:45], 0, v17
	v_xor_b32_e32 v17, s45, v76
	v_and_b32_e32 v76, exec_hi, v17
	v_lshlrev_b32_e32 v17, 30, v19
	v_xor_b32_e32 v75, s44, v75
	v_cmp_gt_i64_e64 s[44:45], 0, v[16:17]
	v_not_b32_e32 v17, v17
	v_ashrrev_i32_e32 v17, 31, v17
	v_and_b32_e32 v75, exec_lo, v75
	v_xor_b32_e32 v77, s45, v17
	v_xor_b32_e32 v17, s44, v17
	v_and_b32_e32 v75, v75, v17
	v_lshlrev_b32_e32 v17, 29, v19
	v_cmp_gt_i64_e64 s[44:45], 0, v[16:17]
	v_not_b32_e32 v17, v17
	v_ashrrev_i32_e32 v17, 31, v17
	v_and_b32_e32 v76, v76, v77
	v_xor_b32_e32 v77, s45, v17
	v_xor_b32_e32 v17, s44, v17
	v_and_b32_e32 v75, v75, v17
	v_lshlrev_b32_e32 v17, 28, v19
	v_cmp_gt_i64_e64 s[44:45], 0, v[16:17]
	v_not_b32_e32 v17, v17
	v_ashrrev_i32_e32 v17, 31, v17
	v_and_b32_e32 v76, v76, v77
	;; [unrolled: 8-line block ×5, first 2 shown]
	v_xor_b32_e32 v77, s45, v17
	v_xor_b32_e32 v17, s44, v17
	v_and_b32_e32 v75, v75, v17
	v_lshlrev_b32_e32 v17, 24, v19
	v_cmp_gt_i64_e64 s[44:45], 0, v[16:17]
	v_not_b32_e32 v16, v17
	v_ashrrev_i32_e32 v16, 31, v16
	v_xor_b32_e32 v17, s45, v16
	v_xor_b32_e32 v16, s44, v16
	; wave barrier
	ds_read_b32 v73, v74 offset:32
	v_and_b32_e32 v76, v76, v77
	v_and_b32_e32 v16, v75, v16
	;; [unrolled: 1-line block ×3, first 2 shown]
	v_mbcnt_lo_u32_b32 v19, v16, 0
	v_mbcnt_hi_u32_b32 v75, v17, v19
	v_cmp_eq_u32_e64 s[44:45], 0, v75
	v_cmp_ne_u64_e64 s[46:47], 0, v[16:17]
	s_and_b64 s[46:47], s[46:47], s[44:45]
	; wave barrier
	s_and_saveexec_b64 s[44:45], s[46:47]
	s_cbranch_execz .LBB225_119
; %bb.118:
	v_bcnt_u32_b32 v16, v16, 0
	v_bcnt_u32_b32 v16, v17, v16
	s_waitcnt lgkmcnt(0)
	v_add_u32_e32 v16, v73, v16
	ds_write_b32 v74, v16 offset:32
.LBB225_119:
	s_or_b64 exec, exec, s[44:45]
	v_lshrrev_b16_e32 v16, 8, v20
	v_cmp_ne_u16_e64 s[44:45], s54, v20
	v_cndmask_b32_e64 v16, v18, v16, s[44:45]
	v_and_b32_e32 v18, s53, v16
	v_and_b32_e32 v17, 1, v18
	v_add_co_u32_e64 v19, s[44:45], -1, v17
	v_addc_co_u32_e64 v77, s[44:45], 0, -1, s[44:45]
	v_cmp_ne_u32_e64 s[44:45], 0, v17
	v_lshlrev_b32_e32 v16, 3, v18
	v_xor_b32_e32 v17, s45, v77
	v_add_lshl_u32 v76, v16, v24, 2
	v_mov_b32_e32 v16, 0
	v_and_b32_e32 v77, exec_hi, v17
	v_lshlrev_b32_e32 v17, 30, v18
	v_xor_b32_e32 v19, s44, v19
	v_cmp_gt_i64_e64 s[44:45], 0, v[16:17]
	v_not_b32_e32 v17, v17
	v_ashrrev_i32_e32 v17, 31, v17
	v_and_b32_e32 v19, exec_lo, v19
	v_xor_b32_e32 v78, s45, v17
	v_xor_b32_e32 v17, s44, v17
	v_and_b32_e32 v19, v19, v17
	v_lshlrev_b32_e32 v17, 29, v18
	v_cmp_gt_i64_e64 s[44:45], 0, v[16:17]
	v_not_b32_e32 v17, v17
	v_ashrrev_i32_e32 v17, 31, v17
	v_and_b32_e32 v77, v77, v78
	v_xor_b32_e32 v78, s45, v17
	v_xor_b32_e32 v17, s44, v17
	v_and_b32_e32 v19, v19, v17
	v_lshlrev_b32_e32 v17, 28, v18
	v_cmp_gt_i64_e64 s[44:45], 0, v[16:17]
	v_not_b32_e32 v17, v17
	v_ashrrev_i32_e32 v17, 31, v17
	v_and_b32_e32 v77, v77, v78
	;; [unrolled: 8-line block ×5, first 2 shown]
	v_xor_b32_e32 v78, s45, v17
	v_xor_b32_e32 v17, s44, v17
	v_and_b32_e32 v19, v19, v17
	v_lshlrev_b32_e32 v17, 24, v18
	v_cmp_gt_i64_e64 s[44:45], 0, v[16:17]
	v_not_b32_e32 v16, v17
	v_ashrrev_i32_e32 v16, 31, v16
	v_xor_b32_e32 v17, s45, v16
	v_xor_b32_e32 v16, s44, v16
	; wave barrier
	ds_read_b32 v24, v76 offset:32
	v_and_b32_e32 v77, v77, v78
	v_and_b32_e32 v16, v19, v16
	;; [unrolled: 1-line block ×3, first 2 shown]
	v_mbcnt_lo_u32_b32 v18, v16, 0
	v_mbcnt_hi_u32_b32 v77, v17, v18
	v_cmp_eq_u32_e64 s[44:45], 0, v77
	v_cmp_ne_u64_e64 s[46:47], 0, v[16:17]
	s_and_b64 s[46:47], s[46:47], s[44:45]
	; wave barrier
	s_and_saveexec_b64 s[44:45], s[46:47]
	s_cbranch_execz .LBB225_121
; %bb.120:
	v_bcnt_u32_b32 v16, v16, 0
	v_bcnt_u32_b32 v16, v17, v16
	s_waitcnt lgkmcnt(0)
	v_add_u32_e32 v16, v24, v16
	ds_write_b32 v76, v16 offset:32
.LBB225_121:
	s_or_b64 exec, exec, s[44:45]
	; wave barrier
	s_waitcnt lgkmcnt(0)
	s_barrier
	ds_read2_b32 v[18:19], v64 offset0:8 offset1:9
	ds_read2_b32 v[16:17], v22 offset0:2 offset1:3
	s_waitcnt lgkmcnt(1)
	v_add_u32_e32 v78, v19, v18
	s_waitcnt lgkmcnt(0)
	v_add3_u32 v17, v78, v16, v17
	s_nop 1
	v_mov_b32_dpp v78, v17 row_shr:1 row_mask:0xf bank_mask:0xf
	v_cndmask_b32_e64 v78, v78, 0, s[24:25]
	v_add_u32_e32 v17, v78, v17
	s_nop 1
	v_mov_b32_dpp v78, v17 row_shr:2 row_mask:0xf bank_mask:0xf
	v_cndmask_b32_e64 v78, 0, v78, s[26:27]
	v_add_u32_e32 v17, v17, v78
	;; [unrolled: 4-line block ×4, first 2 shown]
	s_nop 1
	v_mov_b32_dpp v78, v17 row_bcast:15 row_mask:0xf bank_mask:0xf
	v_cndmask_b32_e64 v78, v78, 0, vcc
	v_add_u32_e32 v17, v17, v78
	s_nop 1
	v_mov_b32_dpp v78, v17 row_bcast:31 row_mask:0xf bank_mask:0xf
	v_cndmask_b32_e64 v78, 0, v78, s[36:37]
	v_add_u32_e32 v78, v17, v78
	s_and_saveexec_b64 s[24:25], s[16:17]
	s_cbranch_execz .LBB225_123
; %bb.122:
	ds_write_b32 v23, v78
.LBB225_123:
	s_or_b64 exec, exec, s[24:25]
	s_waitcnt lgkmcnt(0)
	s_barrier
	s_and_saveexec_b64 s[16:17], s[28:29]
	s_cbranch_execz .LBB225_125
; %bb.124:
	ds_read_b32 v17, v21
	s_waitcnt lgkmcnt(0)
	s_nop 0
	v_mov_b32_dpp v23, v17 row_shr:1 row_mask:0xf bank_mask:0xf
	v_cndmask_b32_e64 v23, v23, 0, s[22:23]
	v_add_u32_e32 v17, v23, v17
	s_nop 1
	v_mov_b32_dpp v23, v17 row_shr:2 row_mask:0xf bank_mask:0xf
	v_cndmask_b32_e64 v23, 0, v23, s[20:21]
	v_add_u32_e32 v17, v17, v23
	;; [unrolled: 4-line block ×3, first 2 shown]
	ds_write_b32 v21, v17
.LBB225_125:
	s_or_b64 exec, exec, s[16:17]
	v_mov_b32_e32 v17, 0
	v_mov_b32_e32 v21, 0
	s_waitcnt lgkmcnt(0)
	s_barrier
	s_and_saveexec_b64 s[16:17], s[38:39]
	s_cbranch_execz .LBB225_127
; %bb.126:
	ds_read_b32 v21, v34
.LBB225_127:
	s_or_b64 exec, exec, s[16:17]
	s_waitcnt lgkmcnt(0)
	v_add_u32_e32 v23, v21, v78
	ds_bpermute_b32 v23, v35, v23
	v_lshlrev_b32_e32 v34, 3, v63
	s_mov_b32 s18, 0x5040100
	s_waitcnt lgkmcnt(0)
	v_cndmask_b32_e64 v21, v23, v21, s[40:41]
	v_cndmask_b32_e64 v21, v21, 0, s[42:43]
	v_add_u32_e32 v18, v21, v18
	v_add_u32_e32 v19, v18, v19
	;; [unrolled: 1-line block ×3, first 2 shown]
	ds_write2_b32 v64, v21, v18 offset0:8 offset1:9
	ds_write2_b32 v22, v19, v16 offset0:2 offset1:3
	s_waitcnt lgkmcnt(0)
	s_barrier
	ds_read_b32 v16, v76 offset:32
	ds_read_b32 v18, v74 offset:32
	;; [unrolled: 1-line block ×4, first 2 shown]
	s_waitcnt lgkmcnt(3)
	v_add3_u32 v16, v77, v24, v16
	ds_read_b32 v22, v65 offset:32
	ds_read_b32 v23, v40 offset:32
	;; [unrolled: 1-line block ×4, first 2 shown]
	s_waitcnt lgkmcnt(0)
	s_barrier
	v_add3_u32 v23, v41, v39, v23
	v_add3_u32 v24, v38, v36, v24
	v_add_u32_e32 v32, v32, v33
	v_lshlrev_b32_e32 v33, 1, v32
	ds_write_b16 v33, v31
	v_lshlrev_b32_e32 v31, 1, v24
	v_add3_u32 v22, v66, v46, v22
	ds_write_b16 v31, v30
	v_lshlrev_b32_e32 v30, 1, v23
	v_add3_u32 v21, v69, v67, v21
	;; [unrolled: 3-line block ×4, first 2 shown]
	ds_write_b16 v28, v27
	v_lshlrev_b32_e32 v27, 1, v19
	ds_write_b16 v27, v26
	v_lshlrev_b32_e32 v26, 1, v18
	;; [unrolled: 2-line block ×4, first 2 shown]
	s_waitcnt lgkmcnt(0)
	s_barrier
	v_lshlrev_b32_e32 v26, 3, v21
	v_lshlrev_b32_e32 v27, 3, v19
	;; [unrolled: 1-line block ×3, first 2 shown]
	ds_read_b128 v[18:21], v20
	v_mov_b32_e32 v40, -1
	v_mov_b32_e32 v41, 0x7fff
	v_lshlrev_b32_e32 v25, 3, v32
	v_lshlrev_b32_e32 v24, 3, v24
	s_waitcnt lgkmcnt(0)
	v_cmp_gt_i16_sdwa vcc, v18, v40 src0_sel:WORD_1 src1_sel:DWORD
	v_cndmask_b32_e32 v29, 0, v41, vcc
	v_cmp_lt_i16_e32 vcc, -1, v18
	v_cndmask_b32_e32 v30, 0, v41, vcc
	v_cmp_lt_i16_sdwa s[16:17], v19, v17 src0_sel:WORD_1 src1_sel:DWORD
	v_cmp_gt_i16_e32 vcc, 0, v19
	v_cndmask_b32_e64 v31, v41, 0, s[16:17]
	v_cndmask_b32_e64 v32, v41, 0, vcc
	v_lshlrev_b32_e32 v23, 3, v23
	v_lshlrev_b32_e32 v22, 3, v22
	v_xor_b32_e32 v32, v32, v19
	v_xor_b32_sdwa v19, v31, v19 dst_sel:DWORD dst_unused:UNUSED_PAD src0_sel:DWORD src1_sel:WORD_1
	v_lshlrev_b32_e32 v16, 3, v16
	v_perm_b32 v39, v19, v32, s18
	v_xor_b32_e32 v19, v30, v18
	v_xor_b32_sdwa v18, v29, v18 dst_sel:DWORD dst_unused:UNUSED_PAD src0_sel:DWORD src1_sel:WORD_1
	s_barrier
	ds_write_b64 v25, v[12:13]
	ds_write_b64 v24, v[14:15]
	;; [unrolled: 1-line block ×8, first 2 shown]
	s_waitcnt lgkmcnt(0)
	s_barrier
	ds_read2_b64 v[22:25], v34 offset1:1
	ds_read2_b64 v[26:29], v34 offset0:2 offset1:3
	ds_read2_b64 v[30:33], v34 offset0:4 offset1:5
	;; [unrolled: 1-line block ×3, first 2 shown]
	v_cmp_gt_i16_sdwa vcc, v20, v40 src0_sel:WORD_1 src1_sel:DWORD
	v_cndmask_b32_e32 v0, 0, v41, vcc
	v_cmp_lt_i16_e32 vcc, -1, v20
	v_cndmask_b32_e32 v1, 0, v41, vcc
	v_cmp_lt_i16_sdwa s[16:17], v21, v17 src0_sel:WORD_1 src1_sel:DWORD
	v_cmp_gt_i16_e32 vcc, 0, v21
	v_cndmask_b32_e64 v2, v41, 0, s[16:17]
	v_cndmask_b32_e64 v3, v41, 0, vcc
	v_xor_b32_e32 v3, v3, v21
	v_xor_b32_sdwa v2, v2, v21 dst_sel:DWORD dst_unused:UNUSED_PAD src0_sel:DWORD src1_sel:WORD_1
	v_xor_b32_e32 v1, v1, v20
	v_xor_b32_sdwa v0, v0, v20 dst_sel:DWORD dst_unused:UNUSED_PAD src0_sel:DWORD src1_sel:WORD_1
	v_perm_b32 v38, v18, v19, s18
	v_perm_b32 v41, v2, v3, s18
	;; [unrolled: 1-line block ×3, first 2 shown]
.LBB225_128:
	s_waitcnt lgkmcnt(0)
	s_barrier
	ds_write_b128 v54, v[38:41]
	s_waitcnt lgkmcnt(0)
	s_barrier
	ds_read_u16 v8, v43 offset:1024
	ds_read_u16 v7, v48 offset:2048
	ds_read_u16 v6, v49 offset:3072
	ds_read_u16 v5, v50 offset:4096
	ds_read_u16 v4, v51 offset:5120
	ds_read_u16 v3, v52 offset:6144
	ds_read_u16 v2, v53 offset:7168
	v_mov_b32_e32 v43, 0
	v_lshlrev_b64 v[0:1], 1, v[42:43]
	v_mov_b32_e32 v9, s48
	v_add_co_u32_e32 v0, vcc, s33, v0
	v_addc_co_u32_e32 v1, vcc, v9, v1, vcc
	s_and_saveexec_b64 s[16:17], s[0:1]
	s_cbranch_execnz .LBB225_147
; %bb.129:
	s_or_b64 exec, exec, s[16:17]
	s_and_saveexec_b64 s[16:17], s[2:3]
	s_cbranch_execnz .LBB225_148
.LBB225_130:
	s_or_b64 exec, exec, s[16:17]
	s_and_saveexec_b64 s[16:17], s[4:5]
	s_cbranch_execnz .LBB225_149
.LBB225_131:
	s_or_b64 exec, exec, s[16:17]
	s_and_saveexec_b64 s[16:17], s[6:7]
	s_cbranch_execnz .LBB225_150
.LBB225_132:
	s_or_b64 exec, exec, s[16:17]
	s_and_saveexec_b64 s[16:17], s[8:9]
	s_cbranch_execnz .LBB225_151
.LBB225_133:
	s_or_b64 exec, exec, s[16:17]
	s_and_saveexec_b64 s[16:17], s[10:11]
	s_cbranch_execnz .LBB225_152
.LBB225_134:
	s_or_b64 exec, exec, s[16:17]
	s_and_saveexec_b64 s[16:17], s[12:13]
	s_cbranch_execnz .LBB225_153
.LBB225_135:
	s_or_b64 exec, exec, s[16:17]
	s_and_saveexec_b64 s[16:17], s[14:15]
	s_cbranch_execz .LBB225_137
.LBB225_136:
	s_mul_i32 s18, s50, 0xe00
	s_mov_b32 s19, 0
	s_lshl_b64 s[18:19], s[18:19], 1
	s_waitcnt lgkmcnt(1)
	v_mov_b32_e32 v3, s19
	v_add_co_u32_e32 v0, vcc, s18, v0
	v_addc_co_u32_e32 v1, vcc, v1, v3, vcc
	s_waitcnt lgkmcnt(0)
	global_store_short v[0:1], v2, off
.LBB225_137:
	s_or_b64 exec, exec, s[16:17]
	s_waitcnt lgkmcnt(0)
	s_barrier
	ds_write2_b64 v62, v[22:23], v[24:25] offset1:1
	ds_write2_b64 v62, v[26:27], v[28:29] offset0:2 offset1:3
	ds_write2_b64 v62, v[30:31], v[32:33] offset0:4 offset1:5
	;; [unrolled: 1-line block ×3, first 2 shown]
	s_waitcnt lgkmcnt(0)
	s_barrier
	ds_read_b64 v[14:15], v45 offset:4096
	ds_read_b64 v[12:13], v56 offset:8192
	;; [unrolled: 1-line block ×7, first 2 shown]
	v_mov_b32_e32 v45, 0
	v_lshlrev_b64 v[2:3], 3, v[44:45]
	v_mov_b32_e32 v16, s51
	v_add_co_u32_e32 v2, vcc, s49, v2
	v_addc_co_u32_e32 v3, vcc, v16, v3, vcc
	s_and_saveexec_b64 s[16:17], s[0:1]
	s_cbranch_execnz .LBB225_154
; %bb.138:
	s_or_b64 exec, exec, s[16:17]
	s_and_saveexec_b64 s[0:1], s[2:3]
	s_cbranch_execnz .LBB225_155
.LBB225_139:
	s_or_b64 exec, exec, s[0:1]
	s_and_saveexec_b64 s[0:1], s[4:5]
	s_cbranch_execnz .LBB225_156
.LBB225_140:
	s_or_b64 exec, exec, s[0:1]
	s_and_saveexec_b64 s[0:1], s[6:7]
	s_cbranch_execnz .LBB225_157
.LBB225_141:
	s_or_b64 exec, exec, s[0:1]
	s_and_saveexec_b64 s[0:1], s[8:9]
	s_cbranch_execnz .LBB225_158
.LBB225_142:
	s_or_b64 exec, exec, s[0:1]
	s_and_saveexec_b64 s[0:1], s[10:11]
	s_cbranch_execnz .LBB225_159
.LBB225_143:
	s_or_b64 exec, exec, s[0:1]
	s_and_saveexec_b64 s[0:1], s[12:13]
	s_cbranch_execnz .LBB225_160
.LBB225_144:
	s_or_b64 exec, exec, s[0:1]
	s_and_saveexec_b64 s[0:1], s[14:15]
	s_cbranch_execz .LBB225_146
.LBB225_145:
	s_mul_i32 s0, s52, 0xe00
	s_mov_b32 s1, 0
	s_lshl_b64 s[0:1], s[0:1], 3
	s_waitcnt lgkmcnt(1)
	v_mov_b32_e32 v4, s1
	v_add_co_u32_e32 v2, vcc, s0, v2
	v_addc_co_u32_e32 v3, vcc, v3, v4, vcc
	s_waitcnt lgkmcnt(0)
	global_store_dwordx2 v[2:3], v[0:1], off
.LBB225_146:
	s_endpgm
.LBB225_147:
	ds_read_u16 v9, v47
	s_waitcnt lgkmcnt(0)
	global_store_short v[0:1], v9, off
	s_or_b64 exec, exec, s[16:17]
	s_and_saveexec_b64 s[16:17], s[2:3]
	s_cbranch_execz .LBB225_130
.LBB225_148:
	s_lshl_b32 s18, s50, 9
	s_mov_b32 s19, 0
	s_lshl_b64 s[18:19], s[18:19], 1
	v_mov_b32_e32 v9, s19
	v_add_co_u32_e32 v10, vcc, s18, v0
	v_addc_co_u32_e32 v11, vcc, v1, v9, vcc
	s_waitcnt lgkmcnt(6)
	global_store_short v[10:11], v8, off
	s_or_b64 exec, exec, s[16:17]
	s_and_saveexec_b64 s[16:17], s[4:5]
	s_cbranch_execz .LBB225_131
.LBB225_149:
	s_lshl_b32 s18, s50, 10
	s_mov_b32 s19, 0
	s_lshl_b64 s[18:19], s[18:19], 1
	v_mov_b32_e32 v9, s19
	s_waitcnt lgkmcnt(6)
	v_add_co_u32_e32 v8, vcc, s18, v0
	v_addc_co_u32_e32 v9, vcc, v1, v9, vcc
	s_waitcnt lgkmcnt(5)
	global_store_short v[8:9], v7, off
	s_or_b64 exec, exec, s[16:17]
	s_and_saveexec_b64 s[16:17], s[6:7]
	s_cbranch_execz .LBB225_132
.LBB225_150:
	s_mul_i32 s18, s50, 0x600
	s_mov_b32 s19, 0
	s_lshl_b64 s[18:19], s[18:19], 1
	s_waitcnt lgkmcnt(5)
	v_mov_b32_e32 v7, s19
	v_add_co_u32_e32 v8, vcc, s18, v0
	v_addc_co_u32_e32 v9, vcc, v1, v7, vcc
	s_waitcnt lgkmcnt(4)
	global_store_short v[8:9], v6, off
	s_or_b64 exec, exec, s[16:17]
	s_and_saveexec_b64 s[16:17], s[8:9]
	s_cbranch_execz .LBB225_133
.LBB225_151:
	s_lshl_b32 s18, s50, 11
	s_mov_b32 s19, 0
	s_lshl_b64 s[18:19], s[18:19], 1
	s_waitcnt lgkmcnt(5)
	v_mov_b32_e32 v7, s19
	s_waitcnt lgkmcnt(4)
	v_add_co_u32_e32 v6, vcc, s18, v0
	v_addc_co_u32_e32 v7, vcc, v1, v7, vcc
	s_waitcnt lgkmcnt(3)
	global_store_short v[6:7], v5, off
	s_or_b64 exec, exec, s[16:17]
	s_and_saveexec_b64 s[16:17], s[10:11]
	s_cbranch_execz .LBB225_134
.LBB225_152:
	s_mul_i32 s18, s50, 0xa00
	s_mov_b32 s19, 0
	s_lshl_b64 s[18:19], s[18:19], 1
	s_waitcnt lgkmcnt(3)
	v_mov_b32_e32 v5, s19
	v_add_co_u32_e32 v6, vcc, s18, v0
	v_addc_co_u32_e32 v7, vcc, v1, v5, vcc
	s_waitcnt lgkmcnt(2)
	global_store_short v[6:7], v4, off
	s_or_b64 exec, exec, s[16:17]
	s_and_saveexec_b64 s[16:17], s[12:13]
	s_cbranch_execz .LBB225_135
.LBB225_153:
	s_mul_i32 s18, s50, 0xc00
	s_mov_b32 s19, 0
	s_lshl_b64 s[18:19], s[18:19], 1
	s_waitcnt lgkmcnt(3)
	v_mov_b32_e32 v5, s19
	s_waitcnt lgkmcnt(2)
	v_add_co_u32_e32 v4, vcc, s18, v0
	v_addc_co_u32_e32 v5, vcc, v1, v5, vcc
	s_waitcnt lgkmcnt(1)
	global_store_short v[4:5], v3, off
	s_or_b64 exec, exec, s[16:17]
	s_and_saveexec_b64 s[16:17], s[14:15]
	s_cbranch_execnz .LBB225_136
	s_branch .LBB225_137
.LBB225_154:
	ds_read_b64 v[16:17], v55
	s_waitcnt lgkmcnt(0)
	global_store_dwordx2 v[2:3], v[16:17], off
	s_or_b64 exec, exec, s[16:17]
	s_and_saveexec_b64 s[0:1], s[2:3]
	s_cbranch_execz .LBB225_139
.LBB225_155:
	s_lshl_b32 s2, s52, 9
	s_mov_b32 s3, 0
	s_lshl_b64 s[2:3], s[2:3], 3
	v_mov_b32_e32 v17, s3
	v_add_co_u32_e32 v16, vcc, s2, v2
	v_addc_co_u32_e32 v17, vcc, v3, v17, vcc
	s_waitcnt lgkmcnt(6)
	global_store_dwordx2 v[16:17], v[14:15], off
	s_or_b64 exec, exec, s[0:1]
	s_and_saveexec_b64 s[0:1], s[4:5]
	s_cbranch_execz .LBB225_140
.LBB225_156:
	s_lshl_b32 s2, s52, 10
	s_mov_b32 s3, 0
	s_lshl_b64 s[2:3], s[2:3], 3
	s_waitcnt lgkmcnt(6)
	v_mov_b32_e32 v15, s3
	v_add_co_u32_e32 v14, vcc, s2, v2
	v_addc_co_u32_e32 v15, vcc, v3, v15, vcc
	s_waitcnt lgkmcnt(5)
	global_store_dwordx2 v[14:15], v[12:13], off
	s_or_b64 exec, exec, s[0:1]
	s_and_saveexec_b64 s[0:1], s[6:7]
	s_cbranch_execz .LBB225_141
.LBB225_157:
	s_mul_i32 s2, s52, 0x600
	s_mov_b32 s3, 0
	s_lshl_b64 s[2:3], s[2:3], 3
	s_waitcnt lgkmcnt(5)
	v_mov_b32_e32 v13, s3
	v_add_co_u32_e32 v12, vcc, s2, v2
	v_addc_co_u32_e32 v13, vcc, v3, v13, vcc
	s_waitcnt lgkmcnt(4)
	global_store_dwordx2 v[12:13], v[10:11], off
	s_or_b64 exec, exec, s[0:1]
	s_and_saveexec_b64 s[0:1], s[8:9]
	s_cbranch_execz .LBB225_142
.LBB225_158:
	s_lshl_b32 s2, s52, 11
	s_mov_b32 s3, 0
	s_lshl_b64 s[2:3], s[2:3], 3
	s_waitcnt lgkmcnt(4)
	v_mov_b32_e32 v11, s3
	v_add_co_u32_e32 v10, vcc, s2, v2
	v_addc_co_u32_e32 v11, vcc, v3, v11, vcc
	s_waitcnt lgkmcnt(3)
	global_store_dwordx2 v[10:11], v[8:9], off
	s_or_b64 exec, exec, s[0:1]
	s_and_saveexec_b64 s[0:1], s[10:11]
	s_cbranch_execz .LBB225_143
.LBB225_159:
	s_mul_i32 s2, s52, 0xa00
	s_mov_b32 s3, 0
	s_lshl_b64 s[2:3], s[2:3], 3
	s_waitcnt lgkmcnt(3)
	v_mov_b32_e32 v9, s3
	v_add_co_u32_e32 v8, vcc, s2, v2
	v_addc_co_u32_e32 v9, vcc, v3, v9, vcc
	s_waitcnt lgkmcnt(2)
	global_store_dwordx2 v[8:9], v[6:7], off
	s_or_b64 exec, exec, s[0:1]
	s_and_saveexec_b64 s[0:1], s[12:13]
	s_cbranch_execz .LBB225_144
.LBB225_160:
	s_mul_i32 s2, s52, 0xc00
	s_mov_b32 s3, 0
	s_lshl_b64 s[2:3], s[2:3], 3
	s_waitcnt lgkmcnt(2)
	v_mov_b32_e32 v7, s3
	v_add_co_u32_e32 v6, vcc, s2, v2
	v_addc_co_u32_e32 v7, vcc, v3, v7, vcc
	s_waitcnt lgkmcnt(1)
	global_store_dwordx2 v[6:7], v[4:5], off
	s_or_b64 exec, exec, s[0:1]
	s_and_saveexec_b64 s[0:1], s[14:15]
	s_cbranch_execnz .LBB225_145
	s_branch .LBB225_146
	.section	.rodata,"a",@progbits
	.p2align	6, 0x0
	.amdhsa_kernel _ZN2at6native18radixSortKVInPlaceILi2ELin1ELi512ELi8EN3c104HalfEljEEvNS_4cuda6detail10TensorInfoIT3_T5_EES8_S8_S8_NS6_IT4_S8_EES8_b
		.amdhsa_group_segment_fixed_size 33792
		.amdhsa_private_segment_fixed_size 0
		.amdhsa_kernarg_size 712
		.amdhsa_user_sgpr_count 6
		.amdhsa_user_sgpr_private_segment_buffer 1
		.amdhsa_user_sgpr_dispatch_ptr 0
		.amdhsa_user_sgpr_queue_ptr 0
		.amdhsa_user_sgpr_kernarg_segment_ptr 1
		.amdhsa_user_sgpr_dispatch_id 0
		.amdhsa_user_sgpr_flat_scratch_init 0
		.amdhsa_user_sgpr_kernarg_preload_length 0
		.amdhsa_user_sgpr_kernarg_preload_offset 0
		.amdhsa_user_sgpr_private_segment_size 0
		.amdhsa_uses_dynamic_stack 0
		.amdhsa_system_sgpr_private_segment_wavefront_offset 0
		.amdhsa_system_sgpr_workgroup_id_x 1
		.amdhsa_system_sgpr_workgroup_id_y 1
		.amdhsa_system_sgpr_workgroup_id_z 1
		.amdhsa_system_sgpr_workgroup_info 0
		.amdhsa_system_vgpr_workitem_id 2
		.amdhsa_next_free_vgpr 108
		.amdhsa_next_free_sgpr 57
		.amdhsa_accum_offset 108
		.amdhsa_reserve_vcc 1
		.amdhsa_reserve_flat_scratch 0
		.amdhsa_float_round_mode_32 0
		.amdhsa_float_round_mode_16_64 0
		.amdhsa_float_denorm_mode_32 3
		.amdhsa_float_denorm_mode_16_64 3
		.amdhsa_dx10_clamp 1
		.amdhsa_ieee_mode 1
		.amdhsa_fp16_overflow 0
		.amdhsa_tg_split 0
		.amdhsa_exception_fp_ieee_invalid_op 0
		.amdhsa_exception_fp_denorm_src 0
		.amdhsa_exception_fp_ieee_div_zero 0
		.amdhsa_exception_fp_ieee_overflow 0
		.amdhsa_exception_fp_ieee_underflow 0
		.amdhsa_exception_fp_ieee_inexact 0
		.amdhsa_exception_int_div_zero 0
	.end_amdhsa_kernel
	.section	.text._ZN2at6native18radixSortKVInPlaceILi2ELin1ELi512ELi8EN3c104HalfEljEEvNS_4cuda6detail10TensorInfoIT3_T5_EES8_S8_S8_NS6_IT4_S8_EES8_b,"axG",@progbits,_ZN2at6native18radixSortKVInPlaceILi2ELin1ELi512ELi8EN3c104HalfEljEEvNS_4cuda6detail10TensorInfoIT3_T5_EES8_S8_S8_NS6_IT4_S8_EES8_b,comdat
.Lfunc_end225:
	.size	_ZN2at6native18radixSortKVInPlaceILi2ELin1ELi512ELi8EN3c104HalfEljEEvNS_4cuda6detail10TensorInfoIT3_T5_EES8_S8_S8_NS6_IT4_S8_EES8_b, .Lfunc_end225-_ZN2at6native18radixSortKVInPlaceILi2ELin1ELi512ELi8EN3c104HalfEljEEvNS_4cuda6detail10TensorInfoIT3_T5_EES8_S8_S8_NS6_IT4_S8_EES8_b
                                        ; -- End function
	.section	.AMDGPU.csdata,"",@progbits
; Kernel info:
; codeLenInByte = 21636
; NumSgprs: 61
; NumVgprs: 108
; NumAgprs: 0
; TotalNumVgprs: 108
; ScratchSize: 0
; MemoryBound: 0
; FloatMode: 240
; IeeeMode: 1
; LDSByteSize: 33792 bytes/workgroup (compile time only)
; SGPRBlocks: 7
; VGPRBlocks: 13
; NumSGPRsForWavesPerEU: 61
; NumVGPRsForWavesPerEU: 108
; AccumOffset: 108
; Occupancy: 2
; WaveLimiterHint : 1
; COMPUTE_PGM_RSRC2:SCRATCH_EN: 0
; COMPUTE_PGM_RSRC2:USER_SGPR: 6
; COMPUTE_PGM_RSRC2:TRAP_HANDLER: 0
; COMPUTE_PGM_RSRC2:TGID_X_EN: 1
; COMPUTE_PGM_RSRC2:TGID_Y_EN: 1
; COMPUTE_PGM_RSRC2:TGID_Z_EN: 1
; COMPUTE_PGM_RSRC2:TIDIG_COMP_CNT: 2
; COMPUTE_PGM_RSRC3_GFX90A:ACCUM_OFFSET: 26
; COMPUTE_PGM_RSRC3_GFX90A:TG_SPLIT: 0
	.section	.text._ZN2at6native18radixSortKVInPlaceILi2ELin1ELi256ELi8EN3c104HalfEljEEvNS_4cuda6detail10TensorInfoIT3_T5_EES8_S8_S8_NS6_IT4_S8_EES8_b,"axG",@progbits,_ZN2at6native18radixSortKVInPlaceILi2ELin1ELi256ELi8EN3c104HalfEljEEvNS_4cuda6detail10TensorInfoIT3_T5_EES8_S8_S8_NS6_IT4_S8_EES8_b,comdat
	.protected	_ZN2at6native18radixSortKVInPlaceILi2ELin1ELi256ELi8EN3c104HalfEljEEvNS_4cuda6detail10TensorInfoIT3_T5_EES8_S8_S8_NS6_IT4_S8_EES8_b ; -- Begin function _ZN2at6native18radixSortKVInPlaceILi2ELin1ELi256ELi8EN3c104HalfEljEEvNS_4cuda6detail10TensorInfoIT3_T5_EES8_S8_S8_NS6_IT4_S8_EES8_b
	.globl	_ZN2at6native18radixSortKVInPlaceILi2ELin1ELi256ELi8EN3c104HalfEljEEvNS_4cuda6detail10TensorInfoIT3_T5_EES8_S8_S8_NS6_IT4_S8_EES8_b
	.p2align	8
	.type	_ZN2at6native18radixSortKVInPlaceILi2ELin1ELi256ELi8EN3c104HalfEljEEvNS_4cuda6detail10TensorInfoIT3_T5_EES8_S8_S8_NS6_IT4_S8_EES8_b,@function
_ZN2at6native18radixSortKVInPlaceILi2ELin1ELi256ELi8EN3c104HalfEljEEvNS_4cuda6detail10TensorInfoIT3_T5_EES8_S8_S8_NS6_IT4_S8_EES8_b: ; @_ZN2at6native18radixSortKVInPlaceILi2ELin1ELi256ELi8EN3c104HalfEljEEvNS_4cuda6detail10TensorInfoIT3_T5_EES8_S8_S8_NS6_IT4_S8_EES8_b
; %bb.0:
	s_load_dwordx2 s[0:1], s[4:5], 0x1c8
	s_load_dwordx4 s[44:47], s[4:5], 0xd8
	s_add_u32 s50, s4, 0x1c8
	s_addc_u32 s51, s5, 0
	s_waitcnt lgkmcnt(0)
	s_mul_i32 s1, s1, s8
	s_add_i32 s1, s1, s7
	s_mul_i32 s8, s1, s0
	s_add_i32 s8, s8, s6
	s_cmp_ge_u32 s8, s44
	s_cbranch_scc1 .LBB226_146
; %bb.1:
	s_load_dword s9, s[4:5], 0xc
	s_load_dwordx2 s[0:1], s[4:5], 0x6c
	s_load_dword s6, s[4:5], 0x1b8
	s_add_u32 s14, s4, 0xe8
	s_load_dwordx2 s[2:3], s[4:5], 0x0
	s_waitcnt lgkmcnt(0)
	v_cvt_f32_u32_e32 v1, s9
	s_addc_u32 s15, s5, 0
	s_sub_i32 s7, 0, s9
	s_mov_b32 s17, 0
	v_rcp_iflag_f32_e32 v1, v1
	s_mov_b32 s16, s8
	v_mul_f32_e32 v1, 0x4f7ffffe, v1
	v_cvt_u32_f32_e32 v1, v1
	v_readfirstlane_b32 s10, v1
	s_mul_i32 s7, s7, s10
	s_mul_hi_u32 s7, s10, s7
	s_add_i32 s10, s10, s7
	s_mul_hi_u32 s10, s8, s10
	s_cmp_lt_i32 s6, 2
	s_cbranch_scc1 .LBB226_4
; %bb.2:
	s_add_i32 s16, s6, -1
	s_add_i32 s11, s6, 1
	s_lshl_b64 s[6:7], s[16:17], 2
	s_add_u32 s6, s6, s14
	s_addc_u32 s7, s7, s15
	s_add_u32 s6, s6, 8
	s_addc_u32 s7, s7, 0
	s_mov_b32 s16, s8
.LBB226_3:                              ; =>This Inner Loop Header: Depth=1
	s_load_dword s12, s[6:7], 0x0
	s_load_dword s18, s[6:7], 0x64
	s_mov_b32 s13, s16
	s_waitcnt lgkmcnt(0)
	v_cvt_f32_u32_e32 v1, s12
	s_sub_i32 s16, 0, s12
	v_rcp_iflag_f32_e32 v1, v1
	v_mul_f32_e32 v1, 0x4f7ffffe, v1
	v_cvt_u32_f32_e32 v1, v1
	v_readfirstlane_b32 s19, v1
	s_mul_i32 s16, s16, s19
	s_mul_hi_u32 s16, s19, s16
	s_add_i32 s19, s19, s16
	s_mul_hi_u32 s16, s13, s19
	s_mul_i32 s19, s16, s12
	s_sub_i32 s19, s13, s19
	s_add_i32 s20, s16, 1
	s_sub_i32 s21, s19, s12
	s_cmp_ge_u32 s19, s12
	s_cselect_b32 s16, s20, s16
	s_cselect_b32 s19, s21, s19
	s_add_i32 s20, s16, 1
	s_cmp_ge_u32 s19, s12
	s_cselect_b32 s16, s20, s16
	s_mul_i32 s12, s16, s12
	s_sub_i32 s12, s13, s12
	s_mul_i32 s12, s18, s12
	s_add_i32 s11, s11, -1
	s_add_i32 s17, s12, s17
	s_add_u32 s6, s6, -4
	s_addc_u32 s7, s7, -1
	s_cmp_gt_u32 s11, 2
	s_cbranch_scc1 .LBB226_3
.LBB226_4:
	s_mul_i32 s6, s10, s9
	s_sub_i32 s6, s8, s6
	s_add_i32 s7, s10, 1
	s_sub_i32 s11, s6, s9
	s_cmp_ge_u32 s6, s9
	s_cselect_b32 s7, s7, s10
	s_cselect_b32 s6, s11, s6
	s_add_i32 s10, s7, 1
	s_cmp_ge_u32 s6, s9
	s_cselect_b32 s6, s10, s7
	s_load_dwordx2 s[48:49], s[4:5], 0x1c0
	s_mul_i32 s7, s6, s9
	s_sub_i32 s4, s8, s7
	s_mul_i32 s4, s4, s1
	s_mul_i32 s0, s6, s0
	s_add_i32 s0, s0, s4
	s_waitcnt lgkmcnt(0)
	s_bitcmp1_b32 s49, 0
	s_cselect_b64 s[34:35], -1, 0
	s_mov_b32 s1, 0xffff
	s_and_b64 s[4:5], s[34:35], exec
	s_cselect_b32 s22, s1, 0x7fff
	s_mov_b32 s1, 0
	s_lshl_b64 s[0:1], s[0:1], 1
	s_add_u32 s33, s2, s0
	v_and_b32_e32 v46, 0x3ff, v0
	s_addc_u32 s47, s3, s1
	v_cmp_gt_u32_e64 s[0:1], s45, v46
	v_mov_b32_e32 v1, s22
	v_mul_lo_u32 v42, v46, s46
	s_and_saveexec_b64 s[2:3], s[0:1]
	s_cbranch_execz .LBB226_6
; %bb.5:
	v_mov_b32_e32 v43, 0
	v_lshlrev_b64 v[2:3], 1, v[42:43]
	v_mov_b32_e32 v1, s47
	v_add_co_u32_e32 v2, vcc, s33, v2
	v_addc_co_u32_e32 v3, vcc, v1, v3, vcc
	global_load_ushort v1, v[2:3], off
.LBB226_6:
	s_or_b64 exec, exec, s[2:3]
	v_add_u32_e32 v36, 0x100, v46
	v_cmp_gt_u32_e64 s[2:3], s45, v36
	v_mov_b32_e32 v2, s22
	s_and_saveexec_b64 s[4:5], s[2:3]
	s_cbranch_execz .LBB226_8
; %bb.7:
	v_mul_lo_u32 v2, v36, s46
	v_mov_b32_e32 v3, 0
	v_lshlrev_b64 v[2:3], 1, v[2:3]
	v_mov_b32_e32 v4, s47
	v_add_co_u32_e32 v2, vcc, s33, v2
	v_addc_co_u32_e32 v3, vcc, v4, v3, vcc
	global_load_ushort v2, v[2:3], off
.LBB226_8:
	s_or_b64 exec, exec, s[4:5]
	v_add_u32_e32 v35, 0x200, v46
	v_cmp_gt_u32_e64 s[4:5], s45, v35
	v_mov_b32_e32 v3, s22
	s_and_saveexec_b64 s[6:7], s[4:5]
	s_cbranch_execz .LBB226_10
; %bb.9:
	v_mul_lo_u32 v4, v35, s46
	v_mov_b32_e32 v5, 0
	v_lshlrev_b64 v[4:5], 1, v[4:5]
	v_mov_b32_e32 v3, s47
	v_add_co_u32_e32 v4, vcc, s33, v4
	v_addc_co_u32_e32 v5, vcc, v3, v5, vcc
	global_load_ushort v3, v[4:5], off
.LBB226_10:
	;; [unrolled: 15-line block ×3, first 2 shown]
	s_or_b64 exec, exec, s[8:9]
	v_or_b32_e32 v30, 0x400, v46
	v_cmp_gt_u32_e64 s[8:9], s45, v30
	v_mov_b32_e32 v5, s22
	s_and_saveexec_b64 s[10:11], s[8:9]
	s_cbranch_execz .LBB226_14
; %bb.13:
	v_mul_lo_u32 v6, v30, s46
	v_mov_b32_e32 v7, 0
	v_lshlrev_b64 v[6:7], 1, v[6:7]
	v_mov_b32_e32 v5, s47
	v_add_co_u32_e32 v6, vcc, s33, v6
	v_addc_co_u32_e32 v7, vcc, v5, v7, vcc
	global_load_ushort v5, v[6:7], off
.LBB226_14:
	s_or_b64 exec, exec, s[10:11]
	v_add_u32_e32 v28, 0x500, v46
	v_cmp_gt_u32_e64 s[10:11], s45, v28
	v_mov_b32_e32 v6, s22
	s_and_saveexec_b64 s[12:13], s[10:11]
	s_cbranch_execz .LBB226_16
; %bb.15:
	v_mul_lo_u32 v6, v28, s46
	v_mov_b32_e32 v7, 0
	v_lshlrev_b64 v[6:7], 1, v[6:7]
	v_mov_b32_e32 v8, s47
	v_add_co_u32_e32 v6, vcc, s33, v6
	v_addc_co_u32_e32 v7, vcc, v8, v7, vcc
	global_load_ushort v6, v[6:7], off
.LBB226_16:
	s_or_b64 exec, exec, s[12:13]
	s_load_dwordx2 s[18:19], s[14:15], 0x0
	v_add_u32_e32 v26, 0x600, v46
	v_cmp_gt_u32_e64 s[12:13], s45, v26
	v_mov_b32_e32 v7, s22
	s_and_saveexec_b64 s[20:21], s[12:13]
	s_cbranch_execz .LBB226_18
; %bb.17:
	v_mul_lo_u32 v8, v26, s46
	v_mov_b32_e32 v9, 0
	v_lshlrev_b64 v[8:9], 1, v[8:9]
	v_mov_b32_e32 v7, s47
	v_add_co_u32_e32 v8, vcc, s33, v8
	v_addc_co_u32_e32 v9, vcc, v7, v9, vcc
	global_load_ushort v7, v[8:9], off
.LBB226_18:
	s_or_b64 exec, exec, s[20:21]
	s_load_dword s23, s[14:15], 0x6c
	v_add_u32_e32 v22, 0x700, v46
	v_cmp_gt_u32_e64 s[14:15], s45, v22
	v_mov_b32_e32 v8, s22
	s_and_saveexec_b64 s[20:21], s[14:15]
	s_cbranch_execz .LBB226_20
; %bb.19:
	v_mul_lo_u32 v8, v22, s46
	v_mov_b32_e32 v9, 0
	v_lshlrev_b64 v[8:9], 1, v[8:9]
	v_mov_b32_e32 v10, s47
	v_add_co_u32_e32 v8, vcc, s33, v8
	v_addc_co_u32_e32 v9, vcc, v10, v9, vcc
	global_load_ushort v8, v[8:9], off
.LBB226_20:
	s_or_b64 exec, exec, s[20:21]
	v_lshrrev_b32_e32 v34, 5, v46
	v_and_b32_e32 v9, 30, v34
	v_add_lshl_u32 v47, v9, v46, 1
	v_lshrrev_b32_e32 v32, 5, v36
	s_waitcnt vmcnt(0)
	ds_write_b16 v47, v1
	v_and_b32_e32 v1, 62, v32
	v_lshrrev_b32_e32 v31, 5, v35
	v_add_lshl_u32 v43, v1, v46, 1
	v_and_b32_e32 v1, 62, v31
	v_lshrrev_b32_e32 v29, 5, v33
	v_add_lshl_u32 v48, v1, v46, 1
	;; [unrolled: 3-line block ×5, first 2 shown]
	v_and_b32_e32 v1, 0x7e, v23
	v_add_lshl_u32 v52, v1, v46, 1
	v_lshrrev_b32_e32 v1, 5, v22
	ds_write_b16 v43, v2 offset:512
	v_and_b32_e32 v2, 0x7e, v1
	v_lshrrev_b32_e32 v24, 2, v46
	v_add_lshl_u32 v53, v2, v46, 1
	v_lshlrev_b32_e32 v63, 3, v46
	v_and_b32_e32 v2, 0xfe, v24
	s_waitcnt lgkmcnt(0)
	s_mul_i32 s16, s23, s16
	v_add_lshl_u32 v54, v2, v63, 1
	s_add_i32 s16, s16, s17
	s_mov_b32 s17, 0
	ds_write_b16 v48, v3 offset:1024
	ds_write_b16 v49, v4 offset:1536
	;; [unrolled: 1-line block ×6, first 2 shown]
	s_waitcnt lgkmcnt(0)
	s_barrier
	ds_read_b128 v[18:21], v54
	s_lshl_b64 s[20:21], s[16:17], 3
	s_add_u32 s49, s18, s20
	s_mov_b32 s16, s17
	s_addc_u32 s52, s19, s21
	s_mov_b32 s18, s17
	s_mov_b32 s19, s17
	;; [unrolled: 1-line block ×14, first 2 shown]
	v_pk_mov_b32 v[2:3], s[16:17], s[16:17] op_sel:[0,1]
	v_pk_mov_b32 v[4:5], s[18:19], s[18:19] op_sel:[0,1]
	;; [unrolled: 1-line block ×8, first 2 shown]
	v_pk_mov_b32 v[2:3], 0, 0
	v_mul_lo_u32 v44, v46, s48
	s_waitcnt lgkmcnt(0)
	s_barrier
	s_and_saveexec_b64 s[16:17], s[0:1]
	s_cbranch_execnz .LBB226_75
; %bb.21:
	s_or_b64 exec, exec, s[16:17]
	s_and_saveexec_b64 s[16:17], s[2:3]
	s_cbranch_execnz .LBB226_76
.LBB226_22:
	s_or_b64 exec, exec, s[16:17]
	s_and_saveexec_b64 s[16:17], s[4:5]
	s_cbranch_execnz .LBB226_77
.LBB226_23:
	s_or_b64 exec, exec, s[16:17]
	s_and_saveexec_b64 s[16:17], s[6:7]
	s_cbranch_execnz .LBB226_78
.LBB226_24:
	s_or_b64 exec, exec, s[16:17]
	s_and_saveexec_b64 s[16:17], s[8:9]
	s_cbranch_execnz .LBB226_79
.LBB226_25:
	s_or_b64 exec, exec, s[16:17]
	s_and_saveexec_b64 s[16:17], s[10:11]
	s_cbranch_execnz .LBB226_80
.LBB226_26:
	s_or_b64 exec, exec, s[16:17]
	s_and_saveexec_b64 s[16:17], s[12:13]
	s_cbranch_execnz .LBB226_81
.LBB226_27:
	s_or_b64 exec, exec, s[16:17]
	s_xor_b64 s[16:17], s[34:35], -1
	s_and_saveexec_b64 s[18:19], s[14:15]
	s_cbranch_execz .LBB226_29
.LBB226_28:
	v_mul_lo_u32 v16, v22, s48
	v_mov_b32_e32 v17, 0
	v_lshlrev_b64 v[16:17], 3, v[16:17]
	v_mov_b32_e32 v22, s52
	v_add_co_u32_e32 v16, vcc, s49, v16
	v_addc_co_u32_e32 v17, vcc, v22, v17, vcc
	global_load_dwordx2 v[16:17], v[16:17], off
.LBB226_29:
	s_or_b64 exec, exec, s[18:19]
	v_add_lshl_u32 v55, v34, v46, 3
	v_add_lshl_u32 v45, v32, v46, 3
	;; [unrolled: 1-line block ×9, first 2 shown]
	s_waitcnt vmcnt(0)
	ds_write_b64 v55, v[2:3]
	ds_write_b64 v45, v[4:5] offset:2048
	ds_write_b64 v56, v[6:7] offset:4096
	;; [unrolled: 1-line block ×7, first 2 shown]
	s_waitcnt lgkmcnt(0)
	s_barrier
	ds_read2_b64 v[14:17], v62 offset1:1
	ds_read2_b64 v[10:13], v62 offset0:2 offset1:3
	ds_read2_b64 v[6:9], v62 offset0:4 offset1:5
	;; [unrolled: 1-line block ×3, first 2 shown]
	s_and_b64 vcc, exec, s[16:17]
	v_bfe_u32 v65, v0, 10, 10
	v_bfe_u32 v66, v0, 20, 10
	v_mbcnt_lo_u32_b32 v67, -1, 0
	v_lshlrev_b32_e32 v64, 4, v46
	s_waitcnt lgkmcnt(0)
	s_barrier
	s_cbranch_vccz .LBB226_82
; %bb.30:
	s_movk_i32 s16, 0x8000
	v_pk_ashrrev_i16 v24, 15, v18 op_sel_hi:[0,1]
	v_or_b32_e32 v25, 0xffff8000, v24
	v_or_b32_sdwa v24, v24, s16 dst_sel:DWORD dst_unused:UNUSED_PAD src0_sel:WORD_1 src1_sel:DWORD
	v_pk_ashrrev_i16 v22, 15, v19 op_sel_hi:[0,1]
	v_xor_b32_sdwa v26, v24, v18 dst_sel:DWORD dst_unused:UNUSED_PAD src0_sel:DWORD src1_sel:WORD_1
	v_pk_ashrrev_i16 v24, 15, v21 op_sel_hi:[0,1]
	v_pk_ashrrev_i16 v28, 15, v20 op_sel_hi:[0,1]
	v_mbcnt_hi_u32_b32 v76, -1, v67
	v_and_b32_e32 v40, 0x3c0, v46
	v_or_b32_e32 v23, 0xffff8000, v22
	v_or_b32_sdwa v22, v22, s16 dst_sel:DWORD dst_unused:UNUSED_PAD src0_sel:WORD_1 src1_sel:DWORD
	v_xor_b32_e32 v27, v25, v18
	v_or_b32_e32 v25, 0xffff8000, v24
	v_or_b32_e32 v29, 0xffff8000, v28
	v_or_b32_sdwa v24, v24, s16 dst_sel:DWORD dst_unused:UNUSED_PAD src0_sel:WORD_1 src1_sel:DWORD
	v_or_b32_sdwa v28, v28, s16 dst_sel:DWORD dst_unused:UNUSED_PAD src0_sel:WORD_1 src1_sel:DWORD
	v_add_u32_e32 v0, v76, v40
	v_xor_b32_sdwa v22, v22, v19 dst_sel:DWORD dst_unused:UNUSED_PAD src0_sel:DWORD src1_sel:WORD_1
	v_xor_b32_e32 v23, v23, v19
	v_xor_b32_sdwa v28, v28, v20 dst_sel:DWORD dst_unused:UNUSED_PAD src0_sel:DWORD src1_sel:WORD_1
	v_xor_b32_sdwa v24, v24, v21 dst_sel:DWORD dst_unused:UNUSED_PAD src0_sel:DWORD src1_sel:WORD_1
	v_xor_b32_e32 v29, v29, v20
	v_xor_b32_e32 v25, v25, v21
	s_mov_b32 s16, 0x5040100
	v_lshlrev_b32_e32 v1, 4, v0
	v_perm_b32 v25, v24, v25, s16
	v_perm_b32 v24, v28, v29, s16
	;; [unrolled: 1-line block ×4, first 2 shown]
	v_and_b32_e32 v82, 0x1e00, v63
	ds_write_b128 v1, v[22:25]
	v_or_b32_e32 v1, v76, v82
	v_lshlrev_b32_e32 v22, 1, v1
	v_lshlrev_b32_e32 v0, 6, v0
	; wave barrier
	ds_read_u16 v79, v22
	ds_read_u16 v78, v22 offset:128
	ds_read_u16 v77, v22 offset:256
	;; [unrolled: 1-line block ×7, first 2 shown]
	s_waitcnt lgkmcnt(0)
	s_barrier
	ds_write2_b64 v0, v[14:15], v[16:17] offset1:1
	ds_write2_b64 v0, v[10:11], v[12:13] offset0:2 offset1:3
	ds_write2_b64 v0, v[6:7], v[8:9] offset0:4 offset1:5
	;; [unrolled: 1-line block ×3, first 2 shown]
	v_lshlrev_b32_e32 v0, 3, v1
	; wave barrier
	ds_read2st64_b64 v[34:37], v0 offset1:1
	ds_read2st64_b64 v[30:33], v0 offset0:2 offset1:3
	ds_read2st64_b64 v[26:29], v0 offset0:4 offset1:5
	;; [unrolled: 1-line block ×3, first 2 shown]
	s_waitcnt lgkmcnt(0)
	s_barrier
	s_load_dword s18, s[50:51], 0xc
	s_getpc_b64 s[16:17]
	s_add_u32 s16, s16, _ZN7rocprim17ROCPRIM_400000_NS16block_radix_sortI6__halfLj256ELj8ElLj1ELj1ELj0ELNS0_26block_radix_rank_algorithmE1ELNS0_18block_padding_hintE2ELNS0_4arch9wavefront6targetE1EE19radix_bits_per_passE@rel32@lo+4
	s_addc_u32 s17, s17, _ZN7rocprim17ROCPRIM_400000_NS16block_radix_sortI6__halfLj256ELj8ElLj1ELj1ELj0ELNS0_26block_radix_rank_algorithmE1ELNS0_18block_padding_hintE2ELNS0_4arch9wavefront6targetE1EE19radix_bits_per_passE@rel32@hi+12
	s_load_dword s42, s[16:17], 0x0
	s_movk_i32 s19, 0x7fff
	v_mov_b32_e32 v41, 0xffff8000
	s_waitcnt lgkmcnt(0)
	s_lshr_b32 s16, s18, 16
	s_and_b32 s17, s18, 0xffff
	v_mad_u32_u24 v1, v66, s16, v65
	v_mad_u64_u32 v[38:39], s[16:17], v1, s17, v[46:47]
	s_min_u32 s16, s42, 16
	s_lshl_b32 s16, -1, s16
	v_cmp_ne_u16_e32 vcc, s19, v79
	s_not_b32 s18, s16
	v_cndmask_b32_e32 v1, v41, v79, vcc
	v_lshrrev_b32_e32 v68, 6, v38
	v_and_b32_sdwa v38, s18, v1 dst_sel:DWORD dst_unused:UNUSED_PAD src0_sel:DWORD src1_sel:WORD_0
	v_lshlrev_b32_e32 v1, 2, v38
	v_add_lshl_u32 v83, v68, v1, 2
	v_and_b32_e32 v1, 1, v38
	v_add_co_u32_e32 v39, vcc, -1, v1
	v_addc_co_u32_e64 v69, s[16:17], 0, -1, vcc
	v_cmp_ne_u32_e32 vcc, 0, v1
	v_xor_b32_e32 v1, vcc_hi, v69
	v_mov_b32_e32 v0, 0
	v_and_b32_e32 v69, exec_hi, v1
	v_lshlrev_b32_e32 v1, 30, v38
	v_xor_b32_e32 v39, vcc_lo, v39
	v_cmp_gt_i64_e32 vcc, 0, v[0:1]
	v_not_b32_e32 v1, v1
	v_ashrrev_i32_e32 v1, 31, v1
	v_and_b32_e32 v39, exec_lo, v39
	v_xor_b32_e32 v70, vcc_hi, v1
	v_xor_b32_e32 v1, vcc_lo, v1
	v_and_b32_e32 v39, v39, v1
	v_lshlrev_b32_e32 v1, 29, v38
	v_cmp_gt_i64_e32 vcc, 0, v[0:1]
	v_not_b32_e32 v1, v1
	v_ashrrev_i32_e32 v1, 31, v1
	v_and_b32_e32 v69, v69, v70
	v_xor_b32_e32 v70, vcc_hi, v1
	v_xor_b32_e32 v1, vcc_lo, v1
	v_and_b32_e32 v39, v39, v1
	v_lshlrev_b32_e32 v1, 28, v38
	v_cmp_gt_i64_e32 vcc, 0, v[0:1]
	v_not_b32_e32 v1, v1
	v_ashrrev_i32_e32 v1, 31, v1
	v_and_b32_e32 v69, v69, v70
	;; [unrolled: 8-line block ×5, first 2 shown]
	v_xor_b32_e32 v70, vcc_hi, v1
	v_xor_b32_e32 v1, vcc_lo, v1
	v_and_b32_e32 v69, v69, v70
	v_and_b32_e32 v70, v39, v1
	v_lshlrev_b32_e32 v1, 24, v38
	v_cmp_gt_i64_e32 vcc, 0, v[0:1]
	v_not_b32_e32 v1, v1
	v_ashrrev_i32_e32 v1, 31, v1
	v_xor_b32_e32 v38, vcc_hi, v1
	v_xor_b32_e32 v1, vcc_lo, v1
	v_and_b32_e32 v39, v69, v38
	v_and_b32_e32 v38, v70, v1
	v_mbcnt_lo_u32_b32 v1, v38, 0
	v_mbcnt_hi_u32_b32 v84, v39, v1
	v_cmp_eq_u32_e32 vcc, 0, v84
	v_cmp_ne_u64_e64 s[16:17], 0, v[38:39]
	s_and_b64 s[20:21], s[16:17], vcc
	ds_write2_b32 v64, v0, v0 offset0:4 offset1:5
	ds_write2_b32 v64, v0, v0 offset0:6 offset1:7
	s_waitcnt lgkmcnt(0)
	s_barrier
	s_waitcnt lgkmcnt(0)
	; wave barrier
	s_and_saveexec_b64 s[16:17], s[20:21]
	s_cbranch_execz .LBB226_32
; %bb.31:
	v_bcnt_u32_b32 v1, v38, 0
	v_bcnt_u32_b32 v1, v39, v1
	ds_write_b32 v83, v1 offset:16
.LBB226_32:
	s_or_b64 exec, exec, s[16:17]
	v_cmp_ne_u16_e32 vcc, s19, v78
	v_cndmask_b32_e32 v1, v41, v78, vcc
	v_and_b32_sdwa v38, s18, v1 dst_sel:DWORD dst_unused:UNUSED_PAD src0_sel:DWORD src1_sel:WORD_0
	v_lshlrev_b32_e32 v1, 2, v38
	v_add_lshl_u32 v86, v68, v1, 2
	v_and_b32_e32 v1, 1, v38
	v_add_co_u32_e32 v39, vcc, -1, v1
	v_addc_co_u32_e64 v41, s[16:17], 0, -1, vcc
	v_cmp_ne_u32_e32 vcc, 0, v1
	v_xor_b32_e32 v1, vcc_hi, v41
	v_and_b32_e32 v41, exec_hi, v1
	v_lshlrev_b32_e32 v1, 30, v38
	v_xor_b32_e32 v39, vcc_lo, v39
	v_cmp_gt_i64_e32 vcc, 0, v[0:1]
	v_not_b32_e32 v1, v1
	v_ashrrev_i32_e32 v1, 31, v1
	v_and_b32_e32 v39, exec_lo, v39
	v_xor_b32_e32 v69, vcc_hi, v1
	v_xor_b32_e32 v1, vcc_lo, v1
	v_and_b32_e32 v39, v39, v1
	v_lshlrev_b32_e32 v1, 29, v38
	v_cmp_gt_i64_e32 vcc, 0, v[0:1]
	v_not_b32_e32 v1, v1
	v_ashrrev_i32_e32 v1, 31, v1
	v_and_b32_e32 v41, v41, v69
	v_xor_b32_e32 v69, vcc_hi, v1
	v_xor_b32_e32 v1, vcc_lo, v1
	v_and_b32_e32 v39, v39, v1
	v_lshlrev_b32_e32 v1, 28, v38
	v_cmp_gt_i64_e32 vcc, 0, v[0:1]
	v_not_b32_e32 v1, v1
	v_ashrrev_i32_e32 v1, 31, v1
	v_and_b32_e32 v41, v41, v69
	;; [unrolled: 8-line block ×5, first 2 shown]
	v_xor_b32_e32 v69, vcc_hi, v1
	v_xor_b32_e32 v1, vcc_lo, v1
	v_and_b32_e32 v39, v39, v1
	v_lshlrev_b32_e32 v1, 24, v38
	v_cmp_gt_i64_e32 vcc, 0, v[0:1]
	v_not_b32_e32 v0, v1
	v_ashrrev_i32_e32 v0, 31, v0
	v_xor_b32_e32 v1, vcc_hi, v0
	v_xor_b32_e32 v0, vcc_lo, v0
	; wave barrier
	ds_read_b32 v85, v86 offset:16
	v_and_b32_e32 v41, v41, v69
	v_and_b32_e32 v0, v39, v0
	;; [unrolled: 1-line block ×3, first 2 shown]
	v_mbcnt_lo_u32_b32 v38, v0, 0
	v_mbcnt_hi_u32_b32 v87, v1, v38
	v_cmp_eq_u32_e32 vcc, 0, v87
	v_cmp_ne_u64_e64 s[16:17], 0, v[0:1]
	s_and_b64 s[20:21], s[16:17], vcc
	; wave barrier
	s_and_saveexec_b64 s[16:17], s[20:21]
	s_cbranch_execz .LBB226_34
; %bb.33:
	v_bcnt_u32_b32 v0, v0, 0
	v_bcnt_u32_b32 v0, v1, v0
	s_waitcnt lgkmcnt(0)
	v_add_u32_e32 v0, v85, v0
	ds_write_b32 v86, v0 offset:16
.LBB226_34:
	s_or_b64 exec, exec, s[16:17]
	v_mov_b32_e32 v41, 0xffff8000
	v_cmp_ne_u16_e32 vcc, s19, v77
	v_cndmask_b32_e32 v0, v41, v77, vcc
	v_and_b32_sdwa v38, s18, v0 dst_sel:DWORD dst_unused:UNUSED_PAD src0_sel:DWORD src1_sel:WORD_0
	v_and_b32_e32 v1, 1, v38
	v_add_co_u32_e32 v39, vcc, -1, v1
	v_addc_co_u32_e64 v69, s[16:17], 0, -1, vcc
	v_cmp_ne_u32_e32 vcc, 0, v1
	v_lshlrev_b32_e32 v0, 2, v38
	v_xor_b32_e32 v1, vcc_hi, v69
	v_add_lshl_u32 v89, v68, v0, 2
	v_mov_b32_e32 v0, 0
	v_and_b32_e32 v69, exec_hi, v1
	v_lshlrev_b32_e32 v1, 30, v38
	v_xor_b32_e32 v39, vcc_lo, v39
	v_cmp_gt_i64_e32 vcc, 0, v[0:1]
	v_not_b32_e32 v1, v1
	v_ashrrev_i32_e32 v1, 31, v1
	v_and_b32_e32 v39, exec_lo, v39
	v_xor_b32_e32 v70, vcc_hi, v1
	v_xor_b32_e32 v1, vcc_lo, v1
	v_and_b32_e32 v39, v39, v1
	v_lshlrev_b32_e32 v1, 29, v38
	v_cmp_gt_i64_e32 vcc, 0, v[0:1]
	v_not_b32_e32 v1, v1
	v_ashrrev_i32_e32 v1, 31, v1
	v_and_b32_e32 v69, v69, v70
	v_xor_b32_e32 v70, vcc_hi, v1
	v_xor_b32_e32 v1, vcc_lo, v1
	v_and_b32_e32 v39, v39, v1
	v_lshlrev_b32_e32 v1, 28, v38
	v_cmp_gt_i64_e32 vcc, 0, v[0:1]
	v_not_b32_e32 v1, v1
	v_ashrrev_i32_e32 v1, 31, v1
	v_and_b32_e32 v69, v69, v70
	;; [unrolled: 8-line block ×5, first 2 shown]
	v_xor_b32_e32 v70, vcc_hi, v1
	v_xor_b32_e32 v1, vcc_lo, v1
	v_and_b32_e32 v69, v69, v70
	v_and_b32_e32 v70, v39, v1
	v_lshlrev_b32_e32 v1, 24, v38
	v_cmp_gt_i64_e32 vcc, 0, v[0:1]
	v_not_b32_e32 v1, v1
	v_ashrrev_i32_e32 v1, 31, v1
	v_xor_b32_e32 v38, vcc_hi, v1
	v_xor_b32_e32 v1, vcc_lo, v1
	; wave barrier
	ds_read_b32 v88, v89 offset:16
	v_and_b32_e32 v39, v69, v38
	v_and_b32_e32 v38, v70, v1
	v_mbcnt_lo_u32_b32 v1, v38, 0
	v_mbcnt_hi_u32_b32 v90, v39, v1
	v_cmp_eq_u32_e32 vcc, 0, v90
	v_cmp_ne_u64_e64 s[16:17], 0, v[38:39]
	s_and_b64 s[20:21], s[16:17], vcc
	; wave barrier
	s_and_saveexec_b64 s[16:17], s[20:21]
	s_cbranch_execz .LBB226_36
; %bb.35:
	v_bcnt_u32_b32 v1, v38, 0
	v_bcnt_u32_b32 v1, v39, v1
	s_waitcnt lgkmcnt(0)
	v_add_u32_e32 v1, v88, v1
	ds_write_b32 v89, v1 offset:16
.LBB226_36:
	s_or_b64 exec, exec, s[16:17]
	v_cmp_ne_u16_e32 vcc, s19, v75
	v_cndmask_b32_e32 v1, v41, v75, vcc
	v_and_b32_sdwa v38, s18, v1 dst_sel:DWORD dst_unused:UNUSED_PAD src0_sel:DWORD src1_sel:WORD_0
	v_lshlrev_b32_e32 v1, 2, v38
	v_add_lshl_u32 v92, v68, v1, 2
	v_and_b32_e32 v1, 1, v38
	v_add_co_u32_e32 v39, vcc, -1, v1
	v_addc_co_u32_e64 v41, s[16:17], 0, -1, vcc
	v_cmp_ne_u32_e32 vcc, 0, v1
	v_xor_b32_e32 v1, vcc_hi, v41
	v_and_b32_e32 v41, exec_hi, v1
	v_lshlrev_b32_e32 v1, 30, v38
	v_xor_b32_e32 v39, vcc_lo, v39
	v_cmp_gt_i64_e32 vcc, 0, v[0:1]
	v_not_b32_e32 v1, v1
	v_ashrrev_i32_e32 v1, 31, v1
	v_and_b32_e32 v39, exec_lo, v39
	v_xor_b32_e32 v69, vcc_hi, v1
	v_xor_b32_e32 v1, vcc_lo, v1
	v_and_b32_e32 v39, v39, v1
	v_lshlrev_b32_e32 v1, 29, v38
	v_cmp_gt_i64_e32 vcc, 0, v[0:1]
	v_not_b32_e32 v1, v1
	v_ashrrev_i32_e32 v1, 31, v1
	v_and_b32_e32 v41, v41, v69
	v_xor_b32_e32 v69, vcc_hi, v1
	v_xor_b32_e32 v1, vcc_lo, v1
	v_and_b32_e32 v39, v39, v1
	v_lshlrev_b32_e32 v1, 28, v38
	v_cmp_gt_i64_e32 vcc, 0, v[0:1]
	v_not_b32_e32 v1, v1
	v_ashrrev_i32_e32 v1, 31, v1
	v_and_b32_e32 v41, v41, v69
	;; [unrolled: 8-line block ×5, first 2 shown]
	v_xor_b32_e32 v69, vcc_hi, v1
	v_xor_b32_e32 v1, vcc_lo, v1
	v_and_b32_e32 v39, v39, v1
	v_lshlrev_b32_e32 v1, 24, v38
	v_cmp_gt_i64_e32 vcc, 0, v[0:1]
	v_not_b32_e32 v0, v1
	v_ashrrev_i32_e32 v0, 31, v0
	v_xor_b32_e32 v1, vcc_hi, v0
	v_xor_b32_e32 v0, vcc_lo, v0
	; wave barrier
	ds_read_b32 v91, v92 offset:16
	v_and_b32_e32 v41, v41, v69
	v_and_b32_e32 v0, v39, v0
	;; [unrolled: 1-line block ×3, first 2 shown]
	v_mbcnt_lo_u32_b32 v38, v0, 0
	v_mbcnt_hi_u32_b32 v93, v1, v38
	v_cmp_eq_u32_e32 vcc, 0, v93
	v_cmp_ne_u64_e64 s[16:17], 0, v[0:1]
	s_and_b64 s[20:21], s[16:17], vcc
	; wave barrier
	s_and_saveexec_b64 s[16:17], s[20:21]
	s_cbranch_execz .LBB226_38
; %bb.37:
	v_bcnt_u32_b32 v0, v0, 0
	v_bcnt_u32_b32 v0, v1, v0
	s_waitcnt lgkmcnt(0)
	v_add_u32_e32 v0, v91, v0
	ds_write_b32 v92, v0 offset:16
.LBB226_38:
	s_or_b64 exec, exec, s[16:17]
	v_mov_b32_e32 v41, 0xffff8000
	v_cmp_ne_u16_e32 vcc, s19, v74
	v_cndmask_b32_e32 v0, v41, v74, vcc
	v_and_b32_sdwa v38, s18, v0 dst_sel:DWORD dst_unused:UNUSED_PAD src0_sel:DWORD src1_sel:WORD_0
	v_and_b32_e32 v1, 1, v38
	v_add_co_u32_e32 v39, vcc, -1, v1
	v_addc_co_u32_e64 v69, s[16:17], 0, -1, vcc
	v_cmp_ne_u32_e32 vcc, 0, v1
	v_lshlrev_b32_e32 v0, 2, v38
	v_xor_b32_e32 v1, vcc_hi, v69
	v_add_lshl_u32 v95, v68, v0, 2
	v_mov_b32_e32 v0, 0
	v_and_b32_e32 v69, exec_hi, v1
	v_lshlrev_b32_e32 v1, 30, v38
	v_xor_b32_e32 v39, vcc_lo, v39
	v_cmp_gt_i64_e32 vcc, 0, v[0:1]
	v_not_b32_e32 v1, v1
	v_ashrrev_i32_e32 v1, 31, v1
	v_and_b32_e32 v39, exec_lo, v39
	v_xor_b32_e32 v70, vcc_hi, v1
	v_xor_b32_e32 v1, vcc_lo, v1
	v_and_b32_e32 v39, v39, v1
	v_lshlrev_b32_e32 v1, 29, v38
	v_cmp_gt_i64_e32 vcc, 0, v[0:1]
	v_not_b32_e32 v1, v1
	v_ashrrev_i32_e32 v1, 31, v1
	v_and_b32_e32 v69, v69, v70
	v_xor_b32_e32 v70, vcc_hi, v1
	v_xor_b32_e32 v1, vcc_lo, v1
	v_and_b32_e32 v39, v39, v1
	v_lshlrev_b32_e32 v1, 28, v38
	v_cmp_gt_i64_e32 vcc, 0, v[0:1]
	v_not_b32_e32 v1, v1
	v_ashrrev_i32_e32 v1, 31, v1
	v_and_b32_e32 v69, v69, v70
	;; [unrolled: 8-line block ×5, first 2 shown]
	v_xor_b32_e32 v70, vcc_hi, v1
	v_xor_b32_e32 v1, vcc_lo, v1
	v_and_b32_e32 v69, v69, v70
	v_and_b32_e32 v70, v39, v1
	v_lshlrev_b32_e32 v1, 24, v38
	v_cmp_gt_i64_e32 vcc, 0, v[0:1]
	v_not_b32_e32 v1, v1
	v_ashrrev_i32_e32 v1, 31, v1
	v_xor_b32_e32 v38, vcc_hi, v1
	v_xor_b32_e32 v1, vcc_lo, v1
	; wave barrier
	ds_read_b32 v94, v95 offset:16
	v_and_b32_e32 v39, v69, v38
	v_and_b32_e32 v38, v70, v1
	v_mbcnt_lo_u32_b32 v1, v38, 0
	v_mbcnt_hi_u32_b32 v96, v39, v1
	v_cmp_eq_u32_e32 vcc, 0, v96
	v_cmp_ne_u64_e64 s[16:17], 0, v[38:39]
	s_and_b64 s[20:21], s[16:17], vcc
	; wave barrier
	s_and_saveexec_b64 s[16:17], s[20:21]
	s_cbranch_execz .LBB226_40
; %bb.39:
	v_bcnt_u32_b32 v1, v38, 0
	v_bcnt_u32_b32 v1, v39, v1
	s_waitcnt lgkmcnt(0)
	v_add_u32_e32 v1, v94, v1
	ds_write_b32 v95, v1 offset:16
.LBB226_40:
	s_or_b64 exec, exec, s[16:17]
	v_cmp_ne_u16_e32 vcc, s19, v73
	v_cndmask_b32_e32 v1, v41, v73, vcc
	v_and_b32_sdwa v38, s18, v1 dst_sel:DWORD dst_unused:UNUSED_PAD src0_sel:DWORD src1_sel:WORD_0
	v_lshlrev_b32_e32 v1, 2, v38
	v_add_lshl_u32 v98, v68, v1, 2
	v_and_b32_e32 v1, 1, v38
	v_add_co_u32_e32 v39, vcc, -1, v1
	v_addc_co_u32_e64 v41, s[16:17], 0, -1, vcc
	v_cmp_ne_u32_e32 vcc, 0, v1
	v_xor_b32_e32 v1, vcc_hi, v41
	v_and_b32_e32 v41, exec_hi, v1
	v_lshlrev_b32_e32 v1, 30, v38
	v_xor_b32_e32 v39, vcc_lo, v39
	v_cmp_gt_i64_e32 vcc, 0, v[0:1]
	v_not_b32_e32 v1, v1
	v_ashrrev_i32_e32 v1, 31, v1
	v_and_b32_e32 v39, exec_lo, v39
	v_xor_b32_e32 v69, vcc_hi, v1
	v_xor_b32_e32 v1, vcc_lo, v1
	v_and_b32_e32 v39, v39, v1
	v_lshlrev_b32_e32 v1, 29, v38
	v_cmp_gt_i64_e32 vcc, 0, v[0:1]
	v_not_b32_e32 v1, v1
	v_ashrrev_i32_e32 v1, 31, v1
	v_and_b32_e32 v41, v41, v69
	v_xor_b32_e32 v69, vcc_hi, v1
	v_xor_b32_e32 v1, vcc_lo, v1
	v_and_b32_e32 v39, v39, v1
	v_lshlrev_b32_e32 v1, 28, v38
	v_cmp_gt_i64_e32 vcc, 0, v[0:1]
	v_not_b32_e32 v1, v1
	v_ashrrev_i32_e32 v1, 31, v1
	v_and_b32_e32 v41, v41, v69
	;; [unrolled: 8-line block ×5, first 2 shown]
	v_xor_b32_e32 v69, vcc_hi, v1
	v_xor_b32_e32 v1, vcc_lo, v1
	v_and_b32_e32 v39, v39, v1
	v_lshlrev_b32_e32 v1, 24, v38
	v_cmp_gt_i64_e32 vcc, 0, v[0:1]
	v_not_b32_e32 v0, v1
	v_ashrrev_i32_e32 v0, 31, v0
	v_xor_b32_e32 v1, vcc_hi, v0
	v_xor_b32_e32 v0, vcc_lo, v0
	; wave barrier
	ds_read_b32 v97, v98 offset:16
	v_and_b32_e32 v41, v41, v69
	v_and_b32_e32 v0, v39, v0
	;; [unrolled: 1-line block ×3, first 2 shown]
	v_mbcnt_lo_u32_b32 v38, v0, 0
	v_mbcnt_hi_u32_b32 v99, v1, v38
	v_cmp_eq_u32_e32 vcc, 0, v99
	v_cmp_ne_u64_e64 s[16:17], 0, v[0:1]
	s_and_b64 s[20:21], s[16:17], vcc
	; wave barrier
	s_and_saveexec_b64 s[16:17], s[20:21]
	s_cbranch_execz .LBB226_42
; %bb.41:
	v_bcnt_u32_b32 v0, v0, 0
	v_bcnt_u32_b32 v0, v1, v0
	s_waitcnt lgkmcnt(0)
	v_add_u32_e32 v0, v97, v0
	ds_write_b32 v98, v0 offset:16
.LBB226_42:
	s_or_b64 exec, exec, s[16:17]
	v_mov_b32_e32 v41, 0xffff8000
	v_cmp_ne_u16_e32 vcc, s19, v72
	v_cndmask_b32_e32 v0, v41, v72, vcc
	v_and_b32_sdwa v38, s18, v0 dst_sel:DWORD dst_unused:UNUSED_PAD src0_sel:DWORD src1_sel:WORD_0
	v_and_b32_e32 v1, 1, v38
	v_add_co_u32_e32 v39, vcc, -1, v1
	v_addc_co_u32_e64 v69, s[16:17], 0, -1, vcc
	v_cmp_ne_u32_e32 vcc, 0, v1
	v_lshlrev_b32_e32 v0, 2, v38
	v_xor_b32_e32 v1, vcc_hi, v69
	v_add_lshl_u32 v101, v68, v0, 2
	v_mov_b32_e32 v0, 0
	v_and_b32_e32 v69, exec_hi, v1
	v_lshlrev_b32_e32 v1, 30, v38
	v_xor_b32_e32 v39, vcc_lo, v39
	v_cmp_gt_i64_e32 vcc, 0, v[0:1]
	v_not_b32_e32 v1, v1
	v_ashrrev_i32_e32 v1, 31, v1
	v_and_b32_e32 v39, exec_lo, v39
	v_xor_b32_e32 v70, vcc_hi, v1
	v_xor_b32_e32 v1, vcc_lo, v1
	v_and_b32_e32 v39, v39, v1
	v_lshlrev_b32_e32 v1, 29, v38
	v_cmp_gt_i64_e32 vcc, 0, v[0:1]
	v_not_b32_e32 v1, v1
	v_ashrrev_i32_e32 v1, 31, v1
	v_and_b32_e32 v69, v69, v70
	v_xor_b32_e32 v70, vcc_hi, v1
	v_xor_b32_e32 v1, vcc_lo, v1
	v_and_b32_e32 v39, v39, v1
	v_lshlrev_b32_e32 v1, 28, v38
	v_cmp_gt_i64_e32 vcc, 0, v[0:1]
	v_not_b32_e32 v1, v1
	v_ashrrev_i32_e32 v1, 31, v1
	v_and_b32_e32 v69, v69, v70
	;; [unrolled: 8-line block ×5, first 2 shown]
	v_xor_b32_e32 v70, vcc_hi, v1
	v_xor_b32_e32 v1, vcc_lo, v1
	v_and_b32_e32 v69, v69, v70
	v_and_b32_e32 v70, v39, v1
	v_lshlrev_b32_e32 v1, 24, v38
	v_cmp_gt_i64_e32 vcc, 0, v[0:1]
	v_not_b32_e32 v1, v1
	v_ashrrev_i32_e32 v1, 31, v1
	v_xor_b32_e32 v38, vcc_hi, v1
	v_xor_b32_e32 v1, vcc_lo, v1
	; wave barrier
	ds_read_b32 v100, v101 offset:16
	v_and_b32_e32 v39, v69, v38
	v_and_b32_e32 v38, v70, v1
	v_mbcnt_lo_u32_b32 v1, v38, 0
	v_mbcnt_hi_u32_b32 v102, v39, v1
	v_cmp_eq_u32_e32 vcc, 0, v102
	v_cmp_ne_u64_e64 s[16:17], 0, v[38:39]
	s_and_b64 s[20:21], s[16:17], vcc
	; wave barrier
	s_and_saveexec_b64 s[16:17], s[20:21]
	s_cbranch_execz .LBB226_44
; %bb.43:
	v_bcnt_u32_b32 v1, v38, 0
	v_bcnt_u32_b32 v1, v39, v1
	s_waitcnt lgkmcnt(0)
	v_add_u32_e32 v1, v100, v1
	ds_write_b32 v101, v1 offset:16
.LBB226_44:
	s_or_b64 exec, exec, s[16:17]
	v_cmp_ne_u16_e32 vcc, s19, v71
	v_cndmask_b32_e32 v1, v41, v71, vcc
	v_and_b32_sdwa v38, s18, v1 dst_sel:DWORD dst_unused:UNUSED_PAD src0_sel:DWORD src1_sel:WORD_0
	v_lshlrev_b32_e32 v1, 2, v38
	v_add_lshl_u32 v104, v68, v1, 2
	v_and_b32_e32 v1, 1, v38
	v_add_co_u32_e32 v39, vcc, -1, v1
	v_min_u32_e32 v80, 0xc0, v40
	v_addc_co_u32_e64 v40, s[16:17], 0, -1, vcc
	v_cmp_ne_u32_e32 vcc, 0, v1
	v_xor_b32_e32 v1, vcc_hi, v40
	v_and_b32_e32 v40, exec_hi, v1
	v_lshlrev_b32_e32 v1, 30, v38
	v_xor_b32_e32 v39, vcc_lo, v39
	v_cmp_gt_i64_e32 vcc, 0, v[0:1]
	v_not_b32_e32 v1, v1
	v_ashrrev_i32_e32 v1, 31, v1
	v_and_b32_e32 v39, exec_lo, v39
	v_xor_b32_e32 v41, vcc_hi, v1
	v_xor_b32_e32 v1, vcc_lo, v1
	v_and_b32_e32 v39, v39, v1
	v_lshlrev_b32_e32 v1, 29, v38
	v_cmp_gt_i64_e32 vcc, 0, v[0:1]
	v_not_b32_e32 v1, v1
	v_ashrrev_i32_e32 v1, 31, v1
	v_and_b32_e32 v40, v40, v41
	v_xor_b32_e32 v41, vcc_hi, v1
	v_xor_b32_e32 v1, vcc_lo, v1
	v_and_b32_e32 v39, v39, v1
	v_lshlrev_b32_e32 v1, 28, v38
	v_cmp_gt_i64_e32 vcc, 0, v[0:1]
	v_not_b32_e32 v1, v1
	v_ashrrev_i32_e32 v1, 31, v1
	v_and_b32_e32 v40, v40, v41
	;; [unrolled: 8-line block ×5, first 2 shown]
	v_xor_b32_e32 v41, vcc_hi, v1
	v_xor_b32_e32 v1, vcc_lo, v1
	v_and_b32_e32 v39, v39, v1
	v_lshlrev_b32_e32 v1, 24, v38
	v_cmp_gt_i64_e32 vcc, 0, v[0:1]
	v_not_b32_e32 v0, v1
	v_ashrrev_i32_e32 v0, 31, v0
	v_xor_b32_e32 v1, vcc_hi, v0
	v_xor_b32_e32 v0, vcc_lo, v0
	; wave barrier
	ds_read_b32 v103, v104 offset:16
	v_and_b32_e32 v40, v40, v41
	v_and_b32_e32 v0, v39, v0
	;; [unrolled: 1-line block ×3, first 2 shown]
	v_mbcnt_lo_u32_b32 v38, v0, 0
	v_mbcnt_hi_u32_b32 v105, v1, v38
	v_cmp_eq_u32_e32 vcc, 0, v105
	v_cmp_ne_u64_e64 s[16:17], 0, v[0:1]
	v_add_u32_e32 v69, 16, v64
	v_lshrrev_b32_e32 v70, 6, v46
	s_and_b64 s[18:19], s[16:17], vcc
	; wave barrier
	s_and_saveexec_b64 s[16:17], s[18:19]
	s_cbranch_execz .LBB226_46
; %bb.45:
	v_bcnt_u32_b32 v0, v0, 0
	v_bcnt_u32_b32 v0, v1, v0
	s_waitcnt lgkmcnt(0)
	v_add_u32_e32 v0, v103, v0
	ds_write_b32 v104, v0 offset:16
.LBB226_46:
	s_or_b64 exec, exec, s[16:17]
	; wave barrier
	s_waitcnt lgkmcnt(0)
	s_barrier
	ds_read2_b32 v[38:39], v64 offset0:4 offset1:5
	ds_read2_b32 v[40:41], v69 offset0:2 offset1:3
	v_and_b32_e32 v1, 16, v76
	v_cmp_eq_u32_e32 vcc, 0, v1
	v_or_b32_e32 v1, 63, v80
	v_cmp_eq_u32_e64 s[16:17], v1, v46
	s_waitcnt lgkmcnt(1)
	v_add_u32_e32 v1, v39, v38
	v_and_b32_e32 v0, 15, v76
	s_waitcnt lgkmcnt(0)
	v_add3_u32 v1, v1, v40, v41
	v_cmp_eq_u32_e64 s[22:23], 0, v0
	v_cmp_lt_u32_e64 s[24:25], 1, v0
	v_mov_b32_dpp v41, v1 row_shr:1 row_mask:0xf bank_mask:0xf
	v_cndmask_b32_e64 v41, v41, 0, s[22:23]
	v_add_u32_e32 v1, v41, v1
	v_cmp_lt_u32_e64 s[28:29], 3, v0
	v_cmp_lt_u32_e64 s[30:31], 7, v0
	v_mov_b32_dpp v41, v1 row_shr:2 row_mask:0xf bank_mask:0xf
	v_cndmask_b32_e64 v41, 0, v41, s[24:25]
	v_add_u32_e32 v1, v1, v41
	v_bfe_i32 v81, v76, 4, 1
	v_cmp_lt_u32_e64 s[34:35], 31, v76
	v_mov_b32_dpp v41, v1 row_shr:4 row_mask:0xf bank_mask:0xf
	v_cndmask_b32_e64 v41, 0, v41, s[28:29]
	v_add_u32_e32 v1, v1, v41
	v_lshlrev_b32_e32 v70, 2, v70
	s_nop 0
	v_mov_b32_dpp v41, v1 row_shr:8 row_mask:0xf bank_mask:0xf
	v_cndmask_b32_e64 v0, 0, v41, s[30:31]
	v_add_u32_e32 v0, v1, v0
	s_nop 1
	v_mov_b32_dpp v1, v0 row_bcast:15 row_mask:0xf bank_mask:0xf
	v_and_b32_e32 v1, v81, v1
	v_add_u32_e32 v0, v0, v1
	s_nop 1
	v_mov_b32_dpp v1, v0 row_bcast:31 row_mask:0xf bank_mask:0xf
	v_cndmask_b32_e64 v1, 0, v1, s[34:35]
	v_add_u32_e32 v1, v0, v1
	s_and_saveexec_b64 s[18:19], s[16:17]
	s_cbranch_execz .LBB226_48
; %bb.47:
	ds_write_b32 v70, v1
.LBB226_48:
	s_or_b64 exec, exec, s[18:19]
	v_and_b32_e32 v0, 3, v76
	v_cmp_gt_u32_e64 s[26:27], 4, v46
	v_lshlrev_b32_e32 v41, 2, v46
	v_cmp_eq_u32_e64 s[20:21], 0, v0
	v_cmp_lt_u32_e64 s[18:19], 1, v0
	s_waitcnt lgkmcnt(0)
	s_barrier
	s_and_saveexec_b64 s[36:37], s[26:27]
	s_cbranch_execz .LBB226_50
; %bb.49:
	ds_read_b32 v0, v41
	s_waitcnt lgkmcnt(0)
	s_nop 0
	v_mov_b32_dpp v80, v0 row_shr:1 row_mask:0xf bank_mask:0xf
	v_cndmask_b32_e64 v80, v80, 0, s[20:21]
	v_add_u32_e32 v0, v80, v0
	s_nop 1
	v_mov_b32_dpp v80, v0 row_shr:2 row_mask:0xf bank_mask:0xf
	v_cndmask_b32_e64 v80, 0, v80, s[18:19]
	v_add_u32_e32 v0, v0, v80
	ds_write_b32 v41, v0
.LBB226_50:
	s_or_b64 exec, exec, s[36:37]
	v_cmp_lt_u32_e64 s[36:37], 63, v46
	v_add_u32_e32 v80, -4, v70
	v_mov_b32_e32 v0, 0
	v_mov_b32_e32 v106, 0
	s_waitcnt lgkmcnt(0)
	s_barrier
	s_and_saveexec_b64 s[38:39], s[36:37]
	s_cbranch_execz .LBB226_52
; %bb.51:
	ds_read_b32 v106, v80
.LBB226_52:
	s_or_b64 exec, exec, s[38:39]
	v_add_u32_e32 v81, -1, v76
	v_and_b32_e32 v107, 64, v76
	v_cmp_lt_i32_e64 s[38:39], v81, v107
	v_cndmask_b32_e64 v81, v81, v76, s[38:39]
	v_lshlrev_b32_e32 v81, 2, v81
	s_waitcnt lgkmcnt(0)
	v_add_u32_e32 v1, v106, v1
	ds_bpermute_b32 v1, v81, v1
	v_cmp_eq_u32_e64 s[38:39], 0, v76
	v_cmp_eq_u32_e64 s[40:41], 0, v46
	v_and_or_b32 v82, v76, 63, v82
	v_lshlrev_b32_e32 v107, 1, v82
	s_waitcnt lgkmcnt(0)
	v_cndmask_b32_e64 v1, v1, v106, s[38:39]
	v_cndmask_b32_e64 v1, v1, 0, s[40:41]
	v_add_u32_e32 v38, v1, v38
	v_add_u32_e32 v39, v38, v39
	;; [unrolled: 1-line block ×3, first 2 shown]
	ds_write2_b32 v64, v1, v38 offset0:4 offset1:5
	ds_write2_b32 v69, v39, v40 offset0:2 offset1:3
	s_waitcnt lgkmcnt(0)
	s_barrier
	ds_read_b32 v1, v83 offset:16
	ds_read_b32 v38, v86 offset:16
	;; [unrolled: 1-line block ×8, first 2 shown]
	s_waitcnt lgkmcnt(7)
	v_add_u32_e32 v1, v1, v84
	s_waitcnt lgkmcnt(6)
	v_add3_u32 v38, v87, v85, v38
	s_waitcnt lgkmcnt(4)
	v_add3_u32 v84, v93, v91, v40
	v_lshlrev_b32_e32 v40, 1, v1
	v_add3_u32 v39, v90, v88, v39
	s_waitcnt lgkmcnt(0)
	s_barrier
	ds_write_b16 v40, v79
	v_lshlrev_b32_e32 v40, 1, v38
	ds_write_b16 v40, v78
	v_lshlrev_b32_e32 v40, 1, v39
	v_add3_u32 v85, v96, v94, v76
	ds_write_b16 v40, v77
	v_lshlrev_b32_e32 v40, 1, v84
	v_add3_u32 v83, v99, v97, v83
	;; [unrolled: 3-line block ×4, first 2 shown]
	ds_write_b16 v40, v73
	v_lshlrev_b32_e32 v40, 1, v86
	ds_write_b16 v40, v72
	v_lshlrev_b32_e32 v40, 1, v87
	v_lshlrev_b32_e32 v1, 3, v1
	ds_write_b16 v40, v71
	s_waitcnt lgkmcnt(0)
	s_barrier
	ds_read_u16 v77, v107
	ds_read_u16 v76, v107 offset:128
	ds_read_u16 v75, v107 offset:256
	;; [unrolled: 1-line block ×7, first 2 shown]
	s_waitcnt lgkmcnt(0)
	s_barrier
	ds_write_b64 v1, v[34:35]
	v_lshlrev_b32_e32 v1, 3, v38
	ds_write_b64 v1, v[36:37]
	v_lshlrev_b32_e32 v1, 3, v39
	;; [unrolled: 2-line block ×6, first 2 shown]
	s_min_u32 s42, s42, 8
	ds_write_b64 v1, v[22:23]
	v_lshlrev_b32_e32 v1, 3, v87
	s_lshl_b32 s42, -1, s42
	s_movk_i32 s54, 0x7fff
	ds_write_b64 v1, v[24:25]
	s_not_b32 s53, s42
	v_lshrrev_b16_e32 v1, 8, v77
	v_mov_b32_e32 v38, 0x80
	v_cmp_ne_u16_e64 s[42:43], s54, v77
	v_cndmask_b32_e64 v1, v38, v1, s[42:43]
	v_and_b32_sdwa v39, v1, s53 dst_sel:DWORD dst_unused:UNUSED_PAD src0_sel:WORD_0 src1_sel:DWORD
	v_lshlrev_b32_e32 v1, 2, v39
	v_add_lshl_u32 v78, v1, v68, 2
	v_and_b32_e32 v1, 1, v39
	v_lshlrev_b32_e32 v82, 3, v82
	v_add_co_u32_e64 v79, s[42:43], -1, v1
	s_waitcnt lgkmcnt(0)
	s_barrier
	ds_read2st64_b64 v[34:37], v82 offset1:1
	ds_read2st64_b64 v[30:33], v82 offset0:2 offset1:3
	ds_read2st64_b64 v[26:29], v82 offset0:4 offset1:5
	;; [unrolled: 1-line block ×3, first 2 shown]
	v_addc_co_u32_e64 v82, s[42:43], 0, -1, s[42:43]
	v_cmp_ne_u32_e64 s[42:43], 0, v1
	v_xor_b32_e32 v1, s43, v82
	v_and_b32_e32 v82, exec_hi, v1
	v_lshlrev_b32_e32 v1, 30, v39
	v_xor_b32_e32 v79, s42, v79
	v_cmp_gt_i64_e64 s[42:43], 0, v[0:1]
	v_not_b32_e32 v1, v1
	v_ashrrev_i32_e32 v1, 31, v1
	v_and_b32_e32 v79, exec_lo, v79
	v_xor_b32_e32 v83, s43, v1
	v_xor_b32_e32 v1, s42, v1
	v_and_b32_e32 v79, v79, v1
	v_lshlrev_b32_e32 v1, 29, v39
	v_cmp_gt_i64_e64 s[42:43], 0, v[0:1]
	v_not_b32_e32 v1, v1
	v_ashrrev_i32_e32 v1, 31, v1
	v_and_b32_e32 v82, v82, v83
	v_xor_b32_e32 v83, s43, v1
	v_xor_b32_e32 v1, s42, v1
	v_and_b32_e32 v79, v79, v1
	v_lshlrev_b32_e32 v1, 28, v39
	v_cmp_gt_i64_e64 s[42:43], 0, v[0:1]
	v_not_b32_e32 v1, v1
	v_ashrrev_i32_e32 v1, 31, v1
	v_and_b32_e32 v82, v82, v83
	;; [unrolled: 8-line block ×5, first 2 shown]
	v_xor_b32_e32 v83, s43, v1
	v_xor_b32_e32 v1, s42, v1
	v_and_b32_e32 v79, v79, v1
	v_lshlrev_b32_e32 v1, 24, v39
	s_waitcnt lgkmcnt(0)
	s_barrier
	ds_write2_b32 v64, v0, v0 offset0:4 offset1:5
	ds_write2_b32 v69, v0, v0 offset0:2 offset1:3
	v_cmp_gt_i64_e64 s[42:43], 0, v[0:1]
	v_not_b32_e32 v0, v1
	v_ashrrev_i32_e32 v0, 31, v0
	v_xor_b32_e32 v1, s43, v0
	v_xor_b32_e32 v0, s42, v0
	v_and_b32_e32 v82, v82, v83
	v_and_b32_e32 v0, v79, v0
	;; [unrolled: 1-line block ×3, first 2 shown]
	v_mbcnt_lo_u32_b32 v39, v0, 0
	v_mbcnt_hi_u32_b32 v79, v1, v39
	v_cmp_eq_u32_e64 s[42:43], 0, v79
	v_cmp_ne_u64_e64 s[44:45], 0, v[0:1]
	s_and_b64 s[44:45], s[44:45], s[42:43]
	s_waitcnt lgkmcnt(0)
	s_barrier
	s_waitcnt lgkmcnt(0)
	; wave barrier
	s_and_saveexec_b64 s[42:43], s[44:45]
	s_cbranch_execz .LBB226_54
; %bb.53:
	v_bcnt_u32_b32 v0, v0, 0
	v_bcnt_u32_b32 v0, v1, v0
	ds_write_b32 v78, v0 offset:16
.LBB226_54:
	s_or_b64 exec, exec, s[42:43]
	v_lshrrev_b16_e32 v0, 8, v76
	v_cmp_ne_u16_e64 s[42:43], s54, v76
	v_cndmask_b32_e64 v0, v38, v0, s[42:43]
	v_and_b32_e32 v38, s53, v0
	v_and_b32_e32 v1, 1, v38
	v_add_co_u32_e64 v39, s[42:43], -1, v1
	v_addc_co_u32_e64 v84, s[42:43], 0, -1, s[42:43]
	v_cmp_ne_u32_e64 s[42:43], 0, v1
	v_lshlrev_b32_e32 v0, 2, v38
	v_xor_b32_e32 v1, s43, v84
	v_add_lshl_u32 v83, v0, v68, 2
	v_mov_b32_e32 v0, 0
	v_and_b32_e32 v84, exec_hi, v1
	v_lshlrev_b32_e32 v1, 30, v38
	v_xor_b32_e32 v39, s42, v39
	v_cmp_gt_i64_e64 s[42:43], 0, v[0:1]
	v_not_b32_e32 v1, v1
	v_ashrrev_i32_e32 v1, 31, v1
	v_and_b32_e32 v39, exec_lo, v39
	v_xor_b32_e32 v85, s43, v1
	v_xor_b32_e32 v1, s42, v1
	v_and_b32_e32 v39, v39, v1
	v_lshlrev_b32_e32 v1, 29, v38
	v_cmp_gt_i64_e64 s[42:43], 0, v[0:1]
	v_not_b32_e32 v1, v1
	v_ashrrev_i32_e32 v1, 31, v1
	v_and_b32_e32 v84, v84, v85
	v_xor_b32_e32 v85, s43, v1
	v_xor_b32_e32 v1, s42, v1
	v_and_b32_e32 v39, v39, v1
	v_lshlrev_b32_e32 v1, 28, v38
	v_cmp_gt_i64_e64 s[42:43], 0, v[0:1]
	v_not_b32_e32 v1, v1
	v_ashrrev_i32_e32 v1, 31, v1
	v_and_b32_e32 v84, v84, v85
	;; [unrolled: 8-line block ×5, first 2 shown]
	v_xor_b32_e32 v85, s43, v1
	v_xor_b32_e32 v1, s42, v1
	v_and_b32_e32 v84, v84, v85
	v_and_b32_e32 v85, v39, v1
	v_lshlrev_b32_e32 v1, 24, v38
	v_cmp_gt_i64_e64 s[42:43], 0, v[0:1]
	v_not_b32_e32 v1, v1
	v_ashrrev_i32_e32 v1, 31, v1
	v_xor_b32_e32 v38, s43, v1
	v_xor_b32_e32 v1, s42, v1
	; wave barrier
	ds_read_b32 v82, v83 offset:16
	v_and_b32_e32 v39, v84, v38
	v_and_b32_e32 v38, v85, v1
	v_mbcnt_lo_u32_b32 v1, v38, 0
	v_mbcnt_hi_u32_b32 v84, v39, v1
	v_cmp_eq_u32_e64 s[42:43], 0, v84
	v_cmp_ne_u64_e64 s[44:45], 0, v[38:39]
	s_and_b64 s[44:45], s[44:45], s[42:43]
	; wave barrier
	s_and_saveexec_b64 s[42:43], s[44:45]
	s_cbranch_execz .LBB226_56
; %bb.55:
	v_bcnt_u32_b32 v1, v38, 0
	v_bcnt_u32_b32 v1, v39, v1
	s_waitcnt lgkmcnt(0)
	v_add_u32_e32 v1, v82, v1
	ds_write_b32 v83, v1 offset:16
.LBB226_56:
	s_or_b64 exec, exec, s[42:43]
	v_lshrrev_b16_e32 v1, 8, v75
	v_mov_b32_e32 v38, 0x80
	v_cmp_ne_u16_e64 s[42:43], s54, v75
	v_cndmask_b32_e64 v1, v38, v1, s[42:43]
	v_and_b32_e32 v39, s53, v1
	v_lshlrev_b32_e32 v1, 2, v39
	v_add_lshl_u32 v86, v1, v68, 2
	v_and_b32_e32 v1, 1, v39
	v_add_co_u32_e64 v87, s[42:43], -1, v1
	v_addc_co_u32_e64 v88, s[42:43], 0, -1, s[42:43]
	v_cmp_ne_u32_e64 s[42:43], 0, v1
	v_xor_b32_e32 v1, s43, v88
	v_and_b32_e32 v88, exec_hi, v1
	v_lshlrev_b32_e32 v1, 30, v39
	v_xor_b32_e32 v87, s42, v87
	v_cmp_gt_i64_e64 s[42:43], 0, v[0:1]
	v_not_b32_e32 v1, v1
	v_ashrrev_i32_e32 v1, 31, v1
	v_and_b32_e32 v87, exec_lo, v87
	v_xor_b32_e32 v89, s43, v1
	v_xor_b32_e32 v1, s42, v1
	v_and_b32_e32 v87, v87, v1
	v_lshlrev_b32_e32 v1, 29, v39
	v_cmp_gt_i64_e64 s[42:43], 0, v[0:1]
	v_not_b32_e32 v1, v1
	v_ashrrev_i32_e32 v1, 31, v1
	v_and_b32_e32 v88, v88, v89
	v_xor_b32_e32 v89, s43, v1
	v_xor_b32_e32 v1, s42, v1
	v_and_b32_e32 v87, v87, v1
	v_lshlrev_b32_e32 v1, 28, v39
	v_cmp_gt_i64_e64 s[42:43], 0, v[0:1]
	v_not_b32_e32 v1, v1
	v_ashrrev_i32_e32 v1, 31, v1
	v_and_b32_e32 v88, v88, v89
	;; [unrolled: 8-line block ×5, first 2 shown]
	v_xor_b32_e32 v89, s43, v1
	v_xor_b32_e32 v1, s42, v1
	v_and_b32_e32 v87, v87, v1
	v_lshlrev_b32_e32 v1, 24, v39
	v_cmp_gt_i64_e64 s[42:43], 0, v[0:1]
	v_not_b32_e32 v0, v1
	v_ashrrev_i32_e32 v0, 31, v0
	v_xor_b32_e32 v1, s43, v0
	v_xor_b32_e32 v0, s42, v0
	; wave barrier
	ds_read_b32 v85, v86 offset:16
	v_and_b32_e32 v88, v88, v89
	v_and_b32_e32 v0, v87, v0
	;; [unrolled: 1-line block ×3, first 2 shown]
	v_mbcnt_lo_u32_b32 v39, v0, 0
	v_mbcnt_hi_u32_b32 v87, v1, v39
	v_cmp_eq_u32_e64 s[42:43], 0, v87
	v_cmp_ne_u64_e64 s[44:45], 0, v[0:1]
	s_and_b64 s[44:45], s[44:45], s[42:43]
	; wave barrier
	s_and_saveexec_b64 s[42:43], s[44:45]
	s_cbranch_execz .LBB226_58
; %bb.57:
	v_bcnt_u32_b32 v0, v0, 0
	v_bcnt_u32_b32 v0, v1, v0
	s_waitcnt lgkmcnt(0)
	v_add_u32_e32 v0, v85, v0
	ds_write_b32 v86, v0 offset:16
.LBB226_58:
	s_or_b64 exec, exec, s[42:43]
	v_lshrrev_b16_e32 v0, 8, v74
	v_cmp_ne_u16_e64 s[42:43], s54, v74
	v_cndmask_b32_e64 v0, v38, v0, s[42:43]
	v_and_b32_e32 v38, s53, v0
	v_and_b32_e32 v1, 1, v38
	v_add_co_u32_e64 v39, s[42:43], -1, v1
	v_addc_co_u32_e64 v90, s[42:43], 0, -1, s[42:43]
	v_cmp_ne_u32_e64 s[42:43], 0, v1
	v_lshlrev_b32_e32 v0, 2, v38
	v_xor_b32_e32 v1, s43, v90
	v_add_lshl_u32 v89, v0, v68, 2
	v_mov_b32_e32 v0, 0
	v_and_b32_e32 v90, exec_hi, v1
	v_lshlrev_b32_e32 v1, 30, v38
	v_xor_b32_e32 v39, s42, v39
	v_cmp_gt_i64_e64 s[42:43], 0, v[0:1]
	v_not_b32_e32 v1, v1
	v_ashrrev_i32_e32 v1, 31, v1
	v_and_b32_e32 v39, exec_lo, v39
	v_xor_b32_e32 v91, s43, v1
	v_xor_b32_e32 v1, s42, v1
	v_and_b32_e32 v39, v39, v1
	v_lshlrev_b32_e32 v1, 29, v38
	v_cmp_gt_i64_e64 s[42:43], 0, v[0:1]
	v_not_b32_e32 v1, v1
	v_ashrrev_i32_e32 v1, 31, v1
	v_and_b32_e32 v90, v90, v91
	v_xor_b32_e32 v91, s43, v1
	v_xor_b32_e32 v1, s42, v1
	v_and_b32_e32 v39, v39, v1
	v_lshlrev_b32_e32 v1, 28, v38
	v_cmp_gt_i64_e64 s[42:43], 0, v[0:1]
	v_not_b32_e32 v1, v1
	v_ashrrev_i32_e32 v1, 31, v1
	v_and_b32_e32 v90, v90, v91
	v_xor_b32_e32 v91, s43, v1
	v_xor_b32_e32 v1, s42, v1
	v_and_b32_e32 v39, v39, v1
	v_lshlrev_b32_e32 v1, 27, v38
	v_cmp_gt_i64_e64 s[42:43], 0, v[0:1]
	v_not_b32_e32 v1, v1
	v_ashrrev_i32_e32 v1, 31, v1
	v_and_b32_e32 v90, v90, v91
	v_xor_b32_e32 v91, s43, v1
	v_xor_b32_e32 v1, s42, v1
	v_and_b32_e32 v39, v39, v1
	v_lshlrev_b32_e32 v1, 26, v38
	v_cmp_gt_i64_e64 s[42:43], 0, v[0:1]
	v_not_b32_e32 v1, v1
	v_ashrrev_i32_e32 v1, 31, v1
	v_and_b32_e32 v90, v90, v91
	v_xor_b32_e32 v91, s43, v1
	v_xor_b32_e32 v1, s42, v1
	v_and_b32_e32 v39, v39, v1
	v_lshlrev_b32_e32 v1, 25, v38
	v_cmp_gt_i64_e64 s[42:43], 0, v[0:1]
	v_not_b32_e32 v1, v1
	v_ashrrev_i32_e32 v1, 31, v1
	v_and_b32_e32 v90, v90, v91
	v_xor_b32_e32 v91, s43, v1
	v_xor_b32_e32 v1, s42, v1
	v_and_b32_e32 v90, v90, v91
	v_and_b32_e32 v91, v39, v1
	v_lshlrev_b32_e32 v1, 24, v38
	v_cmp_gt_i64_e64 s[42:43], 0, v[0:1]
	v_not_b32_e32 v1, v1
	v_ashrrev_i32_e32 v1, 31, v1
	v_xor_b32_e32 v38, s43, v1
	v_xor_b32_e32 v1, s42, v1
	; wave barrier
	ds_read_b32 v88, v89 offset:16
	v_and_b32_e32 v39, v90, v38
	v_and_b32_e32 v38, v91, v1
	v_mbcnt_lo_u32_b32 v1, v38, 0
	v_mbcnt_hi_u32_b32 v90, v39, v1
	v_cmp_eq_u32_e64 s[42:43], 0, v90
	v_cmp_ne_u64_e64 s[44:45], 0, v[38:39]
	s_and_b64 s[44:45], s[44:45], s[42:43]
	; wave barrier
	s_and_saveexec_b64 s[42:43], s[44:45]
	s_cbranch_execz .LBB226_60
; %bb.59:
	v_bcnt_u32_b32 v1, v38, 0
	v_bcnt_u32_b32 v1, v39, v1
	s_waitcnt lgkmcnt(0)
	v_add_u32_e32 v1, v88, v1
	ds_write_b32 v89, v1 offset:16
.LBB226_60:
	s_or_b64 exec, exec, s[42:43]
	v_lshrrev_b16_e32 v1, 8, v73
	v_mov_b32_e32 v38, 0x80
	v_cmp_ne_u16_e64 s[42:43], s54, v73
	v_cndmask_b32_e64 v1, v38, v1, s[42:43]
	v_and_b32_e32 v39, s53, v1
	v_lshlrev_b32_e32 v1, 2, v39
	v_add_lshl_u32 v92, v1, v68, 2
	v_and_b32_e32 v1, 1, v39
	v_add_co_u32_e64 v93, s[42:43], -1, v1
	v_addc_co_u32_e64 v94, s[42:43], 0, -1, s[42:43]
	v_cmp_ne_u32_e64 s[42:43], 0, v1
	v_xor_b32_e32 v1, s43, v94
	v_and_b32_e32 v94, exec_hi, v1
	v_lshlrev_b32_e32 v1, 30, v39
	v_xor_b32_e32 v93, s42, v93
	v_cmp_gt_i64_e64 s[42:43], 0, v[0:1]
	v_not_b32_e32 v1, v1
	v_ashrrev_i32_e32 v1, 31, v1
	v_and_b32_e32 v93, exec_lo, v93
	v_xor_b32_e32 v95, s43, v1
	v_xor_b32_e32 v1, s42, v1
	v_and_b32_e32 v93, v93, v1
	v_lshlrev_b32_e32 v1, 29, v39
	v_cmp_gt_i64_e64 s[42:43], 0, v[0:1]
	v_not_b32_e32 v1, v1
	v_ashrrev_i32_e32 v1, 31, v1
	v_and_b32_e32 v94, v94, v95
	v_xor_b32_e32 v95, s43, v1
	v_xor_b32_e32 v1, s42, v1
	v_and_b32_e32 v93, v93, v1
	v_lshlrev_b32_e32 v1, 28, v39
	v_cmp_gt_i64_e64 s[42:43], 0, v[0:1]
	v_not_b32_e32 v1, v1
	v_ashrrev_i32_e32 v1, 31, v1
	v_and_b32_e32 v94, v94, v95
	;; [unrolled: 8-line block ×5, first 2 shown]
	v_xor_b32_e32 v95, s43, v1
	v_xor_b32_e32 v1, s42, v1
	v_and_b32_e32 v93, v93, v1
	v_lshlrev_b32_e32 v1, 24, v39
	v_cmp_gt_i64_e64 s[42:43], 0, v[0:1]
	v_not_b32_e32 v0, v1
	v_ashrrev_i32_e32 v0, 31, v0
	v_xor_b32_e32 v1, s43, v0
	v_xor_b32_e32 v0, s42, v0
	; wave barrier
	ds_read_b32 v91, v92 offset:16
	v_and_b32_e32 v94, v94, v95
	v_and_b32_e32 v0, v93, v0
	;; [unrolled: 1-line block ×3, first 2 shown]
	v_mbcnt_lo_u32_b32 v39, v0, 0
	v_mbcnt_hi_u32_b32 v93, v1, v39
	v_cmp_eq_u32_e64 s[42:43], 0, v93
	v_cmp_ne_u64_e64 s[44:45], 0, v[0:1]
	s_and_b64 s[44:45], s[44:45], s[42:43]
	; wave barrier
	s_and_saveexec_b64 s[42:43], s[44:45]
	s_cbranch_execz .LBB226_62
; %bb.61:
	v_bcnt_u32_b32 v0, v0, 0
	v_bcnt_u32_b32 v0, v1, v0
	s_waitcnt lgkmcnt(0)
	v_add_u32_e32 v0, v91, v0
	ds_write_b32 v92, v0 offset:16
.LBB226_62:
	s_or_b64 exec, exec, s[42:43]
	v_lshrrev_b16_e32 v0, 8, v72
	v_cmp_ne_u16_e64 s[42:43], s54, v72
	v_cndmask_b32_e64 v0, v38, v0, s[42:43]
	v_and_b32_e32 v38, s53, v0
	v_and_b32_e32 v1, 1, v38
	v_add_co_u32_e64 v39, s[42:43], -1, v1
	v_addc_co_u32_e64 v96, s[42:43], 0, -1, s[42:43]
	v_cmp_ne_u32_e64 s[42:43], 0, v1
	v_lshlrev_b32_e32 v0, 2, v38
	v_xor_b32_e32 v1, s43, v96
	v_add_lshl_u32 v95, v0, v68, 2
	v_mov_b32_e32 v0, 0
	v_and_b32_e32 v96, exec_hi, v1
	v_lshlrev_b32_e32 v1, 30, v38
	v_xor_b32_e32 v39, s42, v39
	v_cmp_gt_i64_e64 s[42:43], 0, v[0:1]
	v_not_b32_e32 v1, v1
	v_ashrrev_i32_e32 v1, 31, v1
	v_and_b32_e32 v39, exec_lo, v39
	v_xor_b32_e32 v97, s43, v1
	v_xor_b32_e32 v1, s42, v1
	v_and_b32_e32 v39, v39, v1
	v_lshlrev_b32_e32 v1, 29, v38
	v_cmp_gt_i64_e64 s[42:43], 0, v[0:1]
	v_not_b32_e32 v1, v1
	v_ashrrev_i32_e32 v1, 31, v1
	v_and_b32_e32 v96, v96, v97
	v_xor_b32_e32 v97, s43, v1
	v_xor_b32_e32 v1, s42, v1
	v_and_b32_e32 v39, v39, v1
	v_lshlrev_b32_e32 v1, 28, v38
	v_cmp_gt_i64_e64 s[42:43], 0, v[0:1]
	v_not_b32_e32 v1, v1
	v_ashrrev_i32_e32 v1, 31, v1
	v_and_b32_e32 v96, v96, v97
	;; [unrolled: 8-line block ×5, first 2 shown]
	v_xor_b32_e32 v97, s43, v1
	v_xor_b32_e32 v1, s42, v1
	v_and_b32_e32 v96, v96, v97
	v_and_b32_e32 v97, v39, v1
	v_lshlrev_b32_e32 v1, 24, v38
	v_cmp_gt_i64_e64 s[42:43], 0, v[0:1]
	v_not_b32_e32 v1, v1
	v_ashrrev_i32_e32 v1, 31, v1
	v_xor_b32_e32 v38, s43, v1
	v_xor_b32_e32 v1, s42, v1
	; wave barrier
	ds_read_b32 v94, v95 offset:16
	v_and_b32_e32 v39, v96, v38
	v_and_b32_e32 v38, v97, v1
	v_mbcnt_lo_u32_b32 v1, v38, 0
	v_mbcnt_hi_u32_b32 v96, v39, v1
	v_cmp_eq_u32_e64 s[42:43], 0, v96
	v_cmp_ne_u64_e64 s[44:45], 0, v[38:39]
	s_and_b64 s[44:45], s[44:45], s[42:43]
	; wave barrier
	s_and_saveexec_b64 s[42:43], s[44:45]
	s_cbranch_execz .LBB226_64
; %bb.63:
	v_bcnt_u32_b32 v1, v38, 0
	v_bcnt_u32_b32 v1, v39, v1
	s_waitcnt lgkmcnt(0)
	v_add_u32_e32 v1, v94, v1
	ds_write_b32 v95, v1 offset:16
.LBB226_64:
	s_or_b64 exec, exec, s[42:43]
	v_lshrrev_b16_e32 v1, 8, v71
	v_mov_b32_e32 v38, 0x80
	v_cmp_ne_u16_e64 s[42:43], s54, v71
	v_cndmask_b32_e64 v1, v38, v1, s[42:43]
	v_and_b32_e32 v39, s53, v1
	v_lshlrev_b32_e32 v1, 2, v39
	v_add_lshl_u32 v98, v1, v68, 2
	v_and_b32_e32 v1, 1, v39
	v_add_co_u32_e64 v99, s[42:43], -1, v1
	v_addc_co_u32_e64 v100, s[42:43], 0, -1, s[42:43]
	v_cmp_ne_u32_e64 s[42:43], 0, v1
	v_xor_b32_e32 v1, s43, v100
	v_and_b32_e32 v100, exec_hi, v1
	v_lshlrev_b32_e32 v1, 30, v39
	v_xor_b32_e32 v99, s42, v99
	v_cmp_gt_i64_e64 s[42:43], 0, v[0:1]
	v_not_b32_e32 v1, v1
	v_ashrrev_i32_e32 v1, 31, v1
	v_and_b32_e32 v99, exec_lo, v99
	v_xor_b32_e32 v101, s43, v1
	v_xor_b32_e32 v1, s42, v1
	v_and_b32_e32 v99, v99, v1
	v_lshlrev_b32_e32 v1, 29, v39
	v_cmp_gt_i64_e64 s[42:43], 0, v[0:1]
	v_not_b32_e32 v1, v1
	v_ashrrev_i32_e32 v1, 31, v1
	v_and_b32_e32 v100, v100, v101
	v_xor_b32_e32 v101, s43, v1
	v_xor_b32_e32 v1, s42, v1
	v_and_b32_e32 v99, v99, v1
	v_lshlrev_b32_e32 v1, 28, v39
	v_cmp_gt_i64_e64 s[42:43], 0, v[0:1]
	v_not_b32_e32 v1, v1
	v_ashrrev_i32_e32 v1, 31, v1
	v_and_b32_e32 v100, v100, v101
	;; [unrolled: 8-line block ×5, first 2 shown]
	v_xor_b32_e32 v101, s43, v1
	v_xor_b32_e32 v1, s42, v1
	v_and_b32_e32 v99, v99, v1
	v_lshlrev_b32_e32 v1, 24, v39
	v_cmp_gt_i64_e64 s[42:43], 0, v[0:1]
	v_not_b32_e32 v0, v1
	v_ashrrev_i32_e32 v0, 31, v0
	v_xor_b32_e32 v1, s43, v0
	v_xor_b32_e32 v0, s42, v0
	; wave barrier
	ds_read_b32 v97, v98 offset:16
	v_and_b32_e32 v100, v100, v101
	v_and_b32_e32 v0, v99, v0
	;; [unrolled: 1-line block ×3, first 2 shown]
	v_mbcnt_lo_u32_b32 v39, v0, 0
	v_mbcnt_hi_u32_b32 v99, v1, v39
	v_cmp_eq_u32_e64 s[42:43], 0, v99
	v_cmp_ne_u64_e64 s[44:45], 0, v[0:1]
	s_and_b64 s[44:45], s[44:45], s[42:43]
	; wave barrier
	s_and_saveexec_b64 s[42:43], s[44:45]
	s_cbranch_execz .LBB226_66
; %bb.65:
	v_bcnt_u32_b32 v0, v0, 0
	v_bcnt_u32_b32 v0, v1, v0
	s_waitcnt lgkmcnt(0)
	v_add_u32_e32 v0, v97, v0
	ds_write_b32 v98, v0 offset:16
.LBB226_66:
	s_or_b64 exec, exec, s[42:43]
	v_lshrrev_b16_e32 v0, 8, v40
	v_cmp_ne_u16_e64 s[42:43], s54, v40
	v_cndmask_b32_e64 v0, v38, v0, s[42:43]
	v_and_b32_e32 v38, s53, v0
	v_and_b32_e32 v1, 1, v38
	v_add_co_u32_e64 v39, s[42:43], -1, v1
	v_addc_co_u32_e64 v101, s[42:43], 0, -1, s[42:43]
	v_cmp_ne_u32_e64 s[42:43], 0, v1
	v_lshlrev_b32_e32 v0, 2, v38
	v_xor_b32_e32 v1, s43, v101
	v_add_lshl_u32 v100, v0, v68, 2
	v_mov_b32_e32 v0, 0
	v_and_b32_e32 v101, exec_hi, v1
	v_lshlrev_b32_e32 v1, 30, v38
	v_xor_b32_e32 v39, s42, v39
	v_cmp_gt_i64_e64 s[42:43], 0, v[0:1]
	v_not_b32_e32 v1, v1
	v_ashrrev_i32_e32 v1, 31, v1
	v_and_b32_e32 v39, exec_lo, v39
	v_xor_b32_e32 v102, s43, v1
	v_xor_b32_e32 v1, s42, v1
	v_and_b32_e32 v39, v39, v1
	v_lshlrev_b32_e32 v1, 29, v38
	v_cmp_gt_i64_e64 s[42:43], 0, v[0:1]
	v_not_b32_e32 v1, v1
	v_ashrrev_i32_e32 v1, 31, v1
	v_and_b32_e32 v101, v101, v102
	v_xor_b32_e32 v102, s43, v1
	v_xor_b32_e32 v1, s42, v1
	v_and_b32_e32 v39, v39, v1
	v_lshlrev_b32_e32 v1, 28, v38
	v_cmp_gt_i64_e64 s[42:43], 0, v[0:1]
	v_not_b32_e32 v1, v1
	v_ashrrev_i32_e32 v1, 31, v1
	v_and_b32_e32 v101, v101, v102
	;; [unrolled: 8-line block ×5, first 2 shown]
	v_xor_b32_e32 v102, s43, v1
	v_xor_b32_e32 v1, s42, v1
	v_and_b32_e32 v39, v39, v1
	v_lshlrev_b32_e32 v1, 24, v38
	v_cmp_gt_i64_e64 s[42:43], 0, v[0:1]
	v_not_b32_e32 v0, v1
	v_ashrrev_i32_e32 v0, 31, v0
	v_xor_b32_e32 v1, s43, v0
	v_xor_b32_e32 v0, s42, v0
	; wave barrier
	ds_read_b32 v68, v100 offset:16
	v_and_b32_e32 v101, v101, v102
	v_and_b32_e32 v0, v39, v0
	v_and_b32_e32 v1, v101, v1
	v_mbcnt_lo_u32_b32 v38, v0, 0
	v_mbcnt_hi_u32_b32 v101, v1, v38
	v_cmp_eq_u32_e64 s[42:43], 0, v101
	v_cmp_ne_u64_e64 s[44:45], 0, v[0:1]
	s_and_b64 s[44:45], s[44:45], s[42:43]
	; wave barrier
	s_and_saveexec_b64 s[42:43], s[44:45]
	s_cbranch_execz .LBB226_68
; %bb.67:
	v_bcnt_u32_b32 v0, v0, 0
	v_bcnt_u32_b32 v0, v1, v0
	s_waitcnt lgkmcnt(0)
	v_add_u32_e32 v0, v68, v0
	ds_write_b32 v100, v0 offset:16
.LBB226_68:
	s_or_b64 exec, exec, s[42:43]
	; wave barrier
	s_waitcnt lgkmcnt(0)
	s_barrier
	ds_read2_b32 v[38:39], v64 offset0:4 offset1:5
	ds_read2_b32 v[0:1], v69 offset0:2 offset1:3
	s_waitcnt lgkmcnt(1)
	v_add_u32_e32 v102, v39, v38
	s_waitcnt lgkmcnt(0)
	v_add3_u32 v1, v102, v0, v1
	s_nop 1
	v_mov_b32_dpp v102, v1 row_shr:1 row_mask:0xf bank_mask:0xf
	v_cndmask_b32_e64 v102, v102, 0, s[22:23]
	v_add_u32_e32 v1, v102, v1
	s_nop 1
	v_mov_b32_dpp v102, v1 row_shr:2 row_mask:0xf bank_mask:0xf
	v_cndmask_b32_e64 v102, 0, v102, s[24:25]
	v_add_u32_e32 v1, v1, v102
	;; [unrolled: 4-line block ×4, first 2 shown]
	s_nop 1
	v_mov_b32_dpp v102, v1 row_bcast:15 row_mask:0xf bank_mask:0xf
	v_cndmask_b32_e64 v102, v102, 0, vcc
	v_add_u32_e32 v1, v1, v102
	s_nop 1
	v_mov_b32_dpp v102, v1 row_bcast:31 row_mask:0xf bank_mask:0xf
	v_cndmask_b32_e64 v102, 0, v102, s[34:35]
	v_add_u32_e32 v102, v1, v102
	s_and_saveexec_b64 s[22:23], s[16:17]
	s_cbranch_execz .LBB226_70
; %bb.69:
	ds_write_b32 v70, v102
.LBB226_70:
	s_or_b64 exec, exec, s[22:23]
	s_waitcnt lgkmcnt(0)
	s_barrier
	s_and_saveexec_b64 s[16:17], s[26:27]
	s_cbranch_execz .LBB226_72
; %bb.71:
	ds_read_b32 v1, v41
	s_waitcnt lgkmcnt(0)
	s_nop 0
	v_mov_b32_dpp v70, v1 row_shr:1 row_mask:0xf bank_mask:0xf
	v_cndmask_b32_e64 v70, v70, 0, s[20:21]
	v_add_u32_e32 v1, v70, v1
	s_nop 1
	v_mov_b32_dpp v70, v1 row_shr:2 row_mask:0xf bank_mask:0xf
	v_cndmask_b32_e64 v70, 0, v70, s[18:19]
	v_add_u32_e32 v1, v1, v70
	ds_write_b32 v41, v1
.LBB226_72:
	s_or_b64 exec, exec, s[16:17]
	v_mov_b32_e32 v1, 0
	v_mov_b32_e32 v41, 0
	s_waitcnt lgkmcnt(0)
	s_barrier
	s_and_saveexec_b64 s[16:17], s[36:37]
	s_cbranch_execz .LBB226_74
; %bb.73:
	ds_read_b32 v41, v80
.LBB226_74:
	s_or_b64 exec, exec, s[16:17]
	s_waitcnt lgkmcnt(0)
	v_add_u32_e32 v70, v41, v102
	ds_bpermute_b32 v70, v81, v70
	s_mov_b32 s18, 0x5040100
	s_waitcnt lgkmcnt(0)
	v_cndmask_b32_e64 v41, v70, v41, s[38:39]
	v_cndmask_b32_e64 v41, v41, 0, s[40:41]
	v_add_u32_e32 v38, v41, v38
	v_add_u32_e32 v39, v38, v39
	;; [unrolled: 1-line block ×3, first 2 shown]
	ds_write2_b32 v64, v41, v38 offset0:4 offset1:5
	ds_write2_b32 v69, v39, v0 offset0:2 offset1:3
	s_waitcnt lgkmcnt(0)
	s_barrier
	ds_read_b32 v0, v100 offset:16
	ds_read_b32 v38, v98 offset:16
	;; [unrolled: 1-line block ×4, first 2 shown]
	s_waitcnt lgkmcnt(3)
	v_add3_u32 v0, v101, v68, v0
	ds_read_b32 v68, v89 offset:16
	ds_read_b32 v69, v86 offset:16
	;; [unrolled: 1-line block ×4, first 2 shown]
	s_waitcnt lgkmcnt(0)
	s_barrier
	v_add3_u32 v69, v87, v85, v69
	v_add3_u32 v70, v84, v82, v70
	v_add_u32_e32 v78, v78, v79
	v_lshlrev_b32_e32 v79, 1, v78
	ds_write_b16 v79, v77
	v_lshlrev_b32_e32 v77, 1, v70
	v_add3_u32 v68, v90, v88, v68
	ds_write_b16 v77, v76
	v_lshlrev_b32_e32 v76, 1, v69
	v_add3_u32 v41, v93, v91, v41
	ds_write_b16 v76, v75
	v_lshlrev_b32_e32 v75, 1, v68
	v_add3_u32 v39, v96, v94, v39
	ds_write_b16 v75, v74
	v_lshlrev_b32_e32 v74, 1, v41
	v_add3_u32 v38, v99, v97, v38
	ds_write_b16 v74, v73
	v_lshlrev_b32_e32 v73, 1, v39
	ds_write_b16 v73, v72
	v_lshlrev_b32_e32 v72, 1, v38
	;; [unrolled: 2-line block ×4, first 2 shown]
	s_waitcnt lgkmcnt(0)
	s_barrier
	v_lshlrev_b32_e32 v72, 3, v41
	v_lshlrev_b32_e32 v73, 3, v39
	;; [unrolled: 1-line block ×3, first 2 shown]
	ds_read_b128 v[38:41], v40
	v_mov_b32_e32 v77, 0xffff8000
	v_lshlrev_b32_e32 v71, 3, v78
	v_lshlrev_b32_e32 v75, 3, v63
	;; [unrolled: 1-line block ×3, first 2 shown]
	s_waitcnt lgkmcnt(0)
	v_cmp_lt_i16_sdwa vcc, v38, v1 src0_sel:WORD_1 src1_sel:DWORD
	v_cndmask_b32_e32 v78, -1, v77, vcc
	v_cmp_gt_i16_e32 vcc, 0, v38
	v_lshlrev_b32_e32 v69, 3, v69
	v_lshlrev_b32_e32 v68, 3, v68
	;; [unrolled: 1-line block ×3, first 2 shown]
	v_cndmask_b32_e32 v79, -1, v77, vcc
	v_cmp_lt_i16_e32 vcc, -1, v39
	s_barrier
	ds_write_b64 v71, v[34:35]
	ds_write_b64 v70, v[36:37]
	;; [unrolled: 1-line block ×8, first 2 shown]
	s_waitcnt lgkmcnt(0)
	s_barrier
	ds_read2_b64 v[22:25], v75 offset1:1
	ds_read2_b64 v[26:29], v75 offset0:2 offset1:3
	ds_read2_b64 v[30:33], v75 offset0:4 offset1:5
	;; [unrolled: 1-line block ×3, first 2 shown]
	v_mov_b32_e32 v76, -1
	v_cndmask_b32_e64 v81, v77, -1, vcc
	v_cmp_lt_i16_sdwa vcc, v40, v1 src0_sel:WORD_1 src1_sel:DWORD
	v_cmp_gt_i16_sdwa s[16:17], v39, v76 src0_sel:WORD_1 src1_sel:DWORD
	v_cndmask_b32_e32 v0, -1, v77, vcc
	v_cmp_gt_i16_e32 vcc, 0, v40
	v_cndmask_b32_e64 v80, v77, -1, s[16:17]
	v_cndmask_b32_e32 v1, -1, v77, vcc
	v_cmp_gt_i16_sdwa s[16:17], v41, v76 src0_sel:WORD_1 src1_sel:DWORD
	v_cmp_lt_i16_e32 vcc, -1, v41
	v_cndmask_b32_e64 v68, v77, -1, s[16:17]
	v_cndmask_b32_e64 v69, v77, -1, vcc
	v_xor_b32_e32 v81, v81, v39
	v_xor_b32_sdwa v39, v80, v39 dst_sel:DWORD dst_unused:UNUSED_PAD src0_sel:DWORD src1_sel:WORD_1
	v_xor_b32_e32 v79, v79, v38
	v_xor_b32_sdwa v38, v78, v38 dst_sel:DWORD dst_unused:UNUSED_PAD src0_sel:DWORD src1_sel:WORD_1
	;; [unrolled: 2-line block ×4, first 2 shown]
	v_perm_b32 v39, v39, v81, s18
	v_perm_b32 v38, v38, v79, s18
	;; [unrolled: 1-line block ×4, first 2 shown]
	s_branch .LBB226_128
.LBB226_75:
	v_mov_b32_e32 v45, 0
	v_lshlrev_b64 v[2:3], 3, v[44:45]
	v_mov_b32_e32 v4, s52
	v_add_co_u32_e32 v2, vcc, s49, v2
	v_addc_co_u32_e32 v3, vcc, v4, v3, vcc
	global_load_dwordx2 v[2:3], v[2:3], off
	v_mov_b32_e32 v4, v45
	v_mov_b32_e32 v5, v45
	;; [unrolled: 1-line block ×14, first 2 shown]
	s_or_b64 exec, exec, s[16:17]
	s_and_saveexec_b64 s[16:17], s[2:3]
	s_cbranch_execz .LBB226_22
.LBB226_76:
	v_mul_lo_u32 v4, v36, s48
	v_mov_b32_e32 v5, 0
	v_lshlrev_b64 v[4:5], 3, v[4:5]
	v_mov_b32_e32 v36, s52
	v_add_co_u32_e32 v4, vcc, s49, v4
	v_addc_co_u32_e32 v5, vcc, v36, v5, vcc
	global_load_dwordx2 v[4:5], v[4:5], off
	s_or_b64 exec, exec, s[16:17]
	s_and_saveexec_b64 s[16:17], s[4:5]
	s_cbranch_execz .LBB226_23
.LBB226_77:
	v_mul_lo_u32 v6, v35, s48
	v_mov_b32_e32 v7, 0
	v_lshlrev_b64 v[6:7], 3, v[6:7]
	v_mov_b32_e32 v35, s52
	v_add_co_u32_e32 v6, vcc, s49, v6
	v_addc_co_u32_e32 v7, vcc, v35, v7, vcc
	global_load_dwordx2 v[6:7], v[6:7], off
	s_or_b64 exec, exec, s[16:17]
	s_and_saveexec_b64 s[16:17], s[6:7]
	s_cbranch_execz .LBB226_24
.LBB226_78:
	v_mul_lo_u32 v8, v33, s48
	v_mov_b32_e32 v9, 0
	v_lshlrev_b64 v[8:9], 3, v[8:9]
	v_mov_b32_e32 v33, s52
	v_add_co_u32_e32 v8, vcc, s49, v8
	v_addc_co_u32_e32 v9, vcc, v33, v9, vcc
	global_load_dwordx2 v[8:9], v[8:9], off
	s_or_b64 exec, exec, s[16:17]
	s_and_saveexec_b64 s[16:17], s[8:9]
	s_cbranch_execz .LBB226_25
.LBB226_79:
	v_mul_lo_u32 v10, v30, s48
	v_mov_b32_e32 v11, 0
	v_lshlrev_b64 v[10:11], 3, v[10:11]
	v_mov_b32_e32 v30, s52
	v_add_co_u32_e32 v10, vcc, s49, v10
	v_addc_co_u32_e32 v11, vcc, v30, v11, vcc
	global_load_dwordx2 v[10:11], v[10:11], off
	s_or_b64 exec, exec, s[16:17]
	s_and_saveexec_b64 s[16:17], s[10:11]
	s_cbranch_execz .LBB226_26
.LBB226_80:
	v_mul_lo_u32 v12, v28, s48
	v_mov_b32_e32 v13, 0
	v_lshlrev_b64 v[12:13], 3, v[12:13]
	v_mov_b32_e32 v28, s52
	v_add_co_u32_e32 v12, vcc, s49, v12
	v_addc_co_u32_e32 v13, vcc, v28, v13, vcc
	global_load_dwordx2 v[12:13], v[12:13], off
	s_or_b64 exec, exec, s[16:17]
	s_and_saveexec_b64 s[16:17], s[12:13]
	s_cbranch_execz .LBB226_27
.LBB226_81:
	v_mul_lo_u32 v14, v26, s48
	v_mov_b32_e32 v15, 0
	v_lshlrev_b64 v[14:15], 3, v[14:15]
	v_mov_b32_e32 v26, s52
	v_add_co_u32_e32 v14, vcc, s49, v14
	v_addc_co_u32_e32 v15, vcc, v26, v15, vcc
	global_load_dwordx2 v[14:15], v[14:15], off
	s_or_b64 exec, exec, s[16:17]
	s_xor_b64 s[16:17], s[34:35], -1
	s_and_saveexec_b64 s[18:19], s[14:15]
	s_cbranch_execnz .LBB226_28
	s_branch .LBB226_29
.LBB226_82:
                                        ; implicit-def: $vgpr36_vgpr37
                                        ; implicit-def: $vgpr32_vgpr33
                                        ; implicit-def: $vgpr28_vgpr29
                                        ; implicit-def: $vgpr24_vgpr25
                                        ; implicit-def: $vgpr40_vgpr41
	s_cbranch_execz .LBB226_128
; %bb.83:
	s_waitcnt lgkmcnt(3)
	v_mov_b32_e32 v22, 0
	s_waitcnt lgkmcnt(0)
	v_mov_b32_e32 v35, 0x7fff
	v_cmp_gt_i16_e32 vcc, 0, v19
	v_cmp_lt_i16_sdwa s[16:17], v19, v22 src0_sel:WORD_1 src1_sel:DWORD
	v_cndmask_b32_e64 v23, v35, 0, vcc
	v_cmp_gt_i16_e32 vcc, 0, v18
	v_cndmask_b32_e64 v25, v35, 0, s[16:17]
	v_cmp_lt_i16_sdwa s[16:17], v18, v22 src0_sel:WORD_1 src1_sel:DWORD
	v_cndmask_b32_e64 v24, v35, 0, vcc
	v_cndmask_b32_e64 v27, v35, 0, s[16:17]
	v_cmp_gt_i16_e32 vcc, 0, v21
	v_cmp_lt_i16_sdwa s[16:17], v21, v22 src0_sel:WORD_1 src1_sel:DWORD
	v_xor_b32_sdwa v25, v25, v19 dst_sel:DWORD dst_unused:UNUSED_PAD src0_sel:DWORD src1_sel:WORD_1
	v_xor_b32_e32 v19, v23, v19
	v_cndmask_b32_e64 v23, v35, 0, vcc
	v_cmp_gt_i16_e32 vcc, 0, v20
	v_cndmask_b32_e64 v28, v35, 0, s[16:17]
	v_cmp_lt_i16_sdwa s[16:17], v20, v22 src0_sel:WORD_1 src1_sel:DWORD
	v_mbcnt_hi_u32_b32 v26, -1, v67
	v_and_b32_e32 v34, 0x3c0, v46
	v_xor_b32_sdwa v27, v27, v18 dst_sel:DWORD dst_unused:UNUSED_PAD src0_sel:DWORD src1_sel:WORD_1
	v_xor_b32_e32 v18, v24, v18
	v_cndmask_b32_e64 v24, v35, 0, vcc
	v_cndmask_b32_e64 v29, v35, 0, s[16:17]
	v_add_u32_e32 v0, v26, v34
	v_xor_b32_sdwa v29, v29, v20 dst_sel:DWORD dst_unused:UNUSED_PAD src0_sel:DWORD src1_sel:WORD_1
	v_xor_b32_sdwa v28, v28, v21 dst_sel:DWORD dst_unused:UNUSED_PAD src0_sel:DWORD src1_sel:WORD_1
	v_xor_b32_e32 v20, v24, v20
	v_xor_b32_e32 v21, v23, v21
	s_mov_b32 s16, 0x5040100
	v_lshlrev_b32_e32 v1, 4, v0
	v_perm_b32 v21, v28, v21, s16
	v_perm_b32 v20, v29, v20, s16
	;; [unrolled: 1-line block ×4, first 2 shown]
	v_and_b32_e32 v36, 0x1e00, v63
	ds_write_b128 v1, v[18:21]
	v_or_b32_e32 v1, v26, v36
	v_lshlrev_b32_e32 v18, 1, v1
	v_lshlrev_b32_e32 v0, 6, v0
	; wave barrier
	ds_read_u16 v33, v18
	ds_read_u16 v32, v18 offset:128
	ds_read_u16 v31, v18 offset:256
	;; [unrolled: 1-line block ×7, first 2 shown]
	s_waitcnt lgkmcnt(0)
	s_barrier
	ds_write2_b64 v0, v[14:15], v[16:17] offset1:1
	ds_write2_b64 v0, v[10:11], v[12:13] offset0:2 offset1:3
	ds_write2_b64 v0, v[6:7], v[8:9] offset0:4 offset1:5
	;; [unrolled: 1-line block ×3, first 2 shown]
	v_lshlrev_b32_e32 v0, 3, v1
	; wave barrier
	ds_read2st64_b64 v[12:15], v0 offset1:1
	ds_read2st64_b64 v[8:11], v0 offset0:2 offset1:3
	ds_read2st64_b64 v[4:7], v0 offset0:4 offset1:5
	;; [unrolled: 1-line block ×3, first 2 shown]
	s_waitcnt lgkmcnt(0)
	s_barrier
	s_load_dword s18, s[50:51], 0xc
	s_getpc_b64 s[16:17]
	s_add_u32 s16, s16, _ZN7rocprim17ROCPRIM_400000_NS16block_radix_sortI6__halfLj256ELj8ElLj1ELj1ELj0ELNS0_26block_radix_rank_algorithmE1ELNS0_18block_padding_hintE2ELNS0_4arch9wavefront6targetE1EE19radix_bits_per_passE@rel32@lo+4
	s_addc_u32 s17, s17, _ZN7rocprim17ROCPRIM_400000_NS16block_radix_sortI6__halfLj256ELj8ElLj1ELj1ELj0ELNS0_26block_radix_rank_algorithmE1ELNS0_18block_padding_hintE2ELNS0_4arch9wavefront6targetE1EE19radix_bits_per_passE@rel32@hi+12
	s_load_dword s42, s[16:17], 0x0
	s_movk_i32 s19, 0x8000
	v_cmp_ne_u16_e32 vcc, s19, v33
	s_waitcnt lgkmcnt(0)
	s_lshr_b32 s16, s18, 16
	s_and_b32 s17, s18, 0xffff
	v_mad_u32_u24 v16, v66, s16, v65
	v_mad_u64_u32 v[16:17], s[16:17], v16, s17, v[46:47]
	s_min_u32 s16, s42, 16
	s_lshl_b32 s16, -1, s16
	v_lshrrev_b32_e32 v24, 6, v16
	s_not_b32 s18, s16
	v_cndmask_b32_e32 v16, v35, v33, vcc
	v_and_b32_sdwa v16, s18, v16 dst_sel:DWORD dst_unused:UNUSED_PAD src0_sel:DWORD src1_sel:WORD_0
	v_lshlrev_b32_e32 v17, 2, v16
	v_add_lshl_u32 v37, v24, v17, 2
	v_and_b32_e32 v17, 1, v16
	v_add_co_u32_e32 v18, vcc, -1, v17
	v_addc_co_u32_e64 v19, s[16:17], 0, -1, vcc
	v_cmp_ne_u32_e32 vcc, 0, v17
	v_lshlrev_b32_e32 v23, 30, v16
	v_xor_b32_e32 v17, vcc_hi, v19
	v_not_b32_e32 v19, v23
	v_xor_b32_e32 v18, vcc_lo, v18
	v_cmp_gt_i64_e32 vcc, 0, v[22:23]
	v_ashrrev_i32_e32 v19, 31, v19
	v_and_b32_e32 v18, exec_lo, v18
	v_xor_b32_e32 v20, vcc_hi, v19
	v_xor_b32_e32 v19, vcc_lo, v19
	v_lshlrev_b32_e32 v23, 29, v16
	v_and_b32_e32 v18, v18, v19
	v_not_b32_e32 v19, v23
	v_and_b32_e32 v17, exec_hi, v17
	v_cmp_gt_i64_e32 vcc, 0, v[22:23]
	v_ashrrev_i32_e32 v19, 31, v19
	v_and_b32_e32 v17, v17, v20
	v_xor_b32_e32 v20, vcc_hi, v19
	v_xor_b32_e32 v19, vcc_lo, v19
	v_lshlrev_b32_e32 v23, 28, v16
	v_and_b32_e32 v18, v18, v19
	v_not_b32_e32 v19, v23
	v_cmp_gt_i64_e32 vcc, 0, v[22:23]
	v_ashrrev_i32_e32 v19, 31, v19
	v_and_b32_e32 v17, v17, v20
	v_xor_b32_e32 v20, vcc_hi, v19
	v_xor_b32_e32 v19, vcc_lo, v19
	v_lshlrev_b32_e32 v23, 27, v16
	v_and_b32_e32 v18, v18, v19
	v_not_b32_e32 v19, v23
	;; [unrolled: 8-line block ×3, first 2 shown]
	v_cmp_gt_i64_e32 vcc, 0, v[22:23]
	v_ashrrev_i32_e32 v19, 31, v19
	v_and_b32_e32 v17, v17, v20
	v_xor_b32_e32 v20, vcc_hi, v19
	v_xor_b32_e32 v19, vcc_lo, v19
	v_lshlrev_b32_e32 v23, 25, v16
	v_and_b32_e32 v18, v18, v19
	v_cmp_gt_i64_e32 vcc, 0, v[22:23]
	v_not_b32_e32 v19, v23
	v_lshlrev_b32_e32 v23, 24, v16
	v_ashrrev_i32_e32 v19, 31, v19
	v_not_b32_e32 v16, v23
	v_and_b32_e32 v17, v17, v20
	v_xor_b32_e32 v20, vcc_hi, v19
	v_xor_b32_e32 v19, vcc_lo, v19
	v_cmp_gt_i64_e32 vcc, 0, v[22:23]
	v_ashrrev_i32_e32 v16, 31, v16
	v_and_b32_e32 v18, v18, v19
	v_xor_b32_e32 v19, vcc_hi, v16
	v_xor_b32_e32 v16, vcc_lo, v16
	v_and_b32_e32 v17, v17, v20
	v_and_b32_e32 v16, v18, v16
	;; [unrolled: 1-line block ×3, first 2 shown]
	v_mbcnt_lo_u32_b32 v18, v16, 0
	v_mbcnt_hi_u32_b32 v38, v17, v18
	v_cmp_eq_u32_e32 vcc, 0, v38
	v_cmp_ne_u64_e64 s[16:17], 0, v[16:17]
	s_and_b64 s[20:21], s[16:17], vcc
	ds_write2_b32 v64, v22, v22 offset0:4 offset1:5
	ds_write2_b32 v64, v22, v22 offset0:6 offset1:7
	s_waitcnt lgkmcnt(0)
	s_barrier
	s_waitcnt lgkmcnt(0)
	; wave barrier
	s_and_saveexec_b64 s[16:17], s[20:21]
	s_cbranch_execz .LBB226_85
; %bb.84:
	v_bcnt_u32_b32 v16, v16, 0
	v_bcnt_u32_b32 v16, v17, v16
	ds_write_b32 v37, v16 offset:16
.LBB226_85:
	s_or_b64 exec, exec, s[16:17]
	v_cmp_ne_u16_e32 vcc, s19, v32
	v_cndmask_b32_e32 v16, v35, v32, vcc
	v_and_b32_sdwa v16, s18, v16 dst_sel:DWORD dst_unused:UNUSED_PAD src0_sel:DWORD src1_sel:WORD_0
	v_lshlrev_b32_e32 v17, 2, v16
	v_add_lshl_u32 v40, v24, v17, 2
	v_and_b32_e32 v17, 1, v16
	v_add_co_u32_e32 v18, vcc, -1, v17
	v_addc_co_u32_e64 v19, s[16:17], 0, -1, vcc
	v_cmp_ne_u32_e32 vcc, 0, v17
	v_lshlrev_b32_e32 v23, 30, v16
	v_xor_b32_e32 v17, vcc_hi, v19
	v_not_b32_e32 v19, v23
	v_xor_b32_e32 v18, vcc_lo, v18
	v_cmp_gt_i64_e32 vcc, 0, v[22:23]
	v_ashrrev_i32_e32 v19, 31, v19
	v_and_b32_e32 v18, exec_lo, v18
	v_xor_b32_e32 v20, vcc_hi, v19
	v_xor_b32_e32 v19, vcc_lo, v19
	v_lshlrev_b32_e32 v23, 29, v16
	v_and_b32_e32 v18, v18, v19
	v_not_b32_e32 v19, v23
	v_and_b32_e32 v17, exec_hi, v17
	v_cmp_gt_i64_e32 vcc, 0, v[22:23]
	v_ashrrev_i32_e32 v19, 31, v19
	v_and_b32_e32 v17, v17, v20
	v_xor_b32_e32 v20, vcc_hi, v19
	v_xor_b32_e32 v19, vcc_lo, v19
	v_lshlrev_b32_e32 v23, 28, v16
	v_and_b32_e32 v18, v18, v19
	v_not_b32_e32 v19, v23
	v_cmp_gt_i64_e32 vcc, 0, v[22:23]
	v_ashrrev_i32_e32 v19, 31, v19
	v_and_b32_e32 v17, v17, v20
	v_xor_b32_e32 v20, vcc_hi, v19
	v_xor_b32_e32 v19, vcc_lo, v19
	v_lshlrev_b32_e32 v23, 27, v16
	v_and_b32_e32 v18, v18, v19
	v_not_b32_e32 v19, v23
	v_cmp_gt_i64_e32 vcc, 0, v[22:23]
	v_ashrrev_i32_e32 v19, 31, v19
	v_and_b32_e32 v17, v17, v20
	v_xor_b32_e32 v20, vcc_hi, v19
	v_xor_b32_e32 v19, vcc_lo, v19
	v_lshlrev_b32_e32 v23, 26, v16
	v_and_b32_e32 v18, v18, v19
	v_not_b32_e32 v19, v23
	v_cmp_gt_i64_e32 vcc, 0, v[22:23]
	v_ashrrev_i32_e32 v19, 31, v19
	v_and_b32_e32 v17, v17, v20
	v_xor_b32_e32 v20, vcc_hi, v19
	v_xor_b32_e32 v19, vcc_lo, v19
	v_lshlrev_b32_e32 v23, 25, v16
	v_and_b32_e32 v18, v18, v19
	v_cmp_gt_i64_e32 vcc, 0, v[22:23]
	v_not_b32_e32 v19, v23
	v_lshlrev_b32_e32 v23, 24, v16
	v_ashrrev_i32_e32 v19, 31, v19
	v_not_b32_e32 v16, v23
	v_and_b32_e32 v17, v17, v20
	v_xor_b32_e32 v20, vcc_hi, v19
	v_xor_b32_e32 v19, vcc_lo, v19
	v_cmp_gt_i64_e32 vcc, 0, v[22:23]
	v_ashrrev_i32_e32 v16, 31, v16
	v_and_b32_e32 v18, v18, v19
	v_xor_b32_e32 v19, vcc_hi, v16
	v_xor_b32_e32 v16, vcc_lo, v16
	; wave barrier
	ds_read_b32 v39, v40 offset:16
	v_and_b32_e32 v17, v17, v20
	v_and_b32_e32 v16, v18, v16
	v_and_b32_e32 v17, v17, v19
	v_mbcnt_lo_u32_b32 v18, v16, 0
	v_mbcnt_hi_u32_b32 v41, v17, v18
	v_cmp_eq_u32_e32 vcc, 0, v41
	v_cmp_ne_u64_e64 s[16:17], 0, v[16:17]
	s_and_b64 s[20:21], s[16:17], vcc
	; wave barrier
	s_and_saveexec_b64 s[16:17], s[20:21]
	s_cbranch_execz .LBB226_87
; %bb.86:
	v_bcnt_u32_b32 v16, v16, 0
	v_bcnt_u32_b32 v16, v17, v16
	s_waitcnt lgkmcnt(0)
	v_add_u32_e32 v16, v39, v16
	ds_write_b32 v40, v16 offset:16
.LBB226_87:
	s_or_b64 exec, exec, s[16:17]
	v_mov_b32_e32 v20, 0x7fff
	v_cmp_ne_u16_e32 vcc, s19, v31
	v_cndmask_b32_e32 v16, v20, v31, vcc
	v_and_b32_sdwa v18, s18, v16 dst_sel:DWORD dst_unused:UNUSED_PAD src0_sel:DWORD src1_sel:WORD_0
	v_and_b32_e32 v17, 1, v18
	v_add_co_u32_e32 v19, vcc, -1, v17
	v_addc_co_u32_e64 v21, s[16:17], 0, -1, vcc
	v_cmp_ne_u32_e32 vcc, 0, v17
	v_lshlrev_b32_e32 v16, 2, v18
	v_xor_b32_e32 v17, vcc_hi, v21
	v_add_lshl_u32 v66, v24, v16, 2
	v_mov_b32_e32 v16, 0
	v_and_b32_e32 v21, exec_hi, v17
	v_lshlrev_b32_e32 v17, 30, v18
	v_xor_b32_e32 v19, vcc_lo, v19
	v_cmp_gt_i64_e32 vcc, 0, v[16:17]
	v_not_b32_e32 v17, v17
	v_ashrrev_i32_e32 v17, 31, v17
	v_and_b32_e32 v19, exec_lo, v19
	v_xor_b32_e32 v22, vcc_hi, v17
	v_xor_b32_e32 v17, vcc_lo, v17
	v_and_b32_e32 v19, v19, v17
	v_lshlrev_b32_e32 v17, 29, v18
	v_cmp_gt_i64_e32 vcc, 0, v[16:17]
	v_not_b32_e32 v17, v17
	v_ashrrev_i32_e32 v17, 31, v17
	v_and_b32_e32 v21, v21, v22
	v_xor_b32_e32 v22, vcc_hi, v17
	v_xor_b32_e32 v17, vcc_lo, v17
	v_and_b32_e32 v19, v19, v17
	v_lshlrev_b32_e32 v17, 28, v18
	v_cmp_gt_i64_e32 vcc, 0, v[16:17]
	v_not_b32_e32 v17, v17
	v_ashrrev_i32_e32 v17, 31, v17
	v_and_b32_e32 v21, v21, v22
	;; [unrolled: 8-line block ×5, first 2 shown]
	v_xor_b32_e32 v22, vcc_hi, v17
	v_xor_b32_e32 v17, vcc_lo, v17
	v_and_b32_e32 v21, v21, v22
	v_and_b32_e32 v22, v19, v17
	v_lshlrev_b32_e32 v17, 24, v18
	v_cmp_gt_i64_e32 vcc, 0, v[16:17]
	v_not_b32_e32 v17, v17
	v_ashrrev_i32_e32 v17, 31, v17
	v_xor_b32_e32 v18, vcc_hi, v17
	v_xor_b32_e32 v17, vcc_lo, v17
	; wave barrier
	ds_read_b32 v65, v66 offset:16
	v_and_b32_e32 v19, v21, v18
	v_and_b32_e32 v18, v22, v17
	v_mbcnt_lo_u32_b32 v17, v18, 0
	v_mbcnt_hi_u32_b32 v67, v19, v17
	v_cmp_eq_u32_e32 vcc, 0, v67
	v_cmp_ne_u64_e64 s[16:17], 0, v[18:19]
	s_and_b64 s[20:21], s[16:17], vcc
	; wave barrier
	s_and_saveexec_b64 s[16:17], s[20:21]
	s_cbranch_execz .LBB226_89
; %bb.88:
	v_bcnt_u32_b32 v17, v18, 0
	v_bcnt_u32_b32 v17, v19, v17
	s_waitcnt lgkmcnt(0)
	v_add_u32_e32 v17, v65, v17
	ds_write_b32 v66, v17 offset:16
.LBB226_89:
	s_or_b64 exec, exec, s[16:17]
	v_cmp_ne_u16_e32 vcc, s19, v30
	v_cndmask_b32_e32 v17, v20, v30, vcc
	v_and_b32_sdwa v18, s18, v17 dst_sel:DWORD dst_unused:UNUSED_PAD src0_sel:DWORD src1_sel:WORD_0
	v_lshlrev_b32_e32 v17, 2, v18
	v_add_lshl_u32 v69, v24, v17, 2
	v_and_b32_e32 v17, 1, v18
	v_add_co_u32_e32 v19, vcc, -1, v17
	v_addc_co_u32_e64 v20, s[16:17], 0, -1, vcc
	v_cmp_ne_u32_e32 vcc, 0, v17
	v_xor_b32_e32 v17, vcc_hi, v20
	v_and_b32_e32 v20, exec_hi, v17
	v_lshlrev_b32_e32 v17, 30, v18
	v_xor_b32_e32 v19, vcc_lo, v19
	v_cmp_gt_i64_e32 vcc, 0, v[16:17]
	v_not_b32_e32 v17, v17
	v_ashrrev_i32_e32 v17, 31, v17
	v_and_b32_e32 v19, exec_lo, v19
	v_xor_b32_e32 v21, vcc_hi, v17
	v_xor_b32_e32 v17, vcc_lo, v17
	v_and_b32_e32 v19, v19, v17
	v_lshlrev_b32_e32 v17, 29, v18
	v_cmp_gt_i64_e32 vcc, 0, v[16:17]
	v_not_b32_e32 v17, v17
	v_ashrrev_i32_e32 v17, 31, v17
	v_and_b32_e32 v20, v20, v21
	v_xor_b32_e32 v21, vcc_hi, v17
	v_xor_b32_e32 v17, vcc_lo, v17
	v_and_b32_e32 v19, v19, v17
	v_lshlrev_b32_e32 v17, 28, v18
	v_cmp_gt_i64_e32 vcc, 0, v[16:17]
	v_not_b32_e32 v17, v17
	v_ashrrev_i32_e32 v17, 31, v17
	v_and_b32_e32 v20, v20, v21
	;; [unrolled: 8-line block ×5, first 2 shown]
	v_xor_b32_e32 v21, vcc_hi, v17
	v_xor_b32_e32 v17, vcc_lo, v17
	v_and_b32_e32 v19, v19, v17
	v_lshlrev_b32_e32 v17, 24, v18
	v_cmp_gt_i64_e32 vcc, 0, v[16:17]
	v_not_b32_e32 v16, v17
	v_ashrrev_i32_e32 v16, 31, v16
	v_xor_b32_e32 v17, vcc_hi, v16
	v_xor_b32_e32 v16, vcc_lo, v16
	; wave barrier
	ds_read_b32 v68, v69 offset:16
	v_and_b32_e32 v20, v20, v21
	v_and_b32_e32 v16, v19, v16
	;; [unrolled: 1-line block ×3, first 2 shown]
	v_mbcnt_lo_u32_b32 v18, v16, 0
	v_mbcnt_hi_u32_b32 v70, v17, v18
	v_cmp_eq_u32_e32 vcc, 0, v70
	v_cmp_ne_u64_e64 s[16:17], 0, v[16:17]
	s_and_b64 s[20:21], s[16:17], vcc
	; wave barrier
	s_and_saveexec_b64 s[16:17], s[20:21]
	s_cbranch_execz .LBB226_91
; %bb.90:
	v_bcnt_u32_b32 v16, v16, 0
	v_bcnt_u32_b32 v16, v17, v16
	s_waitcnt lgkmcnt(0)
	v_add_u32_e32 v16, v68, v16
	ds_write_b32 v69, v16 offset:16
.LBB226_91:
	s_or_b64 exec, exec, s[16:17]
	v_mov_b32_e32 v20, 0x7fff
	v_cmp_ne_u16_e32 vcc, s19, v29
	v_cndmask_b32_e32 v16, v20, v29, vcc
	v_and_b32_sdwa v18, s18, v16 dst_sel:DWORD dst_unused:UNUSED_PAD src0_sel:DWORD src1_sel:WORD_0
	v_and_b32_e32 v17, 1, v18
	v_add_co_u32_e32 v19, vcc, -1, v17
	v_addc_co_u32_e64 v21, s[16:17], 0, -1, vcc
	v_cmp_ne_u32_e32 vcc, 0, v17
	v_lshlrev_b32_e32 v16, 2, v18
	v_xor_b32_e32 v17, vcc_hi, v21
	v_add_lshl_u32 v72, v24, v16, 2
	v_mov_b32_e32 v16, 0
	v_and_b32_e32 v21, exec_hi, v17
	v_lshlrev_b32_e32 v17, 30, v18
	v_xor_b32_e32 v19, vcc_lo, v19
	v_cmp_gt_i64_e32 vcc, 0, v[16:17]
	v_not_b32_e32 v17, v17
	v_ashrrev_i32_e32 v17, 31, v17
	v_and_b32_e32 v19, exec_lo, v19
	v_xor_b32_e32 v22, vcc_hi, v17
	v_xor_b32_e32 v17, vcc_lo, v17
	v_and_b32_e32 v19, v19, v17
	v_lshlrev_b32_e32 v17, 29, v18
	v_cmp_gt_i64_e32 vcc, 0, v[16:17]
	v_not_b32_e32 v17, v17
	v_ashrrev_i32_e32 v17, 31, v17
	v_and_b32_e32 v21, v21, v22
	v_xor_b32_e32 v22, vcc_hi, v17
	v_xor_b32_e32 v17, vcc_lo, v17
	v_and_b32_e32 v19, v19, v17
	v_lshlrev_b32_e32 v17, 28, v18
	v_cmp_gt_i64_e32 vcc, 0, v[16:17]
	v_not_b32_e32 v17, v17
	v_ashrrev_i32_e32 v17, 31, v17
	v_and_b32_e32 v21, v21, v22
	;; [unrolled: 8-line block ×5, first 2 shown]
	v_xor_b32_e32 v22, vcc_hi, v17
	v_xor_b32_e32 v17, vcc_lo, v17
	v_and_b32_e32 v21, v21, v22
	v_and_b32_e32 v22, v19, v17
	v_lshlrev_b32_e32 v17, 24, v18
	v_cmp_gt_i64_e32 vcc, 0, v[16:17]
	v_not_b32_e32 v17, v17
	v_ashrrev_i32_e32 v17, 31, v17
	v_xor_b32_e32 v18, vcc_hi, v17
	v_xor_b32_e32 v17, vcc_lo, v17
	; wave barrier
	ds_read_b32 v71, v72 offset:16
	v_and_b32_e32 v19, v21, v18
	v_and_b32_e32 v18, v22, v17
	v_mbcnt_lo_u32_b32 v17, v18, 0
	v_mbcnt_hi_u32_b32 v73, v19, v17
	v_cmp_eq_u32_e32 vcc, 0, v73
	v_cmp_ne_u64_e64 s[16:17], 0, v[18:19]
	s_and_b64 s[20:21], s[16:17], vcc
	; wave barrier
	s_and_saveexec_b64 s[16:17], s[20:21]
	s_cbranch_execz .LBB226_93
; %bb.92:
	v_bcnt_u32_b32 v17, v18, 0
	v_bcnt_u32_b32 v17, v19, v17
	s_waitcnt lgkmcnt(0)
	v_add_u32_e32 v17, v71, v17
	ds_write_b32 v72, v17 offset:16
.LBB226_93:
	s_or_b64 exec, exec, s[16:17]
	v_cmp_ne_u16_e32 vcc, s19, v28
	v_cndmask_b32_e32 v17, v20, v28, vcc
	v_and_b32_sdwa v18, s18, v17 dst_sel:DWORD dst_unused:UNUSED_PAD src0_sel:DWORD src1_sel:WORD_0
	v_lshlrev_b32_e32 v17, 2, v18
	v_add_lshl_u32 v75, v24, v17, 2
	v_and_b32_e32 v17, 1, v18
	v_add_co_u32_e32 v19, vcc, -1, v17
	v_addc_co_u32_e64 v20, s[16:17], 0, -1, vcc
	v_cmp_ne_u32_e32 vcc, 0, v17
	v_xor_b32_e32 v17, vcc_hi, v20
	v_and_b32_e32 v20, exec_hi, v17
	v_lshlrev_b32_e32 v17, 30, v18
	v_xor_b32_e32 v19, vcc_lo, v19
	v_cmp_gt_i64_e32 vcc, 0, v[16:17]
	v_not_b32_e32 v17, v17
	v_ashrrev_i32_e32 v17, 31, v17
	v_and_b32_e32 v19, exec_lo, v19
	v_xor_b32_e32 v21, vcc_hi, v17
	v_xor_b32_e32 v17, vcc_lo, v17
	v_and_b32_e32 v19, v19, v17
	v_lshlrev_b32_e32 v17, 29, v18
	v_cmp_gt_i64_e32 vcc, 0, v[16:17]
	v_not_b32_e32 v17, v17
	v_ashrrev_i32_e32 v17, 31, v17
	v_and_b32_e32 v20, v20, v21
	v_xor_b32_e32 v21, vcc_hi, v17
	v_xor_b32_e32 v17, vcc_lo, v17
	v_and_b32_e32 v19, v19, v17
	v_lshlrev_b32_e32 v17, 28, v18
	v_cmp_gt_i64_e32 vcc, 0, v[16:17]
	v_not_b32_e32 v17, v17
	v_ashrrev_i32_e32 v17, 31, v17
	v_and_b32_e32 v20, v20, v21
	;; [unrolled: 8-line block ×5, first 2 shown]
	v_xor_b32_e32 v21, vcc_hi, v17
	v_xor_b32_e32 v17, vcc_lo, v17
	v_and_b32_e32 v19, v19, v17
	v_lshlrev_b32_e32 v17, 24, v18
	v_cmp_gt_i64_e32 vcc, 0, v[16:17]
	v_not_b32_e32 v16, v17
	v_ashrrev_i32_e32 v16, 31, v16
	v_xor_b32_e32 v17, vcc_hi, v16
	v_xor_b32_e32 v16, vcc_lo, v16
	; wave barrier
	ds_read_b32 v74, v75 offset:16
	v_and_b32_e32 v20, v20, v21
	v_and_b32_e32 v16, v19, v16
	;; [unrolled: 1-line block ×3, first 2 shown]
	v_mbcnt_lo_u32_b32 v18, v16, 0
	v_mbcnt_hi_u32_b32 v76, v17, v18
	v_cmp_eq_u32_e32 vcc, 0, v76
	v_cmp_ne_u64_e64 s[16:17], 0, v[16:17]
	s_and_b64 s[20:21], s[16:17], vcc
	; wave barrier
	s_and_saveexec_b64 s[16:17], s[20:21]
	s_cbranch_execz .LBB226_95
; %bb.94:
	v_bcnt_u32_b32 v16, v16, 0
	v_bcnt_u32_b32 v16, v17, v16
	s_waitcnt lgkmcnt(0)
	v_add_u32_e32 v16, v74, v16
	ds_write_b32 v75, v16 offset:16
.LBB226_95:
	s_or_b64 exec, exec, s[16:17]
	v_mov_b32_e32 v20, 0x7fff
	v_cmp_ne_u16_e32 vcc, s19, v27
	v_cndmask_b32_e32 v16, v20, v27, vcc
	v_and_b32_sdwa v18, s18, v16 dst_sel:DWORD dst_unused:UNUSED_PAD src0_sel:DWORD src1_sel:WORD_0
	v_and_b32_e32 v17, 1, v18
	v_add_co_u32_e32 v19, vcc, -1, v17
	v_addc_co_u32_e64 v21, s[16:17], 0, -1, vcc
	v_cmp_ne_u32_e32 vcc, 0, v17
	v_lshlrev_b32_e32 v16, 2, v18
	v_xor_b32_e32 v17, vcc_hi, v21
	v_add_lshl_u32 v78, v24, v16, 2
	v_mov_b32_e32 v16, 0
	v_and_b32_e32 v21, exec_hi, v17
	v_lshlrev_b32_e32 v17, 30, v18
	v_xor_b32_e32 v19, vcc_lo, v19
	v_cmp_gt_i64_e32 vcc, 0, v[16:17]
	v_not_b32_e32 v17, v17
	v_ashrrev_i32_e32 v17, 31, v17
	v_and_b32_e32 v19, exec_lo, v19
	v_xor_b32_e32 v22, vcc_hi, v17
	v_xor_b32_e32 v17, vcc_lo, v17
	v_and_b32_e32 v19, v19, v17
	v_lshlrev_b32_e32 v17, 29, v18
	v_cmp_gt_i64_e32 vcc, 0, v[16:17]
	v_not_b32_e32 v17, v17
	v_ashrrev_i32_e32 v17, 31, v17
	v_and_b32_e32 v21, v21, v22
	v_xor_b32_e32 v22, vcc_hi, v17
	v_xor_b32_e32 v17, vcc_lo, v17
	v_and_b32_e32 v19, v19, v17
	v_lshlrev_b32_e32 v17, 28, v18
	v_cmp_gt_i64_e32 vcc, 0, v[16:17]
	v_not_b32_e32 v17, v17
	v_ashrrev_i32_e32 v17, 31, v17
	v_and_b32_e32 v21, v21, v22
	;; [unrolled: 8-line block ×5, first 2 shown]
	v_xor_b32_e32 v22, vcc_hi, v17
	v_xor_b32_e32 v17, vcc_lo, v17
	v_and_b32_e32 v21, v21, v22
	v_and_b32_e32 v22, v19, v17
	v_lshlrev_b32_e32 v17, 24, v18
	v_cmp_gt_i64_e32 vcc, 0, v[16:17]
	v_not_b32_e32 v17, v17
	v_ashrrev_i32_e32 v17, 31, v17
	v_xor_b32_e32 v18, vcc_hi, v17
	v_xor_b32_e32 v17, vcc_lo, v17
	; wave barrier
	ds_read_b32 v77, v78 offset:16
	v_and_b32_e32 v19, v21, v18
	v_and_b32_e32 v18, v22, v17
	v_mbcnt_lo_u32_b32 v17, v18, 0
	v_mbcnt_hi_u32_b32 v79, v19, v17
	v_cmp_eq_u32_e32 vcc, 0, v79
	v_cmp_ne_u64_e64 s[16:17], 0, v[18:19]
	s_and_b64 s[20:21], s[16:17], vcc
	; wave barrier
	s_and_saveexec_b64 s[16:17], s[20:21]
	s_cbranch_execz .LBB226_97
; %bb.96:
	v_bcnt_u32_b32 v17, v18, 0
	v_bcnt_u32_b32 v17, v19, v17
	s_waitcnt lgkmcnt(0)
	v_add_u32_e32 v17, v77, v17
	ds_write_b32 v78, v17 offset:16
.LBB226_97:
	s_or_b64 exec, exec, s[16:17]
	v_cmp_ne_u16_e32 vcc, s19, v25
	v_cndmask_b32_e32 v17, v20, v25, vcc
	v_and_b32_sdwa v18, s18, v17 dst_sel:DWORD dst_unused:UNUSED_PAD src0_sel:DWORD src1_sel:WORD_0
	v_lshlrev_b32_e32 v17, 2, v18
	v_add_lshl_u32 v81, v24, v17, 2
	v_and_b32_e32 v17, 1, v18
	v_add_co_u32_e32 v19, vcc, -1, v17
	v_addc_co_u32_e64 v20, s[16:17], 0, -1, vcc
	v_cmp_ne_u32_e32 vcc, 0, v17
	v_xor_b32_e32 v17, vcc_hi, v20
	v_and_b32_e32 v20, exec_hi, v17
	v_lshlrev_b32_e32 v17, 30, v18
	v_xor_b32_e32 v19, vcc_lo, v19
	v_cmp_gt_i64_e32 vcc, 0, v[16:17]
	v_not_b32_e32 v17, v17
	v_ashrrev_i32_e32 v17, 31, v17
	v_and_b32_e32 v19, exec_lo, v19
	v_xor_b32_e32 v21, vcc_hi, v17
	v_xor_b32_e32 v17, vcc_lo, v17
	v_and_b32_e32 v19, v19, v17
	v_lshlrev_b32_e32 v17, 29, v18
	v_cmp_gt_i64_e32 vcc, 0, v[16:17]
	v_not_b32_e32 v17, v17
	v_ashrrev_i32_e32 v17, 31, v17
	v_and_b32_e32 v20, v20, v21
	v_xor_b32_e32 v21, vcc_hi, v17
	v_xor_b32_e32 v17, vcc_lo, v17
	v_and_b32_e32 v19, v19, v17
	v_lshlrev_b32_e32 v17, 28, v18
	v_cmp_gt_i64_e32 vcc, 0, v[16:17]
	v_not_b32_e32 v17, v17
	v_ashrrev_i32_e32 v17, 31, v17
	v_and_b32_e32 v20, v20, v21
	;; [unrolled: 8-line block ×5, first 2 shown]
	v_xor_b32_e32 v21, vcc_hi, v17
	v_xor_b32_e32 v17, vcc_lo, v17
	v_and_b32_e32 v19, v19, v17
	v_lshlrev_b32_e32 v17, 24, v18
	v_cmp_gt_i64_e32 vcc, 0, v[16:17]
	v_not_b32_e32 v16, v17
	v_ashrrev_i32_e32 v16, 31, v16
	v_xor_b32_e32 v17, vcc_hi, v16
	v_xor_b32_e32 v16, vcc_lo, v16
	; wave barrier
	ds_read_b32 v80, v81 offset:16
	v_and_b32_e32 v20, v20, v21
	v_and_b32_e32 v16, v19, v16
	v_and_b32_e32 v17, v20, v17
	v_mbcnt_lo_u32_b32 v18, v16, 0
	v_mbcnt_hi_u32_b32 v82, v17, v18
	v_cmp_eq_u32_e32 vcc, 0, v82
	v_cmp_ne_u64_e64 s[16:17], 0, v[16:17]
	v_add_u32_e32 v22, 16, v64
	v_lshrrev_b32_e32 v23, 6, v46
	v_min_u32_e32 v34, 0xc0, v34
	s_and_b64 s[18:19], s[16:17], vcc
	; wave barrier
	s_and_saveexec_b64 s[16:17], s[18:19]
	s_cbranch_execz .LBB226_99
; %bb.98:
	v_bcnt_u32_b32 v16, v16, 0
	v_bcnt_u32_b32 v16, v17, v16
	s_waitcnt lgkmcnt(0)
	v_add_u32_e32 v16, v80, v16
	ds_write_b32 v81, v16 offset:16
.LBB226_99:
	s_or_b64 exec, exec, s[16:17]
	; wave barrier
	s_waitcnt lgkmcnt(0)
	s_barrier
	ds_read2_b32 v[18:19], v64 offset0:4 offset1:5
	ds_read2_b32 v[20:21], v22 offset0:2 offset1:3
	v_and_b32_e32 v17, 16, v26
	v_cmp_eq_u32_e32 vcc, 0, v17
	v_or_b32_e32 v17, 63, v34
	v_cmp_eq_u32_e64 s[16:17], v17, v46
	s_waitcnt lgkmcnt(1)
	v_add_u32_e32 v17, v19, v18
	v_and_b32_e32 v16, 15, v26
	s_waitcnt lgkmcnt(0)
	v_add3_u32 v17, v17, v20, v21
	v_cmp_eq_u32_e64 s[22:23], 0, v16
	v_cmp_lt_u32_e64 s[24:25], 1, v16
	v_mov_b32_dpp v21, v17 row_shr:1 row_mask:0xf bank_mask:0xf
	v_cndmask_b32_e64 v21, v21, 0, s[22:23]
	v_add_u32_e32 v17, v21, v17
	v_cmp_lt_u32_e64 s[28:29], 3, v16
	v_cmp_lt_u32_e64 s[30:31], 7, v16
	v_mov_b32_dpp v21, v17 row_shr:2 row_mask:0xf bank_mask:0xf
	v_cndmask_b32_e64 v21, 0, v21, s[24:25]
	v_add_u32_e32 v17, v17, v21
	v_bfe_i32 v35, v26, 4, 1
	v_cmp_lt_u32_e64 s[34:35], 31, v26
	v_mov_b32_dpp v21, v17 row_shr:4 row_mask:0xf bank_mask:0xf
	v_cndmask_b32_e64 v21, 0, v21, s[28:29]
	v_add_u32_e32 v17, v17, v21
	v_lshlrev_b32_e32 v23, 2, v23
	s_nop 0
	v_mov_b32_dpp v21, v17 row_shr:8 row_mask:0xf bank_mask:0xf
	v_cndmask_b32_e64 v16, 0, v21, s[30:31]
	v_add_u32_e32 v16, v17, v16
	s_nop 1
	v_mov_b32_dpp v17, v16 row_bcast:15 row_mask:0xf bank_mask:0xf
	v_and_b32_e32 v17, v35, v17
	v_add_u32_e32 v16, v16, v17
	s_nop 1
	v_mov_b32_dpp v17, v16 row_bcast:31 row_mask:0xf bank_mask:0xf
	v_cndmask_b32_e64 v17, 0, v17, s[34:35]
	v_add_u32_e32 v17, v16, v17
	s_and_saveexec_b64 s[18:19], s[16:17]
	s_cbranch_execz .LBB226_101
; %bb.100:
	ds_write_b32 v23, v17
.LBB226_101:
	s_or_b64 exec, exec, s[18:19]
	v_and_b32_e32 v16, 3, v26
	v_cmp_gt_u32_e64 s[26:27], 4, v46
	v_lshlrev_b32_e32 v21, 2, v46
	v_cmp_eq_u32_e64 s[20:21], 0, v16
	v_cmp_lt_u32_e64 s[18:19], 1, v16
	s_waitcnt lgkmcnt(0)
	s_barrier
	s_and_saveexec_b64 s[36:37], s[26:27]
	s_cbranch_execz .LBB226_103
; %bb.102:
	ds_read_b32 v16, v21
	s_waitcnt lgkmcnt(0)
	s_nop 0
	v_mov_b32_dpp v34, v16 row_shr:1 row_mask:0xf bank_mask:0xf
	v_cndmask_b32_e64 v34, v34, 0, s[20:21]
	v_add_u32_e32 v16, v34, v16
	s_nop 1
	v_mov_b32_dpp v34, v16 row_shr:2 row_mask:0xf bank_mask:0xf
	v_cndmask_b32_e64 v34, 0, v34, s[18:19]
	v_add_u32_e32 v16, v16, v34
	ds_write_b32 v21, v16
.LBB226_103:
	s_or_b64 exec, exec, s[36:37]
	v_cmp_lt_u32_e64 s[36:37], 63, v46
	v_add_u32_e32 v34, -4, v23
	v_mov_b32_e32 v16, 0
	v_mov_b32_e32 v83, 0
	s_waitcnt lgkmcnt(0)
	s_barrier
	s_and_saveexec_b64 s[38:39], s[36:37]
	s_cbranch_execz .LBB226_105
; %bb.104:
	ds_read_b32 v83, v34
.LBB226_105:
	s_or_b64 exec, exec, s[38:39]
	v_add_u32_e32 v35, -1, v26
	v_and_b32_e32 v84, 64, v26
	v_cmp_lt_i32_e64 s[38:39], v35, v84
	v_cndmask_b32_e64 v35, v35, v26, s[38:39]
	v_lshlrev_b32_e32 v35, 2, v35
	s_waitcnt lgkmcnt(0)
	v_add_u32_e32 v17, v83, v17
	ds_bpermute_b32 v17, v35, v17
	v_cmp_eq_u32_e64 s[38:39], 0, v26
	v_cmp_eq_u32_e64 s[40:41], 0, v46
	v_and_or_b32 v36, v26, 63, v36
	v_lshlrev_b32_e32 v84, 1, v36
	s_waitcnt lgkmcnt(0)
	v_cndmask_b32_e64 v17, v17, v83, s[38:39]
	v_cndmask_b32_e64 v17, v17, 0, s[40:41]
	v_add_u32_e32 v18, v17, v18
	v_add_u32_e32 v19, v18, v19
	;; [unrolled: 1-line block ×3, first 2 shown]
	ds_write2_b32 v64, v17, v18 offset0:4 offset1:5
	ds_write2_b32 v22, v19, v20 offset0:2 offset1:3
	s_waitcnt lgkmcnt(0)
	s_barrier
	ds_read_b32 v17, v37 offset:16
	ds_read_b32 v18, v40 offset:16
	;; [unrolled: 1-line block ×8, first 2 shown]
	s_waitcnt lgkmcnt(7)
	v_add_u32_e32 v17, v17, v38
	s_waitcnt lgkmcnt(6)
	v_add3_u32 v18, v41, v39, v18
	s_waitcnt lgkmcnt(4)
	v_add3_u32 v38, v70, v68, v20
	v_lshlrev_b32_e32 v20, 1, v17
	v_add3_u32 v19, v67, v65, v19
	s_waitcnt lgkmcnt(0)
	s_barrier
	ds_write_b16 v20, v33
	v_lshlrev_b32_e32 v20, 1, v18
	ds_write_b16 v20, v32
	v_lshlrev_b32_e32 v20, 1, v19
	v_add3_u32 v39, v73, v71, v26
	ds_write_b16 v20, v31
	v_lshlrev_b32_e32 v20, 1, v38
	v_add3_u32 v37, v76, v74, v37
	;; [unrolled: 3-line block ×4, first 2 shown]
	ds_write_b16 v20, v28
	v_lshlrev_b32_e32 v20, 1, v40
	ds_write_b16 v20, v27
	v_lshlrev_b32_e32 v20, 1, v41
	v_lshlrev_b32_e32 v17, 3, v17
	s_min_u32 s42, s42, 8
	ds_write_b16 v20, v25
	s_waitcnt lgkmcnt(0)
	s_barrier
	ds_read_u16 v31, v84
	ds_read_u16 v30, v84 offset:128
	ds_read_u16 v29, v84 offset:256
	;; [unrolled: 1-line block ×7, first 2 shown]
	s_waitcnt lgkmcnt(0)
	s_barrier
	ds_write_b64 v17, v[12:13]
	v_lshlrev_b32_e32 v12, 3, v18
	s_lshl_b32 s42, -1, s42
	s_movk_i32 s51, 0x8000
	ds_write_b64 v12, v[14:15]
	v_lshlrev_b32_e32 v12, 3, v19
	s_not_b32 s50, s42
	v_lshrrev_b16_e32 v17, 8, v31
	v_mov_b32_e32 v18, 0x7f
	v_cmp_ne_u16_e64 s[42:43], s51, v31
	ds_write_b64 v12, v[8:9]
	v_lshlrev_b32_e32 v8, 3, v38
	v_cndmask_b32_e64 v17, v18, v17, s[42:43]
	ds_write_b64 v8, v[10:11]
	v_lshlrev_b32_e32 v8, 3, v39
	v_and_b32_sdwa v19, v17, s50 dst_sel:DWORD dst_unused:UNUSED_PAD src0_sel:WORD_0 src1_sel:DWORD
	ds_write_b64 v8, v[4:5]
	v_lshlrev_b32_e32 v4, 3, v37
	v_lshlrev_b32_e32 v17, 2, v19
	ds_write_b64 v4, v[6:7]
	v_lshlrev_b32_e32 v4, 3, v40
	v_add_lshl_u32 v32, v17, v24, 2
	v_and_b32_e32 v17, 1, v19
	v_lshlrev_b32_e32 v36, 3, v36
	ds_write_b64 v4, v[0:1]
	v_lshlrev_b32_e32 v0, 3, v41
	v_add_co_u32_e64 v33, s[42:43], -1, v17
	ds_write_b64 v0, v[2:3]
	s_waitcnt lgkmcnt(0)
	s_barrier
	ds_read2st64_b64 v[12:15], v36 offset1:1
	ds_read2st64_b64 v[8:11], v36 offset0:2 offset1:3
	ds_read2st64_b64 v[4:7], v36 offset0:4 offset1:5
	;; [unrolled: 1-line block ×3, first 2 shown]
	v_addc_co_u32_e64 v36, s[42:43], 0, -1, s[42:43]
	v_cmp_ne_u32_e64 s[42:43], 0, v17
	v_xor_b32_e32 v17, s43, v36
	v_and_b32_e32 v36, exec_hi, v17
	v_lshlrev_b32_e32 v17, 30, v19
	v_xor_b32_e32 v33, s42, v33
	v_cmp_gt_i64_e64 s[42:43], 0, v[16:17]
	v_not_b32_e32 v17, v17
	v_ashrrev_i32_e32 v17, 31, v17
	v_and_b32_e32 v33, exec_lo, v33
	v_xor_b32_e32 v37, s43, v17
	v_xor_b32_e32 v17, s42, v17
	v_and_b32_e32 v33, v33, v17
	v_lshlrev_b32_e32 v17, 29, v19
	v_cmp_gt_i64_e64 s[42:43], 0, v[16:17]
	v_not_b32_e32 v17, v17
	v_ashrrev_i32_e32 v17, 31, v17
	v_and_b32_e32 v36, v36, v37
	v_xor_b32_e32 v37, s43, v17
	v_xor_b32_e32 v17, s42, v17
	v_and_b32_e32 v33, v33, v17
	v_lshlrev_b32_e32 v17, 28, v19
	v_cmp_gt_i64_e64 s[42:43], 0, v[16:17]
	v_not_b32_e32 v17, v17
	v_ashrrev_i32_e32 v17, 31, v17
	v_and_b32_e32 v36, v36, v37
	;; [unrolled: 8-line block ×5, first 2 shown]
	v_xor_b32_e32 v37, s43, v17
	v_xor_b32_e32 v17, s42, v17
	v_and_b32_e32 v33, v33, v17
	v_lshlrev_b32_e32 v17, 24, v19
	s_waitcnt lgkmcnt(0)
	s_barrier
	ds_write2_b32 v64, v16, v16 offset0:4 offset1:5
	ds_write2_b32 v22, v16, v16 offset0:2 offset1:3
	v_cmp_gt_i64_e64 s[42:43], 0, v[16:17]
	v_not_b32_e32 v16, v17
	v_ashrrev_i32_e32 v16, 31, v16
	v_xor_b32_e32 v17, s43, v16
	v_xor_b32_e32 v16, s42, v16
	v_and_b32_e32 v36, v36, v37
	v_and_b32_e32 v16, v33, v16
	;; [unrolled: 1-line block ×3, first 2 shown]
	v_mbcnt_lo_u32_b32 v19, v16, 0
	v_mbcnt_hi_u32_b32 v33, v17, v19
	v_cmp_eq_u32_e64 s[42:43], 0, v33
	v_cmp_ne_u64_e64 s[44:45], 0, v[16:17]
	s_and_b64 s[44:45], s[44:45], s[42:43]
	s_waitcnt lgkmcnt(0)
	s_barrier
	s_waitcnt lgkmcnt(0)
	; wave barrier
	s_and_saveexec_b64 s[42:43], s[44:45]
	s_cbranch_execz .LBB226_107
; %bb.106:
	v_bcnt_u32_b32 v16, v16, 0
	v_bcnt_u32_b32 v16, v17, v16
	ds_write_b32 v32, v16 offset:16
.LBB226_107:
	s_or_b64 exec, exec, s[42:43]
	v_lshrrev_b16_e32 v16, 8, v30
	v_cmp_ne_u16_e64 s[42:43], s51, v30
	v_cndmask_b32_e64 v16, v18, v16, s[42:43]
	v_and_b32_e32 v18, s50, v16
	v_and_b32_e32 v17, 1, v18
	v_add_co_u32_e64 v19, s[42:43], -1, v17
	v_addc_co_u32_e64 v38, s[42:43], 0, -1, s[42:43]
	v_cmp_ne_u32_e64 s[42:43], 0, v17
	v_lshlrev_b32_e32 v16, 2, v18
	v_xor_b32_e32 v17, s43, v38
	v_add_lshl_u32 v37, v16, v24, 2
	v_mov_b32_e32 v16, 0
	v_and_b32_e32 v38, exec_hi, v17
	v_lshlrev_b32_e32 v17, 30, v18
	v_xor_b32_e32 v19, s42, v19
	v_cmp_gt_i64_e64 s[42:43], 0, v[16:17]
	v_not_b32_e32 v17, v17
	v_ashrrev_i32_e32 v17, 31, v17
	v_and_b32_e32 v19, exec_lo, v19
	v_xor_b32_e32 v39, s43, v17
	v_xor_b32_e32 v17, s42, v17
	v_and_b32_e32 v19, v19, v17
	v_lshlrev_b32_e32 v17, 29, v18
	v_cmp_gt_i64_e64 s[42:43], 0, v[16:17]
	v_not_b32_e32 v17, v17
	v_ashrrev_i32_e32 v17, 31, v17
	v_and_b32_e32 v38, v38, v39
	v_xor_b32_e32 v39, s43, v17
	v_xor_b32_e32 v17, s42, v17
	v_and_b32_e32 v19, v19, v17
	v_lshlrev_b32_e32 v17, 28, v18
	v_cmp_gt_i64_e64 s[42:43], 0, v[16:17]
	v_not_b32_e32 v17, v17
	v_ashrrev_i32_e32 v17, 31, v17
	v_and_b32_e32 v38, v38, v39
	;; [unrolled: 8-line block ×5, first 2 shown]
	v_xor_b32_e32 v39, s43, v17
	v_xor_b32_e32 v17, s42, v17
	v_and_b32_e32 v38, v38, v39
	v_and_b32_e32 v39, v19, v17
	v_lshlrev_b32_e32 v17, 24, v18
	v_cmp_gt_i64_e64 s[42:43], 0, v[16:17]
	v_not_b32_e32 v17, v17
	v_ashrrev_i32_e32 v17, 31, v17
	v_xor_b32_e32 v18, s43, v17
	v_xor_b32_e32 v17, s42, v17
	; wave barrier
	ds_read_b32 v36, v37 offset:16
	v_and_b32_e32 v19, v38, v18
	v_and_b32_e32 v18, v39, v17
	v_mbcnt_lo_u32_b32 v17, v18, 0
	v_mbcnt_hi_u32_b32 v38, v19, v17
	v_cmp_eq_u32_e64 s[42:43], 0, v38
	v_cmp_ne_u64_e64 s[44:45], 0, v[18:19]
	s_and_b64 s[44:45], s[44:45], s[42:43]
	; wave barrier
	s_and_saveexec_b64 s[42:43], s[44:45]
	s_cbranch_execz .LBB226_109
; %bb.108:
	v_bcnt_u32_b32 v17, v18, 0
	v_bcnt_u32_b32 v17, v19, v17
	s_waitcnt lgkmcnt(0)
	v_add_u32_e32 v17, v36, v17
	ds_write_b32 v37, v17 offset:16
.LBB226_109:
	s_or_b64 exec, exec, s[42:43]
	v_lshrrev_b16_e32 v17, 8, v29
	v_mov_b32_e32 v18, 0x7f
	v_cmp_ne_u16_e64 s[42:43], s51, v29
	v_cndmask_b32_e64 v17, v18, v17, s[42:43]
	v_and_b32_e32 v19, s50, v17
	v_lshlrev_b32_e32 v17, 2, v19
	v_add_lshl_u32 v40, v17, v24, 2
	v_and_b32_e32 v17, 1, v19
	v_add_co_u32_e64 v41, s[42:43], -1, v17
	v_addc_co_u32_e64 v46, s[42:43], 0, -1, s[42:43]
	v_cmp_ne_u32_e64 s[42:43], 0, v17
	v_xor_b32_e32 v17, s43, v46
	v_and_b32_e32 v46, exec_hi, v17
	v_lshlrev_b32_e32 v17, 30, v19
	v_xor_b32_e32 v41, s42, v41
	v_cmp_gt_i64_e64 s[42:43], 0, v[16:17]
	v_not_b32_e32 v17, v17
	v_ashrrev_i32_e32 v17, 31, v17
	v_and_b32_e32 v41, exec_lo, v41
	v_xor_b32_e32 v65, s43, v17
	v_xor_b32_e32 v17, s42, v17
	v_and_b32_e32 v41, v41, v17
	v_lshlrev_b32_e32 v17, 29, v19
	v_cmp_gt_i64_e64 s[42:43], 0, v[16:17]
	v_not_b32_e32 v17, v17
	v_ashrrev_i32_e32 v17, 31, v17
	v_and_b32_e32 v46, v46, v65
	v_xor_b32_e32 v65, s43, v17
	v_xor_b32_e32 v17, s42, v17
	v_and_b32_e32 v41, v41, v17
	v_lshlrev_b32_e32 v17, 28, v19
	v_cmp_gt_i64_e64 s[42:43], 0, v[16:17]
	v_not_b32_e32 v17, v17
	v_ashrrev_i32_e32 v17, 31, v17
	v_and_b32_e32 v46, v46, v65
	;; [unrolled: 8-line block ×5, first 2 shown]
	v_xor_b32_e32 v65, s43, v17
	v_xor_b32_e32 v17, s42, v17
	v_and_b32_e32 v41, v41, v17
	v_lshlrev_b32_e32 v17, 24, v19
	v_cmp_gt_i64_e64 s[42:43], 0, v[16:17]
	v_not_b32_e32 v16, v17
	v_ashrrev_i32_e32 v16, 31, v16
	v_xor_b32_e32 v17, s43, v16
	v_xor_b32_e32 v16, s42, v16
	; wave barrier
	ds_read_b32 v39, v40 offset:16
	v_and_b32_e32 v46, v46, v65
	v_and_b32_e32 v16, v41, v16
	;; [unrolled: 1-line block ×3, first 2 shown]
	v_mbcnt_lo_u32_b32 v19, v16, 0
	v_mbcnt_hi_u32_b32 v41, v17, v19
	v_cmp_eq_u32_e64 s[42:43], 0, v41
	v_cmp_ne_u64_e64 s[44:45], 0, v[16:17]
	s_and_b64 s[44:45], s[44:45], s[42:43]
	; wave barrier
	s_and_saveexec_b64 s[42:43], s[44:45]
	s_cbranch_execz .LBB226_111
; %bb.110:
	v_bcnt_u32_b32 v16, v16, 0
	v_bcnt_u32_b32 v16, v17, v16
	s_waitcnt lgkmcnt(0)
	v_add_u32_e32 v16, v39, v16
	ds_write_b32 v40, v16 offset:16
.LBB226_111:
	s_or_b64 exec, exec, s[42:43]
	v_lshrrev_b16_e32 v16, 8, v28
	v_cmp_ne_u16_e64 s[42:43], s51, v28
	v_cndmask_b32_e64 v16, v18, v16, s[42:43]
	v_and_b32_e32 v18, s50, v16
	v_and_b32_e32 v17, 1, v18
	v_add_co_u32_e64 v19, s[42:43], -1, v17
	v_addc_co_u32_e64 v66, s[42:43], 0, -1, s[42:43]
	v_cmp_ne_u32_e64 s[42:43], 0, v17
	v_lshlrev_b32_e32 v16, 2, v18
	v_xor_b32_e32 v17, s43, v66
	v_add_lshl_u32 v65, v16, v24, 2
	v_mov_b32_e32 v16, 0
	v_and_b32_e32 v66, exec_hi, v17
	v_lshlrev_b32_e32 v17, 30, v18
	v_xor_b32_e32 v19, s42, v19
	v_cmp_gt_i64_e64 s[42:43], 0, v[16:17]
	v_not_b32_e32 v17, v17
	v_ashrrev_i32_e32 v17, 31, v17
	v_and_b32_e32 v19, exec_lo, v19
	v_xor_b32_e32 v67, s43, v17
	v_xor_b32_e32 v17, s42, v17
	v_and_b32_e32 v19, v19, v17
	v_lshlrev_b32_e32 v17, 29, v18
	v_cmp_gt_i64_e64 s[42:43], 0, v[16:17]
	v_not_b32_e32 v17, v17
	v_ashrrev_i32_e32 v17, 31, v17
	v_and_b32_e32 v66, v66, v67
	v_xor_b32_e32 v67, s43, v17
	v_xor_b32_e32 v17, s42, v17
	v_and_b32_e32 v19, v19, v17
	v_lshlrev_b32_e32 v17, 28, v18
	v_cmp_gt_i64_e64 s[42:43], 0, v[16:17]
	v_not_b32_e32 v17, v17
	v_ashrrev_i32_e32 v17, 31, v17
	v_and_b32_e32 v66, v66, v67
	;; [unrolled: 8-line block ×5, first 2 shown]
	v_xor_b32_e32 v67, s43, v17
	v_xor_b32_e32 v17, s42, v17
	v_and_b32_e32 v66, v66, v67
	v_and_b32_e32 v67, v19, v17
	v_lshlrev_b32_e32 v17, 24, v18
	v_cmp_gt_i64_e64 s[42:43], 0, v[16:17]
	v_not_b32_e32 v17, v17
	v_ashrrev_i32_e32 v17, 31, v17
	v_xor_b32_e32 v18, s43, v17
	v_xor_b32_e32 v17, s42, v17
	; wave barrier
	ds_read_b32 v46, v65 offset:16
	v_and_b32_e32 v19, v66, v18
	v_and_b32_e32 v18, v67, v17
	v_mbcnt_lo_u32_b32 v17, v18, 0
	v_mbcnt_hi_u32_b32 v66, v19, v17
	v_cmp_eq_u32_e64 s[42:43], 0, v66
	v_cmp_ne_u64_e64 s[44:45], 0, v[18:19]
	s_and_b64 s[44:45], s[44:45], s[42:43]
	; wave barrier
	s_and_saveexec_b64 s[42:43], s[44:45]
	s_cbranch_execz .LBB226_113
; %bb.112:
	v_bcnt_u32_b32 v17, v18, 0
	v_bcnt_u32_b32 v17, v19, v17
	s_waitcnt lgkmcnt(0)
	v_add_u32_e32 v17, v46, v17
	ds_write_b32 v65, v17 offset:16
.LBB226_113:
	s_or_b64 exec, exec, s[42:43]
	v_lshrrev_b16_e32 v17, 8, v27
	v_mov_b32_e32 v18, 0x7f
	v_cmp_ne_u16_e64 s[42:43], s51, v27
	v_cndmask_b32_e64 v17, v18, v17, s[42:43]
	v_and_b32_e32 v19, s50, v17
	v_lshlrev_b32_e32 v17, 2, v19
	v_add_lshl_u32 v68, v17, v24, 2
	v_and_b32_e32 v17, 1, v19
	v_add_co_u32_e64 v69, s[42:43], -1, v17
	v_addc_co_u32_e64 v70, s[42:43], 0, -1, s[42:43]
	v_cmp_ne_u32_e64 s[42:43], 0, v17
	v_xor_b32_e32 v17, s43, v70
	v_and_b32_e32 v70, exec_hi, v17
	v_lshlrev_b32_e32 v17, 30, v19
	v_xor_b32_e32 v69, s42, v69
	v_cmp_gt_i64_e64 s[42:43], 0, v[16:17]
	v_not_b32_e32 v17, v17
	v_ashrrev_i32_e32 v17, 31, v17
	v_and_b32_e32 v69, exec_lo, v69
	v_xor_b32_e32 v71, s43, v17
	v_xor_b32_e32 v17, s42, v17
	v_and_b32_e32 v69, v69, v17
	v_lshlrev_b32_e32 v17, 29, v19
	v_cmp_gt_i64_e64 s[42:43], 0, v[16:17]
	v_not_b32_e32 v17, v17
	v_ashrrev_i32_e32 v17, 31, v17
	v_and_b32_e32 v70, v70, v71
	v_xor_b32_e32 v71, s43, v17
	v_xor_b32_e32 v17, s42, v17
	v_and_b32_e32 v69, v69, v17
	v_lshlrev_b32_e32 v17, 28, v19
	v_cmp_gt_i64_e64 s[42:43], 0, v[16:17]
	v_not_b32_e32 v17, v17
	v_ashrrev_i32_e32 v17, 31, v17
	v_and_b32_e32 v70, v70, v71
	;; [unrolled: 8-line block ×5, first 2 shown]
	v_xor_b32_e32 v71, s43, v17
	v_xor_b32_e32 v17, s42, v17
	v_and_b32_e32 v69, v69, v17
	v_lshlrev_b32_e32 v17, 24, v19
	v_cmp_gt_i64_e64 s[42:43], 0, v[16:17]
	v_not_b32_e32 v16, v17
	v_ashrrev_i32_e32 v16, 31, v16
	v_xor_b32_e32 v17, s43, v16
	v_xor_b32_e32 v16, s42, v16
	; wave barrier
	ds_read_b32 v67, v68 offset:16
	v_and_b32_e32 v70, v70, v71
	v_and_b32_e32 v16, v69, v16
	;; [unrolled: 1-line block ×3, first 2 shown]
	v_mbcnt_lo_u32_b32 v19, v16, 0
	v_mbcnt_hi_u32_b32 v69, v17, v19
	v_cmp_eq_u32_e64 s[42:43], 0, v69
	v_cmp_ne_u64_e64 s[44:45], 0, v[16:17]
	s_and_b64 s[44:45], s[44:45], s[42:43]
	; wave barrier
	s_and_saveexec_b64 s[42:43], s[44:45]
	s_cbranch_execz .LBB226_115
; %bb.114:
	v_bcnt_u32_b32 v16, v16, 0
	v_bcnt_u32_b32 v16, v17, v16
	s_waitcnt lgkmcnt(0)
	v_add_u32_e32 v16, v67, v16
	ds_write_b32 v68, v16 offset:16
.LBB226_115:
	s_or_b64 exec, exec, s[42:43]
	v_lshrrev_b16_e32 v16, 8, v26
	v_cmp_ne_u16_e64 s[42:43], s51, v26
	v_cndmask_b32_e64 v16, v18, v16, s[42:43]
	v_and_b32_e32 v18, s50, v16
	v_and_b32_e32 v17, 1, v18
	v_add_co_u32_e64 v19, s[42:43], -1, v17
	v_addc_co_u32_e64 v72, s[42:43], 0, -1, s[42:43]
	v_cmp_ne_u32_e64 s[42:43], 0, v17
	v_lshlrev_b32_e32 v16, 2, v18
	v_xor_b32_e32 v17, s43, v72
	v_add_lshl_u32 v71, v16, v24, 2
	v_mov_b32_e32 v16, 0
	v_and_b32_e32 v72, exec_hi, v17
	v_lshlrev_b32_e32 v17, 30, v18
	v_xor_b32_e32 v19, s42, v19
	v_cmp_gt_i64_e64 s[42:43], 0, v[16:17]
	v_not_b32_e32 v17, v17
	v_ashrrev_i32_e32 v17, 31, v17
	v_and_b32_e32 v19, exec_lo, v19
	v_xor_b32_e32 v73, s43, v17
	v_xor_b32_e32 v17, s42, v17
	v_and_b32_e32 v19, v19, v17
	v_lshlrev_b32_e32 v17, 29, v18
	v_cmp_gt_i64_e64 s[42:43], 0, v[16:17]
	v_not_b32_e32 v17, v17
	v_ashrrev_i32_e32 v17, 31, v17
	v_and_b32_e32 v72, v72, v73
	v_xor_b32_e32 v73, s43, v17
	v_xor_b32_e32 v17, s42, v17
	v_and_b32_e32 v19, v19, v17
	v_lshlrev_b32_e32 v17, 28, v18
	v_cmp_gt_i64_e64 s[42:43], 0, v[16:17]
	v_not_b32_e32 v17, v17
	v_ashrrev_i32_e32 v17, 31, v17
	v_and_b32_e32 v72, v72, v73
	;; [unrolled: 8-line block ×5, first 2 shown]
	v_xor_b32_e32 v73, s43, v17
	v_xor_b32_e32 v17, s42, v17
	v_and_b32_e32 v72, v72, v73
	v_and_b32_e32 v73, v19, v17
	v_lshlrev_b32_e32 v17, 24, v18
	v_cmp_gt_i64_e64 s[42:43], 0, v[16:17]
	v_not_b32_e32 v17, v17
	v_ashrrev_i32_e32 v17, 31, v17
	v_xor_b32_e32 v18, s43, v17
	v_xor_b32_e32 v17, s42, v17
	; wave barrier
	ds_read_b32 v70, v71 offset:16
	v_and_b32_e32 v19, v72, v18
	v_and_b32_e32 v18, v73, v17
	v_mbcnt_lo_u32_b32 v17, v18, 0
	v_mbcnt_hi_u32_b32 v72, v19, v17
	v_cmp_eq_u32_e64 s[42:43], 0, v72
	v_cmp_ne_u64_e64 s[44:45], 0, v[18:19]
	s_and_b64 s[44:45], s[44:45], s[42:43]
	; wave barrier
	s_and_saveexec_b64 s[42:43], s[44:45]
	s_cbranch_execz .LBB226_117
; %bb.116:
	v_bcnt_u32_b32 v17, v18, 0
	v_bcnt_u32_b32 v17, v19, v17
	s_waitcnt lgkmcnt(0)
	v_add_u32_e32 v17, v70, v17
	ds_write_b32 v71, v17 offset:16
.LBB226_117:
	s_or_b64 exec, exec, s[42:43]
	v_lshrrev_b16_e32 v17, 8, v25
	v_mov_b32_e32 v18, 0x7f
	v_cmp_ne_u16_e64 s[42:43], s51, v25
	v_cndmask_b32_e64 v17, v18, v17, s[42:43]
	v_and_b32_e32 v19, s50, v17
	v_lshlrev_b32_e32 v17, 2, v19
	v_add_lshl_u32 v74, v17, v24, 2
	v_and_b32_e32 v17, 1, v19
	v_add_co_u32_e64 v75, s[42:43], -1, v17
	v_addc_co_u32_e64 v76, s[42:43], 0, -1, s[42:43]
	v_cmp_ne_u32_e64 s[42:43], 0, v17
	v_xor_b32_e32 v17, s43, v76
	v_and_b32_e32 v76, exec_hi, v17
	v_lshlrev_b32_e32 v17, 30, v19
	v_xor_b32_e32 v75, s42, v75
	v_cmp_gt_i64_e64 s[42:43], 0, v[16:17]
	v_not_b32_e32 v17, v17
	v_ashrrev_i32_e32 v17, 31, v17
	v_and_b32_e32 v75, exec_lo, v75
	v_xor_b32_e32 v77, s43, v17
	v_xor_b32_e32 v17, s42, v17
	v_and_b32_e32 v75, v75, v17
	v_lshlrev_b32_e32 v17, 29, v19
	v_cmp_gt_i64_e64 s[42:43], 0, v[16:17]
	v_not_b32_e32 v17, v17
	v_ashrrev_i32_e32 v17, 31, v17
	v_and_b32_e32 v76, v76, v77
	v_xor_b32_e32 v77, s43, v17
	v_xor_b32_e32 v17, s42, v17
	v_and_b32_e32 v75, v75, v17
	v_lshlrev_b32_e32 v17, 28, v19
	v_cmp_gt_i64_e64 s[42:43], 0, v[16:17]
	v_not_b32_e32 v17, v17
	v_ashrrev_i32_e32 v17, 31, v17
	v_and_b32_e32 v76, v76, v77
	;; [unrolled: 8-line block ×5, first 2 shown]
	v_xor_b32_e32 v77, s43, v17
	v_xor_b32_e32 v17, s42, v17
	v_and_b32_e32 v75, v75, v17
	v_lshlrev_b32_e32 v17, 24, v19
	v_cmp_gt_i64_e64 s[42:43], 0, v[16:17]
	v_not_b32_e32 v16, v17
	v_ashrrev_i32_e32 v16, 31, v16
	v_xor_b32_e32 v17, s43, v16
	v_xor_b32_e32 v16, s42, v16
	; wave barrier
	ds_read_b32 v73, v74 offset:16
	v_and_b32_e32 v76, v76, v77
	v_and_b32_e32 v16, v75, v16
	;; [unrolled: 1-line block ×3, first 2 shown]
	v_mbcnt_lo_u32_b32 v19, v16, 0
	v_mbcnt_hi_u32_b32 v75, v17, v19
	v_cmp_eq_u32_e64 s[42:43], 0, v75
	v_cmp_ne_u64_e64 s[44:45], 0, v[16:17]
	s_and_b64 s[44:45], s[44:45], s[42:43]
	; wave barrier
	s_and_saveexec_b64 s[42:43], s[44:45]
	s_cbranch_execz .LBB226_119
; %bb.118:
	v_bcnt_u32_b32 v16, v16, 0
	v_bcnt_u32_b32 v16, v17, v16
	s_waitcnt lgkmcnt(0)
	v_add_u32_e32 v16, v73, v16
	ds_write_b32 v74, v16 offset:16
.LBB226_119:
	s_or_b64 exec, exec, s[42:43]
	v_lshrrev_b16_e32 v16, 8, v20
	v_cmp_ne_u16_e64 s[42:43], s51, v20
	v_cndmask_b32_e64 v16, v18, v16, s[42:43]
	v_and_b32_e32 v18, s50, v16
	v_and_b32_e32 v17, 1, v18
	v_add_co_u32_e64 v19, s[42:43], -1, v17
	v_addc_co_u32_e64 v77, s[42:43], 0, -1, s[42:43]
	v_cmp_ne_u32_e64 s[42:43], 0, v17
	v_lshlrev_b32_e32 v16, 2, v18
	v_xor_b32_e32 v17, s43, v77
	v_add_lshl_u32 v76, v16, v24, 2
	v_mov_b32_e32 v16, 0
	v_and_b32_e32 v77, exec_hi, v17
	v_lshlrev_b32_e32 v17, 30, v18
	v_xor_b32_e32 v19, s42, v19
	v_cmp_gt_i64_e64 s[42:43], 0, v[16:17]
	v_not_b32_e32 v17, v17
	v_ashrrev_i32_e32 v17, 31, v17
	v_and_b32_e32 v19, exec_lo, v19
	v_xor_b32_e32 v78, s43, v17
	v_xor_b32_e32 v17, s42, v17
	v_and_b32_e32 v19, v19, v17
	v_lshlrev_b32_e32 v17, 29, v18
	v_cmp_gt_i64_e64 s[42:43], 0, v[16:17]
	v_not_b32_e32 v17, v17
	v_ashrrev_i32_e32 v17, 31, v17
	v_and_b32_e32 v77, v77, v78
	v_xor_b32_e32 v78, s43, v17
	v_xor_b32_e32 v17, s42, v17
	v_and_b32_e32 v19, v19, v17
	v_lshlrev_b32_e32 v17, 28, v18
	v_cmp_gt_i64_e64 s[42:43], 0, v[16:17]
	v_not_b32_e32 v17, v17
	v_ashrrev_i32_e32 v17, 31, v17
	v_and_b32_e32 v77, v77, v78
	;; [unrolled: 8-line block ×5, first 2 shown]
	v_xor_b32_e32 v78, s43, v17
	v_xor_b32_e32 v17, s42, v17
	v_and_b32_e32 v19, v19, v17
	v_lshlrev_b32_e32 v17, 24, v18
	v_cmp_gt_i64_e64 s[42:43], 0, v[16:17]
	v_not_b32_e32 v16, v17
	v_ashrrev_i32_e32 v16, 31, v16
	v_xor_b32_e32 v17, s43, v16
	v_xor_b32_e32 v16, s42, v16
	; wave barrier
	ds_read_b32 v24, v76 offset:16
	v_and_b32_e32 v77, v77, v78
	v_and_b32_e32 v16, v19, v16
	;; [unrolled: 1-line block ×3, first 2 shown]
	v_mbcnt_lo_u32_b32 v18, v16, 0
	v_mbcnt_hi_u32_b32 v77, v17, v18
	v_cmp_eq_u32_e64 s[42:43], 0, v77
	v_cmp_ne_u64_e64 s[44:45], 0, v[16:17]
	s_and_b64 s[44:45], s[44:45], s[42:43]
	; wave barrier
	s_and_saveexec_b64 s[42:43], s[44:45]
	s_cbranch_execz .LBB226_121
; %bb.120:
	v_bcnt_u32_b32 v16, v16, 0
	v_bcnt_u32_b32 v16, v17, v16
	s_waitcnt lgkmcnt(0)
	v_add_u32_e32 v16, v24, v16
	ds_write_b32 v76, v16 offset:16
.LBB226_121:
	s_or_b64 exec, exec, s[42:43]
	; wave barrier
	s_waitcnt lgkmcnt(0)
	s_barrier
	ds_read2_b32 v[18:19], v64 offset0:4 offset1:5
	ds_read2_b32 v[16:17], v22 offset0:2 offset1:3
	s_waitcnt lgkmcnt(1)
	v_add_u32_e32 v78, v19, v18
	s_waitcnt lgkmcnt(0)
	v_add3_u32 v17, v78, v16, v17
	s_nop 1
	v_mov_b32_dpp v78, v17 row_shr:1 row_mask:0xf bank_mask:0xf
	v_cndmask_b32_e64 v78, v78, 0, s[22:23]
	v_add_u32_e32 v17, v78, v17
	s_nop 1
	v_mov_b32_dpp v78, v17 row_shr:2 row_mask:0xf bank_mask:0xf
	v_cndmask_b32_e64 v78, 0, v78, s[24:25]
	v_add_u32_e32 v17, v17, v78
	;; [unrolled: 4-line block ×4, first 2 shown]
	s_nop 1
	v_mov_b32_dpp v78, v17 row_bcast:15 row_mask:0xf bank_mask:0xf
	v_cndmask_b32_e64 v78, v78, 0, vcc
	v_add_u32_e32 v17, v17, v78
	s_nop 1
	v_mov_b32_dpp v78, v17 row_bcast:31 row_mask:0xf bank_mask:0xf
	v_cndmask_b32_e64 v78, 0, v78, s[34:35]
	v_add_u32_e32 v78, v17, v78
	s_and_saveexec_b64 s[22:23], s[16:17]
	s_cbranch_execz .LBB226_123
; %bb.122:
	ds_write_b32 v23, v78
.LBB226_123:
	s_or_b64 exec, exec, s[22:23]
	s_waitcnt lgkmcnt(0)
	s_barrier
	s_and_saveexec_b64 s[16:17], s[26:27]
	s_cbranch_execz .LBB226_125
; %bb.124:
	ds_read_b32 v17, v21
	s_waitcnt lgkmcnt(0)
	s_nop 0
	v_mov_b32_dpp v23, v17 row_shr:1 row_mask:0xf bank_mask:0xf
	v_cndmask_b32_e64 v23, v23, 0, s[20:21]
	v_add_u32_e32 v17, v23, v17
	s_nop 1
	v_mov_b32_dpp v23, v17 row_shr:2 row_mask:0xf bank_mask:0xf
	v_cndmask_b32_e64 v23, 0, v23, s[18:19]
	v_add_u32_e32 v17, v17, v23
	ds_write_b32 v21, v17
.LBB226_125:
	s_or_b64 exec, exec, s[16:17]
	v_mov_b32_e32 v17, 0
	v_mov_b32_e32 v21, 0
	s_waitcnt lgkmcnt(0)
	s_barrier
	s_and_saveexec_b64 s[16:17], s[36:37]
	s_cbranch_execz .LBB226_127
; %bb.126:
	ds_read_b32 v21, v34
.LBB226_127:
	s_or_b64 exec, exec, s[16:17]
	s_waitcnt lgkmcnt(0)
	v_add_u32_e32 v23, v21, v78
	ds_bpermute_b32 v23, v35, v23
	v_lshlrev_b32_e32 v34, 3, v63
	s_mov_b32 s18, 0x5040100
	s_waitcnt lgkmcnt(0)
	v_cndmask_b32_e64 v21, v23, v21, s[38:39]
	v_cndmask_b32_e64 v21, v21, 0, s[40:41]
	v_add_u32_e32 v18, v21, v18
	v_add_u32_e32 v19, v18, v19
	;; [unrolled: 1-line block ×3, first 2 shown]
	ds_write2_b32 v64, v21, v18 offset0:4 offset1:5
	ds_write2_b32 v22, v19, v16 offset0:2 offset1:3
	s_waitcnt lgkmcnt(0)
	s_barrier
	ds_read_b32 v16, v76 offset:16
	ds_read_b32 v18, v74 offset:16
	ds_read_b32 v19, v71 offset:16
	ds_read_b32 v21, v68 offset:16
	s_waitcnt lgkmcnt(3)
	v_add3_u32 v16, v77, v24, v16
	ds_read_b32 v22, v65 offset:16
	ds_read_b32 v23, v40 offset:16
	;; [unrolled: 1-line block ×4, first 2 shown]
	s_waitcnt lgkmcnt(0)
	s_barrier
	v_add3_u32 v23, v41, v39, v23
	v_add3_u32 v24, v38, v36, v24
	v_add_u32_e32 v32, v32, v33
	v_lshlrev_b32_e32 v33, 1, v32
	ds_write_b16 v33, v31
	v_lshlrev_b32_e32 v31, 1, v24
	v_add3_u32 v22, v66, v46, v22
	ds_write_b16 v31, v30
	v_lshlrev_b32_e32 v30, 1, v23
	v_add3_u32 v21, v69, v67, v21
	;; [unrolled: 3-line block ×4, first 2 shown]
	ds_write_b16 v28, v27
	v_lshlrev_b32_e32 v27, 1, v19
	ds_write_b16 v27, v26
	v_lshlrev_b32_e32 v26, 1, v18
	;; [unrolled: 2-line block ×4, first 2 shown]
	s_waitcnt lgkmcnt(0)
	s_barrier
	v_lshlrev_b32_e32 v26, 3, v21
	v_lshlrev_b32_e32 v27, 3, v19
	;; [unrolled: 1-line block ×3, first 2 shown]
	ds_read_b128 v[18:21], v20
	v_mov_b32_e32 v40, -1
	v_mov_b32_e32 v41, 0x7fff
	v_lshlrev_b32_e32 v25, 3, v32
	v_lshlrev_b32_e32 v24, 3, v24
	s_waitcnt lgkmcnt(0)
	v_cmp_gt_i16_sdwa vcc, v18, v40 src0_sel:WORD_1 src1_sel:DWORD
	v_cndmask_b32_e32 v29, 0, v41, vcc
	v_cmp_lt_i16_e32 vcc, -1, v18
	v_cndmask_b32_e32 v30, 0, v41, vcc
	v_cmp_lt_i16_sdwa s[16:17], v19, v17 src0_sel:WORD_1 src1_sel:DWORD
	v_cmp_gt_i16_e32 vcc, 0, v19
	v_cndmask_b32_e64 v31, v41, 0, s[16:17]
	v_cndmask_b32_e64 v32, v41, 0, vcc
	v_lshlrev_b32_e32 v23, 3, v23
	v_lshlrev_b32_e32 v22, 3, v22
	v_xor_b32_e32 v32, v32, v19
	v_xor_b32_sdwa v19, v31, v19 dst_sel:DWORD dst_unused:UNUSED_PAD src0_sel:DWORD src1_sel:WORD_1
	v_lshlrev_b32_e32 v16, 3, v16
	v_perm_b32 v39, v19, v32, s18
	v_xor_b32_e32 v19, v30, v18
	v_xor_b32_sdwa v18, v29, v18 dst_sel:DWORD dst_unused:UNUSED_PAD src0_sel:DWORD src1_sel:WORD_1
	s_barrier
	ds_write_b64 v25, v[12:13]
	ds_write_b64 v24, v[14:15]
	;; [unrolled: 1-line block ×8, first 2 shown]
	s_waitcnt lgkmcnt(0)
	s_barrier
	ds_read2_b64 v[22:25], v34 offset1:1
	ds_read2_b64 v[26:29], v34 offset0:2 offset1:3
	ds_read2_b64 v[30:33], v34 offset0:4 offset1:5
	ds_read2_b64 v[34:37], v34 offset0:6 offset1:7
	v_cmp_gt_i16_sdwa vcc, v20, v40 src0_sel:WORD_1 src1_sel:DWORD
	v_cndmask_b32_e32 v0, 0, v41, vcc
	v_cmp_lt_i16_e32 vcc, -1, v20
	v_cndmask_b32_e32 v1, 0, v41, vcc
	v_cmp_lt_i16_sdwa s[16:17], v21, v17 src0_sel:WORD_1 src1_sel:DWORD
	v_cmp_gt_i16_e32 vcc, 0, v21
	v_cndmask_b32_e64 v2, v41, 0, s[16:17]
	v_cndmask_b32_e64 v3, v41, 0, vcc
	v_xor_b32_e32 v3, v3, v21
	v_xor_b32_sdwa v2, v2, v21 dst_sel:DWORD dst_unused:UNUSED_PAD src0_sel:DWORD src1_sel:WORD_1
	v_xor_b32_e32 v1, v1, v20
	v_xor_b32_sdwa v0, v0, v20 dst_sel:DWORD dst_unused:UNUSED_PAD src0_sel:DWORD src1_sel:WORD_1
	v_perm_b32 v38, v18, v19, s18
	v_perm_b32 v41, v2, v3, s18
	;; [unrolled: 1-line block ×3, first 2 shown]
.LBB226_128:
	s_waitcnt lgkmcnt(0)
	s_barrier
	ds_write_b128 v54, v[38:41]
	s_waitcnt lgkmcnt(0)
	s_barrier
	ds_read_u16 v8, v43 offset:512
	ds_read_u16 v7, v48 offset:1024
	;; [unrolled: 1-line block ×7, first 2 shown]
	v_mov_b32_e32 v43, 0
	v_lshlrev_b64 v[0:1], 1, v[42:43]
	v_mov_b32_e32 v9, s47
	v_add_co_u32_e32 v0, vcc, s33, v0
	v_addc_co_u32_e32 v1, vcc, v9, v1, vcc
	s_and_saveexec_b64 s[16:17], s[0:1]
	s_cbranch_execnz .LBB226_147
; %bb.129:
	s_or_b64 exec, exec, s[16:17]
	s_and_saveexec_b64 s[16:17], s[2:3]
	s_cbranch_execnz .LBB226_148
.LBB226_130:
	s_or_b64 exec, exec, s[16:17]
	s_and_saveexec_b64 s[16:17], s[4:5]
	s_cbranch_execnz .LBB226_149
.LBB226_131:
	s_or_b64 exec, exec, s[16:17]
	s_and_saveexec_b64 s[16:17], s[6:7]
	s_cbranch_execnz .LBB226_150
.LBB226_132:
	s_or_b64 exec, exec, s[16:17]
	s_and_saveexec_b64 s[16:17], s[8:9]
	s_cbranch_execnz .LBB226_151
.LBB226_133:
	s_or_b64 exec, exec, s[16:17]
	s_and_saveexec_b64 s[16:17], s[10:11]
	s_cbranch_execnz .LBB226_152
.LBB226_134:
	s_or_b64 exec, exec, s[16:17]
	s_and_saveexec_b64 s[16:17], s[12:13]
	s_cbranch_execnz .LBB226_153
.LBB226_135:
	s_or_b64 exec, exec, s[16:17]
	s_and_saveexec_b64 s[16:17], s[14:15]
	s_cbranch_execz .LBB226_137
.LBB226_136:
	s_mul_i32 s18, s46, 0x700
	s_mov_b32 s19, 0
	s_lshl_b64 s[18:19], s[18:19], 1
	s_waitcnt lgkmcnt(1)
	v_mov_b32_e32 v3, s19
	v_add_co_u32_e32 v0, vcc, s18, v0
	v_addc_co_u32_e32 v1, vcc, v1, v3, vcc
	s_waitcnt lgkmcnt(0)
	global_store_short v[0:1], v2, off
.LBB226_137:
	s_or_b64 exec, exec, s[16:17]
	s_waitcnt lgkmcnt(0)
	s_barrier
	ds_write2_b64 v62, v[22:23], v[24:25] offset1:1
	ds_write2_b64 v62, v[26:27], v[28:29] offset0:2 offset1:3
	ds_write2_b64 v62, v[30:31], v[32:33] offset0:4 offset1:5
	;; [unrolled: 1-line block ×3, first 2 shown]
	s_waitcnt lgkmcnt(0)
	s_barrier
	ds_read_b64 v[14:15], v45 offset:2048
	ds_read_b64 v[12:13], v56 offset:4096
	;; [unrolled: 1-line block ×7, first 2 shown]
	v_mov_b32_e32 v45, 0
	v_lshlrev_b64 v[2:3], 3, v[44:45]
	v_mov_b32_e32 v16, s52
	v_add_co_u32_e32 v2, vcc, s49, v2
	v_addc_co_u32_e32 v3, vcc, v16, v3, vcc
	s_and_saveexec_b64 s[16:17], s[0:1]
	s_cbranch_execnz .LBB226_154
; %bb.138:
	s_or_b64 exec, exec, s[16:17]
	s_and_saveexec_b64 s[0:1], s[2:3]
	s_cbranch_execnz .LBB226_155
.LBB226_139:
	s_or_b64 exec, exec, s[0:1]
	s_and_saveexec_b64 s[0:1], s[4:5]
	s_cbranch_execnz .LBB226_156
.LBB226_140:
	s_or_b64 exec, exec, s[0:1]
	s_and_saveexec_b64 s[0:1], s[6:7]
	s_cbranch_execnz .LBB226_157
.LBB226_141:
	s_or_b64 exec, exec, s[0:1]
	s_and_saveexec_b64 s[0:1], s[8:9]
	s_cbranch_execnz .LBB226_158
.LBB226_142:
	s_or_b64 exec, exec, s[0:1]
	s_and_saveexec_b64 s[0:1], s[10:11]
	s_cbranch_execnz .LBB226_159
.LBB226_143:
	s_or_b64 exec, exec, s[0:1]
	s_and_saveexec_b64 s[0:1], s[12:13]
	s_cbranch_execnz .LBB226_160
.LBB226_144:
	s_or_b64 exec, exec, s[0:1]
	s_and_saveexec_b64 s[0:1], s[14:15]
	s_cbranch_execz .LBB226_146
.LBB226_145:
	s_mul_i32 s0, s48, 0x700
	s_mov_b32 s1, 0
	s_lshl_b64 s[0:1], s[0:1], 3
	s_waitcnt lgkmcnt(1)
	v_mov_b32_e32 v4, s1
	v_add_co_u32_e32 v2, vcc, s0, v2
	v_addc_co_u32_e32 v3, vcc, v3, v4, vcc
	s_waitcnt lgkmcnt(0)
	global_store_dwordx2 v[2:3], v[0:1], off
.LBB226_146:
	s_endpgm
.LBB226_147:
	ds_read_u16 v9, v47
	s_waitcnt lgkmcnt(0)
	global_store_short v[0:1], v9, off
	s_or_b64 exec, exec, s[16:17]
	s_and_saveexec_b64 s[16:17], s[2:3]
	s_cbranch_execz .LBB226_130
.LBB226_148:
	s_lshl_b32 s18, s46, 8
	s_mov_b32 s19, 0
	s_lshl_b64 s[18:19], s[18:19], 1
	v_mov_b32_e32 v9, s19
	v_add_co_u32_e32 v10, vcc, s18, v0
	v_addc_co_u32_e32 v11, vcc, v1, v9, vcc
	s_waitcnt lgkmcnt(6)
	global_store_short v[10:11], v8, off
	s_or_b64 exec, exec, s[16:17]
	s_and_saveexec_b64 s[16:17], s[4:5]
	s_cbranch_execz .LBB226_131
.LBB226_149:
	s_lshl_b32 s18, s46, 9
	s_mov_b32 s19, 0
	s_lshl_b64 s[18:19], s[18:19], 1
	v_mov_b32_e32 v9, s19
	s_waitcnt lgkmcnt(6)
	v_add_co_u32_e32 v8, vcc, s18, v0
	v_addc_co_u32_e32 v9, vcc, v1, v9, vcc
	s_waitcnt lgkmcnt(5)
	global_store_short v[8:9], v7, off
	s_or_b64 exec, exec, s[16:17]
	s_and_saveexec_b64 s[16:17], s[6:7]
	s_cbranch_execz .LBB226_132
.LBB226_150:
	s_mul_i32 s18, s46, 0x300
	s_mov_b32 s19, 0
	s_lshl_b64 s[18:19], s[18:19], 1
	s_waitcnt lgkmcnt(5)
	v_mov_b32_e32 v7, s19
	v_add_co_u32_e32 v8, vcc, s18, v0
	v_addc_co_u32_e32 v9, vcc, v1, v7, vcc
	s_waitcnt lgkmcnt(4)
	global_store_short v[8:9], v6, off
	s_or_b64 exec, exec, s[16:17]
	s_and_saveexec_b64 s[16:17], s[8:9]
	s_cbranch_execz .LBB226_133
.LBB226_151:
	s_lshl_b32 s18, s46, 10
	s_mov_b32 s19, 0
	s_lshl_b64 s[18:19], s[18:19], 1
	s_waitcnt lgkmcnt(5)
	v_mov_b32_e32 v7, s19
	s_waitcnt lgkmcnt(4)
	v_add_co_u32_e32 v6, vcc, s18, v0
	v_addc_co_u32_e32 v7, vcc, v1, v7, vcc
	s_waitcnt lgkmcnt(3)
	global_store_short v[6:7], v5, off
	s_or_b64 exec, exec, s[16:17]
	s_and_saveexec_b64 s[16:17], s[10:11]
	s_cbranch_execz .LBB226_134
.LBB226_152:
	s_mul_i32 s18, s46, 0x500
	s_mov_b32 s19, 0
	s_lshl_b64 s[18:19], s[18:19], 1
	s_waitcnt lgkmcnt(3)
	v_mov_b32_e32 v5, s19
	v_add_co_u32_e32 v6, vcc, s18, v0
	v_addc_co_u32_e32 v7, vcc, v1, v5, vcc
	s_waitcnt lgkmcnt(2)
	global_store_short v[6:7], v4, off
	s_or_b64 exec, exec, s[16:17]
	s_and_saveexec_b64 s[16:17], s[12:13]
	s_cbranch_execz .LBB226_135
.LBB226_153:
	s_mul_i32 s18, s46, 0x600
	s_mov_b32 s19, 0
	s_lshl_b64 s[18:19], s[18:19], 1
	s_waitcnt lgkmcnt(3)
	v_mov_b32_e32 v5, s19
	s_waitcnt lgkmcnt(2)
	v_add_co_u32_e32 v4, vcc, s18, v0
	v_addc_co_u32_e32 v5, vcc, v1, v5, vcc
	s_waitcnt lgkmcnt(1)
	global_store_short v[4:5], v3, off
	s_or_b64 exec, exec, s[16:17]
	s_and_saveexec_b64 s[16:17], s[14:15]
	s_cbranch_execnz .LBB226_136
	s_branch .LBB226_137
.LBB226_154:
	ds_read_b64 v[16:17], v55
	s_waitcnt lgkmcnt(0)
	global_store_dwordx2 v[2:3], v[16:17], off
	s_or_b64 exec, exec, s[16:17]
	s_and_saveexec_b64 s[0:1], s[2:3]
	s_cbranch_execz .LBB226_139
.LBB226_155:
	s_lshl_b32 s2, s48, 8
	s_mov_b32 s3, 0
	s_lshl_b64 s[2:3], s[2:3], 3
	v_mov_b32_e32 v17, s3
	v_add_co_u32_e32 v16, vcc, s2, v2
	v_addc_co_u32_e32 v17, vcc, v3, v17, vcc
	s_waitcnt lgkmcnt(6)
	global_store_dwordx2 v[16:17], v[14:15], off
	s_or_b64 exec, exec, s[0:1]
	s_and_saveexec_b64 s[0:1], s[4:5]
	s_cbranch_execz .LBB226_140
.LBB226_156:
	s_lshl_b32 s2, s48, 9
	s_mov_b32 s3, 0
	s_lshl_b64 s[2:3], s[2:3], 3
	s_waitcnt lgkmcnt(6)
	v_mov_b32_e32 v15, s3
	v_add_co_u32_e32 v14, vcc, s2, v2
	v_addc_co_u32_e32 v15, vcc, v3, v15, vcc
	s_waitcnt lgkmcnt(5)
	global_store_dwordx2 v[14:15], v[12:13], off
	s_or_b64 exec, exec, s[0:1]
	s_and_saveexec_b64 s[0:1], s[6:7]
	s_cbranch_execz .LBB226_141
.LBB226_157:
	s_mul_i32 s2, s48, 0x300
	s_mov_b32 s3, 0
	s_lshl_b64 s[2:3], s[2:3], 3
	s_waitcnt lgkmcnt(5)
	v_mov_b32_e32 v13, s3
	v_add_co_u32_e32 v12, vcc, s2, v2
	v_addc_co_u32_e32 v13, vcc, v3, v13, vcc
	s_waitcnt lgkmcnt(4)
	global_store_dwordx2 v[12:13], v[10:11], off
	s_or_b64 exec, exec, s[0:1]
	s_and_saveexec_b64 s[0:1], s[8:9]
	s_cbranch_execz .LBB226_142
.LBB226_158:
	s_lshl_b32 s2, s48, 10
	s_mov_b32 s3, 0
	s_lshl_b64 s[2:3], s[2:3], 3
	s_waitcnt lgkmcnt(4)
	v_mov_b32_e32 v11, s3
	v_add_co_u32_e32 v10, vcc, s2, v2
	v_addc_co_u32_e32 v11, vcc, v3, v11, vcc
	s_waitcnt lgkmcnt(3)
	global_store_dwordx2 v[10:11], v[8:9], off
	s_or_b64 exec, exec, s[0:1]
	s_and_saveexec_b64 s[0:1], s[10:11]
	s_cbranch_execz .LBB226_143
.LBB226_159:
	s_mul_i32 s2, s48, 0x500
	s_mov_b32 s3, 0
	s_lshl_b64 s[2:3], s[2:3], 3
	s_waitcnt lgkmcnt(3)
	v_mov_b32_e32 v9, s3
	v_add_co_u32_e32 v8, vcc, s2, v2
	v_addc_co_u32_e32 v9, vcc, v3, v9, vcc
	s_waitcnt lgkmcnt(2)
	global_store_dwordx2 v[8:9], v[6:7], off
	s_or_b64 exec, exec, s[0:1]
	s_and_saveexec_b64 s[0:1], s[12:13]
	s_cbranch_execz .LBB226_144
.LBB226_160:
	s_mul_i32 s2, s48, 0x600
	s_mov_b32 s3, 0
	s_lshl_b64 s[2:3], s[2:3], 3
	s_waitcnt lgkmcnt(2)
	v_mov_b32_e32 v7, s3
	v_add_co_u32_e32 v6, vcc, s2, v2
	v_addc_co_u32_e32 v7, vcc, v3, v7, vcc
	s_waitcnt lgkmcnt(1)
	global_store_dwordx2 v[6:7], v[4:5], off
	s_or_b64 exec, exec, s[0:1]
	s_and_saveexec_b64 s[0:1], s[14:15]
	s_cbranch_execnz .LBB226_145
	s_branch .LBB226_146
	.section	.rodata,"a",@progbits
	.p2align	6, 0x0
	.amdhsa_kernel _ZN2at6native18radixSortKVInPlaceILi2ELin1ELi256ELi8EN3c104HalfEljEEvNS_4cuda6detail10TensorInfoIT3_T5_EES8_S8_S8_NS6_IT4_S8_EES8_b
		.amdhsa_group_segment_fixed_size 16896
		.amdhsa_private_segment_fixed_size 0
		.amdhsa_kernarg_size 712
		.amdhsa_user_sgpr_count 6
		.amdhsa_user_sgpr_private_segment_buffer 1
		.amdhsa_user_sgpr_dispatch_ptr 0
		.amdhsa_user_sgpr_queue_ptr 0
		.amdhsa_user_sgpr_kernarg_segment_ptr 1
		.amdhsa_user_sgpr_dispatch_id 0
		.amdhsa_user_sgpr_flat_scratch_init 0
		.amdhsa_user_sgpr_kernarg_preload_length 0
		.amdhsa_user_sgpr_kernarg_preload_offset 0
		.amdhsa_user_sgpr_private_segment_size 0
		.amdhsa_uses_dynamic_stack 0
		.amdhsa_system_sgpr_private_segment_wavefront_offset 0
		.amdhsa_system_sgpr_workgroup_id_x 1
		.amdhsa_system_sgpr_workgroup_id_y 1
		.amdhsa_system_sgpr_workgroup_id_z 1
		.amdhsa_system_sgpr_workgroup_info 0
		.amdhsa_system_vgpr_workitem_id 2
		.amdhsa_next_free_vgpr 108
		.amdhsa_next_free_sgpr 55
		.amdhsa_accum_offset 108
		.amdhsa_reserve_vcc 1
		.amdhsa_reserve_flat_scratch 0
		.amdhsa_float_round_mode_32 0
		.amdhsa_float_round_mode_16_64 0
		.amdhsa_float_denorm_mode_32 3
		.amdhsa_float_denorm_mode_16_64 3
		.amdhsa_dx10_clamp 1
		.amdhsa_ieee_mode 1
		.amdhsa_fp16_overflow 0
		.amdhsa_tg_split 0
		.amdhsa_exception_fp_ieee_invalid_op 0
		.amdhsa_exception_fp_denorm_src 0
		.amdhsa_exception_fp_ieee_div_zero 0
		.amdhsa_exception_fp_ieee_overflow 0
		.amdhsa_exception_fp_ieee_underflow 0
		.amdhsa_exception_fp_ieee_inexact 0
		.amdhsa_exception_int_div_zero 0
	.end_amdhsa_kernel
	.section	.text._ZN2at6native18radixSortKVInPlaceILi2ELin1ELi256ELi8EN3c104HalfEljEEvNS_4cuda6detail10TensorInfoIT3_T5_EES8_S8_S8_NS6_IT4_S8_EES8_b,"axG",@progbits,_ZN2at6native18radixSortKVInPlaceILi2ELin1ELi256ELi8EN3c104HalfEljEEvNS_4cuda6detail10TensorInfoIT3_T5_EES8_S8_S8_NS6_IT4_S8_EES8_b,comdat
.Lfunc_end226:
	.size	_ZN2at6native18radixSortKVInPlaceILi2ELin1ELi256ELi8EN3c104HalfEljEEvNS_4cuda6detail10TensorInfoIT3_T5_EES8_S8_S8_NS6_IT4_S8_EES8_b, .Lfunc_end226-_ZN2at6native18radixSortKVInPlaceILi2ELin1ELi256ELi8EN3c104HalfEljEEvNS_4cuda6detail10TensorInfoIT3_T5_EES8_S8_S8_NS6_IT4_S8_EES8_b
                                        ; -- End function
	.section	.AMDGPU.csdata,"",@progbits
; Kernel info:
; codeLenInByte = 21516
; NumSgprs: 59
; NumVgprs: 108
; NumAgprs: 0
; TotalNumVgprs: 108
; ScratchSize: 0
; MemoryBound: 0
; FloatMode: 240
; IeeeMode: 1
; LDSByteSize: 16896 bytes/workgroup (compile time only)
; SGPRBlocks: 7
; VGPRBlocks: 13
; NumSGPRsForWavesPerEU: 59
; NumVGPRsForWavesPerEU: 108
; AccumOffset: 108
; Occupancy: 3
; WaveLimiterHint : 1
; COMPUTE_PGM_RSRC2:SCRATCH_EN: 0
; COMPUTE_PGM_RSRC2:USER_SGPR: 6
; COMPUTE_PGM_RSRC2:TRAP_HANDLER: 0
; COMPUTE_PGM_RSRC2:TGID_X_EN: 1
; COMPUTE_PGM_RSRC2:TGID_Y_EN: 1
; COMPUTE_PGM_RSRC2:TGID_Z_EN: 1
; COMPUTE_PGM_RSRC2:TIDIG_COMP_CNT: 2
; COMPUTE_PGM_RSRC3_GFX90A:ACCUM_OFFSET: 26
; COMPUTE_PGM_RSRC3_GFX90A:TG_SPLIT: 0
	.section	.text._ZN2at6native18radixSortKVInPlaceILi2ELin1ELi128ELi8EN3c104HalfEljEEvNS_4cuda6detail10TensorInfoIT3_T5_EES8_S8_S8_NS6_IT4_S8_EES8_b,"axG",@progbits,_ZN2at6native18radixSortKVInPlaceILi2ELin1ELi128ELi8EN3c104HalfEljEEvNS_4cuda6detail10TensorInfoIT3_T5_EES8_S8_S8_NS6_IT4_S8_EES8_b,comdat
	.protected	_ZN2at6native18radixSortKVInPlaceILi2ELin1ELi128ELi8EN3c104HalfEljEEvNS_4cuda6detail10TensorInfoIT3_T5_EES8_S8_S8_NS6_IT4_S8_EES8_b ; -- Begin function _ZN2at6native18radixSortKVInPlaceILi2ELin1ELi128ELi8EN3c104HalfEljEEvNS_4cuda6detail10TensorInfoIT3_T5_EES8_S8_S8_NS6_IT4_S8_EES8_b
	.globl	_ZN2at6native18radixSortKVInPlaceILi2ELin1ELi128ELi8EN3c104HalfEljEEvNS_4cuda6detail10TensorInfoIT3_T5_EES8_S8_S8_NS6_IT4_S8_EES8_b
	.p2align	8
	.type	_ZN2at6native18radixSortKVInPlaceILi2ELin1ELi128ELi8EN3c104HalfEljEEvNS_4cuda6detail10TensorInfoIT3_T5_EES8_S8_S8_NS6_IT4_S8_EES8_b,@function
_ZN2at6native18radixSortKVInPlaceILi2ELin1ELi128ELi8EN3c104HalfEljEEvNS_4cuda6detail10TensorInfoIT3_T5_EES8_S8_S8_NS6_IT4_S8_EES8_b: ; @_ZN2at6native18radixSortKVInPlaceILi2ELin1ELi128ELi8EN3c104HalfEljEEvNS_4cuda6detail10TensorInfoIT3_T5_EES8_S8_S8_NS6_IT4_S8_EES8_b
; %bb.0:
	s_load_dwordx2 s[0:1], s[4:5], 0x1c8
	s_load_dwordx4 s[44:47], s[4:5], 0xd8
	s_add_u32 s50, s4, 0x1c8
	s_addc_u32 s51, s5, 0
	s_waitcnt lgkmcnt(0)
	s_mul_i32 s1, s1, s8
	s_add_i32 s1, s1, s7
	s_mul_i32 s8, s1, s0
	s_add_i32 s8, s8, s6
	s_cmp_ge_u32 s8, s44
	s_cbranch_scc1 .LBB227_146
; %bb.1:
	s_load_dword s9, s[4:5], 0xc
	s_load_dwordx2 s[0:1], s[4:5], 0x6c
	s_load_dword s6, s[4:5], 0x1b8
	s_add_u32 s14, s4, 0xe8
	s_load_dwordx2 s[2:3], s[4:5], 0x0
	s_waitcnt lgkmcnt(0)
	v_cvt_f32_u32_e32 v1, s9
	s_addc_u32 s15, s5, 0
	s_sub_i32 s7, 0, s9
	s_mov_b32 s17, 0
	v_rcp_iflag_f32_e32 v1, v1
	s_mov_b32 s16, s8
	v_mul_f32_e32 v1, 0x4f7ffffe, v1
	v_cvt_u32_f32_e32 v1, v1
	v_readfirstlane_b32 s10, v1
	s_mul_i32 s7, s7, s10
	s_mul_hi_u32 s7, s10, s7
	s_add_i32 s10, s10, s7
	s_mul_hi_u32 s10, s8, s10
	s_cmp_lt_i32 s6, 2
	s_cbranch_scc1 .LBB227_4
; %bb.2:
	s_add_i32 s16, s6, -1
	s_add_i32 s11, s6, 1
	s_lshl_b64 s[6:7], s[16:17], 2
	s_add_u32 s6, s6, s14
	s_addc_u32 s7, s7, s15
	s_add_u32 s6, s6, 8
	s_addc_u32 s7, s7, 0
	s_mov_b32 s16, s8
.LBB227_3:                              ; =>This Inner Loop Header: Depth=1
	s_load_dword s12, s[6:7], 0x0
	s_load_dword s18, s[6:7], 0x64
	s_mov_b32 s13, s16
	s_waitcnt lgkmcnt(0)
	v_cvt_f32_u32_e32 v1, s12
	s_sub_i32 s16, 0, s12
	v_rcp_iflag_f32_e32 v1, v1
	v_mul_f32_e32 v1, 0x4f7ffffe, v1
	v_cvt_u32_f32_e32 v1, v1
	v_readfirstlane_b32 s19, v1
	s_mul_i32 s16, s16, s19
	s_mul_hi_u32 s16, s19, s16
	s_add_i32 s19, s19, s16
	s_mul_hi_u32 s16, s13, s19
	s_mul_i32 s19, s16, s12
	s_sub_i32 s19, s13, s19
	s_add_i32 s20, s16, 1
	s_sub_i32 s21, s19, s12
	s_cmp_ge_u32 s19, s12
	s_cselect_b32 s16, s20, s16
	s_cselect_b32 s19, s21, s19
	s_add_i32 s20, s16, 1
	s_cmp_ge_u32 s19, s12
	s_cselect_b32 s16, s20, s16
	s_mul_i32 s12, s16, s12
	s_sub_i32 s12, s13, s12
	s_mul_i32 s12, s18, s12
	s_add_i32 s11, s11, -1
	s_add_i32 s17, s12, s17
	s_add_u32 s6, s6, -4
	s_addc_u32 s7, s7, -1
	s_cmp_gt_u32 s11, 2
	s_cbranch_scc1 .LBB227_3
.LBB227_4:
	s_mul_i32 s6, s10, s9
	s_sub_i32 s6, s8, s6
	s_add_i32 s7, s10, 1
	s_sub_i32 s11, s6, s9
	s_cmp_ge_u32 s6, s9
	s_cselect_b32 s7, s7, s10
	s_cselect_b32 s6, s11, s6
	s_add_i32 s10, s7, 1
	s_cmp_ge_u32 s6, s9
	s_cselect_b32 s6, s10, s7
	s_load_dwordx2 s[48:49], s[4:5], 0x1c0
	s_mul_i32 s7, s6, s9
	s_sub_i32 s4, s8, s7
	s_mul_i32 s4, s4, s1
	s_mul_i32 s0, s6, s0
	s_add_i32 s0, s0, s4
	s_waitcnt lgkmcnt(0)
	s_bitcmp1_b32 s49, 0
	s_cselect_b64 s[34:35], -1, 0
	s_mov_b32 s1, 0xffff
	s_and_b64 s[4:5], s[34:35], exec
	s_cselect_b32 s22, s1, 0x7fff
	s_mov_b32 s1, 0
	s_lshl_b64 s[0:1], s[0:1], 1
	s_add_u32 s33, s2, s0
	v_and_b32_e32 v46, 0x3ff, v0
	s_addc_u32 s44, s3, s1
	v_cmp_gt_u32_e64 s[0:1], s45, v46
	v_mov_b32_e32 v1, s22
	v_mul_lo_u32 v42, v46, s46
	s_and_saveexec_b64 s[2:3], s[0:1]
	s_cbranch_execz .LBB227_6
; %bb.5:
	v_mov_b32_e32 v43, 0
	v_lshlrev_b64 v[2:3], 1, v[42:43]
	v_mov_b32_e32 v1, s44
	v_add_co_u32_e32 v2, vcc, s33, v2
	v_addc_co_u32_e32 v3, vcc, v1, v3, vcc
	global_load_ushort v1, v[2:3], off
.LBB227_6:
	s_or_b64 exec, exec, s[2:3]
	v_add_u32_e32 v36, 0x80, v46
	v_cmp_gt_u32_e64 s[2:3], s45, v36
	v_mov_b32_e32 v2, s22
	s_and_saveexec_b64 s[4:5], s[2:3]
	s_cbranch_execz .LBB227_8
; %bb.7:
	v_mul_lo_u32 v2, v36, s46
	v_mov_b32_e32 v3, 0
	v_lshlrev_b64 v[2:3], 1, v[2:3]
	v_mov_b32_e32 v4, s44
	v_add_co_u32_e32 v2, vcc, s33, v2
	v_addc_co_u32_e32 v3, vcc, v4, v3, vcc
	global_load_ushort v2, v[2:3], off
.LBB227_8:
	s_or_b64 exec, exec, s[4:5]
	v_add_u32_e32 v35, 0x100, v46
	v_cmp_gt_u32_e64 s[4:5], s45, v35
	v_mov_b32_e32 v3, s22
	s_and_saveexec_b64 s[6:7], s[4:5]
	s_cbranch_execz .LBB227_10
; %bb.9:
	v_mul_lo_u32 v4, v35, s46
	v_mov_b32_e32 v5, 0
	v_lshlrev_b64 v[4:5], 1, v[4:5]
	v_mov_b32_e32 v3, s44
	v_add_co_u32_e32 v4, vcc, s33, v4
	v_addc_co_u32_e32 v5, vcc, v3, v5, vcc
	global_load_ushort v3, v[4:5], off
.LBB227_10:
	;; [unrolled: 15-line block ×5, first 2 shown]
	s_or_b64 exec, exec, s[12:13]
	s_load_dwordx2 s[18:19], s[14:15], 0x0
	v_add_u32_e32 v26, 0x300, v46
	v_cmp_gt_u32_e64 s[12:13], s45, v26
	v_mov_b32_e32 v7, s22
	s_and_saveexec_b64 s[20:21], s[12:13]
	s_cbranch_execz .LBB227_18
; %bb.17:
	v_mul_lo_u32 v8, v26, s46
	v_mov_b32_e32 v9, 0
	v_lshlrev_b64 v[8:9], 1, v[8:9]
	v_mov_b32_e32 v7, s44
	v_add_co_u32_e32 v8, vcc, s33, v8
	v_addc_co_u32_e32 v9, vcc, v7, v9, vcc
	global_load_ushort v7, v[8:9], off
.LBB227_18:
	s_or_b64 exec, exec, s[20:21]
	s_load_dword s23, s[14:15], 0x6c
	v_add_u32_e32 v22, 0x380, v46
	v_cmp_gt_u32_e64 s[14:15], s45, v22
	v_mov_b32_e32 v8, s22
	s_and_saveexec_b64 s[20:21], s[14:15]
	s_cbranch_execz .LBB227_20
; %bb.19:
	v_mul_lo_u32 v8, v22, s46
	v_mov_b32_e32 v9, 0
	v_lshlrev_b64 v[8:9], 1, v[8:9]
	v_mov_b32_e32 v10, s44
	v_add_co_u32_e32 v8, vcc, s33, v8
	v_addc_co_u32_e32 v9, vcc, v10, v9, vcc
	global_load_ushort v8, v[8:9], off
.LBB227_20:
	s_or_b64 exec, exec, s[20:21]
	v_lshrrev_b32_e32 v34, 5, v46
	v_and_b32_e32 v9, 30, v34
	v_add_lshl_u32 v47, v9, v46, 1
	v_lshrrev_b32_e32 v32, 5, v36
	s_waitcnt vmcnt(0)
	ds_write_b16 v47, v1
	v_and_b32_e32 v1, 62, v32
	v_lshrrev_b32_e32 v31, 5, v35
	v_add_lshl_u32 v43, v1, v46, 1
	v_and_b32_e32 v1, 62, v31
	v_lshrrev_b32_e32 v29, 5, v33
	v_add_lshl_u32 v48, v1, v46, 1
	;; [unrolled: 3-line block ×5, first 2 shown]
	v_and_b32_e32 v1, 62, v23
	v_add_lshl_u32 v52, v1, v46, 1
	v_lshrrev_b32_e32 v1, 5, v22
	ds_write_b16 v43, v2 offset:256
	v_and_b32_e32 v2, 62, v1
	v_lshrrev_b32_e32 v24, 2, v46
	v_add_lshl_u32 v53, v2, v46, 1
	v_lshlrev_b32_e32 v63, 3, v46
	v_and_b32_e32 v2, 0xfe, v24
	s_waitcnt lgkmcnt(0)
	s_mul_i32 s16, s23, s16
	v_add_lshl_u32 v54, v2, v63, 1
	s_add_i32 s16, s16, s17
	s_mov_b32 s17, 0
	ds_write_b16 v48, v3 offset:512
	ds_write_b16 v49, v4 offset:768
	;; [unrolled: 1-line block ×6, first 2 shown]
	s_waitcnt lgkmcnt(0)
	s_barrier
	ds_read_b128 v[18:21], v54
	s_lshl_b64 s[20:21], s[16:17], 3
	s_add_u32 s45, s18, s20
	s_mov_b32 s16, s17
	s_addc_u32 s47, s19, s21
	s_mov_b32 s18, s17
	s_mov_b32 s19, s17
	;; [unrolled: 1-line block ×14, first 2 shown]
	v_pk_mov_b32 v[2:3], s[16:17], s[16:17] op_sel:[0,1]
	v_pk_mov_b32 v[4:5], s[18:19], s[18:19] op_sel:[0,1]
	;; [unrolled: 1-line block ×8, first 2 shown]
	v_pk_mov_b32 v[2:3], 0, 0
	v_mul_lo_u32 v44, v46, s48
	s_waitcnt lgkmcnt(0)
	s_barrier
	s_and_saveexec_b64 s[16:17], s[0:1]
	s_cbranch_execnz .LBB227_75
; %bb.21:
	s_or_b64 exec, exec, s[16:17]
	s_and_saveexec_b64 s[16:17], s[2:3]
	s_cbranch_execnz .LBB227_76
.LBB227_22:
	s_or_b64 exec, exec, s[16:17]
	s_and_saveexec_b64 s[16:17], s[4:5]
	s_cbranch_execnz .LBB227_77
.LBB227_23:
	s_or_b64 exec, exec, s[16:17]
	s_and_saveexec_b64 s[16:17], s[6:7]
	s_cbranch_execnz .LBB227_78
.LBB227_24:
	s_or_b64 exec, exec, s[16:17]
	s_and_saveexec_b64 s[16:17], s[8:9]
	s_cbranch_execnz .LBB227_79
.LBB227_25:
	s_or_b64 exec, exec, s[16:17]
	s_and_saveexec_b64 s[16:17], s[10:11]
	s_cbranch_execnz .LBB227_80
.LBB227_26:
	s_or_b64 exec, exec, s[16:17]
	s_and_saveexec_b64 s[16:17], s[12:13]
	s_cbranch_execnz .LBB227_81
.LBB227_27:
	s_or_b64 exec, exec, s[16:17]
	s_xor_b64 s[16:17], s[34:35], -1
	s_and_saveexec_b64 s[18:19], s[14:15]
	s_cbranch_execz .LBB227_29
.LBB227_28:
	v_mul_lo_u32 v16, v22, s48
	v_mov_b32_e32 v17, 0
	v_lshlrev_b64 v[16:17], 3, v[16:17]
	v_mov_b32_e32 v22, s47
	v_add_co_u32_e32 v16, vcc, s45, v16
	v_addc_co_u32_e32 v17, vcc, v22, v17, vcc
	global_load_dwordx2 v[16:17], v[16:17], off
.LBB227_29:
	s_or_b64 exec, exec, s[18:19]
	v_add_lshl_u32 v55, v34, v46, 3
	v_add_lshl_u32 v45, v32, v46, 3
	;; [unrolled: 1-line block ×9, first 2 shown]
	s_waitcnt vmcnt(0)
	ds_write_b64 v55, v[2:3]
	ds_write_b64 v45, v[4:5] offset:1024
	ds_write_b64 v56, v[6:7] offset:2048
	;; [unrolled: 1-line block ×7, first 2 shown]
	s_waitcnt lgkmcnt(0)
	s_barrier
	ds_read2_b64 v[14:17], v62 offset1:1
	ds_read2_b64 v[10:13], v62 offset0:2 offset1:3
	ds_read2_b64 v[6:9], v62 offset0:4 offset1:5
	;; [unrolled: 1-line block ×3, first 2 shown]
	s_and_b64 vcc, exec, s[16:17]
	v_bfe_u32 v65, v0, 10, 10
	v_bfe_u32 v66, v0, 20, 10
	v_mbcnt_lo_u32_b32 v67, -1, 0
	v_lshlrev_b32_e32 v64, 4, v46
	s_waitcnt lgkmcnt(0)
	s_barrier
	s_cbranch_vccz .LBB227_82
; %bb.30:
	s_movk_i32 s16, 0x8000
	v_pk_ashrrev_i16 v24, 15, v18 op_sel_hi:[0,1]
	v_or_b32_e32 v25, 0xffff8000, v24
	v_or_b32_sdwa v24, v24, s16 dst_sel:DWORD dst_unused:UNUSED_PAD src0_sel:WORD_1 src1_sel:DWORD
	v_pk_ashrrev_i16 v22, 15, v19 op_sel_hi:[0,1]
	v_xor_b32_sdwa v26, v24, v18 dst_sel:DWORD dst_unused:UNUSED_PAD src0_sel:DWORD src1_sel:WORD_1
	v_pk_ashrrev_i16 v24, 15, v21 op_sel_hi:[0,1]
	v_pk_ashrrev_i16 v28, 15, v20 op_sel_hi:[0,1]
	v_mbcnt_hi_u32_b32 v76, -1, v67
	v_and_b32_e32 v40, 0x3c0, v46
	v_or_b32_e32 v23, 0xffff8000, v22
	v_or_b32_sdwa v22, v22, s16 dst_sel:DWORD dst_unused:UNUSED_PAD src0_sel:WORD_1 src1_sel:DWORD
	v_xor_b32_e32 v27, v25, v18
	v_or_b32_e32 v25, 0xffff8000, v24
	v_or_b32_e32 v29, 0xffff8000, v28
	v_or_b32_sdwa v24, v24, s16 dst_sel:DWORD dst_unused:UNUSED_PAD src0_sel:WORD_1 src1_sel:DWORD
	v_or_b32_sdwa v28, v28, s16 dst_sel:DWORD dst_unused:UNUSED_PAD src0_sel:WORD_1 src1_sel:DWORD
	v_add_u32_e32 v0, v76, v40
	v_xor_b32_sdwa v22, v22, v19 dst_sel:DWORD dst_unused:UNUSED_PAD src0_sel:DWORD src1_sel:WORD_1
	v_xor_b32_e32 v23, v23, v19
	v_xor_b32_sdwa v28, v28, v20 dst_sel:DWORD dst_unused:UNUSED_PAD src0_sel:DWORD src1_sel:WORD_1
	v_xor_b32_sdwa v24, v24, v21 dst_sel:DWORD dst_unused:UNUSED_PAD src0_sel:DWORD src1_sel:WORD_1
	v_xor_b32_e32 v29, v29, v20
	v_xor_b32_e32 v25, v25, v21
	s_mov_b32 s16, 0x5040100
	v_lshlrev_b32_e32 v1, 4, v0
	v_perm_b32 v25, v24, v25, s16
	v_perm_b32 v24, v28, v29, s16
	;; [unrolled: 1-line block ×4, first 2 shown]
	v_and_b32_e32 v82, 0x1e00, v63
	ds_write_b128 v1, v[22:25]
	v_or_b32_e32 v1, v76, v82
	v_lshlrev_b32_e32 v22, 1, v1
	v_lshlrev_b32_e32 v0, 6, v0
	; wave barrier
	ds_read_u16 v79, v22
	ds_read_u16 v78, v22 offset:128
	ds_read_u16 v77, v22 offset:256
	;; [unrolled: 1-line block ×7, first 2 shown]
	s_waitcnt lgkmcnt(0)
	s_barrier
	ds_write2_b64 v0, v[14:15], v[16:17] offset1:1
	ds_write2_b64 v0, v[10:11], v[12:13] offset0:2 offset1:3
	ds_write2_b64 v0, v[6:7], v[8:9] offset0:4 offset1:5
	;; [unrolled: 1-line block ×3, first 2 shown]
	v_lshlrev_b32_e32 v0, 3, v1
	; wave barrier
	ds_read2st64_b64 v[34:37], v0 offset1:1
	ds_read2st64_b64 v[30:33], v0 offset0:2 offset1:3
	ds_read2st64_b64 v[26:29], v0 offset0:4 offset1:5
	;; [unrolled: 1-line block ×3, first 2 shown]
	s_waitcnt lgkmcnt(0)
	s_barrier
	s_load_dword s18, s[50:51], 0xc
	s_getpc_b64 s[16:17]
	s_add_u32 s16, s16, _ZN7rocprim17ROCPRIM_400000_NS16block_radix_sortI6__halfLj128ELj8ElLj1ELj1ELj0ELNS0_26block_radix_rank_algorithmE1ELNS0_18block_padding_hintE2ELNS0_4arch9wavefront6targetE1EE19radix_bits_per_passE@rel32@lo+4
	s_addc_u32 s17, s17, _ZN7rocprim17ROCPRIM_400000_NS16block_radix_sortI6__halfLj128ELj8ElLj1ELj1ELj0ELNS0_26block_radix_rank_algorithmE1ELNS0_18block_padding_hintE2ELNS0_4arch9wavefront6targetE1EE19radix_bits_per_passE@rel32@hi+12
	s_load_dword s40, s[16:17], 0x0
	s_movk_i32 s19, 0x7fff
	v_mov_b32_e32 v41, 0xffff8000
	s_waitcnt lgkmcnt(0)
	s_lshr_b32 s16, s18, 16
	s_and_b32 s17, s18, 0xffff
	v_mad_u32_u24 v1, v66, s16, v65
	v_mad_u64_u32 v[38:39], s[16:17], v1, s17, v[46:47]
	s_min_u32 s16, s40, 16
	s_lshl_b32 s16, -1, s16
	v_cmp_ne_u16_e32 vcc, s19, v79
	s_not_b32 s18, s16
	v_cndmask_b32_e32 v1, v41, v79, vcc
	v_lshrrev_b32_e32 v68, 6, v38
	v_and_b32_sdwa v38, s18, v1 dst_sel:DWORD dst_unused:UNUSED_PAD src0_sel:DWORD src1_sel:WORD_0
	v_lshlrev_b32_e32 v1, 1, v38
	v_add_lshl_u32 v83, v68, v1, 2
	v_and_b32_e32 v1, 1, v38
	v_add_co_u32_e32 v39, vcc, -1, v1
	v_addc_co_u32_e64 v69, s[16:17], 0, -1, vcc
	v_cmp_ne_u32_e32 vcc, 0, v1
	v_xor_b32_e32 v1, vcc_hi, v69
	v_mov_b32_e32 v0, 0
	v_and_b32_e32 v69, exec_hi, v1
	v_lshlrev_b32_e32 v1, 30, v38
	v_xor_b32_e32 v39, vcc_lo, v39
	v_cmp_gt_i64_e32 vcc, 0, v[0:1]
	v_not_b32_e32 v1, v1
	v_ashrrev_i32_e32 v1, 31, v1
	v_and_b32_e32 v39, exec_lo, v39
	v_xor_b32_e32 v70, vcc_hi, v1
	v_xor_b32_e32 v1, vcc_lo, v1
	v_and_b32_e32 v39, v39, v1
	v_lshlrev_b32_e32 v1, 29, v38
	v_cmp_gt_i64_e32 vcc, 0, v[0:1]
	v_not_b32_e32 v1, v1
	v_ashrrev_i32_e32 v1, 31, v1
	v_and_b32_e32 v69, v69, v70
	v_xor_b32_e32 v70, vcc_hi, v1
	v_xor_b32_e32 v1, vcc_lo, v1
	v_and_b32_e32 v39, v39, v1
	v_lshlrev_b32_e32 v1, 28, v38
	v_cmp_gt_i64_e32 vcc, 0, v[0:1]
	v_not_b32_e32 v1, v1
	v_ashrrev_i32_e32 v1, 31, v1
	v_and_b32_e32 v69, v69, v70
	;; [unrolled: 8-line block ×5, first 2 shown]
	v_xor_b32_e32 v70, vcc_hi, v1
	v_xor_b32_e32 v1, vcc_lo, v1
	v_and_b32_e32 v69, v69, v70
	v_and_b32_e32 v70, v39, v1
	v_lshlrev_b32_e32 v1, 24, v38
	v_cmp_gt_i64_e32 vcc, 0, v[0:1]
	v_not_b32_e32 v1, v1
	v_ashrrev_i32_e32 v1, 31, v1
	v_xor_b32_e32 v38, vcc_hi, v1
	v_xor_b32_e32 v1, vcc_lo, v1
	v_and_b32_e32 v39, v69, v38
	v_and_b32_e32 v38, v70, v1
	v_mbcnt_lo_u32_b32 v1, v38, 0
	v_mbcnt_hi_u32_b32 v84, v39, v1
	v_cmp_eq_u32_e32 vcc, 0, v84
	v_cmp_ne_u64_e64 s[16:17], 0, v[38:39]
	s_and_b64 s[20:21], s[16:17], vcc
	ds_write2_b32 v64, v0, v0 offset0:2 offset1:3
	ds_write2_b32 v64, v0, v0 offset0:4 offset1:5
	s_waitcnt lgkmcnt(0)
	s_barrier
	s_waitcnt lgkmcnt(0)
	; wave barrier
	s_and_saveexec_b64 s[16:17], s[20:21]
	s_cbranch_execz .LBB227_32
; %bb.31:
	v_bcnt_u32_b32 v1, v38, 0
	v_bcnt_u32_b32 v1, v39, v1
	ds_write_b32 v83, v1 offset:8
.LBB227_32:
	s_or_b64 exec, exec, s[16:17]
	v_cmp_ne_u16_e32 vcc, s19, v78
	v_cndmask_b32_e32 v1, v41, v78, vcc
	v_and_b32_sdwa v38, s18, v1 dst_sel:DWORD dst_unused:UNUSED_PAD src0_sel:DWORD src1_sel:WORD_0
	v_lshlrev_b32_e32 v1, 1, v38
	v_add_lshl_u32 v86, v68, v1, 2
	v_and_b32_e32 v1, 1, v38
	v_add_co_u32_e32 v39, vcc, -1, v1
	v_addc_co_u32_e64 v41, s[16:17], 0, -1, vcc
	v_cmp_ne_u32_e32 vcc, 0, v1
	v_xor_b32_e32 v1, vcc_hi, v41
	v_and_b32_e32 v41, exec_hi, v1
	v_lshlrev_b32_e32 v1, 30, v38
	v_xor_b32_e32 v39, vcc_lo, v39
	v_cmp_gt_i64_e32 vcc, 0, v[0:1]
	v_not_b32_e32 v1, v1
	v_ashrrev_i32_e32 v1, 31, v1
	v_and_b32_e32 v39, exec_lo, v39
	v_xor_b32_e32 v69, vcc_hi, v1
	v_xor_b32_e32 v1, vcc_lo, v1
	v_and_b32_e32 v39, v39, v1
	v_lshlrev_b32_e32 v1, 29, v38
	v_cmp_gt_i64_e32 vcc, 0, v[0:1]
	v_not_b32_e32 v1, v1
	v_ashrrev_i32_e32 v1, 31, v1
	v_and_b32_e32 v41, v41, v69
	v_xor_b32_e32 v69, vcc_hi, v1
	v_xor_b32_e32 v1, vcc_lo, v1
	v_and_b32_e32 v39, v39, v1
	v_lshlrev_b32_e32 v1, 28, v38
	v_cmp_gt_i64_e32 vcc, 0, v[0:1]
	v_not_b32_e32 v1, v1
	v_ashrrev_i32_e32 v1, 31, v1
	v_and_b32_e32 v41, v41, v69
	;; [unrolled: 8-line block ×5, first 2 shown]
	v_xor_b32_e32 v69, vcc_hi, v1
	v_xor_b32_e32 v1, vcc_lo, v1
	v_and_b32_e32 v39, v39, v1
	v_lshlrev_b32_e32 v1, 24, v38
	v_cmp_gt_i64_e32 vcc, 0, v[0:1]
	v_not_b32_e32 v0, v1
	v_ashrrev_i32_e32 v0, 31, v0
	v_xor_b32_e32 v1, vcc_hi, v0
	v_xor_b32_e32 v0, vcc_lo, v0
	; wave barrier
	ds_read_b32 v85, v86 offset:8
	v_and_b32_e32 v41, v41, v69
	v_and_b32_e32 v0, v39, v0
	;; [unrolled: 1-line block ×3, first 2 shown]
	v_mbcnt_lo_u32_b32 v38, v0, 0
	v_mbcnt_hi_u32_b32 v87, v1, v38
	v_cmp_eq_u32_e32 vcc, 0, v87
	v_cmp_ne_u64_e64 s[16:17], 0, v[0:1]
	s_and_b64 s[20:21], s[16:17], vcc
	; wave barrier
	s_and_saveexec_b64 s[16:17], s[20:21]
	s_cbranch_execz .LBB227_34
; %bb.33:
	v_bcnt_u32_b32 v0, v0, 0
	v_bcnt_u32_b32 v0, v1, v0
	s_waitcnt lgkmcnt(0)
	v_add_u32_e32 v0, v85, v0
	ds_write_b32 v86, v0 offset:8
.LBB227_34:
	s_or_b64 exec, exec, s[16:17]
	v_mov_b32_e32 v41, 0xffff8000
	v_cmp_ne_u16_e32 vcc, s19, v77
	v_cndmask_b32_e32 v0, v41, v77, vcc
	v_and_b32_sdwa v38, s18, v0 dst_sel:DWORD dst_unused:UNUSED_PAD src0_sel:DWORD src1_sel:WORD_0
	v_and_b32_e32 v1, 1, v38
	v_add_co_u32_e32 v39, vcc, -1, v1
	v_addc_co_u32_e64 v69, s[16:17], 0, -1, vcc
	v_cmp_ne_u32_e32 vcc, 0, v1
	v_lshlrev_b32_e32 v0, 1, v38
	v_xor_b32_e32 v1, vcc_hi, v69
	v_add_lshl_u32 v89, v68, v0, 2
	v_mov_b32_e32 v0, 0
	v_and_b32_e32 v69, exec_hi, v1
	v_lshlrev_b32_e32 v1, 30, v38
	v_xor_b32_e32 v39, vcc_lo, v39
	v_cmp_gt_i64_e32 vcc, 0, v[0:1]
	v_not_b32_e32 v1, v1
	v_ashrrev_i32_e32 v1, 31, v1
	v_and_b32_e32 v39, exec_lo, v39
	v_xor_b32_e32 v70, vcc_hi, v1
	v_xor_b32_e32 v1, vcc_lo, v1
	v_and_b32_e32 v39, v39, v1
	v_lshlrev_b32_e32 v1, 29, v38
	v_cmp_gt_i64_e32 vcc, 0, v[0:1]
	v_not_b32_e32 v1, v1
	v_ashrrev_i32_e32 v1, 31, v1
	v_and_b32_e32 v69, v69, v70
	v_xor_b32_e32 v70, vcc_hi, v1
	v_xor_b32_e32 v1, vcc_lo, v1
	v_and_b32_e32 v39, v39, v1
	v_lshlrev_b32_e32 v1, 28, v38
	v_cmp_gt_i64_e32 vcc, 0, v[0:1]
	v_not_b32_e32 v1, v1
	v_ashrrev_i32_e32 v1, 31, v1
	v_and_b32_e32 v69, v69, v70
	;; [unrolled: 8-line block ×5, first 2 shown]
	v_xor_b32_e32 v70, vcc_hi, v1
	v_xor_b32_e32 v1, vcc_lo, v1
	v_and_b32_e32 v69, v69, v70
	v_and_b32_e32 v70, v39, v1
	v_lshlrev_b32_e32 v1, 24, v38
	v_cmp_gt_i64_e32 vcc, 0, v[0:1]
	v_not_b32_e32 v1, v1
	v_ashrrev_i32_e32 v1, 31, v1
	v_xor_b32_e32 v38, vcc_hi, v1
	v_xor_b32_e32 v1, vcc_lo, v1
	; wave barrier
	ds_read_b32 v88, v89 offset:8
	v_and_b32_e32 v39, v69, v38
	v_and_b32_e32 v38, v70, v1
	v_mbcnt_lo_u32_b32 v1, v38, 0
	v_mbcnt_hi_u32_b32 v90, v39, v1
	v_cmp_eq_u32_e32 vcc, 0, v90
	v_cmp_ne_u64_e64 s[16:17], 0, v[38:39]
	s_and_b64 s[20:21], s[16:17], vcc
	; wave barrier
	s_and_saveexec_b64 s[16:17], s[20:21]
	s_cbranch_execz .LBB227_36
; %bb.35:
	v_bcnt_u32_b32 v1, v38, 0
	v_bcnt_u32_b32 v1, v39, v1
	s_waitcnt lgkmcnt(0)
	v_add_u32_e32 v1, v88, v1
	ds_write_b32 v89, v1 offset:8
.LBB227_36:
	s_or_b64 exec, exec, s[16:17]
	v_cmp_ne_u16_e32 vcc, s19, v75
	v_cndmask_b32_e32 v1, v41, v75, vcc
	v_and_b32_sdwa v38, s18, v1 dst_sel:DWORD dst_unused:UNUSED_PAD src0_sel:DWORD src1_sel:WORD_0
	v_lshlrev_b32_e32 v1, 1, v38
	v_add_lshl_u32 v92, v68, v1, 2
	v_and_b32_e32 v1, 1, v38
	v_add_co_u32_e32 v39, vcc, -1, v1
	v_addc_co_u32_e64 v41, s[16:17], 0, -1, vcc
	v_cmp_ne_u32_e32 vcc, 0, v1
	v_xor_b32_e32 v1, vcc_hi, v41
	v_and_b32_e32 v41, exec_hi, v1
	v_lshlrev_b32_e32 v1, 30, v38
	v_xor_b32_e32 v39, vcc_lo, v39
	v_cmp_gt_i64_e32 vcc, 0, v[0:1]
	v_not_b32_e32 v1, v1
	v_ashrrev_i32_e32 v1, 31, v1
	v_and_b32_e32 v39, exec_lo, v39
	v_xor_b32_e32 v69, vcc_hi, v1
	v_xor_b32_e32 v1, vcc_lo, v1
	v_and_b32_e32 v39, v39, v1
	v_lshlrev_b32_e32 v1, 29, v38
	v_cmp_gt_i64_e32 vcc, 0, v[0:1]
	v_not_b32_e32 v1, v1
	v_ashrrev_i32_e32 v1, 31, v1
	v_and_b32_e32 v41, v41, v69
	v_xor_b32_e32 v69, vcc_hi, v1
	v_xor_b32_e32 v1, vcc_lo, v1
	v_and_b32_e32 v39, v39, v1
	v_lshlrev_b32_e32 v1, 28, v38
	v_cmp_gt_i64_e32 vcc, 0, v[0:1]
	v_not_b32_e32 v1, v1
	v_ashrrev_i32_e32 v1, 31, v1
	v_and_b32_e32 v41, v41, v69
	v_xor_b32_e32 v69, vcc_hi, v1
	v_xor_b32_e32 v1, vcc_lo, v1
	v_and_b32_e32 v39, v39, v1
	v_lshlrev_b32_e32 v1, 27, v38
	v_cmp_gt_i64_e32 vcc, 0, v[0:1]
	v_not_b32_e32 v1, v1
	v_ashrrev_i32_e32 v1, 31, v1
	v_and_b32_e32 v41, v41, v69
	v_xor_b32_e32 v69, vcc_hi, v1
	v_xor_b32_e32 v1, vcc_lo, v1
	v_and_b32_e32 v39, v39, v1
	v_lshlrev_b32_e32 v1, 26, v38
	v_cmp_gt_i64_e32 vcc, 0, v[0:1]
	v_not_b32_e32 v1, v1
	v_ashrrev_i32_e32 v1, 31, v1
	v_and_b32_e32 v41, v41, v69
	v_xor_b32_e32 v69, vcc_hi, v1
	v_xor_b32_e32 v1, vcc_lo, v1
	v_and_b32_e32 v39, v39, v1
	v_lshlrev_b32_e32 v1, 25, v38
	v_cmp_gt_i64_e32 vcc, 0, v[0:1]
	v_not_b32_e32 v1, v1
	v_ashrrev_i32_e32 v1, 31, v1
	v_and_b32_e32 v41, v41, v69
	v_xor_b32_e32 v69, vcc_hi, v1
	v_xor_b32_e32 v1, vcc_lo, v1
	v_and_b32_e32 v39, v39, v1
	v_lshlrev_b32_e32 v1, 24, v38
	v_cmp_gt_i64_e32 vcc, 0, v[0:1]
	v_not_b32_e32 v0, v1
	v_ashrrev_i32_e32 v0, 31, v0
	v_xor_b32_e32 v1, vcc_hi, v0
	v_xor_b32_e32 v0, vcc_lo, v0
	; wave barrier
	ds_read_b32 v91, v92 offset:8
	v_and_b32_e32 v41, v41, v69
	v_and_b32_e32 v0, v39, v0
	;; [unrolled: 1-line block ×3, first 2 shown]
	v_mbcnt_lo_u32_b32 v38, v0, 0
	v_mbcnt_hi_u32_b32 v93, v1, v38
	v_cmp_eq_u32_e32 vcc, 0, v93
	v_cmp_ne_u64_e64 s[16:17], 0, v[0:1]
	s_and_b64 s[20:21], s[16:17], vcc
	; wave barrier
	s_and_saveexec_b64 s[16:17], s[20:21]
	s_cbranch_execz .LBB227_38
; %bb.37:
	v_bcnt_u32_b32 v0, v0, 0
	v_bcnt_u32_b32 v0, v1, v0
	s_waitcnt lgkmcnt(0)
	v_add_u32_e32 v0, v91, v0
	ds_write_b32 v92, v0 offset:8
.LBB227_38:
	s_or_b64 exec, exec, s[16:17]
	v_mov_b32_e32 v41, 0xffff8000
	v_cmp_ne_u16_e32 vcc, s19, v74
	v_cndmask_b32_e32 v0, v41, v74, vcc
	v_and_b32_sdwa v38, s18, v0 dst_sel:DWORD dst_unused:UNUSED_PAD src0_sel:DWORD src1_sel:WORD_0
	v_and_b32_e32 v1, 1, v38
	v_add_co_u32_e32 v39, vcc, -1, v1
	v_addc_co_u32_e64 v69, s[16:17], 0, -1, vcc
	v_cmp_ne_u32_e32 vcc, 0, v1
	v_lshlrev_b32_e32 v0, 1, v38
	v_xor_b32_e32 v1, vcc_hi, v69
	v_add_lshl_u32 v95, v68, v0, 2
	v_mov_b32_e32 v0, 0
	v_and_b32_e32 v69, exec_hi, v1
	v_lshlrev_b32_e32 v1, 30, v38
	v_xor_b32_e32 v39, vcc_lo, v39
	v_cmp_gt_i64_e32 vcc, 0, v[0:1]
	v_not_b32_e32 v1, v1
	v_ashrrev_i32_e32 v1, 31, v1
	v_and_b32_e32 v39, exec_lo, v39
	v_xor_b32_e32 v70, vcc_hi, v1
	v_xor_b32_e32 v1, vcc_lo, v1
	v_and_b32_e32 v39, v39, v1
	v_lshlrev_b32_e32 v1, 29, v38
	v_cmp_gt_i64_e32 vcc, 0, v[0:1]
	v_not_b32_e32 v1, v1
	v_ashrrev_i32_e32 v1, 31, v1
	v_and_b32_e32 v69, v69, v70
	v_xor_b32_e32 v70, vcc_hi, v1
	v_xor_b32_e32 v1, vcc_lo, v1
	v_and_b32_e32 v39, v39, v1
	v_lshlrev_b32_e32 v1, 28, v38
	v_cmp_gt_i64_e32 vcc, 0, v[0:1]
	v_not_b32_e32 v1, v1
	v_ashrrev_i32_e32 v1, 31, v1
	v_and_b32_e32 v69, v69, v70
	;; [unrolled: 8-line block ×5, first 2 shown]
	v_xor_b32_e32 v70, vcc_hi, v1
	v_xor_b32_e32 v1, vcc_lo, v1
	v_and_b32_e32 v69, v69, v70
	v_and_b32_e32 v70, v39, v1
	v_lshlrev_b32_e32 v1, 24, v38
	v_cmp_gt_i64_e32 vcc, 0, v[0:1]
	v_not_b32_e32 v1, v1
	v_ashrrev_i32_e32 v1, 31, v1
	v_xor_b32_e32 v38, vcc_hi, v1
	v_xor_b32_e32 v1, vcc_lo, v1
	; wave barrier
	ds_read_b32 v94, v95 offset:8
	v_and_b32_e32 v39, v69, v38
	v_and_b32_e32 v38, v70, v1
	v_mbcnt_lo_u32_b32 v1, v38, 0
	v_mbcnt_hi_u32_b32 v96, v39, v1
	v_cmp_eq_u32_e32 vcc, 0, v96
	v_cmp_ne_u64_e64 s[16:17], 0, v[38:39]
	s_and_b64 s[20:21], s[16:17], vcc
	; wave barrier
	s_and_saveexec_b64 s[16:17], s[20:21]
	s_cbranch_execz .LBB227_40
; %bb.39:
	v_bcnt_u32_b32 v1, v38, 0
	v_bcnt_u32_b32 v1, v39, v1
	s_waitcnt lgkmcnt(0)
	v_add_u32_e32 v1, v94, v1
	ds_write_b32 v95, v1 offset:8
.LBB227_40:
	s_or_b64 exec, exec, s[16:17]
	v_cmp_ne_u16_e32 vcc, s19, v73
	v_cndmask_b32_e32 v1, v41, v73, vcc
	v_and_b32_sdwa v38, s18, v1 dst_sel:DWORD dst_unused:UNUSED_PAD src0_sel:DWORD src1_sel:WORD_0
	v_lshlrev_b32_e32 v1, 1, v38
	v_add_lshl_u32 v98, v68, v1, 2
	v_and_b32_e32 v1, 1, v38
	v_add_co_u32_e32 v39, vcc, -1, v1
	v_addc_co_u32_e64 v41, s[16:17], 0, -1, vcc
	v_cmp_ne_u32_e32 vcc, 0, v1
	v_xor_b32_e32 v1, vcc_hi, v41
	v_and_b32_e32 v41, exec_hi, v1
	v_lshlrev_b32_e32 v1, 30, v38
	v_xor_b32_e32 v39, vcc_lo, v39
	v_cmp_gt_i64_e32 vcc, 0, v[0:1]
	v_not_b32_e32 v1, v1
	v_ashrrev_i32_e32 v1, 31, v1
	v_and_b32_e32 v39, exec_lo, v39
	v_xor_b32_e32 v69, vcc_hi, v1
	v_xor_b32_e32 v1, vcc_lo, v1
	v_and_b32_e32 v39, v39, v1
	v_lshlrev_b32_e32 v1, 29, v38
	v_cmp_gt_i64_e32 vcc, 0, v[0:1]
	v_not_b32_e32 v1, v1
	v_ashrrev_i32_e32 v1, 31, v1
	v_and_b32_e32 v41, v41, v69
	v_xor_b32_e32 v69, vcc_hi, v1
	v_xor_b32_e32 v1, vcc_lo, v1
	v_and_b32_e32 v39, v39, v1
	v_lshlrev_b32_e32 v1, 28, v38
	v_cmp_gt_i64_e32 vcc, 0, v[0:1]
	v_not_b32_e32 v1, v1
	v_ashrrev_i32_e32 v1, 31, v1
	v_and_b32_e32 v41, v41, v69
	;; [unrolled: 8-line block ×5, first 2 shown]
	v_xor_b32_e32 v69, vcc_hi, v1
	v_xor_b32_e32 v1, vcc_lo, v1
	v_and_b32_e32 v39, v39, v1
	v_lshlrev_b32_e32 v1, 24, v38
	v_cmp_gt_i64_e32 vcc, 0, v[0:1]
	v_not_b32_e32 v0, v1
	v_ashrrev_i32_e32 v0, 31, v0
	v_xor_b32_e32 v1, vcc_hi, v0
	v_xor_b32_e32 v0, vcc_lo, v0
	; wave barrier
	ds_read_b32 v97, v98 offset:8
	v_and_b32_e32 v41, v41, v69
	v_and_b32_e32 v0, v39, v0
	;; [unrolled: 1-line block ×3, first 2 shown]
	v_mbcnt_lo_u32_b32 v38, v0, 0
	v_mbcnt_hi_u32_b32 v99, v1, v38
	v_cmp_eq_u32_e32 vcc, 0, v99
	v_cmp_ne_u64_e64 s[16:17], 0, v[0:1]
	s_and_b64 s[20:21], s[16:17], vcc
	; wave barrier
	s_and_saveexec_b64 s[16:17], s[20:21]
	s_cbranch_execz .LBB227_42
; %bb.41:
	v_bcnt_u32_b32 v0, v0, 0
	v_bcnt_u32_b32 v0, v1, v0
	s_waitcnt lgkmcnt(0)
	v_add_u32_e32 v0, v97, v0
	ds_write_b32 v98, v0 offset:8
.LBB227_42:
	s_or_b64 exec, exec, s[16:17]
	v_mov_b32_e32 v41, 0xffff8000
	v_cmp_ne_u16_e32 vcc, s19, v72
	v_cndmask_b32_e32 v0, v41, v72, vcc
	v_and_b32_sdwa v38, s18, v0 dst_sel:DWORD dst_unused:UNUSED_PAD src0_sel:DWORD src1_sel:WORD_0
	v_and_b32_e32 v1, 1, v38
	v_add_co_u32_e32 v39, vcc, -1, v1
	v_addc_co_u32_e64 v69, s[16:17], 0, -1, vcc
	v_cmp_ne_u32_e32 vcc, 0, v1
	v_lshlrev_b32_e32 v0, 1, v38
	v_xor_b32_e32 v1, vcc_hi, v69
	v_add_lshl_u32 v101, v68, v0, 2
	v_mov_b32_e32 v0, 0
	v_and_b32_e32 v69, exec_hi, v1
	v_lshlrev_b32_e32 v1, 30, v38
	v_xor_b32_e32 v39, vcc_lo, v39
	v_cmp_gt_i64_e32 vcc, 0, v[0:1]
	v_not_b32_e32 v1, v1
	v_ashrrev_i32_e32 v1, 31, v1
	v_and_b32_e32 v39, exec_lo, v39
	v_xor_b32_e32 v70, vcc_hi, v1
	v_xor_b32_e32 v1, vcc_lo, v1
	v_and_b32_e32 v39, v39, v1
	v_lshlrev_b32_e32 v1, 29, v38
	v_cmp_gt_i64_e32 vcc, 0, v[0:1]
	v_not_b32_e32 v1, v1
	v_ashrrev_i32_e32 v1, 31, v1
	v_and_b32_e32 v69, v69, v70
	v_xor_b32_e32 v70, vcc_hi, v1
	v_xor_b32_e32 v1, vcc_lo, v1
	v_and_b32_e32 v39, v39, v1
	v_lshlrev_b32_e32 v1, 28, v38
	v_cmp_gt_i64_e32 vcc, 0, v[0:1]
	v_not_b32_e32 v1, v1
	v_ashrrev_i32_e32 v1, 31, v1
	v_and_b32_e32 v69, v69, v70
	;; [unrolled: 8-line block ×5, first 2 shown]
	v_xor_b32_e32 v70, vcc_hi, v1
	v_xor_b32_e32 v1, vcc_lo, v1
	v_and_b32_e32 v69, v69, v70
	v_and_b32_e32 v70, v39, v1
	v_lshlrev_b32_e32 v1, 24, v38
	v_cmp_gt_i64_e32 vcc, 0, v[0:1]
	v_not_b32_e32 v1, v1
	v_ashrrev_i32_e32 v1, 31, v1
	v_xor_b32_e32 v38, vcc_hi, v1
	v_xor_b32_e32 v1, vcc_lo, v1
	; wave barrier
	ds_read_b32 v100, v101 offset:8
	v_and_b32_e32 v39, v69, v38
	v_and_b32_e32 v38, v70, v1
	v_mbcnt_lo_u32_b32 v1, v38, 0
	v_mbcnt_hi_u32_b32 v102, v39, v1
	v_cmp_eq_u32_e32 vcc, 0, v102
	v_cmp_ne_u64_e64 s[16:17], 0, v[38:39]
	s_and_b64 s[20:21], s[16:17], vcc
	; wave barrier
	s_and_saveexec_b64 s[16:17], s[20:21]
	s_cbranch_execz .LBB227_44
; %bb.43:
	v_bcnt_u32_b32 v1, v38, 0
	v_bcnt_u32_b32 v1, v39, v1
	s_waitcnt lgkmcnt(0)
	v_add_u32_e32 v1, v100, v1
	ds_write_b32 v101, v1 offset:8
.LBB227_44:
	s_or_b64 exec, exec, s[16:17]
	v_cmp_ne_u16_e32 vcc, s19, v71
	v_cndmask_b32_e32 v1, v41, v71, vcc
	v_and_b32_sdwa v38, s18, v1 dst_sel:DWORD dst_unused:UNUSED_PAD src0_sel:DWORD src1_sel:WORD_0
	v_lshlrev_b32_e32 v1, 1, v38
	v_add_lshl_u32 v104, v68, v1, 2
	v_and_b32_e32 v1, 1, v38
	v_add_co_u32_e32 v39, vcc, -1, v1
	v_min_u32_e32 v80, 64, v40
	v_addc_co_u32_e64 v40, s[16:17], 0, -1, vcc
	v_cmp_ne_u32_e32 vcc, 0, v1
	v_xor_b32_e32 v1, vcc_hi, v40
	v_and_b32_e32 v40, exec_hi, v1
	v_lshlrev_b32_e32 v1, 30, v38
	v_xor_b32_e32 v39, vcc_lo, v39
	v_cmp_gt_i64_e32 vcc, 0, v[0:1]
	v_not_b32_e32 v1, v1
	v_ashrrev_i32_e32 v1, 31, v1
	v_and_b32_e32 v39, exec_lo, v39
	v_xor_b32_e32 v41, vcc_hi, v1
	v_xor_b32_e32 v1, vcc_lo, v1
	v_and_b32_e32 v39, v39, v1
	v_lshlrev_b32_e32 v1, 29, v38
	v_cmp_gt_i64_e32 vcc, 0, v[0:1]
	v_not_b32_e32 v1, v1
	v_ashrrev_i32_e32 v1, 31, v1
	v_and_b32_e32 v40, v40, v41
	v_xor_b32_e32 v41, vcc_hi, v1
	v_xor_b32_e32 v1, vcc_lo, v1
	v_and_b32_e32 v39, v39, v1
	v_lshlrev_b32_e32 v1, 28, v38
	v_cmp_gt_i64_e32 vcc, 0, v[0:1]
	v_not_b32_e32 v1, v1
	v_ashrrev_i32_e32 v1, 31, v1
	v_and_b32_e32 v40, v40, v41
	;; [unrolled: 8-line block ×5, first 2 shown]
	v_xor_b32_e32 v41, vcc_hi, v1
	v_xor_b32_e32 v1, vcc_lo, v1
	v_and_b32_e32 v39, v39, v1
	v_lshlrev_b32_e32 v1, 24, v38
	v_cmp_gt_i64_e32 vcc, 0, v[0:1]
	v_not_b32_e32 v0, v1
	v_ashrrev_i32_e32 v0, 31, v0
	v_xor_b32_e32 v1, vcc_hi, v0
	v_xor_b32_e32 v0, vcc_lo, v0
	; wave barrier
	ds_read_b32 v103, v104 offset:8
	v_and_b32_e32 v40, v40, v41
	v_and_b32_e32 v0, v39, v0
	;; [unrolled: 1-line block ×3, first 2 shown]
	v_mbcnt_lo_u32_b32 v38, v0, 0
	v_mbcnt_hi_u32_b32 v105, v1, v38
	v_cmp_eq_u32_e32 vcc, 0, v105
	v_cmp_ne_u64_e64 s[16:17], 0, v[0:1]
	v_or_b32_e32 v69, 8, v64
	v_lshrrev_b32_e32 v70, 6, v46
	s_and_b64 s[18:19], s[16:17], vcc
	; wave barrier
	s_and_saveexec_b64 s[16:17], s[18:19]
	s_cbranch_execz .LBB227_46
; %bb.45:
	v_bcnt_u32_b32 v0, v0, 0
	v_bcnt_u32_b32 v0, v1, v0
	s_waitcnt lgkmcnt(0)
	v_add_u32_e32 v0, v103, v0
	ds_write_b32 v104, v0 offset:8
.LBB227_46:
	s_or_b64 exec, exec, s[16:17]
	; wave barrier
	s_waitcnt lgkmcnt(0)
	s_barrier
	ds_read2_b32 v[38:39], v64 offset0:2 offset1:3
	ds_read2_b32 v[40:41], v69 offset0:2 offset1:3
	v_and_b32_e32 v1, 16, v76
	v_cmp_eq_u32_e32 vcc, 0, v1
	v_or_b32_e32 v1, 63, v80
	v_cmp_eq_u32_e64 s[16:17], v1, v46
	s_waitcnt lgkmcnt(1)
	v_add_u32_e32 v1, v39, v38
	v_and_b32_e32 v0, 15, v76
	s_waitcnt lgkmcnt(0)
	v_add3_u32 v1, v1, v40, v41
	v_cmp_eq_u32_e64 s[20:21], 0, v0
	v_cmp_lt_u32_e64 s[22:23], 1, v0
	v_mov_b32_dpp v41, v1 row_shr:1 row_mask:0xf bank_mask:0xf
	v_cndmask_b32_e64 v41, v41, 0, s[20:21]
	v_add_u32_e32 v1, v41, v1
	v_cmp_lt_u32_e64 s[26:27], 3, v0
	v_cmp_lt_u32_e64 s[28:29], 7, v0
	v_mov_b32_dpp v41, v1 row_shr:2 row_mask:0xf bank_mask:0xf
	v_cndmask_b32_e64 v41, 0, v41, s[22:23]
	v_add_u32_e32 v1, v1, v41
	v_bfe_i32 v81, v76, 4, 1
	v_cmp_lt_u32_e64 s[34:35], 31, v76
	v_mov_b32_dpp v41, v1 row_shr:4 row_mask:0xf bank_mask:0xf
	v_cndmask_b32_e64 v41, 0, v41, s[26:27]
	v_add_u32_e32 v1, v1, v41
	v_lshlrev_b32_e32 v70, 2, v70
	s_nop 0
	v_mov_b32_dpp v41, v1 row_shr:8 row_mask:0xf bank_mask:0xf
	v_cndmask_b32_e64 v0, 0, v41, s[28:29]
	v_add_u32_e32 v0, v1, v0
	s_nop 1
	v_mov_b32_dpp v1, v0 row_bcast:15 row_mask:0xf bank_mask:0xf
	v_and_b32_e32 v1, v81, v1
	v_add_u32_e32 v0, v0, v1
	s_nop 1
	v_mov_b32_dpp v1, v0 row_bcast:31 row_mask:0xf bank_mask:0xf
	v_cndmask_b32_e64 v1, 0, v1, s[34:35]
	v_add_u32_e32 v1, v0, v1
	s_and_saveexec_b64 s[18:19], s[16:17]
	s_cbranch_execz .LBB227_48
; %bb.47:
	ds_write_b32 v70, v1
.LBB227_48:
	s_or_b64 exec, exec, s[18:19]
	v_and_b32_e32 v0, 1, v76
	v_cmp_gt_u32_e64 s[24:25], 2, v46
	v_lshlrev_b32_e32 v41, 2, v46
	v_cmp_eq_u32_e64 s[18:19], 0, v0
	s_waitcnt lgkmcnt(0)
	s_barrier
	s_and_saveexec_b64 s[30:31], s[24:25]
	s_cbranch_execz .LBB227_50
; %bb.49:
	ds_read_b32 v0, v41
	s_waitcnt lgkmcnt(0)
	s_nop 0
	v_mov_b32_dpp v80, v0 row_shr:1 row_mask:0xf bank_mask:0xf
	v_cndmask_b32_e64 v80, v80, 0, s[18:19]
	v_add_u32_e32 v0, v80, v0
	ds_write_b32 v41, v0
.LBB227_50:
	s_or_b64 exec, exec, s[30:31]
	v_cmp_lt_u32_e64 s[30:31], 63, v46
	v_add_u32_e32 v80, -4, v70
	v_mov_b32_e32 v0, 0
	v_mov_b32_e32 v106, 0
	s_waitcnt lgkmcnt(0)
	s_barrier
	s_and_saveexec_b64 s[36:37], s[30:31]
	s_cbranch_execz .LBB227_52
; %bb.51:
	ds_read_b32 v106, v80
.LBB227_52:
	s_or_b64 exec, exec, s[36:37]
	v_add_u32_e32 v81, -1, v76
	v_and_b32_e32 v107, 64, v76
	v_cmp_lt_i32_e64 s[36:37], v81, v107
	v_cndmask_b32_e64 v81, v81, v76, s[36:37]
	v_lshlrev_b32_e32 v81, 2, v81
	s_waitcnt lgkmcnt(0)
	v_add_u32_e32 v1, v106, v1
	ds_bpermute_b32 v1, v81, v1
	v_cmp_eq_u32_e64 s[36:37], 0, v76
	v_cmp_eq_u32_e64 s[38:39], 0, v46
	v_and_or_b32 v82, v76, 63, v82
	v_lshlrev_b32_e32 v107, 1, v82
	s_waitcnt lgkmcnt(0)
	v_cndmask_b32_e64 v1, v1, v106, s[36:37]
	v_cndmask_b32_e64 v1, v1, 0, s[38:39]
	v_add_u32_e32 v38, v1, v38
	v_add_u32_e32 v39, v38, v39
	;; [unrolled: 1-line block ×3, first 2 shown]
	ds_write2_b32 v64, v1, v38 offset0:2 offset1:3
	ds_write2_b32 v69, v39, v40 offset0:2 offset1:3
	s_waitcnt lgkmcnt(0)
	s_barrier
	ds_read_b32 v1, v83 offset:8
	ds_read_b32 v38, v86 offset:8
	;; [unrolled: 1-line block ×8, first 2 shown]
	s_waitcnt lgkmcnt(7)
	v_add_u32_e32 v1, v1, v84
	s_waitcnt lgkmcnt(6)
	v_add3_u32 v38, v87, v85, v38
	s_waitcnt lgkmcnt(4)
	v_add3_u32 v84, v93, v91, v40
	v_lshlrev_b32_e32 v40, 1, v1
	v_add3_u32 v39, v90, v88, v39
	s_waitcnt lgkmcnt(0)
	s_barrier
	ds_write_b16 v40, v79
	v_lshlrev_b32_e32 v40, 1, v38
	ds_write_b16 v40, v78
	v_lshlrev_b32_e32 v40, 1, v39
	v_add3_u32 v85, v96, v94, v76
	ds_write_b16 v40, v77
	v_lshlrev_b32_e32 v40, 1, v84
	v_add3_u32 v83, v99, v97, v83
	;; [unrolled: 3-line block ×4, first 2 shown]
	ds_write_b16 v40, v73
	v_lshlrev_b32_e32 v40, 1, v86
	ds_write_b16 v40, v72
	v_lshlrev_b32_e32 v40, 1, v87
	v_lshlrev_b32_e32 v1, 3, v1
	ds_write_b16 v40, v71
	s_waitcnt lgkmcnt(0)
	s_barrier
	ds_read_u16 v77, v107
	ds_read_u16 v76, v107 offset:128
	ds_read_u16 v75, v107 offset:256
	;; [unrolled: 1-line block ×7, first 2 shown]
	s_waitcnt lgkmcnt(0)
	s_barrier
	ds_write_b64 v1, v[34:35]
	v_lshlrev_b32_e32 v1, 3, v38
	ds_write_b64 v1, v[36:37]
	v_lshlrev_b32_e32 v1, 3, v39
	;; [unrolled: 2-line block ×6, first 2 shown]
	s_min_u32 s40, s40, 8
	ds_write_b64 v1, v[22:23]
	v_lshlrev_b32_e32 v1, 3, v87
	s_lshl_b32 s40, -1, s40
	s_movk_i32 s52, 0x7fff
	ds_write_b64 v1, v[24:25]
	s_not_b32 s49, s40
	v_lshrrev_b16_e32 v1, 8, v77
	v_mov_b32_e32 v38, 0x80
	v_cmp_ne_u16_e64 s[40:41], s52, v77
	v_cndmask_b32_e64 v1, v38, v1, s[40:41]
	v_and_b32_sdwa v39, v1, s49 dst_sel:DWORD dst_unused:UNUSED_PAD src0_sel:WORD_0 src1_sel:DWORD
	v_lshlrev_b32_e32 v1, 1, v39
	v_add_lshl_u32 v78, v1, v68, 2
	v_and_b32_e32 v1, 1, v39
	v_lshlrev_b32_e32 v82, 3, v82
	v_add_co_u32_e64 v79, s[40:41], -1, v1
	s_waitcnt lgkmcnt(0)
	s_barrier
	ds_read2st64_b64 v[34:37], v82 offset1:1
	ds_read2st64_b64 v[30:33], v82 offset0:2 offset1:3
	ds_read2st64_b64 v[26:29], v82 offset0:4 offset1:5
	;; [unrolled: 1-line block ×3, first 2 shown]
	v_addc_co_u32_e64 v82, s[40:41], 0, -1, s[40:41]
	v_cmp_ne_u32_e64 s[40:41], 0, v1
	v_xor_b32_e32 v1, s41, v82
	v_and_b32_e32 v82, exec_hi, v1
	v_lshlrev_b32_e32 v1, 30, v39
	v_xor_b32_e32 v79, s40, v79
	v_cmp_gt_i64_e64 s[40:41], 0, v[0:1]
	v_not_b32_e32 v1, v1
	v_ashrrev_i32_e32 v1, 31, v1
	v_and_b32_e32 v79, exec_lo, v79
	v_xor_b32_e32 v83, s41, v1
	v_xor_b32_e32 v1, s40, v1
	v_and_b32_e32 v79, v79, v1
	v_lshlrev_b32_e32 v1, 29, v39
	v_cmp_gt_i64_e64 s[40:41], 0, v[0:1]
	v_not_b32_e32 v1, v1
	v_ashrrev_i32_e32 v1, 31, v1
	v_and_b32_e32 v82, v82, v83
	v_xor_b32_e32 v83, s41, v1
	v_xor_b32_e32 v1, s40, v1
	v_and_b32_e32 v79, v79, v1
	v_lshlrev_b32_e32 v1, 28, v39
	v_cmp_gt_i64_e64 s[40:41], 0, v[0:1]
	v_not_b32_e32 v1, v1
	v_ashrrev_i32_e32 v1, 31, v1
	v_and_b32_e32 v82, v82, v83
	;; [unrolled: 8-line block ×5, first 2 shown]
	v_xor_b32_e32 v83, s41, v1
	v_xor_b32_e32 v1, s40, v1
	v_and_b32_e32 v79, v79, v1
	v_lshlrev_b32_e32 v1, 24, v39
	s_waitcnt lgkmcnt(0)
	s_barrier
	ds_write2_b32 v64, v0, v0 offset0:2 offset1:3
	ds_write2_b32 v69, v0, v0 offset0:2 offset1:3
	v_cmp_gt_i64_e64 s[40:41], 0, v[0:1]
	v_not_b32_e32 v0, v1
	v_ashrrev_i32_e32 v0, 31, v0
	v_xor_b32_e32 v1, s41, v0
	v_xor_b32_e32 v0, s40, v0
	v_and_b32_e32 v82, v82, v83
	v_and_b32_e32 v0, v79, v0
	;; [unrolled: 1-line block ×3, first 2 shown]
	v_mbcnt_lo_u32_b32 v39, v0, 0
	v_mbcnt_hi_u32_b32 v79, v1, v39
	v_cmp_eq_u32_e64 s[40:41], 0, v79
	v_cmp_ne_u64_e64 s[42:43], 0, v[0:1]
	s_and_b64 s[42:43], s[42:43], s[40:41]
	s_waitcnt lgkmcnt(0)
	s_barrier
	s_waitcnt lgkmcnt(0)
	; wave barrier
	s_and_saveexec_b64 s[40:41], s[42:43]
	s_cbranch_execz .LBB227_54
; %bb.53:
	v_bcnt_u32_b32 v0, v0, 0
	v_bcnt_u32_b32 v0, v1, v0
	ds_write_b32 v78, v0 offset:8
.LBB227_54:
	s_or_b64 exec, exec, s[40:41]
	v_lshrrev_b16_e32 v0, 8, v76
	v_cmp_ne_u16_e64 s[40:41], s52, v76
	v_cndmask_b32_e64 v0, v38, v0, s[40:41]
	v_and_b32_e32 v38, s49, v0
	v_and_b32_e32 v1, 1, v38
	v_add_co_u32_e64 v39, s[40:41], -1, v1
	v_addc_co_u32_e64 v84, s[40:41], 0, -1, s[40:41]
	v_cmp_ne_u32_e64 s[40:41], 0, v1
	v_lshlrev_b32_e32 v0, 1, v38
	v_xor_b32_e32 v1, s41, v84
	v_add_lshl_u32 v83, v0, v68, 2
	v_mov_b32_e32 v0, 0
	v_and_b32_e32 v84, exec_hi, v1
	v_lshlrev_b32_e32 v1, 30, v38
	v_xor_b32_e32 v39, s40, v39
	v_cmp_gt_i64_e64 s[40:41], 0, v[0:1]
	v_not_b32_e32 v1, v1
	v_ashrrev_i32_e32 v1, 31, v1
	v_and_b32_e32 v39, exec_lo, v39
	v_xor_b32_e32 v85, s41, v1
	v_xor_b32_e32 v1, s40, v1
	v_and_b32_e32 v39, v39, v1
	v_lshlrev_b32_e32 v1, 29, v38
	v_cmp_gt_i64_e64 s[40:41], 0, v[0:1]
	v_not_b32_e32 v1, v1
	v_ashrrev_i32_e32 v1, 31, v1
	v_and_b32_e32 v84, v84, v85
	v_xor_b32_e32 v85, s41, v1
	v_xor_b32_e32 v1, s40, v1
	v_and_b32_e32 v39, v39, v1
	v_lshlrev_b32_e32 v1, 28, v38
	v_cmp_gt_i64_e64 s[40:41], 0, v[0:1]
	v_not_b32_e32 v1, v1
	v_ashrrev_i32_e32 v1, 31, v1
	v_and_b32_e32 v84, v84, v85
	v_xor_b32_e32 v85, s41, v1
	v_xor_b32_e32 v1, s40, v1
	v_and_b32_e32 v39, v39, v1
	v_lshlrev_b32_e32 v1, 27, v38
	v_cmp_gt_i64_e64 s[40:41], 0, v[0:1]
	v_not_b32_e32 v1, v1
	v_ashrrev_i32_e32 v1, 31, v1
	v_and_b32_e32 v84, v84, v85
	v_xor_b32_e32 v85, s41, v1
	v_xor_b32_e32 v1, s40, v1
	v_and_b32_e32 v39, v39, v1
	v_lshlrev_b32_e32 v1, 26, v38
	v_cmp_gt_i64_e64 s[40:41], 0, v[0:1]
	v_not_b32_e32 v1, v1
	v_ashrrev_i32_e32 v1, 31, v1
	v_and_b32_e32 v84, v84, v85
	v_xor_b32_e32 v85, s41, v1
	v_xor_b32_e32 v1, s40, v1
	v_and_b32_e32 v39, v39, v1
	v_lshlrev_b32_e32 v1, 25, v38
	v_cmp_gt_i64_e64 s[40:41], 0, v[0:1]
	v_not_b32_e32 v1, v1
	v_ashrrev_i32_e32 v1, 31, v1
	v_and_b32_e32 v84, v84, v85
	v_xor_b32_e32 v85, s41, v1
	v_xor_b32_e32 v1, s40, v1
	v_and_b32_e32 v84, v84, v85
	v_and_b32_e32 v85, v39, v1
	v_lshlrev_b32_e32 v1, 24, v38
	v_cmp_gt_i64_e64 s[40:41], 0, v[0:1]
	v_not_b32_e32 v1, v1
	v_ashrrev_i32_e32 v1, 31, v1
	v_xor_b32_e32 v38, s41, v1
	v_xor_b32_e32 v1, s40, v1
	; wave barrier
	ds_read_b32 v82, v83 offset:8
	v_and_b32_e32 v39, v84, v38
	v_and_b32_e32 v38, v85, v1
	v_mbcnt_lo_u32_b32 v1, v38, 0
	v_mbcnt_hi_u32_b32 v84, v39, v1
	v_cmp_eq_u32_e64 s[40:41], 0, v84
	v_cmp_ne_u64_e64 s[42:43], 0, v[38:39]
	s_and_b64 s[42:43], s[42:43], s[40:41]
	; wave barrier
	s_and_saveexec_b64 s[40:41], s[42:43]
	s_cbranch_execz .LBB227_56
; %bb.55:
	v_bcnt_u32_b32 v1, v38, 0
	v_bcnt_u32_b32 v1, v39, v1
	s_waitcnt lgkmcnt(0)
	v_add_u32_e32 v1, v82, v1
	ds_write_b32 v83, v1 offset:8
.LBB227_56:
	s_or_b64 exec, exec, s[40:41]
	v_lshrrev_b16_e32 v1, 8, v75
	v_mov_b32_e32 v38, 0x80
	v_cmp_ne_u16_e64 s[40:41], s52, v75
	v_cndmask_b32_e64 v1, v38, v1, s[40:41]
	v_and_b32_e32 v39, s49, v1
	v_lshlrev_b32_e32 v1, 1, v39
	v_add_lshl_u32 v86, v1, v68, 2
	v_and_b32_e32 v1, 1, v39
	v_add_co_u32_e64 v87, s[40:41], -1, v1
	v_addc_co_u32_e64 v88, s[40:41], 0, -1, s[40:41]
	v_cmp_ne_u32_e64 s[40:41], 0, v1
	v_xor_b32_e32 v1, s41, v88
	v_and_b32_e32 v88, exec_hi, v1
	v_lshlrev_b32_e32 v1, 30, v39
	v_xor_b32_e32 v87, s40, v87
	v_cmp_gt_i64_e64 s[40:41], 0, v[0:1]
	v_not_b32_e32 v1, v1
	v_ashrrev_i32_e32 v1, 31, v1
	v_and_b32_e32 v87, exec_lo, v87
	v_xor_b32_e32 v89, s41, v1
	v_xor_b32_e32 v1, s40, v1
	v_and_b32_e32 v87, v87, v1
	v_lshlrev_b32_e32 v1, 29, v39
	v_cmp_gt_i64_e64 s[40:41], 0, v[0:1]
	v_not_b32_e32 v1, v1
	v_ashrrev_i32_e32 v1, 31, v1
	v_and_b32_e32 v88, v88, v89
	v_xor_b32_e32 v89, s41, v1
	v_xor_b32_e32 v1, s40, v1
	v_and_b32_e32 v87, v87, v1
	v_lshlrev_b32_e32 v1, 28, v39
	v_cmp_gt_i64_e64 s[40:41], 0, v[0:1]
	v_not_b32_e32 v1, v1
	v_ashrrev_i32_e32 v1, 31, v1
	v_and_b32_e32 v88, v88, v89
	;; [unrolled: 8-line block ×5, first 2 shown]
	v_xor_b32_e32 v89, s41, v1
	v_xor_b32_e32 v1, s40, v1
	v_and_b32_e32 v87, v87, v1
	v_lshlrev_b32_e32 v1, 24, v39
	v_cmp_gt_i64_e64 s[40:41], 0, v[0:1]
	v_not_b32_e32 v0, v1
	v_ashrrev_i32_e32 v0, 31, v0
	v_xor_b32_e32 v1, s41, v0
	v_xor_b32_e32 v0, s40, v0
	; wave barrier
	ds_read_b32 v85, v86 offset:8
	v_and_b32_e32 v88, v88, v89
	v_and_b32_e32 v0, v87, v0
	;; [unrolled: 1-line block ×3, first 2 shown]
	v_mbcnt_lo_u32_b32 v39, v0, 0
	v_mbcnt_hi_u32_b32 v87, v1, v39
	v_cmp_eq_u32_e64 s[40:41], 0, v87
	v_cmp_ne_u64_e64 s[42:43], 0, v[0:1]
	s_and_b64 s[42:43], s[42:43], s[40:41]
	; wave barrier
	s_and_saveexec_b64 s[40:41], s[42:43]
	s_cbranch_execz .LBB227_58
; %bb.57:
	v_bcnt_u32_b32 v0, v0, 0
	v_bcnt_u32_b32 v0, v1, v0
	s_waitcnt lgkmcnt(0)
	v_add_u32_e32 v0, v85, v0
	ds_write_b32 v86, v0 offset:8
.LBB227_58:
	s_or_b64 exec, exec, s[40:41]
	v_lshrrev_b16_e32 v0, 8, v74
	v_cmp_ne_u16_e64 s[40:41], s52, v74
	v_cndmask_b32_e64 v0, v38, v0, s[40:41]
	v_and_b32_e32 v38, s49, v0
	v_and_b32_e32 v1, 1, v38
	v_add_co_u32_e64 v39, s[40:41], -1, v1
	v_addc_co_u32_e64 v90, s[40:41], 0, -1, s[40:41]
	v_cmp_ne_u32_e64 s[40:41], 0, v1
	v_lshlrev_b32_e32 v0, 1, v38
	v_xor_b32_e32 v1, s41, v90
	v_add_lshl_u32 v89, v0, v68, 2
	v_mov_b32_e32 v0, 0
	v_and_b32_e32 v90, exec_hi, v1
	v_lshlrev_b32_e32 v1, 30, v38
	v_xor_b32_e32 v39, s40, v39
	v_cmp_gt_i64_e64 s[40:41], 0, v[0:1]
	v_not_b32_e32 v1, v1
	v_ashrrev_i32_e32 v1, 31, v1
	v_and_b32_e32 v39, exec_lo, v39
	v_xor_b32_e32 v91, s41, v1
	v_xor_b32_e32 v1, s40, v1
	v_and_b32_e32 v39, v39, v1
	v_lshlrev_b32_e32 v1, 29, v38
	v_cmp_gt_i64_e64 s[40:41], 0, v[0:1]
	v_not_b32_e32 v1, v1
	v_ashrrev_i32_e32 v1, 31, v1
	v_and_b32_e32 v90, v90, v91
	v_xor_b32_e32 v91, s41, v1
	v_xor_b32_e32 v1, s40, v1
	v_and_b32_e32 v39, v39, v1
	v_lshlrev_b32_e32 v1, 28, v38
	v_cmp_gt_i64_e64 s[40:41], 0, v[0:1]
	v_not_b32_e32 v1, v1
	v_ashrrev_i32_e32 v1, 31, v1
	v_and_b32_e32 v90, v90, v91
	;; [unrolled: 8-line block ×5, first 2 shown]
	v_xor_b32_e32 v91, s41, v1
	v_xor_b32_e32 v1, s40, v1
	v_and_b32_e32 v90, v90, v91
	v_and_b32_e32 v91, v39, v1
	v_lshlrev_b32_e32 v1, 24, v38
	v_cmp_gt_i64_e64 s[40:41], 0, v[0:1]
	v_not_b32_e32 v1, v1
	v_ashrrev_i32_e32 v1, 31, v1
	v_xor_b32_e32 v38, s41, v1
	v_xor_b32_e32 v1, s40, v1
	; wave barrier
	ds_read_b32 v88, v89 offset:8
	v_and_b32_e32 v39, v90, v38
	v_and_b32_e32 v38, v91, v1
	v_mbcnt_lo_u32_b32 v1, v38, 0
	v_mbcnt_hi_u32_b32 v90, v39, v1
	v_cmp_eq_u32_e64 s[40:41], 0, v90
	v_cmp_ne_u64_e64 s[42:43], 0, v[38:39]
	s_and_b64 s[42:43], s[42:43], s[40:41]
	; wave barrier
	s_and_saveexec_b64 s[40:41], s[42:43]
	s_cbranch_execz .LBB227_60
; %bb.59:
	v_bcnt_u32_b32 v1, v38, 0
	v_bcnt_u32_b32 v1, v39, v1
	s_waitcnt lgkmcnt(0)
	v_add_u32_e32 v1, v88, v1
	ds_write_b32 v89, v1 offset:8
.LBB227_60:
	s_or_b64 exec, exec, s[40:41]
	v_lshrrev_b16_e32 v1, 8, v73
	v_mov_b32_e32 v38, 0x80
	v_cmp_ne_u16_e64 s[40:41], s52, v73
	v_cndmask_b32_e64 v1, v38, v1, s[40:41]
	v_and_b32_e32 v39, s49, v1
	v_lshlrev_b32_e32 v1, 1, v39
	v_add_lshl_u32 v92, v1, v68, 2
	v_and_b32_e32 v1, 1, v39
	v_add_co_u32_e64 v93, s[40:41], -1, v1
	v_addc_co_u32_e64 v94, s[40:41], 0, -1, s[40:41]
	v_cmp_ne_u32_e64 s[40:41], 0, v1
	v_xor_b32_e32 v1, s41, v94
	v_and_b32_e32 v94, exec_hi, v1
	v_lshlrev_b32_e32 v1, 30, v39
	v_xor_b32_e32 v93, s40, v93
	v_cmp_gt_i64_e64 s[40:41], 0, v[0:1]
	v_not_b32_e32 v1, v1
	v_ashrrev_i32_e32 v1, 31, v1
	v_and_b32_e32 v93, exec_lo, v93
	v_xor_b32_e32 v95, s41, v1
	v_xor_b32_e32 v1, s40, v1
	v_and_b32_e32 v93, v93, v1
	v_lshlrev_b32_e32 v1, 29, v39
	v_cmp_gt_i64_e64 s[40:41], 0, v[0:1]
	v_not_b32_e32 v1, v1
	v_ashrrev_i32_e32 v1, 31, v1
	v_and_b32_e32 v94, v94, v95
	v_xor_b32_e32 v95, s41, v1
	v_xor_b32_e32 v1, s40, v1
	v_and_b32_e32 v93, v93, v1
	v_lshlrev_b32_e32 v1, 28, v39
	v_cmp_gt_i64_e64 s[40:41], 0, v[0:1]
	v_not_b32_e32 v1, v1
	v_ashrrev_i32_e32 v1, 31, v1
	v_and_b32_e32 v94, v94, v95
	;; [unrolled: 8-line block ×5, first 2 shown]
	v_xor_b32_e32 v95, s41, v1
	v_xor_b32_e32 v1, s40, v1
	v_and_b32_e32 v93, v93, v1
	v_lshlrev_b32_e32 v1, 24, v39
	v_cmp_gt_i64_e64 s[40:41], 0, v[0:1]
	v_not_b32_e32 v0, v1
	v_ashrrev_i32_e32 v0, 31, v0
	v_xor_b32_e32 v1, s41, v0
	v_xor_b32_e32 v0, s40, v0
	; wave barrier
	ds_read_b32 v91, v92 offset:8
	v_and_b32_e32 v94, v94, v95
	v_and_b32_e32 v0, v93, v0
	;; [unrolled: 1-line block ×3, first 2 shown]
	v_mbcnt_lo_u32_b32 v39, v0, 0
	v_mbcnt_hi_u32_b32 v93, v1, v39
	v_cmp_eq_u32_e64 s[40:41], 0, v93
	v_cmp_ne_u64_e64 s[42:43], 0, v[0:1]
	s_and_b64 s[42:43], s[42:43], s[40:41]
	; wave barrier
	s_and_saveexec_b64 s[40:41], s[42:43]
	s_cbranch_execz .LBB227_62
; %bb.61:
	v_bcnt_u32_b32 v0, v0, 0
	v_bcnt_u32_b32 v0, v1, v0
	s_waitcnt lgkmcnt(0)
	v_add_u32_e32 v0, v91, v0
	ds_write_b32 v92, v0 offset:8
.LBB227_62:
	s_or_b64 exec, exec, s[40:41]
	v_lshrrev_b16_e32 v0, 8, v72
	v_cmp_ne_u16_e64 s[40:41], s52, v72
	v_cndmask_b32_e64 v0, v38, v0, s[40:41]
	v_and_b32_e32 v38, s49, v0
	v_and_b32_e32 v1, 1, v38
	v_add_co_u32_e64 v39, s[40:41], -1, v1
	v_addc_co_u32_e64 v96, s[40:41], 0, -1, s[40:41]
	v_cmp_ne_u32_e64 s[40:41], 0, v1
	v_lshlrev_b32_e32 v0, 1, v38
	v_xor_b32_e32 v1, s41, v96
	v_add_lshl_u32 v95, v0, v68, 2
	v_mov_b32_e32 v0, 0
	v_and_b32_e32 v96, exec_hi, v1
	v_lshlrev_b32_e32 v1, 30, v38
	v_xor_b32_e32 v39, s40, v39
	v_cmp_gt_i64_e64 s[40:41], 0, v[0:1]
	v_not_b32_e32 v1, v1
	v_ashrrev_i32_e32 v1, 31, v1
	v_and_b32_e32 v39, exec_lo, v39
	v_xor_b32_e32 v97, s41, v1
	v_xor_b32_e32 v1, s40, v1
	v_and_b32_e32 v39, v39, v1
	v_lshlrev_b32_e32 v1, 29, v38
	v_cmp_gt_i64_e64 s[40:41], 0, v[0:1]
	v_not_b32_e32 v1, v1
	v_ashrrev_i32_e32 v1, 31, v1
	v_and_b32_e32 v96, v96, v97
	v_xor_b32_e32 v97, s41, v1
	v_xor_b32_e32 v1, s40, v1
	v_and_b32_e32 v39, v39, v1
	v_lshlrev_b32_e32 v1, 28, v38
	v_cmp_gt_i64_e64 s[40:41], 0, v[0:1]
	v_not_b32_e32 v1, v1
	v_ashrrev_i32_e32 v1, 31, v1
	v_and_b32_e32 v96, v96, v97
	;; [unrolled: 8-line block ×5, first 2 shown]
	v_xor_b32_e32 v97, s41, v1
	v_xor_b32_e32 v1, s40, v1
	v_and_b32_e32 v96, v96, v97
	v_and_b32_e32 v97, v39, v1
	v_lshlrev_b32_e32 v1, 24, v38
	v_cmp_gt_i64_e64 s[40:41], 0, v[0:1]
	v_not_b32_e32 v1, v1
	v_ashrrev_i32_e32 v1, 31, v1
	v_xor_b32_e32 v38, s41, v1
	v_xor_b32_e32 v1, s40, v1
	; wave barrier
	ds_read_b32 v94, v95 offset:8
	v_and_b32_e32 v39, v96, v38
	v_and_b32_e32 v38, v97, v1
	v_mbcnt_lo_u32_b32 v1, v38, 0
	v_mbcnt_hi_u32_b32 v96, v39, v1
	v_cmp_eq_u32_e64 s[40:41], 0, v96
	v_cmp_ne_u64_e64 s[42:43], 0, v[38:39]
	s_and_b64 s[42:43], s[42:43], s[40:41]
	; wave barrier
	s_and_saveexec_b64 s[40:41], s[42:43]
	s_cbranch_execz .LBB227_64
; %bb.63:
	v_bcnt_u32_b32 v1, v38, 0
	v_bcnt_u32_b32 v1, v39, v1
	s_waitcnt lgkmcnt(0)
	v_add_u32_e32 v1, v94, v1
	ds_write_b32 v95, v1 offset:8
.LBB227_64:
	s_or_b64 exec, exec, s[40:41]
	v_lshrrev_b16_e32 v1, 8, v71
	v_mov_b32_e32 v38, 0x80
	v_cmp_ne_u16_e64 s[40:41], s52, v71
	v_cndmask_b32_e64 v1, v38, v1, s[40:41]
	v_and_b32_e32 v39, s49, v1
	v_lshlrev_b32_e32 v1, 1, v39
	v_add_lshl_u32 v98, v1, v68, 2
	v_and_b32_e32 v1, 1, v39
	v_add_co_u32_e64 v99, s[40:41], -1, v1
	v_addc_co_u32_e64 v100, s[40:41], 0, -1, s[40:41]
	v_cmp_ne_u32_e64 s[40:41], 0, v1
	v_xor_b32_e32 v1, s41, v100
	v_and_b32_e32 v100, exec_hi, v1
	v_lshlrev_b32_e32 v1, 30, v39
	v_xor_b32_e32 v99, s40, v99
	v_cmp_gt_i64_e64 s[40:41], 0, v[0:1]
	v_not_b32_e32 v1, v1
	v_ashrrev_i32_e32 v1, 31, v1
	v_and_b32_e32 v99, exec_lo, v99
	v_xor_b32_e32 v101, s41, v1
	v_xor_b32_e32 v1, s40, v1
	v_and_b32_e32 v99, v99, v1
	v_lshlrev_b32_e32 v1, 29, v39
	v_cmp_gt_i64_e64 s[40:41], 0, v[0:1]
	v_not_b32_e32 v1, v1
	v_ashrrev_i32_e32 v1, 31, v1
	v_and_b32_e32 v100, v100, v101
	v_xor_b32_e32 v101, s41, v1
	v_xor_b32_e32 v1, s40, v1
	v_and_b32_e32 v99, v99, v1
	v_lshlrev_b32_e32 v1, 28, v39
	v_cmp_gt_i64_e64 s[40:41], 0, v[0:1]
	v_not_b32_e32 v1, v1
	v_ashrrev_i32_e32 v1, 31, v1
	v_and_b32_e32 v100, v100, v101
	;; [unrolled: 8-line block ×5, first 2 shown]
	v_xor_b32_e32 v101, s41, v1
	v_xor_b32_e32 v1, s40, v1
	v_and_b32_e32 v99, v99, v1
	v_lshlrev_b32_e32 v1, 24, v39
	v_cmp_gt_i64_e64 s[40:41], 0, v[0:1]
	v_not_b32_e32 v0, v1
	v_ashrrev_i32_e32 v0, 31, v0
	v_xor_b32_e32 v1, s41, v0
	v_xor_b32_e32 v0, s40, v0
	; wave barrier
	ds_read_b32 v97, v98 offset:8
	v_and_b32_e32 v100, v100, v101
	v_and_b32_e32 v0, v99, v0
	;; [unrolled: 1-line block ×3, first 2 shown]
	v_mbcnt_lo_u32_b32 v39, v0, 0
	v_mbcnt_hi_u32_b32 v99, v1, v39
	v_cmp_eq_u32_e64 s[40:41], 0, v99
	v_cmp_ne_u64_e64 s[42:43], 0, v[0:1]
	s_and_b64 s[42:43], s[42:43], s[40:41]
	; wave barrier
	s_and_saveexec_b64 s[40:41], s[42:43]
	s_cbranch_execz .LBB227_66
; %bb.65:
	v_bcnt_u32_b32 v0, v0, 0
	v_bcnt_u32_b32 v0, v1, v0
	s_waitcnt lgkmcnt(0)
	v_add_u32_e32 v0, v97, v0
	ds_write_b32 v98, v0 offset:8
.LBB227_66:
	s_or_b64 exec, exec, s[40:41]
	v_lshrrev_b16_e32 v0, 8, v40
	v_cmp_ne_u16_e64 s[40:41], s52, v40
	v_cndmask_b32_e64 v0, v38, v0, s[40:41]
	v_and_b32_e32 v38, s49, v0
	v_and_b32_e32 v1, 1, v38
	v_add_co_u32_e64 v39, s[40:41], -1, v1
	v_addc_co_u32_e64 v101, s[40:41], 0, -1, s[40:41]
	v_cmp_ne_u32_e64 s[40:41], 0, v1
	v_lshlrev_b32_e32 v0, 1, v38
	v_xor_b32_e32 v1, s41, v101
	v_add_lshl_u32 v100, v0, v68, 2
	v_mov_b32_e32 v0, 0
	v_and_b32_e32 v101, exec_hi, v1
	v_lshlrev_b32_e32 v1, 30, v38
	v_xor_b32_e32 v39, s40, v39
	v_cmp_gt_i64_e64 s[40:41], 0, v[0:1]
	v_not_b32_e32 v1, v1
	v_ashrrev_i32_e32 v1, 31, v1
	v_and_b32_e32 v39, exec_lo, v39
	v_xor_b32_e32 v102, s41, v1
	v_xor_b32_e32 v1, s40, v1
	v_and_b32_e32 v39, v39, v1
	v_lshlrev_b32_e32 v1, 29, v38
	v_cmp_gt_i64_e64 s[40:41], 0, v[0:1]
	v_not_b32_e32 v1, v1
	v_ashrrev_i32_e32 v1, 31, v1
	v_and_b32_e32 v101, v101, v102
	v_xor_b32_e32 v102, s41, v1
	v_xor_b32_e32 v1, s40, v1
	v_and_b32_e32 v39, v39, v1
	v_lshlrev_b32_e32 v1, 28, v38
	v_cmp_gt_i64_e64 s[40:41], 0, v[0:1]
	v_not_b32_e32 v1, v1
	v_ashrrev_i32_e32 v1, 31, v1
	v_and_b32_e32 v101, v101, v102
	;; [unrolled: 8-line block ×5, first 2 shown]
	v_xor_b32_e32 v102, s41, v1
	v_xor_b32_e32 v1, s40, v1
	v_and_b32_e32 v39, v39, v1
	v_lshlrev_b32_e32 v1, 24, v38
	v_cmp_gt_i64_e64 s[40:41], 0, v[0:1]
	v_not_b32_e32 v0, v1
	v_ashrrev_i32_e32 v0, 31, v0
	v_xor_b32_e32 v1, s41, v0
	v_xor_b32_e32 v0, s40, v0
	; wave barrier
	ds_read_b32 v68, v100 offset:8
	v_and_b32_e32 v101, v101, v102
	v_and_b32_e32 v0, v39, v0
	;; [unrolled: 1-line block ×3, first 2 shown]
	v_mbcnt_lo_u32_b32 v38, v0, 0
	v_mbcnt_hi_u32_b32 v101, v1, v38
	v_cmp_eq_u32_e64 s[40:41], 0, v101
	v_cmp_ne_u64_e64 s[42:43], 0, v[0:1]
	s_and_b64 s[42:43], s[42:43], s[40:41]
	; wave barrier
	s_and_saveexec_b64 s[40:41], s[42:43]
	s_cbranch_execz .LBB227_68
; %bb.67:
	v_bcnt_u32_b32 v0, v0, 0
	v_bcnt_u32_b32 v0, v1, v0
	s_waitcnt lgkmcnt(0)
	v_add_u32_e32 v0, v68, v0
	ds_write_b32 v100, v0 offset:8
.LBB227_68:
	s_or_b64 exec, exec, s[40:41]
	; wave barrier
	s_waitcnt lgkmcnt(0)
	s_barrier
	ds_read2_b32 v[38:39], v64 offset0:2 offset1:3
	ds_read2_b32 v[0:1], v69 offset0:2 offset1:3
	s_waitcnt lgkmcnt(1)
	v_add_u32_e32 v102, v39, v38
	s_waitcnt lgkmcnt(0)
	v_add3_u32 v1, v102, v0, v1
	s_nop 1
	v_mov_b32_dpp v102, v1 row_shr:1 row_mask:0xf bank_mask:0xf
	v_cndmask_b32_e64 v102, v102, 0, s[20:21]
	v_add_u32_e32 v1, v102, v1
	s_nop 1
	v_mov_b32_dpp v102, v1 row_shr:2 row_mask:0xf bank_mask:0xf
	v_cndmask_b32_e64 v102, 0, v102, s[22:23]
	v_add_u32_e32 v1, v1, v102
	;; [unrolled: 4-line block ×4, first 2 shown]
	s_nop 1
	v_mov_b32_dpp v102, v1 row_bcast:15 row_mask:0xf bank_mask:0xf
	v_cndmask_b32_e64 v102, v102, 0, vcc
	v_add_u32_e32 v1, v1, v102
	s_nop 1
	v_mov_b32_dpp v102, v1 row_bcast:31 row_mask:0xf bank_mask:0xf
	v_cndmask_b32_e64 v102, 0, v102, s[34:35]
	v_add_u32_e32 v102, v1, v102
	s_and_saveexec_b64 s[20:21], s[16:17]
	s_cbranch_execz .LBB227_70
; %bb.69:
	ds_write_b32 v70, v102
.LBB227_70:
	s_or_b64 exec, exec, s[20:21]
	s_waitcnt lgkmcnt(0)
	s_barrier
	s_and_saveexec_b64 s[16:17], s[24:25]
	s_cbranch_execz .LBB227_72
; %bb.71:
	ds_read_b32 v1, v41
	s_waitcnt lgkmcnt(0)
	s_nop 0
	v_mov_b32_dpp v70, v1 row_shr:1 row_mask:0xf bank_mask:0xf
	v_cndmask_b32_e64 v70, v70, 0, s[18:19]
	v_add_u32_e32 v1, v70, v1
	ds_write_b32 v41, v1
.LBB227_72:
	s_or_b64 exec, exec, s[16:17]
	v_mov_b32_e32 v1, 0
	v_mov_b32_e32 v41, 0
	s_waitcnt lgkmcnt(0)
	s_barrier
	s_and_saveexec_b64 s[16:17], s[30:31]
	s_cbranch_execz .LBB227_74
; %bb.73:
	ds_read_b32 v41, v80
.LBB227_74:
	s_or_b64 exec, exec, s[16:17]
	s_waitcnt lgkmcnt(0)
	v_add_u32_e32 v70, v41, v102
	ds_bpermute_b32 v70, v81, v70
	s_mov_b32 s18, 0x5040100
	s_waitcnt lgkmcnt(0)
	v_cndmask_b32_e64 v41, v70, v41, s[36:37]
	v_cndmask_b32_e64 v41, v41, 0, s[38:39]
	v_add_u32_e32 v38, v41, v38
	v_add_u32_e32 v39, v38, v39
	;; [unrolled: 1-line block ×3, first 2 shown]
	ds_write2_b32 v64, v41, v38 offset0:2 offset1:3
	ds_write2_b32 v69, v39, v0 offset0:2 offset1:3
	s_waitcnt lgkmcnt(0)
	s_barrier
	ds_read_b32 v0, v100 offset:8
	ds_read_b32 v38, v98 offset:8
	;; [unrolled: 1-line block ×4, first 2 shown]
	s_waitcnt lgkmcnt(3)
	v_add3_u32 v0, v101, v68, v0
	ds_read_b32 v68, v89 offset:8
	ds_read_b32 v69, v86 offset:8
	;; [unrolled: 1-line block ×4, first 2 shown]
	s_waitcnt lgkmcnt(0)
	s_barrier
	v_add3_u32 v69, v87, v85, v69
	v_add3_u32 v70, v84, v82, v70
	v_add_u32_e32 v78, v78, v79
	v_lshlrev_b32_e32 v79, 1, v78
	ds_write_b16 v79, v77
	v_lshlrev_b32_e32 v77, 1, v70
	v_add3_u32 v68, v90, v88, v68
	ds_write_b16 v77, v76
	v_lshlrev_b32_e32 v76, 1, v69
	v_add3_u32 v41, v93, v91, v41
	;; [unrolled: 3-line block ×4, first 2 shown]
	ds_write_b16 v74, v73
	v_lshlrev_b32_e32 v73, 1, v39
	ds_write_b16 v73, v72
	v_lshlrev_b32_e32 v72, 1, v38
	;; [unrolled: 2-line block ×4, first 2 shown]
	s_waitcnt lgkmcnt(0)
	s_barrier
	v_lshlrev_b32_e32 v72, 3, v41
	v_lshlrev_b32_e32 v73, 3, v39
	;; [unrolled: 1-line block ×3, first 2 shown]
	ds_read_b128 v[38:41], v40
	v_mov_b32_e32 v77, 0xffff8000
	v_lshlrev_b32_e32 v71, 3, v78
	v_lshlrev_b32_e32 v75, 3, v63
	;; [unrolled: 1-line block ×3, first 2 shown]
	s_waitcnt lgkmcnt(0)
	v_cmp_lt_i16_sdwa vcc, v38, v1 src0_sel:WORD_1 src1_sel:DWORD
	v_cndmask_b32_e32 v78, -1, v77, vcc
	v_cmp_gt_i16_e32 vcc, 0, v38
	v_lshlrev_b32_e32 v69, 3, v69
	v_lshlrev_b32_e32 v68, 3, v68
	;; [unrolled: 1-line block ×3, first 2 shown]
	v_cndmask_b32_e32 v79, -1, v77, vcc
	v_cmp_lt_i16_e32 vcc, -1, v39
	s_barrier
	ds_write_b64 v71, v[34:35]
	ds_write_b64 v70, v[36:37]
	;; [unrolled: 1-line block ×8, first 2 shown]
	s_waitcnt lgkmcnt(0)
	s_barrier
	ds_read2_b64 v[22:25], v75 offset1:1
	ds_read2_b64 v[26:29], v75 offset0:2 offset1:3
	ds_read2_b64 v[30:33], v75 offset0:4 offset1:5
	;; [unrolled: 1-line block ×3, first 2 shown]
	v_mov_b32_e32 v76, -1
	v_cndmask_b32_e64 v81, v77, -1, vcc
	v_cmp_lt_i16_sdwa vcc, v40, v1 src0_sel:WORD_1 src1_sel:DWORD
	v_cmp_gt_i16_sdwa s[16:17], v39, v76 src0_sel:WORD_1 src1_sel:DWORD
	v_cndmask_b32_e32 v0, -1, v77, vcc
	v_cmp_gt_i16_e32 vcc, 0, v40
	v_cndmask_b32_e64 v80, v77, -1, s[16:17]
	v_cndmask_b32_e32 v1, -1, v77, vcc
	v_cmp_gt_i16_sdwa s[16:17], v41, v76 src0_sel:WORD_1 src1_sel:DWORD
	v_cmp_lt_i16_e32 vcc, -1, v41
	v_cndmask_b32_e64 v68, v77, -1, s[16:17]
	v_cndmask_b32_e64 v69, v77, -1, vcc
	v_xor_b32_e32 v81, v81, v39
	v_xor_b32_sdwa v39, v80, v39 dst_sel:DWORD dst_unused:UNUSED_PAD src0_sel:DWORD src1_sel:WORD_1
	v_xor_b32_e32 v79, v79, v38
	v_xor_b32_sdwa v38, v78, v38 dst_sel:DWORD dst_unused:UNUSED_PAD src0_sel:DWORD src1_sel:WORD_1
	;; [unrolled: 2-line block ×4, first 2 shown]
	v_perm_b32 v39, v39, v81, s18
	v_perm_b32 v38, v38, v79, s18
	;; [unrolled: 1-line block ×4, first 2 shown]
	s_branch .LBB227_128
.LBB227_75:
	v_mov_b32_e32 v45, 0
	v_lshlrev_b64 v[2:3], 3, v[44:45]
	v_mov_b32_e32 v4, s47
	v_add_co_u32_e32 v2, vcc, s45, v2
	v_addc_co_u32_e32 v3, vcc, v4, v3, vcc
	global_load_dwordx2 v[2:3], v[2:3], off
	v_mov_b32_e32 v4, v45
	v_mov_b32_e32 v5, v45
	;; [unrolled: 1-line block ×14, first 2 shown]
	s_or_b64 exec, exec, s[16:17]
	s_and_saveexec_b64 s[16:17], s[2:3]
	s_cbranch_execz .LBB227_22
.LBB227_76:
	v_mul_lo_u32 v4, v36, s48
	v_mov_b32_e32 v5, 0
	v_lshlrev_b64 v[4:5], 3, v[4:5]
	v_mov_b32_e32 v36, s47
	v_add_co_u32_e32 v4, vcc, s45, v4
	v_addc_co_u32_e32 v5, vcc, v36, v5, vcc
	global_load_dwordx2 v[4:5], v[4:5], off
	s_or_b64 exec, exec, s[16:17]
	s_and_saveexec_b64 s[16:17], s[4:5]
	s_cbranch_execz .LBB227_23
.LBB227_77:
	v_mul_lo_u32 v6, v35, s48
	v_mov_b32_e32 v7, 0
	v_lshlrev_b64 v[6:7], 3, v[6:7]
	v_mov_b32_e32 v35, s47
	v_add_co_u32_e32 v6, vcc, s45, v6
	v_addc_co_u32_e32 v7, vcc, v35, v7, vcc
	global_load_dwordx2 v[6:7], v[6:7], off
	s_or_b64 exec, exec, s[16:17]
	s_and_saveexec_b64 s[16:17], s[6:7]
	s_cbranch_execz .LBB227_24
.LBB227_78:
	v_mul_lo_u32 v8, v33, s48
	v_mov_b32_e32 v9, 0
	v_lshlrev_b64 v[8:9], 3, v[8:9]
	v_mov_b32_e32 v33, s47
	v_add_co_u32_e32 v8, vcc, s45, v8
	v_addc_co_u32_e32 v9, vcc, v33, v9, vcc
	global_load_dwordx2 v[8:9], v[8:9], off
	s_or_b64 exec, exec, s[16:17]
	s_and_saveexec_b64 s[16:17], s[8:9]
	s_cbranch_execz .LBB227_25
.LBB227_79:
	v_mul_lo_u32 v10, v30, s48
	v_mov_b32_e32 v11, 0
	v_lshlrev_b64 v[10:11], 3, v[10:11]
	v_mov_b32_e32 v30, s47
	v_add_co_u32_e32 v10, vcc, s45, v10
	v_addc_co_u32_e32 v11, vcc, v30, v11, vcc
	global_load_dwordx2 v[10:11], v[10:11], off
	s_or_b64 exec, exec, s[16:17]
	s_and_saveexec_b64 s[16:17], s[10:11]
	s_cbranch_execz .LBB227_26
.LBB227_80:
	v_mul_lo_u32 v12, v28, s48
	v_mov_b32_e32 v13, 0
	v_lshlrev_b64 v[12:13], 3, v[12:13]
	v_mov_b32_e32 v28, s47
	v_add_co_u32_e32 v12, vcc, s45, v12
	v_addc_co_u32_e32 v13, vcc, v28, v13, vcc
	global_load_dwordx2 v[12:13], v[12:13], off
	s_or_b64 exec, exec, s[16:17]
	s_and_saveexec_b64 s[16:17], s[12:13]
	s_cbranch_execz .LBB227_27
.LBB227_81:
	v_mul_lo_u32 v14, v26, s48
	v_mov_b32_e32 v15, 0
	v_lshlrev_b64 v[14:15], 3, v[14:15]
	v_mov_b32_e32 v26, s47
	v_add_co_u32_e32 v14, vcc, s45, v14
	v_addc_co_u32_e32 v15, vcc, v26, v15, vcc
	global_load_dwordx2 v[14:15], v[14:15], off
	s_or_b64 exec, exec, s[16:17]
	s_xor_b64 s[16:17], s[34:35], -1
	s_and_saveexec_b64 s[18:19], s[14:15]
	s_cbranch_execnz .LBB227_28
	s_branch .LBB227_29
.LBB227_82:
                                        ; implicit-def: $vgpr36_vgpr37
                                        ; implicit-def: $vgpr32_vgpr33
                                        ; implicit-def: $vgpr28_vgpr29
                                        ; implicit-def: $vgpr24_vgpr25
                                        ; implicit-def: $vgpr40_vgpr41
	s_cbranch_execz .LBB227_128
; %bb.83:
	s_waitcnt lgkmcnt(3)
	v_mov_b32_e32 v22, 0
	s_waitcnt lgkmcnt(0)
	v_mov_b32_e32 v35, 0x7fff
	v_cmp_gt_i16_e32 vcc, 0, v19
	v_cmp_lt_i16_sdwa s[16:17], v19, v22 src0_sel:WORD_1 src1_sel:DWORD
	v_cndmask_b32_e64 v23, v35, 0, vcc
	v_cmp_gt_i16_e32 vcc, 0, v18
	v_cndmask_b32_e64 v25, v35, 0, s[16:17]
	v_cmp_lt_i16_sdwa s[16:17], v18, v22 src0_sel:WORD_1 src1_sel:DWORD
	v_cndmask_b32_e64 v24, v35, 0, vcc
	v_cndmask_b32_e64 v27, v35, 0, s[16:17]
	v_cmp_gt_i16_e32 vcc, 0, v21
	v_cmp_lt_i16_sdwa s[16:17], v21, v22 src0_sel:WORD_1 src1_sel:DWORD
	v_xor_b32_sdwa v25, v25, v19 dst_sel:DWORD dst_unused:UNUSED_PAD src0_sel:DWORD src1_sel:WORD_1
	v_xor_b32_e32 v19, v23, v19
	v_cndmask_b32_e64 v23, v35, 0, vcc
	v_cmp_gt_i16_e32 vcc, 0, v20
	v_cndmask_b32_e64 v28, v35, 0, s[16:17]
	v_cmp_lt_i16_sdwa s[16:17], v20, v22 src0_sel:WORD_1 src1_sel:DWORD
	v_mbcnt_hi_u32_b32 v26, -1, v67
	v_and_b32_e32 v34, 0x3c0, v46
	v_xor_b32_sdwa v27, v27, v18 dst_sel:DWORD dst_unused:UNUSED_PAD src0_sel:DWORD src1_sel:WORD_1
	v_xor_b32_e32 v18, v24, v18
	v_cndmask_b32_e64 v24, v35, 0, vcc
	v_cndmask_b32_e64 v29, v35, 0, s[16:17]
	v_add_u32_e32 v0, v26, v34
	v_xor_b32_sdwa v29, v29, v20 dst_sel:DWORD dst_unused:UNUSED_PAD src0_sel:DWORD src1_sel:WORD_1
	v_xor_b32_sdwa v28, v28, v21 dst_sel:DWORD dst_unused:UNUSED_PAD src0_sel:DWORD src1_sel:WORD_1
	v_xor_b32_e32 v20, v24, v20
	v_xor_b32_e32 v21, v23, v21
	s_mov_b32 s16, 0x5040100
	v_lshlrev_b32_e32 v1, 4, v0
	v_perm_b32 v21, v28, v21, s16
	v_perm_b32 v20, v29, v20, s16
	;; [unrolled: 1-line block ×4, first 2 shown]
	v_and_b32_e32 v36, 0x1e00, v63
	ds_write_b128 v1, v[18:21]
	v_or_b32_e32 v1, v26, v36
	v_lshlrev_b32_e32 v18, 1, v1
	v_lshlrev_b32_e32 v0, 6, v0
	; wave barrier
	ds_read_u16 v33, v18
	ds_read_u16 v32, v18 offset:128
	ds_read_u16 v31, v18 offset:256
	;; [unrolled: 1-line block ×7, first 2 shown]
	s_waitcnt lgkmcnt(0)
	s_barrier
	ds_write2_b64 v0, v[14:15], v[16:17] offset1:1
	ds_write2_b64 v0, v[10:11], v[12:13] offset0:2 offset1:3
	ds_write2_b64 v0, v[6:7], v[8:9] offset0:4 offset1:5
	;; [unrolled: 1-line block ×3, first 2 shown]
	v_lshlrev_b32_e32 v0, 3, v1
	; wave barrier
	ds_read2st64_b64 v[12:15], v0 offset1:1
	ds_read2st64_b64 v[8:11], v0 offset0:2 offset1:3
	ds_read2st64_b64 v[4:7], v0 offset0:4 offset1:5
	;; [unrolled: 1-line block ×3, first 2 shown]
	s_waitcnt lgkmcnt(0)
	s_barrier
	s_load_dword s18, s[50:51], 0xc
	s_getpc_b64 s[16:17]
	s_add_u32 s16, s16, _ZN7rocprim17ROCPRIM_400000_NS16block_radix_sortI6__halfLj128ELj8ElLj1ELj1ELj0ELNS0_26block_radix_rank_algorithmE1ELNS0_18block_padding_hintE2ELNS0_4arch9wavefront6targetE1EE19radix_bits_per_passE@rel32@lo+4
	s_addc_u32 s17, s17, _ZN7rocprim17ROCPRIM_400000_NS16block_radix_sortI6__halfLj128ELj8ElLj1ELj1ELj0ELNS0_26block_radix_rank_algorithmE1ELNS0_18block_padding_hintE2ELNS0_4arch9wavefront6targetE1EE19radix_bits_per_passE@rel32@hi+12
	s_load_dword s40, s[16:17], 0x0
	s_movk_i32 s19, 0x8000
	v_cmp_ne_u16_e32 vcc, s19, v33
	s_waitcnt lgkmcnt(0)
	s_lshr_b32 s16, s18, 16
	s_and_b32 s17, s18, 0xffff
	v_mad_u32_u24 v16, v66, s16, v65
	v_mad_u64_u32 v[16:17], s[16:17], v16, s17, v[46:47]
	s_min_u32 s16, s40, 16
	s_lshl_b32 s16, -1, s16
	v_lshrrev_b32_e32 v24, 6, v16
	s_not_b32 s18, s16
	v_cndmask_b32_e32 v16, v35, v33, vcc
	v_and_b32_sdwa v16, s18, v16 dst_sel:DWORD dst_unused:UNUSED_PAD src0_sel:DWORD src1_sel:WORD_0
	v_lshlrev_b32_e32 v17, 1, v16
	v_add_lshl_u32 v37, v24, v17, 2
	v_and_b32_e32 v17, 1, v16
	v_add_co_u32_e32 v18, vcc, -1, v17
	v_addc_co_u32_e64 v19, s[16:17], 0, -1, vcc
	v_cmp_ne_u32_e32 vcc, 0, v17
	v_lshlrev_b32_e32 v23, 30, v16
	v_xor_b32_e32 v17, vcc_hi, v19
	v_not_b32_e32 v19, v23
	v_xor_b32_e32 v18, vcc_lo, v18
	v_cmp_gt_i64_e32 vcc, 0, v[22:23]
	v_ashrrev_i32_e32 v19, 31, v19
	v_and_b32_e32 v18, exec_lo, v18
	v_xor_b32_e32 v20, vcc_hi, v19
	v_xor_b32_e32 v19, vcc_lo, v19
	v_lshlrev_b32_e32 v23, 29, v16
	v_and_b32_e32 v18, v18, v19
	v_not_b32_e32 v19, v23
	v_and_b32_e32 v17, exec_hi, v17
	v_cmp_gt_i64_e32 vcc, 0, v[22:23]
	v_ashrrev_i32_e32 v19, 31, v19
	v_and_b32_e32 v17, v17, v20
	v_xor_b32_e32 v20, vcc_hi, v19
	v_xor_b32_e32 v19, vcc_lo, v19
	v_lshlrev_b32_e32 v23, 28, v16
	v_and_b32_e32 v18, v18, v19
	v_not_b32_e32 v19, v23
	v_cmp_gt_i64_e32 vcc, 0, v[22:23]
	v_ashrrev_i32_e32 v19, 31, v19
	v_and_b32_e32 v17, v17, v20
	v_xor_b32_e32 v20, vcc_hi, v19
	v_xor_b32_e32 v19, vcc_lo, v19
	v_lshlrev_b32_e32 v23, 27, v16
	v_and_b32_e32 v18, v18, v19
	v_not_b32_e32 v19, v23
	;; [unrolled: 8-line block ×3, first 2 shown]
	v_cmp_gt_i64_e32 vcc, 0, v[22:23]
	v_ashrrev_i32_e32 v19, 31, v19
	v_and_b32_e32 v17, v17, v20
	v_xor_b32_e32 v20, vcc_hi, v19
	v_xor_b32_e32 v19, vcc_lo, v19
	v_lshlrev_b32_e32 v23, 25, v16
	v_and_b32_e32 v18, v18, v19
	v_cmp_gt_i64_e32 vcc, 0, v[22:23]
	v_not_b32_e32 v19, v23
	v_lshlrev_b32_e32 v23, 24, v16
	v_ashrrev_i32_e32 v19, 31, v19
	v_not_b32_e32 v16, v23
	v_and_b32_e32 v17, v17, v20
	v_xor_b32_e32 v20, vcc_hi, v19
	v_xor_b32_e32 v19, vcc_lo, v19
	v_cmp_gt_i64_e32 vcc, 0, v[22:23]
	v_ashrrev_i32_e32 v16, 31, v16
	v_and_b32_e32 v18, v18, v19
	v_xor_b32_e32 v19, vcc_hi, v16
	v_xor_b32_e32 v16, vcc_lo, v16
	v_and_b32_e32 v17, v17, v20
	v_and_b32_e32 v16, v18, v16
	;; [unrolled: 1-line block ×3, first 2 shown]
	v_mbcnt_lo_u32_b32 v18, v16, 0
	v_mbcnt_hi_u32_b32 v38, v17, v18
	v_cmp_eq_u32_e32 vcc, 0, v38
	v_cmp_ne_u64_e64 s[16:17], 0, v[16:17]
	s_and_b64 s[20:21], s[16:17], vcc
	ds_write2_b32 v64, v22, v22 offset0:2 offset1:3
	ds_write2_b32 v64, v22, v22 offset0:4 offset1:5
	s_waitcnt lgkmcnt(0)
	s_barrier
	s_waitcnt lgkmcnt(0)
	; wave barrier
	s_and_saveexec_b64 s[16:17], s[20:21]
	s_cbranch_execz .LBB227_85
; %bb.84:
	v_bcnt_u32_b32 v16, v16, 0
	v_bcnt_u32_b32 v16, v17, v16
	ds_write_b32 v37, v16 offset:8
.LBB227_85:
	s_or_b64 exec, exec, s[16:17]
	v_cmp_ne_u16_e32 vcc, s19, v32
	v_cndmask_b32_e32 v16, v35, v32, vcc
	v_and_b32_sdwa v16, s18, v16 dst_sel:DWORD dst_unused:UNUSED_PAD src0_sel:DWORD src1_sel:WORD_0
	v_lshlrev_b32_e32 v17, 1, v16
	v_add_lshl_u32 v40, v24, v17, 2
	v_and_b32_e32 v17, 1, v16
	v_add_co_u32_e32 v18, vcc, -1, v17
	v_addc_co_u32_e64 v19, s[16:17], 0, -1, vcc
	v_cmp_ne_u32_e32 vcc, 0, v17
	v_lshlrev_b32_e32 v23, 30, v16
	v_xor_b32_e32 v17, vcc_hi, v19
	v_not_b32_e32 v19, v23
	v_xor_b32_e32 v18, vcc_lo, v18
	v_cmp_gt_i64_e32 vcc, 0, v[22:23]
	v_ashrrev_i32_e32 v19, 31, v19
	v_and_b32_e32 v18, exec_lo, v18
	v_xor_b32_e32 v20, vcc_hi, v19
	v_xor_b32_e32 v19, vcc_lo, v19
	v_lshlrev_b32_e32 v23, 29, v16
	v_and_b32_e32 v18, v18, v19
	v_not_b32_e32 v19, v23
	v_and_b32_e32 v17, exec_hi, v17
	v_cmp_gt_i64_e32 vcc, 0, v[22:23]
	v_ashrrev_i32_e32 v19, 31, v19
	v_and_b32_e32 v17, v17, v20
	v_xor_b32_e32 v20, vcc_hi, v19
	v_xor_b32_e32 v19, vcc_lo, v19
	v_lshlrev_b32_e32 v23, 28, v16
	v_and_b32_e32 v18, v18, v19
	v_not_b32_e32 v19, v23
	v_cmp_gt_i64_e32 vcc, 0, v[22:23]
	v_ashrrev_i32_e32 v19, 31, v19
	v_and_b32_e32 v17, v17, v20
	v_xor_b32_e32 v20, vcc_hi, v19
	v_xor_b32_e32 v19, vcc_lo, v19
	v_lshlrev_b32_e32 v23, 27, v16
	v_and_b32_e32 v18, v18, v19
	v_not_b32_e32 v19, v23
	;; [unrolled: 8-line block ×3, first 2 shown]
	v_cmp_gt_i64_e32 vcc, 0, v[22:23]
	v_ashrrev_i32_e32 v19, 31, v19
	v_and_b32_e32 v17, v17, v20
	v_xor_b32_e32 v20, vcc_hi, v19
	v_xor_b32_e32 v19, vcc_lo, v19
	v_lshlrev_b32_e32 v23, 25, v16
	v_and_b32_e32 v18, v18, v19
	v_cmp_gt_i64_e32 vcc, 0, v[22:23]
	v_not_b32_e32 v19, v23
	v_lshlrev_b32_e32 v23, 24, v16
	v_ashrrev_i32_e32 v19, 31, v19
	v_not_b32_e32 v16, v23
	v_and_b32_e32 v17, v17, v20
	v_xor_b32_e32 v20, vcc_hi, v19
	v_xor_b32_e32 v19, vcc_lo, v19
	v_cmp_gt_i64_e32 vcc, 0, v[22:23]
	v_ashrrev_i32_e32 v16, 31, v16
	v_and_b32_e32 v18, v18, v19
	v_xor_b32_e32 v19, vcc_hi, v16
	v_xor_b32_e32 v16, vcc_lo, v16
	; wave barrier
	ds_read_b32 v39, v40 offset:8
	v_and_b32_e32 v17, v17, v20
	v_and_b32_e32 v16, v18, v16
	;; [unrolled: 1-line block ×3, first 2 shown]
	v_mbcnt_lo_u32_b32 v18, v16, 0
	v_mbcnt_hi_u32_b32 v41, v17, v18
	v_cmp_eq_u32_e32 vcc, 0, v41
	v_cmp_ne_u64_e64 s[16:17], 0, v[16:17]
	s_and_b64 s[20:21], s[16:17], vcc
	; wave barrier
	s_and_saveexec_b64 s[16:17], s[20:21]
	s_cbranch_execz .LBB227_87
; %bb.86:
	v_bcnt_u32_b32 v16, v16, 0
	v_bcnt_u32_b32 v16, v17, v16
	s_waitcnt lgkmcnt(0)
	v_add_u32_e32 v16, v39, v16
	ds_write_b32 v40, v16 offset:8
.LBB227_87:
	s_or_b64 exec, exec, s[16:17]
	v_mov_b32_e32 v20, 0x7fff
	v_cmp_ne_u16_e32 vcc, s19, v31
	v_cndmask_b32_e32 v16, v20, v31, vcc
	v_and_b32_sdwa v18, s18, v16 dst_sel:DWORD dst_unused:UNUSED_PAD src0_sel:DWORD src1_sel:WORD_0
	v_and_b32_e32 v17, 1, v18
	v_add_co_u32_e32 v19, vcc, -1, v17
	v_addc_co_u32_e64 v21, s[16:17], 0, -1, vcc
	v_cmp_ne_u32_e32 vcc, 0, v17
	v_lshlrev_b32_e32 v16, 1, v18
	v_xor_b32_e32 v17, vcc_hi, v21
	v_add_lshl_u32 v66, v24, v16, 2
	v_mov_b32_e32 v16, 0
	v_and_b32_e32 v21, exec_hi, v17
	v_lshlrev_b32_e32 v17, 30, v18
	v_xor_b32_e32 v19, vcc_lo, v19
	v_cmp_gt_i64_e32 vcc, 0, v[16:17]
	v_not_b32_e32 v17, v17
	v_ashrrev_i32_e32 v17, 31, v17
	v_and_b32_e32 v19, exec_lo, v19
	v_xor_b32_e32 v22, vcc_hi, v17
	v_xor_b32_e32 v17, vcc_lo, v17
	v_and_b32_e32 v19, v19, v17
	v_lshlrev_b32_e32 v17, 29, v18
	v_cmp_gt_i64_e32 vcc, 0, v[16:17]
	v_not_b32_e32 v17, v17
	v_ashrrev_i32_e32 v17, 31, v17
	v_and_b32_e32 v21, v21, v22
	v_xor_b32_e32 v22, vcc_hi, v17
	v_xor_b32_e32 v17, vcc_lo, v17
	v_and_b32_e32 v19, v19, v17
	v_lshlrev_b32_e32 v17, 28, v18
	v_cmp_gt_i64_e32 vcc, 0, v[16:17]
	v_not_b32_e32 v17, v17
	v_ashrrev_i32_e32 v17, 31, v17
	v_and_b32_e32 v21, v21, v22
	;; [unrolled: 8-line block ×5, first 2 shown]
	v_xor_b32_e32 v22, vcc_hi, v17
	v_xor_b32_e32 v17, vcc_lo, v17
	v_and_b32_e32 v21, v21, v22
	v_and_b32_e32 v22, v19, v17
	v_lshlrev_b32_e32 v17, 24, v18
	v_cmp_gt_i64_e32 vcc, 0, v[16:17]
	v_not_b32_e32 v17, v17
	v_ashrrev_i32_e32 v17, 31, v17
	v_xor_b32_e32 v18, vcc_hi, v17
	v_xor_b32_e32 v17, vcc_lo, v17
	; wave barrier
	ds_read_b32 v65, v66 offset:8
	v_and_b32_e32 v19, v21, v18
	v_and_b32_e32 v18, v22, v17
	v_mbcnt_lo_u32_b32 v17, v18, 0
	v_mbcnt_hi_u32_b32 v67, v19, v17
	v_cmp_eq_u32_e32 vcc, 0, v67
	v_cmp_ne_u64_e64 s[16:17], 0, v[18:19]
	s_and_b64 s[20:21], s[16:17], vcc
	; wave barrier
	s_and_saveexec_b64 s[16:17], s[20:21]
	s_cbranch_execz .LBB227_89
; %bb.88:
	v_bcnt_u32_b32 v17, v18, 0
	v_bcnt_u32_b32 v17, v19, v17
	s_waitcnt lgkmcnt(0)
	v_add_u32_e32 v17, v65, v17
	ds_write_b32 v66, v17 offset:8
.LBB227_89:
	s_or_b64 exec, exec, s[16:17]
	v_cmp_ne_u16_e32 vcc, s19, v30
	v_cndmask_b32_e32 v17, v20, v30, vcc
	v_and_b32_sdwa v18, s18, v17 dst_sel:DWORD dst_unused:UNUSED_PAD src0_sel:DWORD src1_sel:WORD_0
	v_lshlrev_b32_e32 v17, 1, v18
	v_add_lshl_u32 v69, v24, v17, 2
	v_and_b32_e32 v17, 1, v18
	v_add_co_u32_e32 v19, vcc, -1, v17
	v_addc_co_u32_e64 v20, s[16:17], 0, -1, vcc
	v_cmp_ne_u32_e32 vcc, 0, v17
	v_xor_b32_e32 v17, vcc_hi, v20
	v_and_b32_e32 v20, exec_hi, v17
	v_lshlrev_b32_e32 v17, 30, v18
	v_xor_b32_e32 v19, vcc_lo, v19
	v_cmp_gt_i64_e32 vcc, 0, v[16:17]
	v_not_b32_e32 v17, v17
	v_ashrrev_i32_e32 v17, 31, v17
	v_and_b32_e32 v19, exec_lo, v19
	v_xor_b32_e32 v21, vcc_hi, v17
	v_xor_b32_e32 v17, vcc_lo, v17
	v_and_b32_e32 v19, v19, v17
	v_lshlrev_b32_e32 v17, 29, v18
	v_cmp_gt_i64_e32 vcc, 0, v[16:17]
	v_not_b32_e32 v17, v17
	v_ashrrev_i32_e32 v17, 31, v17
	v_and_b32_e32 v20, v20, v21
	v_xor_b32_e32 v21, vcc_hi, v17
	v_xor_b32_e32 v17, vcc_lo, v17
	v_and_b32_e32 v19, v19, v17
	v_lshlrev_b32_e32 v17, 28, v18
	v_cmp_gt_i64_e32 vcc, 0, v[16:17]
	v_not_b32_e32 v17, v17
	v_ashrrev_i32_e32 v17, 31, v17
	v_and_b32_e32 v20, v20, v21
	;; [unrolled: 8-line block ×5, first 2 shown]
	v_xor_b32_e32 v21, vcc_hi, v17
	v_xor_b32_e32 v17, vcc_lo, v17
	v_and_b32_e32 v19, v19, v17
	v_lshlrev_b32_e32 v17, 24, v18
	v_cmp_gt_i64_e32 vcc, 0, v[16:17]
	v_not_b32_e32 v16, v17
	v_ashrrev_i32_e32 v16, 31, v16
	v_xor_b32_e32 v17, vcc_hi, v16
	v_xor_b32_e32 v16, vcc_lo, v16
	; wave barrier
	ds_read_b32 v68, v69 offset:8
	v_and_b32_e32 v20, v20, v21
	v_and_b32_e32 v16, v19, v16
	;; [unrolled: 1-line block ×3, first 2 shown]
	v_mbcnt_lo_u32_b32 v18, v16, 0
	v_mbcnt_hi_u32_b32 v70, v17, v18
	v_cmp_eq_u32_e32 vcc, 0, v70
	v_cmp_ne_u64_e64 s[16:17], 0, v[16:17]
	s_and_b64 s[20:21], s[16:17], vcc
	; wave barrier
	s_and_saveexec_b64 s[16:17], s[20:21]
	s_cbranch_execz .LBB227_91
; %bb.90:
	v_bcnt_u32_b32 v16, v16, 0
	v_bcnt_u32_b32 v16, v17, v16
	s_waitcnt lgkmcnt(0)
	v_add_u32_e32 v16, v68, v16
	ds_write_b32 v69, v16 offset:8
.LBB227_91:
	s_or_b64 exec, exec, s[16:17]
	v_mov_b32_e32 v20, 0x7fff
	v_cmp_ne_u16_e32 vcc, s19, v29
	v_cndmask_b32_e32 v16, v20, v29, vcc
	v_and_b32_sdwa v18, s18, v16 dst_sel:DWORD dst_unused:UNUSED_PAD src0_sel:DWORD src1_sel:WORD_0
	v_and_b32_e32 v17, 1, v18
	v_add_co_u32_e32 v19, vcc, -1, v17
	v_addc_co_u32_e64 v21, s[16:17], 0, -1, vcc
	v_cmp_ne_u32_e32 vcc, 0, v17
	v_lshlrev_b32_e32 v16, 1, v18
	v_xor_b32_e32 v17, vcc_hi, v21
	v_add_lshl_u32 v72, v24, v16, 2
	v_mov_b32_e32 v16, 0
	v_and_b32_e32 v21, exec_hi, v17
	v_lshlrev_b32_e32 v17, 30, v18
	v_xor_b32_e32 v19, vcc_lo, v19
	v_cmp_gt_i64_e32 vcc, 0, v[16:17]
	v_not_b32_e32 v17, v17
	v_ashrrev_i32_e32 v17, 31, v17
	v_and_b32_e32 v19, exec_lo, v19
	v_xor_b32_e32 v22, vcc_hi, v17
	v_xor_b32_e32 v17, vcc_lo, v17
	v_and_b32_e32 v19, v19, v17
	v_lshlrev_b32_e32 v17, 29, v18
	v_cmp_gt_i64_e32 vcc, 0, v[16:17]
	v_not_b32_e32 v17, v17
	v_ashrrev_i32_e32 v17, 31, v17
	v_and_b32_e32 v21, v21, v22
	v_xor_b32_e32 v22, vcc_hi, v17
	v_xor_b32_e32 v17, vcc_lo, v17
	v_and_b32_e32 v19, v19, v17
	v_lshlrev_b32_e32 v17, 28, v18
	v_cmp_gt_i64_e32 vcc, 0, v[16:17]
	v_not_b32_e32 v17, v17
	v_ashrrev_i32_e32 v17, 31, v17
	v_and_b32_e32 v21, v21, v22
	;; [unrolled: 8-line block ×5, first 2 shown]
	v_xor_b32_e32 v22, vcc_hi, v17
	v_xor_b32_e32 v17, vcc_lo, v17
	v_and_b32_e32 v21, v21, v22
	v_and_b32_e32 v22, v19, v17
	v_lshlrev_b32_e32 v17, 24, v18
	v_cmp_gt_i64_e32 vcc, 0, v[16:17]
	v_not_b32_e32 v17, v17
	v_ashrrev_i32_e32 v17, 31, v17
	v_xor_b32_e32 v18, vcc_hi, v17
	v_xor_b32_e32 v17, vcc_lo, v17
	; wave barrier
	ds_read_b32 v71, v72 offset:8
	v_and_b32_e32 v19, v21, v18
	v_and_b32_e32 v18, v22, v17
	v_mbcnt_lo_u32_b32 v17, v18, 0
	v_mbcnt_hi_u32_b32 v73, v19, v17
	v_cmp_eq_u32_e32 vcc, 0, v73
	v_cmp_ne_u64_e64 s[16:17], 0, v[18:19]
	s_and_b64 s[20:21], s[16:17], vcc
	; wave barrier
	s_and_saveexec_b64 s[16:17], s[20:21]
	s_cbranch_execz .LBB227_93
; %bb.92:
	v_bcnt_u32_b32 v17, v18, 0
	v_bcnt_u32_b32 v17, v19, v17
	s_waitcnt lgkmcnt(0)
	v_add_u32_e32 v17, v71, v17
	ds_write_b32 v72, v17 offset:8
.LBB227_93:
	s_or_b64 exec, exec, s[16:17]
	v_cmp_ne_u16_e32 vcc, s19, v28
	v_cndmask_b32_e32 v17, v20, v28, vcc
	v_and_b32_sdwa v18, s18, v17 dst_sel:DWORD dst_unused:UNUSED_PAD src0_sel:DWORD src1_sel:WORD_0
	v_lshlrev_b32_e32 v17, 1, v18
	v_add_lshl_u32 v75, v24, v17, 2
	v_and_b32_e32 v17, 1, v18
	v_add_co_u32_e32 v19, vcc, -1, v17
	v_addc_co_u32_e64 v20, s[16:17], 0, -1, vcc
	v_cmp_ne_u32_e32 vcc, 0, v17
	v_xor_b32_e32 v17, vcc_hi, v20
	v_and_b32_e32 v20, exec_hi, v17
	v_lshlrev_b32_e32 v17, 30, v18
	v_xor_b32_e32 v19, vcc_lo, v19
	v_cmp_gt_i64_e32 vcc, 0, v[16:17]
	v_not_b32_e32 v17, v17
	v_ashrrev_i32_e32 v17, 31, v17
	v_and_b32_e32 v19, exec_lo, v19
	v_xor_b32_e32 v21, vcc_hi, v17
	v_xor_b32_e32 v17, vcc_lo, v17
	v_and_b32_e32 v19, v19, v17
	v_lshlrev_b32_e32 v17, 29, v18
	v_cmp_gt_i64_e32 vcc, 0, v[16:17]
	v_not_b32_e32 v17, v17
	v_ashrrev_i32_e32 v17, 31, v17
	v_and_b32_e32 v20, v20, v21
	v_xor_b32_e32 v21, vcc_hi, v17
	v_xor_b32_e32 v17, vcc_lo, v17
	v_and_b32_e32 v19, v19, v17
	v_lshlrev_b32_e32 v17, 28, v18
	v_cmp_gt_i64_e32 vcc, 0, v[16:17]
	v_not_b32_e32 v17, v17
	v_ashrrev_i32_e32 v17, 31, v17
	v_and_b32_e32 v20, v20, v21
	;; [unrolled: 8-line block ×5, first 2 shown]
	v_xor_b32_e32 v21, vcc_hi, v17
	v_xor_b32_e32 v17, vcc_lo, v17
	v_and_b32_e32 v19, v19, v17
	v_lshlrev_b32_e32 v17, 24, v18
	v_cmp_gt_i64_e32 vcc, 0, v[16:17]
	v_not_b32_e32 v16, v17
	v_ashrrev_i32_e32 v16, 31, v16
	v_xor_b32_e32 v17, vcc_hi, v16
	v_xor_b32_e32 v16, vcc_lo, v16
	; wave barrier
	ds_read_b32 v74, v75 offset:8
	v_and_b32_e32 v20, v20, v21
	v_and_b32_e32 v16, v19, v16
	;; [unrolled: 1-line block ×3, first 2 shown]
	v_mbcnt_lo_u32_b32 v18, v16, 0
	v_mbcnt_hi_u32_b32 v76, v17, v18
	v_cmp_eq_u32_e32 vcc, 0, v76
	v_cmp_ne_u64_e64 s[16:17], 0, v[16:17]
	s_and_b64 s[20:21], s[16:17], vcc
	; wave barrier
	s_and_saveexec_b64 s[16:17], s[20:21]
	s_cbranch_execz .LBB227_95
; %bb.94:
	v_bcnt_u32_b32 v16, v16, 0
	v_bcnt_u32_b32 v16, v17, v16
	s_waitcnt lgkmcnt(0)
	v_add_u32_e32 v16, v74, v16
	ds_write_b32 v75, v16 offset:8
.LBB227_95:
	s_or_b64 exec, exec, s[16:17]
	v_mov_b32_e32 v20, 0x7fff
	v_cmp_ne_u16_e32 vcc, s19, v27
	v_cndmask_b32_e32 v16, v20, v27, vcc
	v_and_b32_sdwa v18, s18, v16 dst_sel:DWORD dst_unused:UNUSED_PAD src0_sel:DWORD src1_sel:WORD_0
	v_and_b32_e32 v17, 1, v18
	v_add_co_u32_e32 v19, vcc, -1, v17
	v_addc_co_u32_e64 v21, s[16:17], 0, -1, vcc
	v_cmp_ne_u32_e32 vcc, 0, v17
	v_lshlrev_b32_e32 v16, 1, v18
	v_xor_b32_e32 v17, vcc_hi, v21
	v_add_lshl_u32 v78, v24, v16, 2
	v_mov_b32_e32 v16, 0
	v_and_b32_e32 v21, exec_hi, v17
	v_lshlrev_b32_e32 v17, 30, v18
	v_xor_b32_e32 v19, vcc_lo, v19
	v_cmp_gt_i64_e32 vcc, 0, v[16:17]
	v_not_b32_e32 v17, v17
	v_ashrrev_i32_e32 v17, 31, v17
	v_and_b32_e32 v19, exec_lo, v19
	v_xor_b32_e32 v22, vcc_hi, v17
	v_xor_b32_e32 v17, vcc_lo, v17
	v_and_b32_e32 v19, v19, v17
	v_lshlrev_b32_e32 v17, 29, v18
	v_cmp_gt_i64_e32 vcc, 0, v[16:17]
	v_not_b32_e32 v17, v17
	v_ashrrev_i32_e32 v17, 31, v17
	v_and_b32_e32 v21, v21, v22
	v_xor_b32_e32 v22, vcc_hi, v17
	v_xor_b32_e32 v17, vcc_lo, v17
	v_and_b32_e32 v19, v19, v17
	v_lshlrev_b32_e32 v17, 28, v18
	v_cmp_gt_i64_e32 vcc, 0, v[16:17]
	v_not_b32_e32 v17, v17
	v_ashrrev_i32_e32 v17, 31, v17
	v_and_b32_e32 v21, v21, v22
	;; [unrolled: 8-line block ×5, first 2 shown]
	v_xor_b32_e32 v22, vcc_hi, v17
	v_xor_b32_e32 v17, vcc_lo, v17
	v_and_b32_e32 v21, v21, v22
	v_and_b32_e32 v22, v19, v17
	v_lshlrev_b32_e32 v17, 24, v18
	v_cmp_gt_i64_e32 vcc, 0, v[16:17]
	v_not_b32_e32 v17, v17
	v_ashrrev_i32_e32 v17, 31, v17
	v_xor_b32_e32 v18, vcc_hi, v17
	v_xor_b32_e32 v17, vcc_lo, v17
	; wave barrier
	ds_read_b32 v77, v78 offset:8
	v_and_b32_e32 v19, v21, v18
	v_and_b32_e32 v18, v22, v17
	v_mbcnt_lo_u32_b32 v17, v18, 0
	v_mbcnt_hi_u32_b32 v79, v19, v17
	v_cmp_eq_u32_e32 vcc, 0, v79
	v_cmp_ne_u64_e64 s[16:17], 0, v[18:19]
	s_and_b64 s[20:21], s[16:17], vcc
	; wave barrier
	s_and_saveexec_b64 s[16:17], s[20:21]
	s_cbranch_execz .LBB227_97
; %bb.96:
	v_bcnt_u32_b32 v17, v18, 0
	v_bcnt_u32_b32 v17, v19, v17
	s_waitcnt lgkmcnt(0)
	v_add_u32_e32 v17, v77, v17
	ds_write_b32 v78, v17 offset:8
.LBB227_97:
	s_or_b64 exec, exec, s[16:17]
	v_cmp_ne_u16_e32 vcc, s19, v25
	v_cndmask_b32_e32 v17, v20, v25, vcc
	v_and_b32_sdwa v18, s18, v17 dst_sel:DWORD dst_unused:UNUSED_PAD src0_sel:DWORD src1_sel:WORD_0
	v_lshlrev_b32_e32 v17, 1, v18
	v_add_lshl_u32 v81, v24, v17, 2
	v_and_b32_e32 v17, 1, v18
	v_add_co_u32_e32 v19, vcc, -1, v17
	v_addc_co_u32_e64 v20, s[16:17], 0, -1, vcc
	v_cmp_ne_u32_e32 vcc, 0, v17
	v_xor_b32_e32 v17, vcc_hi, v20
	v_and_b32_e32 v20, exec_hi, v17
	v_lshlrev_b32_e32 v17, 30, v18
	v_xor_b32_e32 v19, vcc_lo, v19
	v_cmp_gt_i64_e32 vcc, 0, v[16:17]
	v_not_b32_e32 v17, v17
	v_ashrrev_i32_e32 v17, 31, v17
	v_and_b32_e32 v19, exec_lo, v19
	v_xor_b32_e32 v21, vcc_hi, v17
	v_xor_b32_e32 v17, vcc_lo, v17
	v_and_b32_e32 v19, v19, v17
	v_lshlrev_b32_e32 v17, 29, v18
	v_cmp_gt_i64_e32 vcc, 0, v[16:17]
	v_not_b32_e32 v17, v17
	v_ashrrev_i32_e32 v17, 31, v17
	v_and_b32_e32 v20, v20, v21
	v_xor_b32_e32 v21, vcc_hi, v17
	v_xor_b32_e32 v17, vcc_lo, v17
	v_and_b32_e32 v19, v19, v17
	v_lshlrev_b32_e32 v17, 28, v18
	v_cmp_gt_i64_e32 vcc, 0, v[16:17]
	v_not_b32_e32 v17, v17
	v_ashrrev_i32_e32 v17, 31, v17
	v_and_b32_e32 v20, v20, v21
	;; [unrolled: 8-line block ×5, first 2 shown]
	v_xor_b32_e32 v21, vcc_hi, v17
	v_xor_b32_e32 v17, vcc_lo, v17
	v_and_b32_e32 v19, v19, v17
	v_lshlrev_b32_e32 v17, 24, v18
	v_cmp_gt_i64_e32 vcc, 0, v[16:17]
	v_not_b32_e32 v16, v17
	v_ashrrev_i32_e32 v16, 31, v16
	v_xor_b32_e32 v17, vcc_hi, v16
	v_xor_b32_e32 v16, vcc_lo, v16
	; wave barrier
	ds_read_b32 v80, v81 offset:8
	v_and_b32_e32 v20, v20, v21
	v_and_b32_e32 v16, v19, v16
	;; [unrolled: 1-line block ×3, first 2 shown]
	v_mbcnt_lo_u32_b32 v18, v16, 0
	v_mbcnt_hi_u32_b32 v82, v17, v18
	v_cmp_eq_u32_e32 vcc, 0, v82
	v_cmp_ne_u64_e64 s[16:17], 0, v[16:17]
	v_or_b32_e32 v22, 8, v64
	v_lshrrev_b32_e32 v23, 6, v46
	v_min_u32_e32 v34, 64, v34
	s_and_b64 s[18:19], s[16:17], vcc
	; wave barrier
	s_and_saveexec_b64 s[16:17], s[18:19]
	s_cbranch_execz .LBB227_99
; %bb.98:
	v_bcnt_u32_b32 v16, v16, 0
	v_bcnt_u32_b32 v16, v17, v16
	s_waitcnt lgkmcnt(0)
	v_add_u32_e32 v16, v80, v16
	ds_write_b32 v81, v16 offset:8
.LBB227_99:
	s_or_b64 exec, exec, s[16:17]
	; wave barrier
	s_waitcnt lgkmcnt(0)
	s_barrier
	ds_read2_b32 v[18:19], v64 offset0:2 offset1:3
	ds_read2_b32 v[20:21], v22 offset0:2 offset1:3
	v_and_b32_e32 v17, 16, v26
	v_cmp_eq_u32_e32 vcc, 0, v17
	v_or_b32_e32 v17, 63, v34
	v_cmp_eq_u32_e64 s[16:17], v17, v46
	s_waitcnt lgkmcnt(1)
	v_add_u32_e32 v17, v19, v18
	v_and_b32_e32 v16, 15, v26
	s_waitcnt lgkmcnt(0)
	v_add3_u32 v17, v17, v20, v21
	v_cmp_eq_u32_e64 s[20:21], 0, v16
	v_cmp_lt_u32_e64 s[22:23], 1, v16
	v_mov_b32_dpp v21, v17 row_shr:1 row_mask:0xf bank_mask:0xf
	v_cndmask_b32_e64 v21, v21, 0, s[20:21]
	v_add_u32_e32 v17, v21, v17
	v_cmp_lt_u32_e64 s[26:27], 3, v16
	v_cmp_lt_u32_e64 s[28:29], 7, v16
	v_mov_b32_dpp v21, v17 row_shr:2 row_mask:0xf bank_mask:0xf
	v_cndmask_b32_e64 v21, 0, v21, s[22:23]
	v_add_u32_e32 v17, v17, v21
	v_bfe_i32 v35, v26, 4, 1
	v_cmp_lt_u32_e64 s[34:35], 31, v26
	v_mov_b32_dpp v21, v17 row_shr:4 row_mask:0xf bank_mask:0xf
	v_cndmask_b32_e64 v21, 0, v21, s[26:27]
	v_add_u32_e32 v17, v17, v21
	v_lshlrev_b32_e32 v23, 2, v23
	s_nop 0
	v_mov_b32_dpp v21, v17 row_shr:8 row_mask:0xf bank_mask:0xf
	v_cndmask_b32_e64 v16, 0, v21, s[28:29]
	v_add_u32_e32 v16, v17, v16
	s_nop 1
	v_mov_b32_dpp v17, v16 row_bcast:15 row_mask:0xf bank_mask:0xf
	v_and_b32_e32 v17, v35, v17
	v_add_u32_e32 v16, v16, v17
	s_nop 1
	v_mov_b32_dpp v17, v16 row_bcast:31 row_mask:0xf bank_mask:0xf
	v_cndmask_b32_e64 v17, 0, v17, s[34:35]
	v_add_u32_e32 v17, v16, v17
	s_and_saveexec_b64 s[18:19], s[16:17]
	s_cbranch_execz .LBB227_101
; %bb.100:
	ds_write_b32 v23, v17
.LBB227_101:
	s_or_b64 exec, exec, s[18:19]
	v_and_b32_e32 v16, 1, v26
	v_cmp_gt_u32_e64 s[24:25], 2, v46
	v_lshlrev_b32_e32 v21, 2, v46
	v_cmp_eq_u32_e64 s[18:19], 0, v16
	s_waitcnt lgkmcnt(0)
	s_barrier
	s_and_saveexec_b64 s[30:31], s[24:25]
	s_cbranch_execz .LBB227_103
; %bb.102:
	ds_read_b32 v16, v21
	s_waitcnt lgkmcnt(0)
	s_nop 0
	v_mov_b32_dpp v34, v16 row_shr:1 row_mask:0xf bank_mask:0xf
	v_cndmask_b32_e64 v34, v34, 0, s[18:19]
	v_add_u32_e32 v16, v34, v16
	ds_write_b32 v21, v16
.LBB227_103:
	s_or_b64 exec, exec, s[30:31]
	v_cmp_lt_u32_e64 s[30:31], 63, v46
	v_add_u32_e32 v34, -4, v23
	v_mov_b32_e32 v16, 0
	v_mov_b32_e32 v83, 0
	s_waitcnt lgkmcnt(0)
	s_barrier
	s_and_saveexec_b64 s[36:37], s[30:31]
	s_cbranch_execz .LBB227_105
; %bb.104:
	ds_read_b32 v83, v34
.LBB227_105:
	s_or_b64 exec, exec, s[36:37]
	v_add_u32_e32 v35, -1, v26
	v_and_b32_e32 v84, 64, v26
	v_cmp_lt_i32_e64 s[36:37], v35, v84
	v_cndmask_b32_e64 v35, v35, v26, s[36:37]
	v_lshlrev_b32_e32 v35, 2, v35
	s_waitcnt lgkmcnt(0)
	v_add_u32_e32 v17, v83, v17
	ds_bpermute_b32 v17, v35, v17
	v_cmp_eq_u32_e64 s[36:37], 0, v26
	v_cmp_eq_u32_e64 s[38:39], 0, v46
	v_and_or_b32 v36, v26, 63, v36
	v_lshlrev_b32_e32 v84, 1, v36
	s_waitcnt lgkmcnt(0)
	v_cndmask_b32_e64 v17, v17, v83, s[36:37]
	v_cndmask_b32_e64 v17, v17, 0, s[38:39]
	v_add_u32_e32 v18, v17, v18
	v_add_u32_e32 v19, v18, v19
	;; [unrolled: 1-line block ×3, first 2 shown]
	ds_write2_b32 v64, v17, v18 offset0:2 offset1:3
	ds_write2_b32 v22, v19, v20 offset0:2 offset1:3
	s_waitcnt lgkmcnt(0)
	s_barrier
	ds_read_b32 v17, v37 offset:8
	ds_read_b32 v18, v40 offset:8
	;; [unrolled: 1-line block ×8, first 2 shown]
	s_waitcnt lgkmcnt(7)
	v_add_u32_e32 v17, v17, v38
	s_waitcnt lgkmcnt(6)
	v_add3_u32 v18, v41, v39, v18
	s_waitcnt lgkmcnt(4)
	v_add3_u32 v38, v70, v68, v20
	v_lshlrev_b32_e32 v20, 1, v17
	v_add3_u32 v19, v67, v65, v19
	s_waitcnt lgkmcnt(0)
	s_barrier
	ds_write_b16 v20, v33
	v_lshlrev_b32_e32 v20, 1, v18
	ds_write_b16 v20, v32
	v_lshlrev_b32_e32 v20, 1, v19
	v_add3_u32 v39, v73, v71, v26
	ds_write_b16 v20, v31
	v_lshlrev_b32_e32 v20, 1, v38
	v_add3_u32 v37, v76, v74, v37
	;; [unrolled: 3-line block ×4, first 2 shown]
	ds_write_b16 v20, v28
	v_lshlrev_b32_e32 v20, 1, v40
	ds_write_b16 v20, v27
	v_lshlrev_b32_e32 v20, 1, v41
	v_lshlrev_b32_e32 v17, 3, v17
	s_min_u32 s40, s40, 8
	ds_write_b16 v20, v25
	s_waitcnt lgkmcnt(0)
	s_barrier
	ds_read_u16 v31, v84
	ds_read_u16 v30, v84 offset:128
	ds_read_u16 v29, v84 offset:256
	;; [unrolled: 1-line block ×7, first 2 shown]
	s_waitcnt lgkmcnt(0)
	s_barrier
	ds_write_b64 v17, v[12:13]
	v_lshlrev_b32_e32 v12, 3, v18
	s_lshl_b32 s40, -1, s40
	s_movk_i32 s50, 0x8000
	ds_write_b64 v12, v[14:15]
	v_lshlrev_b32_e32 v12, 3, v19
	s_not_b32 s49, s40
	v_lshrrev_b16_e32 v17, 8, v31
	v_mov_b32_e32 v18, 0x7f
	v_cmp_ne_u16_e64 s[40:41], s50, v31
	ds_write_b64 v12, v[8:9]
	v_lshlrev_b32_e32 v8, 3, v38
	v_cndmask_b32_e64 v17, v18, v17, s[40:41]
	ds_write_b64 v8, v[10:11]
	v_lshlrev_b32_e32 v8, 3, v39
	v_and_b32_sdwa v19, v17, s49 dst_sel:DWORD dst_unused:UNUSED_PAD src0_sel:WORD_0 src1_sel:DWORD
	ds_write_b64 v8, v[4:5]
	v_lshlrev_b32_e32 v4, 3, v37
	v_lshlrev_b32_e32 v17, 1, v19
	ds_write_b64 v4, v[6:7]
	v_lshlrev_b32_e32 v4, 3, v40
	v_add_lshl_u32 v32, v17, v24, 2
	v_and_b32_e32 v17, 1, v19
	v_lshlrev_b32_e32 v36, 3, v36
	ds_write_b64 v4, v[0:1]
	v_lshlrev_b32_e32 v0, 3, v41
	v_add_co_u32_e64 v33, s[40:41], -1, v17
	ds_write_b64 v0, v[2:3]
	s_waitcnt lgkmcnt(0)
	s_barrier
	ds_read2st64_b64 v[12:15], v36 offset1:1
	ds_read2st64_b64 v[8:11], v36 offset0:2 offset1:3
	ds_read2st64_b64 v[4:7], v36 offset0:4 offset1:5
	;; [unrolled: 1-line block ×3, first 2 shown]
	v_addc_co_u32_e64 v36, s[40:41], 0, -1, s[40:41]
	v_cmp_ne_u32_e64 s[40:41], 0, v17
	v_xor_b32_e32 v17, s41, v36
	v_and_b32_e32 v36, exec_hi, v17
	v_lshlrev_b32_e32 v17, 30, v19
	v_xor_b32_e32 v33, s40, v33
	v_cmp_gt_i64_e64 s[40:41], 0, v[16:17]
	v_not_b32_e32 v17, v17
	v_ashrrev_i32_e32 v17, 31, v17
	v_and_b32_e32 v33, exec_lo, v33
	v_xor_b32_e32 v37, s41, v17
	v_xor_b32_e32 v17, s40, v17
	v_and_b32_e32 v33, v33, v17
	v_lshlrev_b32_e32 v17, 29, v19
	v_cmp_gt_i64_e64 s[40:41], 0, v[16:17]
	v_not_b32_e32 v17, v17
	v_ashrrev_i32_e32 v17, 31, v17
	v_and_b32_e32 v36, v36, v37
	v_xor_b32_e32 v37, s41, v17
	v_xor_b32_e32 v17, s40, v17
	v_and_b32_e32 v33, v33, v17
	v_lshlrev_b32_e32 v17, 28, v19
	v_cmp_gt_i64_e64 s[40:41], 0, v[16:17]
	v_not_b32_e32 v17, v17
	v_ashrrev_i32_e32 v17, 31, v17
	v_and_b32_e32 v36, v36, v37
	;; [unrolled: 8-line block ×5, first 2 shown]
	v_xor_b32_e32 v37, s41, v17
	v_xor_b32_e32 v17, s40, v17
	v_and_b32_e32 v33, v33, v17
	v_lshlrev_b32_e32 v17, 24, v19
	s_waitcnt lgkmcnt(0)
	s_barrier
	ds_write2_b32 v64, v16, v16 offset0:2 offset1:3
	ds_write2_b32 v22, v16, v16 offset0:2 offset1:3
	v_cmp_gt_i64_e64 s[40:41], 0, v[16:17]
	v_not_b32_e32 v16, v17
	v_ashrrev_i32_e32 v16, 31, v16
	v_xor_b32_e32 v17, s41, v16
	v_xor_b32_e32 v16, s40, v16
	v_and_b32_e32 v36, v36, v37
	v_and_b32_e32 v16, v33, v16
	;; [unrolled: 1-line block ×3, first 2 shown]
	v_mbcnt_lo_u32_b32 v19, v16, 0
	v_mbcnt_hi_u32_b32 v33, v17, v19
	v_cmp_eq_u32_e64 s[40:41], 0, v33
	v_cmp_ne_u64_e64 s[42:43], 0, v[16:17]
	s_and_b64 s[42:43], s[42:43], s[40:41]
	s_waitcnt lgkmcnt(0)
	s_barrier
	s_waitcnt lgkmcnt(0)
	; wave barrier
	s_and_saveexec_b64 s[40:41], s[42:43]
	s_cbranch_execz .LBB227_107
; %bb.106:
	v_bcnt_u32_b32 v16, v16, 0
	v_bcnt_u32_b32 v16, v17, v16
	ds_write_b32 v32, v16 offset:8
.LBB227_107:
	s_or_b64 exec, exec, s[40:41]
	v_lshrrev_b16_e32 v16, 8, v30
	v_cmp_ne_u16_e64 s[40:41], s50, v30
	v_cndmask_b32_e64 v16, v18, v16, s[40:41]
	v_and_b32_e32 v18, s49, v16
	v_and_b32_e32 v17, 1, v18
	v_add_co_u32_e64 v19, s[40:41], -1, v17
	v_addc_co_u32_e64 v38, s[40:41], 0, -1, s[40:41]
	v_cmp_ne_u32_e64 s[40:41], 0, v17
	v_lshlrev_b32_e32 v16, 1, v18
	v_xor_b32_e32 v17, s41, v38
	v_add_lshl_u32 v37, v16, v24, 2
	v_mov_b32_e32 v16, 0
	v_and_b32_e32 v38, exec_hi, v17
	v_lshlrev_b32_e32 v17, 30, v18
	v_xor_b32_e32 v19, s40, v19
	v_cmp_gt_i64_e64 s[40:41], 0, v[16:17]
	v_not_b32_e32 v17, v17
	v_ashrrev_i32_e32 v17, 31, v17
	v_and_b32_e32 v19, exec_lo, v19
	v_xor_b32_e32 v39, s41, v17
	v_xor_b32_e32 v17, s40, v17
	v_and_b32_e32 v19, v19, v17
	v_lshlrev_b32_e32 v17, 29, v18
	v_cmp_gt_i64_e64 s[40:41], 0, v[16:17]
	v_not_b32_e32 v17, v17
	v_ashrrev_i32_e32 v17, 31, v17
	v_and_b32_e32 v38, v38, v39
	v_xor_b32_e32 v39, s41, v17
	v_xor_b32_e32 v17, s40, v17
	v_and_b32_e32 v19, v19, v17
	v_lshlrev_b32_e32 v17, 28, v18
	v_cmp_gt_i64_e64 s[40:41], 0, v[16:17]
	v_not_b32_e32 v17, v17
	v_ashrrev_i32_e32 v17, 31, v17
	v_and_b32_e32 v38, v38, v39
	;; [unrolled: 8-line block ×5, first 2 shown]
	v_xor_b32_e32 v39, s41, v17
	v_xor_b32_e32 v17, s40, v17
	v_and_b32_e32 v38, v38, v39
	v_and_b32_e32 v39, v19, v17
	v_lshlrev_b32_e32 v17, 24, v18
	v_cmp_gt_i64_e64 s[40:41], 0, v[16:17]
	v_not_b32_e32 v17, v17
	v_ashrrev_i32_e32 v17, 31, v17
	v_xor_b32_e32 v18, s41, v17
	v_xor_b32_e32 v17, s40, v17
	; wave barrier
	ds_read_b32 v36, v37 offset:8
	v_and_b32_e32 v19, v38, v18
	v_and_b32_e32 v18, v39, v17
	v_mbcnt_lo_u32_b32 v17, v18, 0
	v_mbcnt_hi_u32_b32 v38, v19, v17
	v_cmp_eq_u32_e64 s[40:41], 0, v38
	v_cmp_ne_u64_e64 s[42:43], 0, v[18:19]
	s_and_b64 s[42:43], s[42:43], s[40:41]
	; wave barrier
	s_and_saveexec_b64 s[40:41], s[42:43]
	s_cbranch_execz .LBB227_109
; %bb.108:
	v_bcnt_u32_b32 v17, v18, 0
	v_bcnt_u32_b32 v17, v19, v17
	s_waitcnt lgkmcnt(0)
	v_add_u32_e32 v17, v36, v17
	ds_write_b32 v37, v17 offset:8
.LBB227_109:
	s_or_b64 exec, exec, s[40:41]
	v_lshrrev_b16_e32 v17, 8, v29
	v_mov_b32_e32 v18, 0x7f
	v_cmp_ne_u16_e64 s[40:41], s50, v29
	v_cndmask_b32_e64 v17, v18, v17, s[40:41]
	v_and_b32_e32 v19, s49, v17
	v_lshlrev_b32_e32 v17, 1, v19
	v_add_lshl_u32 v40, v17, v24, 2
	v_and_b32_e32 v17, 1, v19
	v_add_co_u32_e64 v41, s[40:41], -1, v17
	v_addc_co_u32_e64 v46, s[40:41], 0, -1, s[40:41]
	v_cmp_ne_u32_e64 s[40:41], 0, v17
	v_xor_b32_e32 v17, s41, v46
	v_and_b32_e32 v46, exec_hi, v17
	v_lshlrev_b32_e32 v17, 30, v19
	v_xor_b32_e32 v41, s40, v41
	v_cmp_gt_i64_e64 s[40:41], 0, v[16:17]
	v_not_b32_e32 v17, v17
	v_ashrrev_i32_e32 v17, 31, v17
	v_and_b32_e32 v41, exec_lo, v41
	v_xor_b32_e32 v65, s41, v17
	v_xor_b32_e32 v17, s40, v17
	v_and_b32_e32 v41, v41, v17
	v_lshlrev_b32_e32 v17, 29, v19
	v_cmp_gt_i64_e64 s[40:41], 0, v[16:17]
	v_not_b32_e32 v17, v17
	v_ashrrev_i32_e32 v17, 31, v17
	v_and_b32_e32 v46, v46, v65
	v_xor_b32_e32 v65, s41, v17
	v_xor_b32_e32 v17, s40, v17
	v_and_b32_e32 v41, v41, v17
	v_lshlrev_b32_e32 v17, 28, v19
	v_cmp_gt_i64_e64 s[40:41], 0, v[16:17]
	v_not_b32_e32 v17, v17
	v_ashrrev_i32_e32 v17, 31, v17
	v_and_b32_e32 v46, v46, v65
	;; [unrolled: 8-line block ×5, first 2 shown]
	v_xor_b32_e32 v65, s41, v17
	v_xor_b32_e32 v17, s40, v17
	v_and_b32_e32 v41, v41, v17
	v_lshlrev_b32_e32 v17, 24, v19
	v_cmp_gt_i64_e64 s[40:41], 0, v[16:17]
	v_not_b32_e32 v16, v17
	v_ashrrev_i32_e32 v16, 31, v16
	v_xor_b32_e32 v17, s41, v16
	v_xor_b32_e32 v16, s40, v16
	; wave barrier
	ds_read_b32 v39, v40 offset:8
	v_and_b32_e32 v46, v46, v65
	v_and_b32_e32 v16, v41, v16
	;; [unrolled: 1-line block ×3, first 2 shown]
	v_mbcnt_lo_u32_b32 v19, v16, 0
	v_mbcnt_hi_u32_b32 v41, v17, v19
	v_cmp_eq_u32_e64 s[40:41], 0, v41
	v_cmp_ne_u64_e64 s[42:43], 0, v[16:17]
	s_and_b64 s[42:43], s[42:43], s[40:41]
	; wave barrier
	s_and_saveexec_b64 s[40:41], s[42:43]
	s_cbranch_execz .LBB227_111
; %bb.110:
	v_bcnt_u32_b32 v16, v16, 0
	v_bcnt_u32_b32 v16, v17, v16
	s_waitcnt lgkmcnt(0)
	v_add_u32_e32 v16, v39, v16
	ds_write_b32 v40, v16 offset:8
.LBB227_111:
	s_or_b64 exec, exec, s[40:41]
	v_lshrrev_b16_e32 v16, 8, v28
	v_cmp_ne_u16_e64 s[40:41], s50, v28
	v_cndmask_b32_e64 v16, v18, v16, s[40:41]
	v_and_b32_e32 v18, s49, v16
	v_and_b32_e32 v17, 1, v18
	v_add_co_u32_e64 v19, s[40:41], -1, v17
	v_addc_co_u32_e64 v66, s[40:41], 0, -1, s[40:41]
	v_cmp_ne_u32_e64 s[40:41], 0, v17
	v_lshlrev_b32_e32 v16, 1, v18
	v_xor_b32_e32 v17, s41, v66
	v_add_lshl_u32 v65, v16, v24, 2
	v_mov_b32_e32 v16, 0
	v_and_b32_e32 v66, exec_hi, v17
	v_lshlrev_b32_e32 v17, 30, v18
	v_xor_b32_e32 v19, s40, v19
	v_cmp_gt_i64_e64 s[40:41], 0, v[16:17]
	v_not_b32_e32 v17, v17
	v_ashrrev_i32_e32 v17, 31, v17
	v_and_b32_e32 v19, exec_lo, v19
	v_xor_b32_e32 v67, s41, v17
	v_xor_b32_e32 v17, s40, v17
	v_and_b32_e32 v19, v19, v17
	v_lshlrev_b32_e32 v17, 29, v18
	v_cmp_gt_i64_e64 s[40:41], 0, v[16:17]
	v_not_b32_e32 v17, v17
	v_ashrrev_i32_e32 v17, 31, v17
	v_and_b32_e32 v66, v66, v67
	v_xor_b32_e32 v67, s41, v17
	v_xor_b32_e32 v17, s40, v17
	v_and_b32_e32 v19, v19, v17
	v_lshlrev_b32_e32 v17, 28, v18
	v_cmp_gt_i64_e64 s[40:41], 0, v[16:17]
	v_not_b32_e32 v17, v17
	v_ashrrev_i32_e32 v17, 31, v17
	v_and_b32_e32 v66, v66, v67
	;; [unrolled: 8-line block ×5, first 2 shown]
	v_xor_b32_e32 v67, s41, v17
	v_xor_b32_e32 v17, s40, v17
	v_and_b32_e32 v66, v66, v67
	v_and_b32_e32 v67, v19, v17
	v_lshlrev_b32_e32 v17, 24, v18
	v_cmp_gt_i64_e64 s[40:41], 0, v[16:17]
	v_not_b32_e32 v17, v17
	v_ashrrev_i32_e32 v17, 31, v17
	v_xor_b32_e32 v18, s41, v17
	v_xor_b32_e32 v17, s40, v17
	; wave barrier
	ds_read_b32 v46, v65 offset:8
	v_and_b32_e32 v19, v66, v18
	v_and_b32_e32 v18, v67, v17
	v_mbcnt_lo_u32_b32 v17, v18, 0
	v_mbcnt_hi_u32_b32 v66, v19, v17
	v_cmp_eq_u32_e64 s[40:41], 0, v66
	v_cmp_ne_u64_e64 s[42:43], 0, v[18:19]
	s_and_b64 s[42:43], s[42:43], s[40:41]
	; wave barrier
	s_and_saveexec_b64 s[40:41], s[42:43]
	s_cbranch_execz .LBB227_113
; %bb.112:
	v_bcnt_u32_b32 v17, v18, 0
	v_bcnt_u32_b32 v17, v19, v17
	s_waitcnt lgkmcnt(0)
	v_add_u32_e32 v17, v46, v17
	ds_write_b32 v65, v17 offset:8
.LBB227_113:
	s_or_b64 exec, exec, s[40:41]
	v_lshrrev_b16_e32 v17, 8, v27
	v_mov_b32_e32 v18, 0x7f
	v_cmp_ne_u16_e64 s[40:41], s50, v27
	v_cndmask_b32_e64 v17, v18, v17, s[40:41]
	v_and_b32_e32 v19, s49, v17
	v_lshlrev_b32_e32 v17, 1, v19
	v_add_lshl_u32 v68, v17, v24, 2
	v_and_b32_e32 v17, 1, v19
	v_add_co_u32_e64 v69, s[40:41], -1, v17
	v_addc_co_u32_e64 v70, s[40:41], 0, -1, s[40:41]
	v_cmp_ne_u32_e64 s[40:41], 0, v17
	v_xor_b32_e32 v17, s41, v70
	v_and_b32_e32 v70, exec_hi, v17
	v_lshlrev_b32_e32 v17, 30, v19
	v_xor_b32_e32 v69, s40, v69
	v_cmp_gt_i64_e64 s[40:41], 0, v[16:17]
	v_not_b32_e32 v17, v17
	v_ashrrev_i32_e32 v17, 31, v17
	v_and_b32_e32 v69, exec_lo, v69
	v_xor_b32_e32 v71, s41, v17
	v_xor_b32_e32 v17, s40, v17
	v_and_b32_e32 v69, v69, v17
	v_lshlrev_b32_e32 v17, 29, v19
	v_cmp_gt_i64_e64 s[40:41], 0, v[16:17]
	v_not_b32_e32 v17, v17
	v_ashrrev_i32_e32 v17, 31, v17
	v_and_b32_e32 v70, v70, v71
	v_xor_b32_e32 v71, s41, v17
	v_xor_b32_e32 v17, s40, v17
	v_and_b32_e32 v69, v69, v17
	v_lshlrev_b32_e32 v17, 28, v19
	v_cmp_gt_i64_e64 s[40:41], 0, v[16:17]
	v_not_b32_e32 v17, v17
	v_ashrrev_i32_e32 v17, 31, v17
	v_and_b32_e32 v70, v70, v71
	;; [unrolled: 8-line block ×5, first 2 shown]
	v_xor_b32_e32 v71, s41, v17
	v_xor_b32_e32 v17, s40, v17
	v_and_b32_e32 v69, v69, v17
	v_lshlrev_b32_e32 v17, 24, v19
	v_cmp_gt_i64_e64 s[40:41], 0, v[16:17]
	v_not_b32_e32 v16, v17
	v_ashrrev_i32_e32 v16, 31, v16
	v_xor_b32_e32 v17, s41, v16
	v_xor_b32_e32 v16, s40, v16
	; wave barrier
	ds_read_b32 v67, v68 offset:8
	v_and_b32_e32 v70, v70, v71
	v_and_b32_e32 v16, v69, v16
	;; [unrolled: 1-line block ×3, first 2 shown]
	v_mbcnt_lo_u32_b32 v19, v16, 0
	v_mbcnt_hi_u32_b32 v69, v17, v19
	v_cmp_eq_u32_e64 s[40:41], 0, v69
	v_cmp_ne_u64_e64 s[42:43], 0, v[16:17]
	s_and_b64 s[42:43], s[42:43], s[40:41]
	; wave barrier
	s_and_saveexec_b64 s[40:41], s[42:43]
	s_cbranch_execz .LBB227_115
; %bb.114:
	v_bcnt_u32_b32 v16, v16, 0
	v_bcnt_u32_b32 v16, v17, v16
	s_waitcnt lgkmcnt(0)
	v_add_u32_e32 v16, v67, v16
	ds_write_b32 v68, v16 offset:8
.LBB227_115:
	s_or_b64 exec, exec, s[40:41]
	v_lshrrev_b16_e32 v16, 8, v26
	v_cmp_ne_u16_e64 s[40:41], s50, v26
	v_cndmask_b32_e64 v16, v18, v16, s[40:41]
	v_and_b32_e32 v18, s49, v16
	v_and_b32_e32 v17, 1, v18
	v_add_co_u32_e64 v19, s[40:41], -1, v17
	v_addc_co_u32_e64 v72, s[40:41], 0, -1, s[40:41]
	v_cmp_ne_u32_e64 s[40:41], 0, v17
	v_lshlrev_b32_e32 v16, 1, v18
	v_xor_b32_e32 v17, s41, v72
	v_add_lshl_u32 v71, v16, v24, 2
	v_mov_b32_e32 v16, 0
	v_and_b32_e32 v72, exec_hi, v17
	v_lshlrev_b32_e32 v17, 30, v18
	v_xor_b32_e32 v19, s40, v19
	v_cmp_gt_i64_e64 s[40:41], 0, v[16:17]
	v_not_b32_e32 v17, v17
	v_ashrrev_i32_e32 v17, 31, v17
	v_and_b32_e32 v19, exec_lo, v19
	v_xor_b32_e32 v73, s41, v17
	v_xor_b32_e32 v17, s40, v17
	v_and_b32_e32 v19, v19, v17
	v_lshlrev_b32_e32 v17, 29, v18
	v_cmp_gt_i64_e64 s[40:41], 0, v[16:17]
	v_not_b32_e32 v17, v17
	v_ashrrev_i32_e32 v17, 31, v17
	v_and_b32_e32 v72, v72, v73
	v_xor_b32_e32 v73, s41, v17
	v_xor_b32_e32 v17, s40, v17
	v_and_b32_e32 v19, v19, v17
	v_lshlrev_b32_e32 v17, 28, v18
	v_cmp_gt_i64_e64 s[40:41], 0, v[16:17]
	v_not_b32_e32 v17, v17
	v_ashrrev_i32_e32 v17, 31, v17
	v_and_b32_e32 v72, v72, v73
	v_xor_b32_e32 v73, s41, v17
	v_xor_b32_e32 v17, s40, v17
	v_and_b32_e32 v19, v19, v17
	v_lshlrev_b32_e32 v17, 27, v18
	v_cmp_gt_i64_e64 s[40:41], 0, v[16:17]
	v_not_b32_e32 v17, v17
	v_ashrrev_i32_e32 v17, 31, v17
	v_and_b32_e32 v72, v72, v73
	v_xor_b32_e32 v73, s41, v17
	v_xor_b32_e32 v17, s40, v17
	v_and_b32_e32 v19, v19, v17
	v_lshlrev_b32_e32 v17, 26, v18
	v_cmp_gt_i64_e64 s[40:41], 0, v[16:17]
	v_not_b32_e32 v17, v17
	v_ashrrev_i32_e32 v17, 31, v17
	v_and_b32_e32 v72, v72, v73
	v_xor_b32_e32 v73, s41, v17
	v_xor_b32_e32 v17, s40, v17
	v_and_b32_e32 v19, v19, v17
	v_lshlrev_b32_e32 v17, 25, v18
	v_cmp_gt_i64_e64 s[40:41], 0, v[16:17]
	v_not_b32_e32 v17, v17
	v_ashrrev_i32_e32 v17, 31, v17
	v_and_b32_e32 v72, v72, v73
	v_xor_b32_e32 v73, s41, v17
	v_xor_b32_e32 v17, s40, v17
	v_and_b32_e32 v72, v72, v73
	v_and_b32_e32 v73, v19, v17
	v_lshlrev_b32_e32 v17, 24, v18
	v_cmp_gt_i64_e64 s[40:41], 0, v[16:17]
	v_not_b32_e32 v17, v17
	v_ashrrev_i32_e32 v17, 31, v17
	v_xor_b32_e32 v18, s41, v17
	v_xor_b32_e32 v17, s40, v17
	; wave barrier
	ds_read_b32 v70, v71 offset:8
	v_and_b32_e32 v19, v72, v18
	v_and_b32_e32 v18, v73, v17
	v_mbcnt_lo_u32_b32 v17, v18, 0
	v_mbcnt_hi_u32_b32 v72, v19, v17
	v_cmp_eq_u32_e64 s[40:41], 0, v72
	v_cmp_ne_u64_e64 s[42:43], 0, v[18:19]
	s_and_b64 s[42:43], s[42:43], s[40:41]
	; wave barrier
	s_and_saveexec_b64 s[40:41], s[42:43]
	s_cbranch_execz .LBB227_117
; %bb.116:
	v_bcnt_u32_b32 v17, v18, 0
	v_bcnt_u32_b32 v17, v19, v17
	s_waitcnt lgkmcnt(0)
	v_add_u32_e32 v17, v70, v17
	ds_write_b32 v71, v17 offset:8
.LBB227_117:
	s_or_b64 exec, exec, s[40:41]
	v_lshrrev_b16_e32 v17, 8, v25
	v_mov_b32_e32 v18, 0x7f
	v_cmp_ne_u16_e64 s[40:41], s50, v25
	v_cndmask_b32_e64 v17, v18, v17, s[40:41]
	v_and_b32_e32 v19, s49, v17
	v_lshlrev_b32_e32 v17, 1, v19
	v_add_lshl_u32 v74, v17, v24, 2
	v_and_b32_e32 v17, 1, v19
	v_add_co_u32_e64 v75, s[40:41], -1, v17
	v_addc_co_u32_e64 v76, s[40:41], 0, -1, s[40:41]
	v_cmp_ne_u32_e64 s[40:41], 0, v17
	v_xor_b32_e32 v17, s41, v76
	v_and_b32_e32 v76, exec_hi, v17
	v_lshlrev_b32_e32 v17, 30, v19
	v_xor_b32_e32 v75, s40, v75
	v_cmp_gt_i64_e64 s[40:41], 0, v[16:17]
	v_not_b32_e32 v17, v17
	v_ashrrev_i32_e32 v17, 31, v17
	v_and_b32_e32 v75, exec_lo, v75
	v_xor_b32_e32 v77, s41, v17
	v_xor_b32_e32 v17, s40, v17
	v_and_b32_e32 v75, v75, v17
	v_lshlrev_b32_e32 v17, 29, v19
	v_cmp_gt_i64_e64 s[40:41], 0, v[16:17]
	v_not_b32_e32 v17, v17
	v_ashrrev_i32_e32 v17, 31, v17
	v_and_b32_e32 v76, v76, v77
	v_xor_b32_e32 v77, s41, v17
	v_xor_b32_e32 v17, s40, v17
	v_and_b32_e32 v75, v75, v17
	v_lshlrev_b32_e32 v17, 28, v19
	v_cmp_gt_i64_e64 s[40:41], 0, v[16:17]
	v_not_b32_e32 v17, v17
	v_ashrrev_i32_e32 v17, 31, v17
	v_and_b32_e32 v76, v76, v77
	v_xor_b32_e32 v77, s41, v17
	v_xor_b32_e32 v17, s40, v17
	v_and_b32_e32 v75, v75, v17
	v_lshlrev_b32_e32 v17, 27, v19
	v_cmp_gt_i64_e64 s[40:41], 0, v[16:17]
	v_not_b32_e32 v17, v17
	v_ashrrev_i32_e32 v17, 31, v17
	v_and_b32_e32 v76, v76, v77
	v_xor_b32_e32 v77, s41, v17
	v_xor_b32_e32 v17, s40, v17
	v_and_b32_e32 v75, v75, v17
	v_lshlrev_b32_e32 v17, 26, v19
	v_cmp_gt_i64_e64 s[40:41], 0, v[16:17]
	v_not_b32_e32 v17, v17
	v_ashrrev_i32_e32 v17, 31, v17
	v_and_b32_e32 v76, v76, v77
	v_xor_b32_e32 v77, s41, v17
	v_xor_b32_e32 v17, s40, v17
	v_and_b32_e32 v75, v75, v17
	v_lshlrev_b32_e32 v17, 25, v19
	v_cmp_gt_i64_e64 s[40:41], 0, v[16:17]
	v_not_b32_e32 v17, v17
	v_ashrrev_i32_e32 v17, 31, v17
	v_and_b32_e32 v76, v76, v77
	v_xor_b32_e32 v77, s41, v17
	v_xor_b32_e32 v17, s40, v17
	v_and_b32_e32 v75, v75, v17
	v_lshlrev_b32_e32 v17, 24, v19
	v_cmp_gt_i64_e64 s[40:41], 0, v[16:17]
	v_not_b32_e32 v16, v17
	v_ashrrev_i32_e32 v16, 31, v16
	v_xor_b32_e32 v17, s41, v16
	v_xor_b32_e32 v16, s40, v16
	; wave barrier
	ds_read_b32 v73, v74 offset:8
	v_and_b32_e32 v76, v76, v77
	v_and_b32_e32 v16, v75, v16
	;; [unrolled: 1-line block ×3, first 2 shown]
	v_mbcnt_lo_u32_b32 v19, v16, 0
	v_mbcnt_hi_u32_b32 v75, v17, v19
	v_cmp_eq_u32_e64 s[40:41], 0, v75
	v_cmp_ne_u64_e64 s[42:43], 0, v[16:17]
	s_and_b64 s[42:43], s[42:43], s[40:41]
	; wave barrier
	s_and_saveexec_b64 s[40:41], s[42:43]
	s_cbranch_execz .LBB227_119
; %bb.118:
	v_bcnt_u32_b32 v16, v16, 0
	v_bcnt_u32_b32 v16, v17, v16
	s_waitcnt lgkmcnt(0)
	v_add_u32_e32 v16, v73, v16
	ds_write_b32 v74, v16 offset:8
.LBB227_119:
	s_or_b64 exec, exec, s[40:41]
	v_lshrrev_b16_e32 v16, 8, v20
	v_cmp_ne_u16_e64 s[40:41], s50, v20
	v_cndmask_b32_e64 v16, v18, v16, s[40:41]
	v_and_b32_e32 v18, s49, v16
	v_and_b32_e32 v17, 1, v18
	v_add_co_u32_e64 v19, s[40:41], -1, v17
	v_addc_co_u32_e64 v77, s[40:41], 0, -1, s[40:41]
	v_cmp_ne_u32_e64 s[40:41], 0, v17
	v_lshlrev_b32_e32 v16, 1, v18
	v_xor_b32_e32 v17, s41, v77
	v_add_lshl_u32 v76, v16, v24, 2
	v_mov_b32_e32 v16, 0
	v_and_b32_e32 v77, exec_hi, v17
	v_lshlrev_b32_e32 v17, 30, v18
	v_xor_b32_e32 v19, s40, v19
	v_cmp_gt_i64_e64 s[40:41], 0, v[16:17]
	v_not_b32_e32 v17, v17
	v_ashrrev_i32_e32 v17, 31, v17
	v_and_b32_e32 v19, exec_lo, v19
	v_xor_b32_e32 v78, s41, v17
	v_xor_b32_e32 v17, s40, v17
	v_and_b32_e32 v19, v19, v17
	v_lshlrev_b32_e32 v17, 29, v18
	v_cmp_gt_i64_e64 s[40:41], 0, v[16:17]
	v_not_b32_e32 v17, v17
	v_ashrrev_i32_e32 v17, 31, v17
	v_and_b32_e32 v77, v77, v78
	v_xor_b32_e32 v78, s41, v17
	v_xor_b32_e32 v17, s40, v17
	v_and_b32_e32 v19, v19, v17
	v_lshlrev_b32_e32 v17, 28, v18
	v_cmp_gt_i64_e64 s[40:41], 0, v[16:17]
	v_not_b32_e32 v17, v17
	v_ashrrev_i32_e32 v17, 31, v17
	v_and_b32_e32 v77, v77, v78
	;; [unrolled: 8-line block ×5, first 2 shown]
	v_xor_b32_e32 v78, s41, v17
	v_xor_b32_e32 v17, s40, v17
	v_and_b32_e32 v19, v19, v17
	v_lshlrev_b32_e32 v17, 24, v18
	v_cmp_gt_i64_e64 s[40:41], 0, v[16:17]
	v_not_b32_e32 v16, v17
	v_ashrrev_i32_e32 v16, 31, v16
	v_xor_b32_e32 v17, s41, v16
	v_xor_b32_e32 v16, s40, v16
	; wave barrier
	ds_read_b32 v24, v76 offset:8
	v_and_b32_e32 v77, v77, v78
	v_and_b32_e32 v16, v19, v16
	v_and_b32_e32 v17, v77, v17
	v_mbcnt_lo_u32_b32 v18, v16, 0
	v_mbcnt_hi_u32_b32 v77, v17, v18
	v_cmp_eq_u32_e64 s[40:41], 0, v77
	v_cmp_ne_u64_e64 s[42:43], 0, v[16:17]
	s_and_b64 s[42:43], s[42:43], s[40:41]
	; wave barrier
	s_and_saveexec_b64 s[40:41], s[42:43]
	s_cbranch_execz .LBB227_121
; %bb.120:
	v_bcnt_u32_b32 v16, v16, 0
	v_bcnt_u32_b32 v16, v17, v16
	s_waitcnt lgkmcnt(0)
	v_add_u32_e32 v16, v24, v16
	ds_write_b32 v76, v16 offset:8
.LBB227_121:
	s_or_b64 exec, exec, s[40:41]
	; wave barrier
	s_waitcnt lgkmcnt(0)
	s_barrier
	ds_read2_b32 v[18:19], v64 offset0:2 offset1:3
	ds_read2_b32 v[16:17], v22 offset0:2 offset1:3
	s_waitcnt lgkmcnt(1)
	v_add_u32_e32 v78, v19, v18
	s_waitcnt lgkmcnt(0)
	v_add3_u32 v17, v78, v16, v17
	s_nop 1
	v_mov_b32_dpp v78, v17 row_shr:1 row_mask:0xf bank_mask:0xf
	v_cndmask_b32_e64 v78, v78, 0, s[20:21]
	v_add_u32_e32 v17, v78, v17
	s_nop 1
	v_mov_b32_dpp v78, v17 row_shr:2 row_mask:0xf bank_mask:0xf
	v_cndmask_b32_e64 v78, 0, v78, s[22:23]
	v_add_u32_e32 v17, v17, v78
	;; [unrolled: 4-line block ×4, first 2 shown]
	s_nop 1
	v_mov_b32_dpp v78, v17 row_bcast:15 row_mask:0xf bank_mask:0xf
	v_cndmask_b32_e64 v78, v78, 0, vcc
	v_add_u32_e32 v17, v17, v78
	s_nop 1
	v_mov_b32_dpp v78, v17 row_bcast:31 row_mask:0xf bank_mask:0xf
	v_cndmask_b32_e64 v78, 0, v78, s[34:35]
	v_add_u32_e32 v78, v17, v78
	s_and_saveexec_b64 s[20:21], s[16:17]
	s_cbranch_execz .LBB227_123
; %bb.122:
	ds_write_b32 v23, v78
.LBB227_123:
	s_or_b64 exec, exec, s[20:21]
	s_waitcnt lgkmcnt(0)
	s_barrier
	s_and_saveexec_b64 s[16:17], s[24:25]
	s_cbranch_execz .LBB227_125
; %bb.124:
	ds_read_b32 v17, v21
	s_waitcnt lgkmcnt(0)
	s_nop 0
	v_mov_b32_dpp v23, v17 row_shr:1 row_mask:0xf bank_mask:0xf
	v_cndmask_b32_e64 v23, v23, 0, s[18:19]
	v_add_u32_e32 v17, v23, v17
	ds_write_b32 v21, v17
.LBB227_125:
	s_or_b64 exec, exec, s[16:17]
	v_mov_b32_e32 v17, 0
	v_mov_b32_e32 v21, 0
	s_waitcnt lgkmcnt(0)
	s_barrier
	s_and_saveexec_b64 s[16:17], s[30:31]
	s_cbranch_execz .LBB227_127
; %bb.126:
	ds_read_b32 v21, v34
.LBB227_127:
	s_or_b64 exec, exec, s[16:17]
	s_waitcnt lgkmcnt(0)
	v_add_u32_e32 v23, v21, v78
	ds_bpermute_b32 v23, v35, v23
	v_lshlrev_b32_e32 v34, 3, v63
	s_mov_b32 s18, 0x5040100
	s_waitcnt lgkmcnt(0)
	v_cndmask_b32_e64 v21, v23, v21, s[36:37]
	v_cndmask_b32_e64 v21, v21, 0, s[38:39]
	v_add_u32_e32 v18, v21, v18
	v_add_u32_e32 v19, v18, v19
	;; [unrolled: 1-line block ×3, first 2 shown]
	ds_write2_b32 v64, v21, v18 offset0:2 offset1:3
	ds_write2_b32 v22, v19, v16 offset0:2 offset1:3
	s_waitcnt lgkmcnt(0)
	s_barrier
	ds_read_b32 v16, v76 offset:8
	ds_read_b32 v18, v74 offset:8
	;; [unrolled: 1-line block ×4, first 2 shown]
	s_waitcnt lgkmcnt(3)
	v_add3_u32 v16, v77, v24, v16
	ds_read_b32 v22, v65 offset:8
	ds_read_b32 v23, v40 offset:8
	;; [unrolled: 1-line block ×4, first 2 shown]
	s_waitcnt lgkmcnt(0)
	s_barrier
	v_add3_u32 v23, v41, v39, v23
	v_add3_u32 v24, v38, v36, v24
	v_add_u32_e32 v32, v32, v33
	v_lshlrev_b32_e32 v33, 1, v32
	ds_write_b16 v33, v31
	v_lshlrev_b32_e32 v31, 1, v24
	v_add3_u32 v22, v66, v46, v22
	ds_write_b16 v31, v30
	v_lshlrev_b32_e32 v30, 1, v23
	v_add3_u32 v21, v69, v67, v21
	;; [unrolled: 3-line block ×4, first 2 shown]
	ds_write_b16 v28, v27
	v_lshlrev_b32_e32 v27, 1, v19
	ds_write_b16 v27, v26
	v_lshlrev_b32_e32 v26, 1, v18
	ds_write_b16 v26, v25
	v_lshlrev_b32_e32 v25, 1, v16
	ds_write_b16 v25, v20
	v_lshlrev_b32_e32 v20, 1, v63
	s_waitcnt lgkmcnt(0)
	s_barrier
	v_lshlrev_b32_e32 v26, 3, v21
	v_lshlrev_b32_e32 v27, 3, v19
	;; [unrolled: 1-line block ×3, first 2 shown]
	ds_read_b128 v[18:21], v20
	v_mov_b32_e32 v40, -1
	v_mov_b32_e32 v41, 0x7fff
	v_lshlrev_b32_e32 v25, 3, v32
	v_lshlrev_b32_e32 v24, 3, v24
	s_waitcnt lgkmcnt(0)
	v_cmp_gt_i16_sdwa vcc, v18, v40 src0_sel:WORD_1 src1_sel:DWORD
	v_cndmask_b32_e32 v29, 0, v41, vcc
	v_cmp_lt_i16_e32 vcc, -1, v18
	v_cndmask_b32_e32 v30, 0, v41, vcc
	v_cmp_lt_i16_sdwa s[16:17], v19, v17 src0_sel:WORD_1 src1_sel:DWORD
	v_cmp_gt_i16_e32 vcc, 0, v19
	v_cndmask_b32_e64 v31, v41, 0, s[16:17]
	v_cndmask_b32_e64 v32, v41, 0, vcc
	v_lshlrev_b32_e32 v23, 3, v23
	v_lshlrev_b32_e32 v22, 3, v22
	v_xor_b32_e32 v32, v32, v19
	v_xor_b32_sdwa v19, v31, v19 dst_sel:DWORD dst_unused:UNUSED_PAD src0_sel:DWORD src1_sel:WORD_1
	v_lshlrev_b32_e32 v16, 3, v16
	v_perm_b32 v39, v19, v32, s18
	v_xor_b32_e32 v19, v30, v18
	v_xor_b32_sdwa v18, v29, v18 dst_sel:DWORD dst_unused:UNUSED_PAD src0_sel:DWORD src1_sel:WORD_1
	s_barrier
	ds_write_b64 v25, v[12:13]
	ds_write_b64 v24, v[14:15]
	ds_write_b64 v23, v[8:9]
	ds_write_b64 v22, v[10:11]
	ds_write_b64 v26, v[4:5]
	ds_write_b64 v27, v[6:7]
	ds_write_b64 v28, v[0:1]
	ds_write_b64 v16, v[2:3]
	s_waitcnt lgkmcnt(0)
	s_barrier
	ds_read2_b64 v[22:25], v34 offset1:1
	ds_read2_b64 v[26:29], v34 offset0:2 offset1:3
	ds_read2_b64 v[30:33], v34 offset0:4 offset1:5
	;; [unrolled: 1-line block ×3, first 2 shown]
	v_cmp_gt_i16_sdwa vcc, v20, v40 src0_sel:WORD_1 src1_sel:DWORD
	v_cndmask_b32_e32 v0, 0, v41, vcc
	v_cmp_lt_i16_e32 vcc, -1, v20
	v_cndmask_b32_e32 v1, 0, v41, vcc
	v_cmp_lt_i16_sdwa s[16:17], v21, v17 src0_sel:WORD_1 src1_sel:DWORD
	v_cmp_gt_i16_e32 vcc, 0, v21
	v_cndmask_b32_e64 v2, v41, 0, s[16:17]
	v_cndmask_b32_e64 v3, v41, 0, vcc
	v_xor_b32_e32 v3, v3, v21
	v_xor_b32_sdwa v2, v2, v21 dst_sel:DWORD dst_unused:UNUSED_PAD src0_sel:DWORD src1_sel:WORD_1
	v_xor_b32_e32 v1, v1, v20
	v_xor_b32_sdwa v0, v0, v20 dst_sel:DWORD dst_unused:UNUSED_PAD src0_sel:DWORD src1_sel:WORD_1
	v_perm_b32 v38, v18, v19, s18
	v_perm_b32 v41, v2, v3, s18
	;; [unrolled: 1-line block ×3, first 2 shown]
.LBB227_128:
	s_waitcnt lgkmcnt(0)
	s_barrier
	ds_write_b128 v54, v[38:41]
	s_waitcnt lgkmcnt(0)
	s_barrier
	ds_read_u16 v8, v43 offset:256
	ds_read_u16 v7, v48 offset:512
	;; [unrolled: 1-line block ×7, first 2 shown]
	v_mov_b32_e32 v43, 0
	v_lshlrev_b64 v[0:1], 1, v[42:43]
	v_mov_b32_e32 v9, s44
	v_add_co_u32_e32 v0, vcc, s33, v0
	v_addc_co_u32_e32 v1, vcc, v9, v1, vcc
	s_and_saveexec_b64 s[16:17], s[0:1]
	s_cbranch_execnz .LBB227_147
; %bb.129:
	s_or_b64 exec, exec, s[16:17]
	s_and_saveexec_b64 s[16:17], s[2:3]
	s_cbranch_execnz .LBB227_148
.LBB227_130:
	s_or_b64 exec, exec, s[16:17]
	s_and_saveexec_b64 s[16:17], s[4:5]
	s_cbranch_execnz .LBB227_149
.LBB227_131:
	s_or_b64 exec, exec, s[16:17]
	s_and_saveexec_b64 s[16:17], s[6:7]
	s_cbranch_execnz .LBB227_150
.LBB227_132:
	s_or_b64 exec, exec, s[16:17]
	s_and_saveexec_b64 s[16:17], s[8:9]
	s_cbranch_execnz .LBB227_151
.LBB227_133:
	s_or_b64 exec, exec, s[16:17]
	s_and_saveexec_b64 s[16:17], s[10:11]
	s_cbranch_execnz .LBB227_152
.LBB227_134:
	s_or_b64 exec, exec, s[16:17]
	s_and_saveexec_b64 s[16:17], s[12:13]
	s_cbranch_execnz .LBB227_153
.LBB227_135:
	s_or_b64 exec, exec, s[16:17]
	s_and_saveexec_b64 s[16:17], s[14:15]
	s_cbranch_execz .LBB227_137
.LBB227_136:
	s_mul_i32 s18, s46, 0x380
	s_mov_b32 s19, 0
	s_lshl_b64 s[18:19], s[18:19], 1
	s_waitcnt lgkmcnt(1)
	v_mov_b32_e32 v3, s19
	v_add_co_u32_e32 v0, vcc, s18, v0
	v_addc_co_u32_e32 v1, vcc, v1, v3, vcc
	s_waitcnt lgkmcnt(0)
	global_store_short v[0:1], v2, off
.LBB227_137:
	s_or_b64 exec, exec, s[16:17]
	s_waitcnt lgkmcnt(0)
	s_barrier
	ds_write2_b64 v62, v[22:23], v[24:25] offset1:1
	ds_write2_b64 v62, v[26:27], v[28:29] offset0:2 offset1:3
	ds_write2_b64 v62, v[30:31], v[32:33] offset0:4 offset1:5
	;; [unrolled: 1-line block ×3, first 2 shown]
	s_waitcnt lgkmcnt(0)
	s_barrier
	ds_read_b64 v[14:15], v45 offset:1024
	ds_read_b64 v[12:13], v56 offset:2048
	;; [unrolled: 1-line block ×7, first 2 shown]
	v_mov_b32_e32 v45, 0
	v_lshlrev_b64 v[2:3], 3, v[44:45]
	v_mov_b32_e32 v16, s47
	v_add_co_u32_e32 v2, vcc, s45, v2
	v_addc_co_u32_e32 v3, vcc, v16, v3, vcc
	s_and_saveexec_b64 s[16:17], s[0:1]
	s_cbranch_execnz .LBB227_154
; %bb.138:
	s_or_b64 exec, exec, s[16:17]
	s_and_saveexec_b64 s[0:1], s[2:3]
	s_cbranch_execnz .LBB227_155
.LBB227_139:
	s_or_b64 exec, exec, s[0:1]
	s_and_saveexec_b64 s[0:1], s[4:5]
	s_cbranch_execnz .LBB227_156
.LBB227_140:
	s_or_b64 exec, exec, s[0:1]
	s_and_saveexec_b64 s[0:1], s[6:7]
	s_cbranch_execnz .LBB227_157
.LBB227_141:
	s_or_b64 exec, exec, s[0:1]
	s_and_saveexec_b64 s[0:1], s[8:9]
	s_cbranch_execnz .LBB227_158
.LBB227_142:
	s_or_b64 exec, exec, s[0:1]
	s_and_saveexec_b64 s[0:1], s[10:11]
	s_cbranch_execnz .LBB227_159
.LBB227_143:
	s_or_b64 exec, exec, s[0:1]
	s_and_saveexec_b64 s[0:1], s[12:13]
	s_cbranch_execnz .LBB227_160
.LBB227_144:
	s_or_b64 exec, exec, s[0:1]
	s_and_saveexec_b64 s[0:1], s[14:15]
	s_cbranch_execz .LBB227_146
.LBB227_145:
	s_mul_i32 s0, s48, 0x380
	s_mov_b32 s1, 0
	s_lshl_b64 s[0:1], s[0:1], 3
	s_waitcnt lgkmcnt(1)
	v_mov_b32_e32 v4, s1
	v_add_co_u32_e32 v2, vcc, s0, v2
	v_addc_co_u32_e32 v3, vcc, v3, v4, vcc
	s_waitcnt lgkmcnt(0)
	global_store_dwordx2 v[2:3], v[0:1], off
.LBB227_146:
	s_endpgm
.LBB227_147:
	ds_read_u16 v9, v47
	s_waitcnt lgkmcnt(0)
	global_store_short v[0:1], v9, off
	s_or_b64 exec, exec, s[16:17]
	s_and_saveexec_b64 s[16:17], s[2:3]
	s_cbranch_execz .LBB227_130
.LBB227_148:
	s_lshl_b32 s18, s46, 7
	s_mov_b32 s19, 0
	s_lshl_b64 s[18:19], s[18:19], 1
	v_mov_b32_e32 v9, s19
	v_add_co_u32_e32 v10, vcc, s18, v0
	v_addc_co_u32_e32 v11, vcc, v1, v9, vcc
	s_waitcnt lgkmcnt(6)
	global_store_short v[10:11], v8, off
	s_or_b64 exec, exec, s[16:17]
	s_and_saveexec_b64 s[16:17], s[4:5]
	s_cbranch_execz .LBB227_131
.LBB227_149:
	s_lshl_b32 s18, s46, 8
	s_mov_b32 s19, 0
	s_lshl_b64 s[18:19], s[18:19], 1
	v_mov_b32_e32 v9, s19
	s_waitcnt lgkmcnt(6)
	v_add_co_u32_e32 v8, vcc, s18, v0
	v_addc_co_u32_e32 v9, vcc, v1, v9, vcc
	s_waitcnt lgkmcnt(5)
	global_store_short v[8:9], v7, off
	s_or_b64 exec, exec, s[16:17]
	s_and_saveexec_b64 s[16:17], s[6:7]
	s_cbranch_execz .LBB227_132
.LBB227_150:
	s_mul_i32 s18, s46, 0x180
	s_mov_b32 s19, 0
	s_lshl_b64 s[18:19], s[18:19], 1
	s_waitcnt lgkmcnt(5)
	v_mov_b32_e32 v7, s19
	v_add_co_u32_e32 v8, vcc, s18, v0
	v_addc_co_u32_e32 v9, vcc, v1, v7, vcc
	s_waitcnt lgkmcnt(4)
	global_store_short v[8:9], v6, off
	s_or_b64 exec, exec, s[16:17]
	s_and_saveexec_b64 s[16:17], s[8:9]
	s_cbranch_execz .LBB227_133
.LBB227_151:
	s_lshl_b32 s18, s46, 9
	s_mov_b32 s19, 0
	s_lshl_b64 s[18:19], s[18:19], 1
	s_waitcnt lgkmcnt(5)
	v_mov_b32_e32 v7, s19
	s_waitcnt lgkmcnt(4)
	v_add_co_u32_e32 v6, vcc, s18, v0
	v_addc_co_u32_e32 v7, vcc, v1, v7, vcc
	s_waitcnt lgkmcnt(3)
	global_store_short v[6:7], v5, off
	s_or_b64 exec, exec, s[16:17]
	s_and_saveexec_b64 s[16:17], s[10:11]
	s_cbranch_execz .LBB227_134
.LBB227_152:
	s_mul_i32 s18, s46, 0x280
	s_mov_b32 s19, 0
	s_lshl_b64 s[18:19], s[18:19], 1
	s_waitcnt lgkmcnt(3)
	v_mov_b32_e32 v5, s19
	v_add_co_u32_e32 v6, vcc, s18, v0
	v_addc_co_u32_e32 v7, vcc, v1, v5, vcc
	s_waitcnt lgkmcnt(2)
	global_store_short v[6:7], v4, off
	s_or_b64 exec, exec, s[16:17]
	s_and_saveexec_b64 s[16:17], s[12:13]
	s_cbranch_execz .LBB227_135
.LBB227_153:
	s_mul_i32 s18, s46, 0x300
	s_mov_b32 s19, 0
	s_lshl_b64 s[18:19], s[18:19], 1
	s_waitcnt lgkmcnt(3)
	v_mov_b32_e32 v5, s19
	s_waitcnt lgkmcnt(2)
	v_add_co_u32_e32 v4, vcc, s18, v0
	v_addc_co_u32_e32 v5, vcc, v1, v5, vcc
	s_waitcnt lgkmcnt(1)
	global_store_short v[4:5], v3, off
	s_or_b64 exec, exec, s[16:17]
	s_and_saveexec_b64 s[16:17], s[14:15]
	s_cbranch_execnz .LBB227_136
	s_branch .LBB227_137
.LBB227_154:
	ds_read_b64 v[16:17], v55
	s_waitcnt lgkmcnt(0)
	global_store_dwordx2 v[2:3], v[16:17], off
	s_or_b64 exec, exec, s[16:17]
	s_and_saveexec_b64 s[0:1], s[2:3]
	s_cbranch_execz .LBB227_139
.LBB227_155:
	s_lshl_b32 s2, s48, 7
	s_mov_b32 s3, 0
	s_lshl_b64 s[2:3], s[2:3], 3
	v_mov_b32_e32 v17, s3
	v_add_co_u32_e32 v16, vcc, s2, v2
	v_addc_co_u32_e32 v17, vcc, v3, v17, vcc
	s_waitcnt lgkmcnt(6)
	global_store_dwordx2 v[16:17], v[14:15], off
	s_or_b64 exec, exec, s[0:1]
	s_and_saveexec_b64 s[0:1], s[4:5]
	s_cbranch_execz .LBB227_140
.LBB227_156:
	s_lshl_b32 s2, s48, 8
	s_mov_b32 s3, 0
	s_lshl_b64 s[2:3], s[2:3], 3
	s_waitcnt lgkmcnt(6)
	v_mov_b32_e32 v15, s3
	v_add_co_u32_e32 v14, vcc, s2, v2
	v_addc_co_u32_e32 v15, vcc, v3, v15, vcc
	s_waitcnt lgkmcnt(5)
	global_store_dwordx2 v[14:15], v[12:13], off
	s_or_b64 exec, exec, s[0:1]
	s_and_saveexec_b64 s[0:1], s[6:7]
	s_cbranch_execz .LBB227_141
.LBB227_157:
	s_mul_i32 s2, s48, 0x180
	s_mov_b32 s3, 0
	s_lshl_b64 s[2:3], s[2:3], 3
	s_waitcnt lgkmcnt(5)
	v_mov_b32_e32 v13, s3
	v_add_co_u32_e32 v12, vcc, s2, v2
	v_addc_co_u32_e32 v13, vcc, v3, v13, vcc
	s_waitcnt lgkmcnt(4)
	global_store_dwordx2 v[12:13], v[10:11], off
	s_or_b64 exec, exec, s[0:1]
	s_and_saveexec_b64 s[0:1], s[8:9]
	s_cbranch_execz .LBB227_142
.LBB227_158:
	s_lshl_b32 s2, s48, 9
	s_mov_b32 s3, 0
	s_lshl_b64 s[2:3], s[2:3], 3
	s_waitcnt lgkmcnt(4)
	v_mov_b32_e32 v11, s3
	v_add_co_u32_e32 v10, vcc, s2, v2
	v_addc_co_u32_e32 v11, vcc, v3, v11, vcc
	s_waitcnt lgkmcnt(3)
	global_store_dwordx2 v[10:11], v[8:9], off
	s_or_b64 exec, exec, s[0:1]
	s_and_saveexec_b64 s[0:1], s[10:11]
	s_cbranch_execz .LBB227_143
.LBB227_159:
	s_mul_i32 s2, s48, 0x280
	s_mov_b32 s3, 0
	s_lshl_b64 s[2:3], s[2:3], 3
	s_waitcnt lgkmcnt(3)
	v_mov_b32_e32 v9, s3
	v_add_co_u32_e32 v8, vcc, s2, v2
	v_addc_co_u32_e32 v9, vcc, v3, v9, vcc
	s_waitcnt lgkmcnt(2)
	global_store_dwordx2 v[8:9], v[6:7], off
	s_or_b64 exec, exec, s[0:1]
	s_and_saveexec_b64 s[0:1], s[12:13]
	s_cbranch_execz .LBB227_144
.LBB227_160:
	s_mul_i32 s2, s48, 0x300
	s_mov_b32 s3, 0
	s_lshl_b64 s[2:3], s[2:3], 3
	s_waitcnt lgkmcnt(2)
	v_mov_b32_e32 v7, s3
	v_add_co_u32_e32 v6, vcc, s2, v2
	v_addc_co_u32_e32 v7, vcc, v3, v7, vcc
	s_waitcnt lgkmcnt(1)
	global_store_dwordx2 v[6:7], v[4:5], off
	s_or_b64 exec, exec, s[0:1]
	s_and_saveexec_b64 s[0:1], s[14:15]
	s_cbranch_execnz .LBB227_145
	s_branch .LBB227_146
	.section	.rodata,"a",@progbits
	.p2align	6, 0x0
	.amdhsa_kernel _ZN2at6native18radixSortKVInPlaceILi2ELin1ELi128ELi8EN3c104HalfEljEEvNS_4cuda6detail10TensorInfoIT3_T5_EES8_S8_S8_NS6_IT4_S8_EES8_b
		.amdhsa_group_segment_fixed_size 8448
		.amdhsa_private_segment_fixed_size 0
		.amdhsa_kernarg_size 712
		.amdhsa_user_sgpr_count 6
		.amdhsa_user_sgpr_private_segment_buffer 1
		.amdhsa_user_sgpr_dispatch_ptr 0
		.amdhsa_user_sgpr_queue_ptr 0
		.amdhsa_user_sgpr_kernarg_segment_ptr 1
		.amdhsa_user_sgpr_dispatch_id 0
		.amdhsa_user_sgpr_flat_scratch_init 0
		.amdhsa_user_sgpr_kernarg_preload_length 0
		.amdhsa_user_sgpr_kernarg_preload_offset 0
		.amdhsa_user_sgpr_private_segment_size 0
		.amdhsa_uses_dynamic_stack 0
		.amdhsa_system_sgpr_private_segment_wavefront_offset 0
		.amdhsa_system_sgpr_workgroup_id_x 1
		.amdhsa_system_sgpr_workgroup_id_y 1
		.amdhsa_system_sgpr_workgroup_id_z 1
		.amdhsa_system_sgpr_workgroup_info 0
		.amdhsa_system_vgpr_workitem_id 2
		.amdhsa_next_free_vgpr 108
		.amdhsa_next_free_sgpr 53
		.amdhsa_accum_offset 108
		.amdhsa_reserve_vcc 1
		.amdhsa_reserve_flat_scratch 0
		.amdhsa_float_round_mode_32 0
		.amdhsa_float_round_mode_16_64 0
		.amdhsa_float_denorm_mode_32 3
		.amdhsa_float_denorm_mode_16_64 3
		.amdhsa_dx10_clamp 1
		.amdhsa_ieee_mode 1
		.amdhsa_fp16_overflow 0
		.amdhsa_tg_split 0
		.amdhsa_exception_fp_ieee_invalid_op 0
		.amdhsa_exception_fp_denorm_src 0
		.amdhsa_exception_fp_ieee_div_zero 0
		.amdhsa_exception_fp_ieee_overflow 0
		.amdhsa_exception_fp_ieee_underflow 0
		.amdhsa_exception_fp_ieee_inexact 0
		.amdhsa_exception_int_div_zero 0
	.end_amdhsa_kernel
	.section	.text._ZN2at6native18radixSortKVInPlaceILi2ELin1ELi128ELi8EN3c104HalfEljEEvNS_4cuda6detail10TensorInfoIT3_T5_EES8_S8_S8_NS6_IT4_S8_EES8_b,"axG",@progbits,_ZN2at6native18radixSortKVInPlaceILi2ELin1ELi128ELi8EN3c104HalfEljEEvNS_4cuda6detail10TensorInfoIT3_T5_EES8_S8_S8_NS6_IT4_S8_EES8_b,comdat
.Lfunc_end227:
	.size	_ZN2at6native18radixSortKVInPlaceILi2ELin1ELi128ELi8EN3c104HalfEljEEvNS_4cuda6detail10TensorInfoIT3_T5_EES8_S8_S8_NS6_IT4_S8_EES8_b, .Lfunc_end227-_ZN2at6native18radixSortKVInPlaceILi2ELin1ELi128ELi8EN3c104HalfEljEEvNS_4cuda6detail10TensorInfoIT3_T5_EES8_S8_S8_NS6_IT4_S8_EES8_b
                                        ; -- End function
	.section	.AMDGPU.csdata,"",@progbits
; Kernel info:
; codeLenInByte = 21384
; NumSgprs: 57
; NumVgprs: 108
; NumAgprs: 0
; TotalNumVgprs: 108
; ScratchSize: 0
; MemoryBound: 0
; FloatMode: 240
; IeeeMode: 1
; LDSByteSize: 8448 bytes/workgroup (compile time only)
; SGPRBlocks: 7
; VGPRBlocks: 13
; NumSGPRsForWavesPerEU: 57
; NumVGPRsForWavesPerEU: 108
; AccumOffset: 108
; Occupancy: 4
; WaveLimiterHint : 1
; COMPUTE_PGM_RSRC2:SCRATCH_EN: 0
; COMPUTE_PGM_RSRC2:USER_SGPR: 6
; COMPUTE_PGM_RSRC2:TRAP_HANDLER: 0
; COMPUTE_PGM_RSRC2:TGID_X_EN: 1
; COMPUTE_PGM_RSRC2:TGID_Y_EN: 1
; COMPUTE_PGM_RSRC2:TGID_Z_EN: 1
; COMPUTE_PGM_RSRC2:TIDIG_COMP_CNT: 2
; COMPUTE_PGM_RSRC3_GFX90A:ACCUM_OFFSET: 26
; COMPUTE_PGM_RSRC3_GFX90A:TG_SPLIT: 0
	.section	.text._ZN2at6native18radixSortKVInPlaceILi2ELin1ELi32ELi4EN3c104HalfEljEEvNS_4cuda6detail10TensorInfoIT3_T5_EES8_S8_S8_NS6_IT4_S8_EES8_b,"axG",@progbits,_ZN2at6native18radixSortKVInPlaceILi2ELin1ELi32ELi4EN3c104HalfEljEEvNS_4cuda6detail10TensorInfoIT3_T5_EES8_S8_S8_NS6_IT4_S8_EES8_b,comdat
	.protected	_ZN2at6native18radixSortKVInPlaceILi2ELin1ELi32ELi4EN3c104HalfEljEEvNS_4cuda6detail10TensorInfoIT3_T5_EES8_S8_S8_NS6_IT4_S8_EES8_b ; -- Begin function _ZN2at6native18radixSortKVInPlaceILi2ELin1ELi32ELi4EN3c104HalfEljEEvNS_4cuda6detail10TensorInfoIT3_T5_EES8_S8_S8_NS6_IT4_S8_EES8_b
	.globl	_ZN2at6native18radixSortKVInPlaceILi2ELin1ELi32ELi4EN3c104HalfEljEEvNS_4cuda6detail10TensorInfoIT3_T5_EES8_S8_S8_NS6_IT4_S8_EES8_b
	.p2align	8
	.type	_ZN2at6native18radixSortKVInPlaceILi2ELin1ELi32ELi4EN3c104HalfEljEEvNS_4cuda6detail10TensorInfoIT3_T5_EES8_S8_S8_NS6_IT4_S8_EES8_b,@function
_ZN2at6native18radixSortKVInPlaceILi2ELin1ELi32ELi4EN3c104HalfEljEEvNS_4cuda6detail10TensorInfoIT3_T5_EES8_S8_S8_NS6_IT4_S8_EES8_b: ; @_ZN2at6native18radixSortKVInPlaceILi2ELin1ELi32ELi4EN3c104HalfEljEEvNS_4cuda6detail10TensorInfoIT3_T5_EES8_S8_S8_NS6_IT4_S8_EES8_b
; %bb.0:
	s_load_dwordx2 s[0:1], s[4:5], 0x1c8
	s_load_dwordx4 s[24:27], s[4:5], 0xd8
	s_waitcnt lgkmcnt(0)
	s_mul_i32 s1, s1, s8
	s_add_i32 s1, s1, s7
	s_mul_i32 s12, s1, s0
	s_add_i32 s12, s12, s6
	s_cmp_ge_u32 s12, s24
	s_cbranch_scc1 .LBB228_60
; %bb.1:
	s_load_dword s13, s[4:5], 0xc
	s_load_dwordx2 s[0:1], s[4:5], 0x6c
	s_load_dword s8, s[4:5], 0x1b8
	s_add_u32 s6, s4, 0xe8
	s_load_dwordx2 s[2:3], s[4:5], 0x0
	s_waitcnt lgkmcnt(0)
	v_cvt_f32_u32_e32 v1, s13
	s_addc_u32 s7, s5, 0
	s_sub_i32 s9, 0, s13
	s_mov_b32 s11, 0
	v_rcp_iflag_f32_e32 v1, v1
	v_mul_f32_e32 v1, 0x4f7ffffe, v1
	v_cvt_u32_f32_e32 v1, v1
	v_readfirstlane_b32 s10, v1
	s_mul_i32 s9, s9, s10
	s_mul_hi_u32 s9, s10, s9
	s_add_i32 s10, s10, s9
	s_mul_hi_u32 s14, s12, s10
	s_cmp_lt_i32 s8, 2
	s_mov_b32 s10, s12
	s_cbranch_scc1 .LBB228_4
; %bb.2:
	s_add_i32 s10, s8, -1
	s_add_i32 s15, s8, 1
	s_lshl_b64 s[8:9], s[10:11], 2
	s_add_u32 s8, s8, s6
	s_addc_u32 s9, s9, s7
	s_add_u32 s8, s8, 8
	s_addc_u32 s9, s9, 0
	s_mov_b32 s10, s12
.LBB228_3:                              ; =>This Inner Loop Header: Depth=1
	s_load_dword s16, s[8:9], 0x0
	s_load_dword s18, s[8:9], 0x64
	s_mov_b32 s17, s10
	s_waitcnt lgkmcnt(0)
	v_cvt_f32_u32_e32 v1, s16
	s_sub_i32 s10, 0, s16
	v_rcp_iflag_f32_e32 v1, v1
	v_mul_f32_e32 v1, 0x4f7ffffe, v1
	v_cvt_u32_f32_e32 v1, v1
	v_readfirstlane_b32 s19, v1
	s_mul_i32 s10, s10, s19
	s_mul_hi_u32 s10, s19, s10
	s_add_i32 s19, s19, s10
	s_mul_hi_u32 s10, s17, s19
	s_mul_i32 s19, s10, s16
	s_sub_i32 s19, s17, s19
	s_add_i32 s20, s10, 1
	s_sub_i32 s21, s19, s16
	s_cmp_ge_u32 s19, s16
	s_cselect_b32 s10, s20, s10
	s_cselect_b32 s19, s21, s19
	s_add_i32 s20, s10, 1
	s_cmp_ge_u32 s19, s16
	s_cselect_b32 s10, s20, s10
	s_mul_i32 s16, s10, s16
	s_sub_i32 s16, s17, s16
	s_mul_i32 s16, s18, s16
	s_add_i32 s15, s15, -1
	s_add_i32 s11, s16, s11
	s_add_u32 s8, s8, -4
	s_addc_u32 s9, s9, -1
	s_cmp_gt_u32 s15, 2
	s_cbranch_scc1 .LBB228_3
.LBB228_4:
	s_mul_i32 s8, s14, s13
	s_sub_i32 s8, s12, s8
	s_add_i32 s9, s14, 1
	s_sub_i32 s15, s8, s13
	s_cmp_ge_u32 s8, s13
	s_cselect_b32 s9, s9, s14
	s_cselect_b32 s8, s15, s8
	s_add_i32 s14, s9, 1
	s_cmp_ge_u32 s8, s13
	s_cselect_b32 s8, s14, s9
	s_load_dwordx2 s[28:29], s[4:5], 0x1c0
	s_mul_i32 s9, s8, s13
	s_sub_i32 s4, s12, s9
	s_mul_i32 s4, s4, s1
	s_mul_i32 s0, s8, s0
	s_add_i32 s0, s0, s4
	s_waitcnt lgkmcnt(0)
	s_bitcmp1_b32 s29, 0
	s_cselect_b64 s[8:9], -1, 0
	s_mov_b32 s1, 0xffff
	s_and_b64 s[4:5], s[8:9], exec
	s_cselect_b32 s16, s1, 0x7fff
	s_mov_b32 s1, 0
	s_lshl_b64 s[0:1], s[0:1], 1
	s_add_u32 s27, s2, s0
	s_addc_u32 s29, s3, s1
	v_cmp_gt_u32_e64 s[0:1], s25, v0
	v_mov_b32_e32 v2, s16
	v_mul_lo_u32 v18, v0, s26
	s_and_saveexec_b64 s[2:3], s[0:1]
	s_cbranch_execz .LBB228_6
; %bb.5:
	v_mov_b32_e32 v19, 0
	v_lshlrev_b64 v[2:3], 1, v[18:19]
	v_mov_b32_e32 v1, s29
	v_add_co_u32_e32 v2, vcc, s27, v2
	v_addc_co_u32_e32 v3, vcc, v1, v3, vcc
	global_load_ushort v2, v[2:3], off
.LBB228_6:
	s_or_b64 exec, exec, s[2:3]
	v_or_b32_e32 v1, 32, v0
	v_cmp_gt_u32_e64 s[2:3], s25, v1
	v_mov_b32_e32 v3, s16
	s_and_saveexec_b64 s[4:5], s[2:3]
	s_cbranch_execz .LBB228_8
; %bb.7:
	v_mul_lo_u32 v4, v1, s26
	v_mov_b32_e32 v5, 0
	v_lshlrev_b64 v[4:5], 1, v[4:5]
	v_mov_b32_e32 v3, s29
	v_add_co_u32_e32 v4, vcc, s27, v4
	v_addc_co_u32_e32 v5, vcc, v3, v5, vcc
	global_load_ushort v3, v[4:5], off
.LBB228_8:
	s_or_b64 exec, exec, s[4:5]
	s_load_dwordx2 s[12:13], s[6:7], 0x0
	v_or_b32_e32 v14, 64, v0
	v_cmp_gt_u32_e64 s[4:5], s25, v14
	v_mov_b32_e32 v4, s16
	s_and_saveexec_b64 s[14:15], s[4:5]
	s_cbranch_execz .LBB228_10
; %bb.9:
	v_mul_lo_u32 v4, v14, s26
	v_mov_b32_e32 v5, 0
	v_lshlrev_b64 v[4:5], 1, v[4:5]
	v_mov_b32_e32 v6, s29
	v_add_co_u32_e32 v4, vcc, s27, v4
	v_addc_co_u32_e32 v5, vcc, v6, v5, vcc
	global_load_ushort v4, v[4:5], off
.LBB228_10:
	s_or_b64 exec, exec, s[14:15]
	s_load_dword s17, s[6:7], 0x6c
	v_or_b32_e32 v11, 0x60, v0
	v_cmp_gt_u32_e64 s[6:7], s25, v11
	v_mov_b32_e32 v5, s16
	s_and_saveexec_b64 s[14:15], s[6:7]
	s_cbranch_execz .LBB228_12
; %bb.11:
	v_mul_lo_u32 v6, v11, s26
	v_mov_b32_e32 v7, 0
	v_lshlrev_b64 v[6:7], 1, v[6:7]
	v_mov_b32_e32 v5, s29
	v_add_co_u32_e32 v6, vcc, s27, v6
	v_addc_co_u32_e32 v7, vcc, v5, v7, vcc
	global_load_ushort v5, v[6:7], off
.LBB228_12:
	s_or_b64 exec, exec, s[14:15]
	v_lshlrev_b32_e32 v34, 1, v0
	v_lshrrev_b32_e32 v13, 5, v14
	s_waitcnt vmcnt(0)
	ds_write_b16 v34, v2
	ds_write_b16 v34, v3 offset:64
	v_and_b32_e32 v2, 2, v13
	v_lshrrev_b32_e32 v12, 5, v11
	v_add_lshl_u32 v19, v2, v0, 1
	v_and_b32_e32 v2, 2, v12
	v_lshlrev_b32_e32 v10, 2, v0
	v_lshrrev_b32_e32 v15, 3, v0
	v_add_lshl_u32 v35, v2, v0, 1
	v_and_or_b32 v2, v15, 2, v10
	v_lshlrev_b32_e32 v36, 1, v2
	s_waitcnt lgkmcnt(0)
	s_mul_i32 s10, s17, s10
	ds_write_b16 v19, v4 offset:128
	ds_write_b16 v35, v5 offset:192
	s_waitcnt lgkmcnt(0)
	; wave barrier
	s_waitcnt lgkmcnt(0)
	ds_read_b64 v[22:23], v36
	s_add_i32 s16, s10, s11
	s_mov_b32 s17, 0
	s_lshl_b64 s[10:11], s[16:17], 3
	s_mov_b32 s16, s17
	s_add_u32 s33, s12, s10
	s_mov_b32 s18, s17
	s_mov_b32 s19, s17
	;; [unrolled: 1-line block ×6, first 2 shown]
	v_pk_mov_b32 v[2:3], s[16:17], s[16:17] op_sel:[0,1]
	s_addc_u32 s38, s13, s11
	v_pk_mov_b32 v[4:5], s[18:19], s[18:19] op_sel:[0,1]
	v_pk_mov_b32 v[6:7], s[20:21], s[20:21] op_sel:[0,1]
	v_pk_mov_b32 v[8:9], s[22:23], s[22:23] op_sel:[0,1]
	v_pk_mov_b32 v[2:3], 0, 0
	v_mul_lo_u32 v20, v0, s28
	s_waitcnt lgkmcnt(0)
	; wave barrier
	s_waitcnt lgkmcnt(0)
	s_and_saveexec_b64 s[10:11], s[0:1]
	s_cbranch_execnz .LBB228_33
; %bb.13:
	s_or_b64 exec, exec, s[10:11]
	s_and_saveexec_b64 s[10:11], s[2:3]
	s_cbranch_execnz .LBB228_34
.LBB228_14:
	s_or_b64 exec, exec, s[10:11]
	s_and_saveexec_b64 s[10:11], s[4:5]
	s_cbranch_execz .LBB228_16
.LBB228_15:
	v_mul_lo_u32 v6, v14, s28
	v_mov_b32_e32 v7, 0
	v_lshlrev_b64 v[6:7], 3, v[6:7]
	v_mov_b32_e32 v14, s38
	v_add_co_u32_e32 v6, vcc, s33, v6
	v_addc_co_u32_e32 v7, vcc, v14, v7, vcc
	global_load_dwordx2 v[6:7], v[6:7], off
.LBB228_16:
	s_or_b64 exec, exec, s[10:11]
	s_xor_b64 s[24:25], s[8:9], -1
	v_lshrrev_b32_e32 v14, 5, v1
	s_and_saveexec_b64 s[8:9], s[6:7]
	s_cbranch_execz .LBB228_18
; %bb.17:
	v_mul_lo_u32 v8, v11, s28
	v_mov_b32_e32 v9, 0
	v_lshlrev_b64 v[8:9], 3, v[8:9]
	v_mov_b32_e32 v11, s38
	v_add_co_u32_e32 v8, vcc, s33, v8
	v_addc_co_u32_e32 v9, vcc, v11, v9, vcc
	global_load_dwordx2 v[8:9], v[8:9], off
.LBB228_18:
	s_or_b64 exec, exec, s[8:9]
	v_mbcnt_lo_u32_b32 v11, -1, 0
	v_mbcnt_hi_u32_b32 v11, -1, v11
	v_lshlrev_b32_e32 v37, 3, v0
	v_add_lshl_u32 v21, v14, v0, 3
	v_add_lshl_u32 v38, v13, v0, 3
	;; [unrolled: 1-line block ×4, first 2 shown]
	s_getpc_b64 s[8:9]
	s_add_u32 s8, s8, _ZN7rocprim17ROCPRIM_400000_NS16block_radix_sortI6__halfLj32ELj4ElLj1ELj1ELj0ELNS0_26block_radix_rank_algorithmE1ELNS0_18block_padding_hintE2ELNS0_4arch9wavefront6targetE1EE19radix_bits_per_passE@rel32@lo+4
	s_addc_u32 s9, s9, _ZN7rocprim17ROCPRIM_400000_NS16block_radix_sortI6__halfLj32ELj4ElLj1ELj1ELj0ELNS0_26block_radix_rank_algorithmE1ELNS0_18block_padding_hintE2ELNS0_4arch9wavefront6targetE1EE19radix_bits_per_passE@rel32@hi+12
	v_and_b32_e32 v12, 15, v11
	s_waitcnt vmcnt(0)
	ds_write_b64 v37, v[2:3]
	ds_write_b64 v21, v[4:5] offset:256
	ds_write_b64 v38, v[6:7] offset:512
	;; [unrolled: 1-line block ×3, first 2 shown]
	s_waitcnt lgkmcnt(0)
	; wave barrier
	s_waitcnt lgkmcnt(0)
	ds_read2_b64 v[2:5], v40 offset1:1
	ds_read2_b64 v[6:9], v40 offset0:2 offset1:3
	s_load_dword s39, s[8:9], 0x0
	v_cmp_eq_u32_e64 s[10:11], 0, v12
	v_cmp_lt_u32_e64 s[12:13], 1, v12
	v_cmp_lt_u32_e64 s[14:15], 3, v12
	;; [unrolled: 1-line block ×3, first 2 shown]
	v_and_b32_e32 v12, 16, v11
	v_cmp_eq_u32_e64 s[18:19], 0, v12
	v_add_u32_e32 v12, -1, v11
	v_and_b32_e32 v13, 0x60, v11
	v_cmp_lt_i32_e32 vcc, v12, v13
	s_movk_i32 s8, 0x100
	v_cndmask_b32_e32 v12, v12, v11, vcc
	v_cmp_gt_u32_e64 s[8:9], s8, v0
	v_lshlrev_b32_e32 v43, 5, v0
	s_mov_b32 s40, 0
	v_cmp_eq_u32_e64 s[20:21], 31, v0
	v_lshlrev_b32_e32 v44, 2, v12
	v_cmp_eq_u32_e64 s[22:23], 0, v11
	v_lshlrev_b32_e32 v42, 1, v10
	v_lshlrev_b32_e32 v41, 3, v10
	s_and_b64 vcc, exec, s[24:25]
	v_add_u32_e64 v45, 7, 2
	s_waitcnt lgkmcnt(0)
	; wave barrier
	s_waitcnt lgkmcnt(0)
	s_cbranch_vccz .LBB228_35
; %bb.19:
	v_mov_b32_e32 v46, 0xffff8000
	v_cmp_lt_i16_e32 vcc, -1, v22
	v_cndmask_b32_e32 v10, -1, v46, vcc
	v_xor_b32_e32 v32, v10, v22
	v_mov_b32_e32 v10, -1
	v_cmp_gt_i16_sdwa vcc, v22, v10 src0_sel:WORD_1 src1_sel:DWORD
	v_cndmask_b32_e32 v11, -1, v46, vcc
	v_cmp_lt_i16_e32 vcc, -1, v23
	v_xor_b32_sdwa v57, v11, v22 dst_sel:DWORD dst_unused:UNUSED_PAD src0_sel:DWORD src1_sel:WORD_1
	v_cndmask_b32_e32 v11, -1, v46, vcc
	v_cmp_gt_i16_sdwa vcc, v23, v10 src0_sel:WORD_1 src1_sel:DWORD
	v_cndmask_b32_e32 v10, -1, v46, vcc
	v_xor_b32_e32 v33, v11, v23
	v_xor_b32_sdwa v58, v10, v23 dst_sel:DWORD dst_unused:UNUSED_PAD src0_sel:DWORD src1_sel:WORD_1
	v_and_b32_e32 v47, 14, v45
	v_mov_b32_e32 v48, 0
	s_movk_i32 s41, 0x7fff
	s_movk_i32 s42, 0xe0
	v_pk_mov_b32 v[10:11], v[2:3], v[2:3] op_sel:[0,1]
	v_pk_mov_b32 v[12:13], v[4:5], v[4:5] op_sel:[0,1]
	;; [unrolled: 1-line block ×4, first 2 shown]
	s_branch .LBB228_21
.LBB228_20:                             ;   in Loop: Header=BB228_21 Depth=1
	v_lshlrev_b32_e32 v10, 1, v53
	s_waitcnt lgkmcnt(0)
	; wave barrier
	ds_write_b16 v10, v52
	v_lshlrev_b32_e32 v10, 1, v54
	ds_write_b16 v10, v51
	v_lshlrev_b32_e32 v10, 1, v55
	ds_write_b16 v10, v50
	v_lshlrev_b32_e32 v10, 1, v56
	ds_write_b16 v10, v49
	v_lshlrev_b32_e32 v10, 3, v53
	s_waitcnt lgkmcnt(0)
	; wave barrier
	s_waitcnt lgkmcnt(0)
	ds_read_b64 v[32:33], v42
	s_waitcnt lgkmcnt(0)
	; wave barrier
	s_waitcnt lgkmcnt(0)
	ds_write_b64 v10, v[30:31]
	v_lshlrev_b32_e32 v10, 3, v54
	ds_write_b64 v10, v[28:29]
	v_lshlrev_b32_e32 v10, 3, v55
	;; [unrolled: 2-line block ×3, first 2 shown]
	ds_write_b64 v10, v[24:25]
	s_waitcnt lgkmcnt(0)
	; wave barrier
	s_waitcnt lgkmcnt(0)
	ds_read2_b64 v[10:13], v41 offset1:1
	ds_read2_b64 v[14:17], v41 offset0:2 offset1:3
	s_add_i32 s40, s40, 4
	v_lshrrev_b32_e32 v57, 16, v32
	v_lshrrev_b32_e32 v58, 16, v33
	s_waitcnt lgkmcnt(0)
	; wave barrier
	s_waitcnt lgkmcnt(0)
	s_cbranch_execz .LBB228_32
.LBB228_21:                             ; =>This Loop Header: Depth=1
                                        ;     Child Loop BB228_24 Depth 2
	v_pk_mov_b32 v[24:25], v[16:17], v[16:17] op_sel:[0,1]
	v_pk_mov_b32 v[26:27], v[14:15], v[14:15] op_sel:[0,1]
	;; [unrolled: 1-line block ×4, first 2 shown]
	v_mov_b32_e32 v52, v32
	v_mov_b32_e32 v51, v57
	;; [unrolled: 1-line block ×4, first 2 shown]
	s_and_saveexec_b64 s[24:25], s[8:9]
	s_cbranch_execz .LBB228_28
; %bb.22:                               ;   in Loop: Header=BB228_21 Depth=1
	s_mov_b32 s43, 0
	s_mov_b64 s[30:31], 0
	v_pk_mov_b32 v[10:11], v[0:1], v[0:1] op_sel:[0,1]
	s_branch .LBB228_24
.LBB228_23:                             ;   in Loop: Header=BB228_24 Depth=2
	s_or_b64 exec, exec, s[36:37]
	s_add_i32 s43, s43, 2
	v_cmp_eq_u32_e32 vcc, s43, v47
	v_add_u32_e32 v11, 64, v11
	s_or_b64 s[30:31], vcc, s[30:31]
	v_add_u32_e32 v10, 64, v10
	s_andn2_b64 exec, exec, s[30:31]
	s_cbranch_execz .LBB228_28
.LBB228_24:                             ;   Parent Loop BB228_21 Depth=1
                                        ; =>  This Inner Loop Header: Depth=2
	s_or_b32 s34, s43, 1
	v_cmp_le_u32_e64 s[34:35], s34, 7
	v_cmp_le_u32_e64 s[44:45], s43, 7
	s_and_saveexec_b64 s[36:37], s[44:45]
	s_cbranch_execz .LBB228_26
; %bb.25:                               ;   in Loop: Header=BB228_24 Depth=2
	v_lshlrev_b32_e32 v12, 2, v10
	ds_write_b32 v12, v48
.LBB228_26:                             ;   in Loop: Header=BB228_24 Depth=2
	s_or_b64 exec, exec, s[36:37]
	s_and_saveexec_b64 s[36:37], s[34:35]
	s_cbranch_execz .LBB228_23
; %bb.27:                               ;   in Loop: Header=BB228_24 Depth=2
	v_lshlrev_b32_e32 v12, 2, v11
	ds_write_b32 v12, v48
	s_branch .LBB228_23
.LBB228_28:                             ;   in Loop: Header=BB228_21 Depth=1
	s_or_b64 exec, exec, s[24:25]
	s_sub_i32 s24, 16, s40
	s_min_u32 s24, s39, s24
	v_cmp_ne_u16_e32 vcc, s41, v52
	s_lshl_b32 s24, -1, s24
	v_cndmask_b32_e32 v10, v46, v52, vcc
	s_not_b32 s24, s24
	v_lshrrev_b32_sdwa v10, s40, v10 dst_sel:DWORD dst_unused:UNUSED_PAD src0_sel:DWORD src1_sel:WORD_0
	v_and_b32_e32 v10, s24, v10
	v_lshrrev_b32_e32 v11, 3, v10
	v_lshlrev_b32_e32 v10, 5, v10
	v_and_or_b32 v10, v10, s42, v0
	v_lshlrev_b32_e32 v10, 1, v10
	v_add_lshl_u32 v33, v10, v11, 1
	ds_read_u16 v32, v33
	v_cmp_ne_u16_e32 vcc, s41, v51
	s_waitcnt lgkmcnt(0)
	v_add_u16_e32 v10, 1, v32
	ds_write_b16 v33, v10
	v_cndmask_b32_e32 v10, v46, v51, vcc
	v_lshrrev_b32_sdwa v10, s40, v10 dst_sel:DWORD dst_unused:UNUSED_PAD src0_sel:DWORD src1_sel:WORD_0
	v_and_b32_e32 v10, s24, v10
	v_lshrrev_b32_e32 v11, 3, v10
	v_lshlrev_b32_e32 v10, 5, v10
	v_and_or_b32 v10, v10, s42, v0
	v_lshlrev_b32_e32 v10, 1, v10
	v_add_lshl_u32 v53, v10, v11, 1
	ds_read_u16 v54, v53
	v_cmp_ne_u16_e32 vcc, s41, v50
	s_waitcnt lgkmcnt(0)
	v_add_u16_e32 v10, 1, v54
	ds_write_b16 v53, v10
	v_cndmask_b32_e32 v10, v46, v50, vcc
	;; [unrolled: 13-line block ×3, first 2 shown]
	v_lshrrev_b32_sdwa v10, s40, v10 dst_sel:DWORD dst_unused:UNUSED_PAD src0_sel:DWORD src1_sel:WORD_0
	v_and_b32_e32 v10, s24, v10
	v_lshrrev_b32_e32 v11, 3, v10
	v_lshlrev_b32_e32 v10, 5, v10
	v_and_or_b32 v10, v10, s42, v0
	v_lshlrev_b32_e32 v10, 1, v10
	v_add_lshl_u32 v58, v10, v11, 1
	ds_read_u16 v57, v58
	s_waitcnt lgkmcnt(0)
	v_add_u16_e32 v10, 1, v57
	ds_write_b16 v58, v10
	s_waitcnt lgkmcnt(0)
	; wave barrier
	s_waitcnt lgkmcnt(0)
	ds_read2_b32 v[16:17], v43 offset1:1
	ds_read2_b32 v[14:15], v43 offset0:2 offset1:3
	ds_read2_b32 v[10:11], v43 offset0:4 offset1:5
	;; [unrolled: 1-line block ×3, first 2 shown]
	s_waitcnt lgkmcnt(3)
	v_add_u32_e32 v59, v17, v16
	s_waitcnt lgkmcnt(2)
	v_add3_u32 v59, v59, v14, v15
	s_waitcnt lgkmcnt(1)
	v_add3_u32 v59, v59, v10, v11
	;; [unrolled: 2-line block ×3, first 2 shown]
	s_nop 1
	v_mov_b32_dpp v59, v13 row_shr:1 row_mask:0xf bank_mask:0xf
	v_cndmask_b32_e64 v59, v59, 0, s[10:11]
	v_add_u32_e32 v13, v59, v13
	s_nop 1
	v_mov_b32_dpp v59, v13 row_shr:2 row_mask:0xf bank_mask:0xf
	v_cndmask_b32_e64 v59, 0, v59, s[12:13]
	v_add_u32_e32 v13, v13, v59
	s_nop 1
	v_mov_b32_dpp v59, v13 row_shr:4 row_mask:0xf bank_mask:0xf
	v_cndmask_b32_e64 v59, 0, v59, s[14:15]
	v_add_u32_e32 v13, v13, v59
	s_nop 1
	v_mov_b32_dpp v59, v13 row_shr:8 row_mask:0xf bank_mask:0xf
	v_cndmask_b32_e64 v59, 0, v59, s[16:17]
	v_add_u32_e32 v13, v13, v59
	s_nop 1
	v_mov_b32_dpp v59, v13 row_bcast:15 row_mask:0xf bank_mask:0xf
	v_cndmask_b32_e64 v59, v59, 0, s[18:19]
	v_add_u32_e32 v13, v13, v59
	s_and_saveexec_b64 s[24:25], s[20:21]
	s_cbranch_execz .LBB228_30
; %bb.29:                               ;   in Loop: Header=BB228_21 Depth=1
	ds_write_b32 v48, v13 offset:1024
.LBB228_30:                             ;   in Loop: Header=BB228_21 Depth=1
	s_or_b64 exec, exec, s[24:25]
	ds_bpermute_b32 v13, v44, v13
	s_waitcnt lgkmcnt(0)
	; wave barrier
	s_waitcnt lgkmcnt(0)
	ds_read_b32 v59, v48 offset:1024
	s_cmp_gt_u32 s40, 11
	v_cndmask_b32_e64 v13, v13, 0, s[22:23]
	s_waitcnt lgkmcnt(0)
	v_lshl_add_u32 v13, v59, 16, v13
	v_add_u32_e32 v16, v13, v16
	v_add_u32_e32 v17, v16, v17
	ds_write2_b32 v43, v13, v16 offset1:1
	v_add_u32_e32 v13, v17, v14
	v_add_u32_e32 v14, v13, v15
	;; [unrolled: 1-line block ×5, first 2 shown]
	ds_write2_b32 v43, v17, v13 offset0:2 offset1:3
	ds_write2_b32 v43, v14, v10 offset0:4 offset1:5
	;; [unrolled: 1-line block ×3, first 2 shown]
	s_waitcnt lgkmcnt(0)
	; wave barrier
	s_waitcnt lgkmcnt(0)
	ds_read_u16 v10, v33
	ds_read_u16 v11, v53
	ds_read_u16 v12, v56
	ds_read_u16 v13, v58
	s_waitcnt lgkmcnt(3)
	v_add_u32_sdwa v53, v10, v32 dst_sel:DWORD dst_unused:UNUSED_PAD src0_sel:DWORD src1_sel:WORD_0
	s_waitcnt lgkmcnt(2)
	v_add_u32_sdwa v54, v11, v54 dst_sel:DWORD dst_unused:UNUSED_PAD src0_sel:DWORD src1_sel:WORD_0
	;; [unrolled: 2-line block ×4, first 2 shown]
	s_cbranch_scc0 .LBB228_20
; %bb.31:
                                        ; implicit-def: $vgpr16_vgpr17
                                        ; implicit-def: $vgpr12_vgpr13
                                        ; implicit-def: $sgpr40
                                        ; implicit-def: $vgpr32
                                        ; implicit-def: $vgpr57
                                        ; implicit-def: $vgpr58
.LBB228_32:
	v_lshlrev_b32_e32 v10, 1, v53
	s_waitcnt lgkmcnt(0)
	; wave barrier
	ds_write_b16 v10, v52
	v_lshlrev_b32_e32 v10, 1, v54
	ds_write_b16 v10, v51
	v_lshlrev_b32_e32 v10, 1, v55
	;; [unrolled: 2-line block ×3, first 2 shown]
	ds_write_b16 v10, v49
	s_waitcnt lgkmcnt(0)
	; wave barrier
	s_waitcnt lgkmcnt(0)
	ds_read_b64 v[32:33], v42
	v_lshlrev_b32_e32 v10, 3, v53
	v_lshlrev_b32_e32 v11, 3, v54
	;; [unrolled: 1-line block ×4, first 2 shown]
	s_waitcnt lgkmcnt(0)
	; wave barrier
	s_waitcnt lgkmcnt(0)
	ds_write_b64 v10, v[30:31]
	ds_write_b64 v11, v[28:29]
	ds_write_b64 v12, v[26:27]
	ds_write_b64 v13, v[24:25]
	v_mov_b32_e32 v25, 0xffff8000
	v_cmp_gt_i16_e32 vcc, 0, v32
	v_mov_b32_e32 v27, 0
	s_waitcnt lgkmcnt(0)
	; wave barrier
	s_waitcnt lgkmcnt(0)
	ds_read2_b64 v[10:13], v41 offset1:1
	ds_read2_b64 v[14:17], v41 offset0:2 offset1:3
	v_mov_b32_e32 v24, -1
	v_cndmask_b32_e32 v26, -1, v25, vcc
	v_cmp_lt_i16_sdwa vcc, v32, v27 src0_sel:WORD_1 src1_sel:DWORD
	v_cndmask_b32_e32 v27, -1, v25, vcc
	v_cmp_lt_i16_e32 vcc, -1, v33
	v_cmp_gt_i16_sdwa s[24:25], v33, v24 src0_sel:WORD_1 src1_sel:DWORD
	v_cndmask_b32_e64 v28, v25, -1, vcc
	v_cndmask_b32_e64 v24, v25, -1, s[24:25]
	v_xor_b32_sdwa v24, v24, v33 dst_sel:DWORD dst_unused:UNUSED_PAD src0_sel:DWORD src1_sel:WORD_1
	v_xor_b32_e32 v25, v28, v33
	s_mov_b32 s24, 0x5040100
	v_perm_b32 v25, v24, v25, s24
	v_xor_b32_sdwa v24, v27, v32 dst_sel:DWORD dst_unused:UNUSED_PAD src0_sel:DWORD src1_sel:WORD_1
	v_xor_b32_e32 v26, v26, v32
	v_perm_b32 v24, v24, v26, s24
	s_branch .LBB228_50
.LBB228_33:
	v_mov_b32_e32 v21, 0
	v_lshlrev_b64 v[2:3], 3, v[20:21]
	v_mov_b32_e32 v4, s38
	v_add_co_u32_e32 v2, vcc, s33, v2
	v_addc_co_u32_e32 v3, vcc, v4, v3, vcc
	global_load_dwordx2 v[2:3], v[2:3], off
	v_mov_b32_e32 v4, v21
	v_mov_b32_e32 v5, v21
	;; [unrolled: 1-line block ×6, first 2 shown]
	s_or_b64 exec, exec, s[10:11]
	s_and_saveexec_b64 s[10:11], s[2:3]
	s_cbranch_execz .LBB228_14
.LBB228_34:
	v_mul_lo_u32 v4, v1, s28
	v_mov_b32_e32 v5, 0
	v_lshlrev_b64 v[4:5], 3, v[4:5]
	v_mov_b32_e32 v16, s38
	v_add_co_u32_e32 v4, vcc, s33, v4
	v_addc_co_u32_e32 v5, vcc, v16, v5, vcc
	global_load_dwordx2 v[4:5], v[4:5], off
	s_or_b64 exec, exec, s[10:11]
	s_and_saveexec_b64 s[10:11], s[4:5]
	s_cbranch_execnz .LBB228_15
	s_branch .LBB228_16
.LBB228_35:
                                        ; implicit-def: $vgpr16_vgpr17
                                        ; implicit-def: $vgpr12_vgpr13
                                        ; implicit-def: $vgpr24_vgpr25
	s_cbranch_execz .LBB228_50
; %bb.36:
	v_mov_b32_e32 v26, 0x7fff
	v_cmp_gt_i16_e32 vcc, 0, v22
	v_mov_b32_e32 v27, 0
	s_waitcnt lgkmcnt(1)
	v_cndmask_b32_e64 v10, v26, 0, vcc
	v_cmp_lt_i16_sdwa s[24:25], v22, v27 src0_sel:WORD_1 src1_sel:DWORD
	v_xor_b32_e32 v24, v10, v22
	v_cndmask_b32_e64 v10, v26, 0, s[24:25]
	v_cmp_gt_i16_e32 vcc, 0, v23
	v_cmp_lt_i16_sdwa s[24:25], v23, v27 src0_sel:WORD_1 src1_sel:DWORD
	v_xor_b32_sdwa v46, v10, v22 dst_sel:DWORD dst_unused:UNUSED_PAD src0_sel:DWORD src1_sel:WORD_1
	v_cndmask_b32_e64 v10, v26, 0, vcc
	v_cndmask_b32_e64 v11, v26, 0, s[24:25]
	s_mov_b32 s24, 0x5040100
	v_perm_b32 v10, v11, v10, s24
	s_mov_b32 s40, 0
	v_xor_b32_e32 v25, v10, v23
	v_and_b32_e32 v22, 14, v45
	s_movk_i32 s41, 0x8000
	s_movk_i32 s42, 0xe0
	s_branch .LBB228_38
.LBB228_37:                             ;   in Loop: Header=BB228_38 Depth=1
	v_lshlrev_b32_e32 v2, 1, v30
	s_waitcnt lgkmcnt(0)
	; wave barrier
	ds_write_b16 v2, v28
	v_lshlrev_b32_e32 v2, 1, v31
	ds_write_b16 v2, v23
	v_lshlrev_b32_e32 v2, 1, v32
	;; [unrolled: 2-line block ×4, first 2 shown]
	s_waitcnt lgkmcnt(0)
	; wave barrier
	s_waitcnt lgkmcnt(0)
	ds_read_b64 v[24:25], v42
	s_waitcnt lgkmcnt(0)
	; wave barrier
	s_waitcnt lgkmcnt(0)
	ds_write_b64 v2, v[16:17]
	v_lshlrev_b32_e32 v2, 3, v31
	ds_write_b64 v2, v[14:15]
	v_lshlrev_b32_e32 v2, 3, v32
	ds_write_b64 v2, v[12:13]
	v_lshlrev_b32_e32 v2, 3, v33
	ds_write_b64 v2, v[10:11]
	s_waitcnt lgkmcnt(0)
	; wave barrier
	s_waitcnt lgkmcnt(0)
	ds_read2_b64 v[2:5], v41 offset1:1
	ds_read2_b64 v[6:9], v41 offset0:2 offset1:3
	s_add_i32 s40, s40, 4
	v_lshrrev_b32_e32 v46, 16, v24
	s_waitcnt lgkmcnt(0)
	; wave barrier
	s_waitcnt lgkmcnt(0)
	s_cbranch_execz .LBB228_49
.LBB228_38:                             ; =>This Loop Header: Depth=1
                                        ;     Child Loop BB228_41 Depth 2
	v_pk_mov_b32 v[10:11], v[8:9], v[8:9] op_sel:[0,1]
	v_pk_mov_b32 v[12:13], v[6:7], v[6:7] op_sel:[0,1]
	s_waitcnt lgkmcnt(0)
	v_pk_mov_b32 v[14:15], v[4:5], v[4:5] op_sel:[0,1]
	v_pk_mov_b32 v[16:17], v[2:3], v[2:3] op_sel:[0,1]
	v_mov_b32_e32 v28, v24
	v_mov_b32_e32 v23, v46
	s_and_saveexec_b64 s[24:25], s[8:9]
	s_cbranch_execz .LBB228_45
; %bb.39:                               ;   in Loop: Header=BB228_38 Depth=1
	s_mov_b32 s43, 0
	s_mov_b64 s[30:31], 0
	v_pk_mov_b32 v[2:3], v[0:1], v[0:1] op_sel:[0,1]
	s_branch .LBB228_41
.LBB228_40:                             ;   in Loop: Header=BB228_41 Depth=2
	s_or_b64 exec, exec, s[36:37]
	s_add_i32 s43, s43, 2
	v_cmp_eq_u32_e32 vcc, s43, v22
	v_add_u32_e32 v3, 64, v3
	s_or_b64 s[30:31], vcc, s[30:31]
	v_add_u32_e32 v2, 64, v2
	s_andn2_b64 exec, exec, s[30:31]
	s_cbranch_execz .LBB228_45
.LBB228_41:                             ;   Parent Loop BB228_38 Depth=1
                                        ; =>  This Inner Loop Header: Depth=2
	s_or_b32 s34, s43, 1
	v_cmp_le_u32_e64 s[34:35], s34, 7
	v_cmp_le_u32_e64 s[44:45], s43, 7
	s_and_saveexec_b64 s[36:37], s[44:45]
	s_cbranch_execz .LBB228_43
; %bb.42:                               ;   in Loop: Header=BB228_41 Depth=2
	v_lshlrev_b32_e32 v4, 2, v2
	ds_write_b32 v4, v27
.LBB228_43:                             ;   in Loop: Header=BB228_41 Depth=2
	s_or_b64 exec, exec, s[36:37]
	s_and_saveexec_b64 s[36:37], s[34:35]
	s_cbranch_execz .LBB228_40
; %bb.44:                               ;   in Loop: Header=BB228_41 Depth=2
	v_lshlrev_b32_e32 v4, 2, v3
	ds_write_b32 v4, v27
	s_branch .LBB228_40
.LBB228_45:                             ;   in Loop: Header=BB228_38 Depth=1
	s_or_b64 exec, exec, s[24:25]
	s_sub_i32 s24, 16, s40
	s_min_u32 s24, s39, s24
	v_cmp_ne_u16_e32 vcc, s41, v28
	s_lshl_b32 s24, -1, s24
	v_cndmask_b32_e32 v2, v26, v28, vcc
	s_not_b32 s24, s24
	v_lshrrev_b32_sdwa v2, s40, v2 dst_sel:DWORD dst_unused:UNUSED_PAD src0_sel:DWORD src1_sel:WORD_0
	v_and_b32_e32 v2, s24, v2
	v_lshrrev_b32_e32 v3, 3, v2
	v_lshlrev_b32_e32 v2, 5, v2
	v_and_or_b32 v2, v2, s42, v0
	v_lshlrev_b32_e32 v2, 1, v2
	v_add_lshl_u32 v30, v2, v3, 1
	ds_read_u16 v24, v30
	v_cmp_ne_u16_e32 vcc, s41, v23
	v_lshrrev_b32_e32 v29, 16, v25
	s_waitcnt lgkmcnt(0)
	v_add_u16_e32 v2, 1, v24
	ds_write_b16 v30, v2
	v_cndmask_b32_e32 v2, v26, v23, vcc
	v_lshrrev_b32_sdwa v2, s40, v2 dst_sel:DWORD dst_unused:UNUSED_PAD src0_sel:DWORD src1_sel:WORD_0
	v_and_b32_e32 v2, s24, v2
	v_lshrrev_b32_e32 v3, 3, v2
	v_lshlrev_b32_e32 v2, 5, v2
	v_and_or_b32 v2, v2, s42, v0
	v_lshlrev_b32_e32 v2, 1, v2
	v_add_lshl_u32 v32, v2, v3, 1
	ds_read_u16 v31, v32
	v_cmp_ne_u16_e32 vcc, s41, v25
	s_waitcnt lgkmcnt(0)
	v_add_u16_e32 v2, 1, v31
	ds_write_b16 v32, v2
	v_cndmask_b32_e32 v2, v26, v25, vcc
	v_lshrrev_b32_sdwa v2, s40, v2 dst_sel:DWORD dst_unused:UNUSED_PAD src0_sel:DWORD src1_sel:WORD_0
	v_and_b32_e32 v2, s24, v2
	v_lshrrev_b32_e32 v3, 3, v2
	v_lshlrev_b32_e32 v2, 5, v2
	v_and_or_b32 v2, v2, s42, v0
	v_lshlrev_b32_e32 v2, 1, v2
	v_add_lshl_u32 v45, v2, v3, 1
	ds_read_u16 v33, v45
	v_cmp_ne_u16_e32 vcc, s41, v29
	s_waitcnt lgkmcnt(0)
	v_add_u16_e32 v2, 1, v33
	ds_write_b16 v45, v2
	v_cndmask_b32_e32 v2, v26, v29, vcc
	v_lshrrev_b32_sdwa v2, s40, v2 dst_sel:DWORD dst_unused:UNUSED_PAD src0_sel:DWORD src1_sel:WORD_0
	v_and_b32_e32 v2, s24, v2
	v_lshrrev_b32_e32 v3, 3, v2
	v_lshlrev_b32_e32 v2, 5, v2
	v_and_or_b32 v2, v2, s42, v0
	v_lshlrev_b32_e32 v2, 1, v2
	v_add_lshl_u32 v47, v2, v3, 1
	ds_read_u16 v46, v47
	s_waitcnt lgkmcnt(0)
	v_add_u16_e32 v2, 1, v46
	ds_write_b16 v47, v2
	s_waitcnt lgkmcnt(0)
	; wave barrier
	s_waitcnt lgkmcnt(0)
	ds_read2_b32 v[8:9], v43 offset1:1
	ds_read2_b32 v[6:7], v43 offset0:2 offset1:3
	ds_read2_b32 v[2:3], v43 offset0:4 offset1:5
	ds_read2_b32 v[4:5], v43 offset0:6 offset1:7
	s_waitcnt lgkmcnt(3)
	v_add_u32_e32 v48, v9, v8
	s_waitcnt lgkmcnt(2)
	v_add3_u32 v48, v48, v6, v7
	s_waitcnt lgkmcnt(1)
	v_add3_u32 v48, v48, v2, v3
	;; [unrolled: 2-line block ×3, first 2 shown]
	s_nop 1
	v_mov_b32_dpp v48, v5 row_shr:1 row_mask:0xf bank_mask:0xf
	v_cndmask_b32_e64 v48, v48, 0, s[10:11]
	v_add_u32_e32 v5, v48, v5
	s_nop 1
	v_mov_b32_dpp v48, v5 row_shr:2 row_mask:0xf bank_mask:0xf
	v_cndmask_b32_e64 v48, 0, v48, s[12:13]
	v_add_u32_e32 v5, v5, v48
	;; [unrolled: 4-line block ×4, first 2 shown]
	s_nop 1
	v_mov_b32_dpp v48, v5 row_bcast:15 row_mask:0xf bank_mask:0xf
	v_cndmask_b32_e64 v48, v48, 0, s[18:19]
	v_add_u32_e32 v5, v5, v48
	s_and_saveexec_b64 s[24:25], s[20:21]
	s_cbranch_execz .LBB228_47
; %bb.46:                               ;   in Loop: Header=BB228_38 Depth=1
	ds_write_b32 v27, v5 offset:1024
.LBB228_47:                             ;   in Loop: Header=BB228_38 Depth=1
	s_or_b64 exec, exec, s[24:25]
	ds_bpermute_b32 v5, v44, v5
	s_waitcnt lgkmcnt(0)
	; wave barrier
	s_waitcnt lgkmcnt(0)
	ds_read_b32 v48, v27 offset:1024
	s_cmp_gt_u32 s40, 11
	v_cndmask_b32_e64 v5, v5, 0, s[22:23]
	s_waitcnt lgkmcnt(0)
	v_lshl_add_u32 v5, v48, 16, v5
	v_add_u32_e32 v8, v5, v8
	v_add_u32_e32 v9, v8, v9
	ds_write2_b32 v43, v5, v8 offset1:1
	v_add_u32_e32 v5, v9, v6
	v_add_u32_e32 v6, v5, v7
	;; [unrolled: 1-line block ×5, first 2 shown]
	ds_write2_b32 v43, v9, v5 offset0:2 offset1:3
	ds_write2_b32 v43, v6, v2 offset0:4 offset1:5
	;; [unrolled: 1-line block ×3, first 2 shown]
	s_waitcnt lgkmcnt(0)
	; wave barrier
	s_waitcnt lgkmcnt(0)
	ds_read_u16 v2, v30
	ds_read_u16 v3, v32
	;; [unrolled: 1-line block ×4, first 2 shown]
	v_mov_b32_e32 v45, v25
	s_waitcnt lgkmcnt(3)
	v_add_u32_sdwa v30, v2, v24 dst_sel:DWORD dst_unused:UNUSED_PAD src0_sel:DWORD src1_sel:WORD_0
	s_waitcnt lgkmcnt(2)
	v_add_u32_sdwa v31, v3, v31 dst_sel:DWORD dst_unused:UNUSED_PAD src0_sel:DWORD src1_sel:WORD_0
	;; [unrolled: 2-line block ×4, first 2 shown]
	s_cbranch_scc0 .LBB228_37
; %bb.48:
                                        ; implicit-def: $vgpr8_vgpr9
                                        ; implicit-def: $vgpr4_vgpr5
                                        ; implicit-def: $vgpr25
                                        ; implicit-def: $sgpr40
                                        ; implicit-def: $vgpr46
.LBB228_49:
	v_lshlrev_b32_e32 v0, 1, v30
	s_waitcnt lgkmcnt(0)
	; wave barrier
	ds_write_b16 v0, v28
	v_lshlrev_b32_e32 v0, 1, v31
	ds_write_b16 v0, v23
	v_lshlrev_b32_e32 v0, 1, v32
	;; [unrolled: 2-line block ×3, first 2 shown]
	ds_write_b16 v0, v29
	s_waitcnt lgkmcnt(0)
	; wave barrier
	s_waitcnt lgkmcnt(0)
	ds_read_b64 v[0:1], v42
	v_lshlrev_b32_e32 v2, 3, v30
	v_lshlrev_b32_e32 v3, 3, v31
	;; [unrolled: 1-line block ×4, first 2 shown]
	s_waitcnt lgkmcnt(0)
	; wave barrier
	s_waitcnt lgkmcnt(0)
	ds_write_b64 v2, v[16:17]
	ds_write_b64 v3, v[14:15]
	;; [unrolled: 1-line block ×4, first 2 shown]
	v_mov_b32_e32 v3, 0x7fff
	v_cmp_lt_i16_e32 vcc, -1, v0
	v_mov_b32_e32 v5, -1
	s_waitcnt lgkmcnt(0)
	; wave barrier
	s_waitcnt lgkmcnt(0)
	ds_read2_b64 v[10:13], v41 offset1:1
	ds_read2_b64 v[14:17], v41 offset0:2 offset1:3
	v_mov_b32_e32 v2, 0
	v_cndmask_b32_e32 v4, 0, v3, vcc
	v_cmp_gt_i16_sdwa vcc, v0, v5 src0_sel:WORD_1 src1_sel:DWORD
	v_cndmask_b32_e32 v5, 0, v3, vcc
	v_cmp_gt_i16_e32 vcc, 0, v1
	v_cmp_lt_i16_sdwa s[8:9], v1, v2 src0_sel:WORD_1 src1_sel:DWORD
	v_cndmask_b32_e64 v6, v3, 0, vcc
	v_cndmask_b32_e64 v2, v3, 0, s[8:9]
	v_xor_b32_sdwa v2, v2, v1 dst_sel:DWORD dst_unused:UNUSED_PAD src0_sel:DWORD src1_sel:WORD_1
	v_xor_b32_e32 v1, v6, v1
	s_mov_b32 s8, 0x5040100
	v_perm_b32 v25, v2, v1, s8
	v_xor_b32_sdwa v1, v5, v0 dst_sel:DWORD dst_unused:UNUSED_PAD src0_sel:DWORD src1_sel:WORD_1
	v_xor_b32_e32 v0, v4, v0
	v_perm_b32 v24, v1, v0, s8
.LBB228_50:
	s_waitcnt lgkmcnt(0)
	; wave barrier
	s_waitcnt lgkmcnt(0)
	ds_write_b64 v36, v[24:25]
	s_waitcnt lgkmcnt(0)
	; wave barrier
	s_waitcnt lgkmcnt(0)
	ds_read_u16 v4, v34 offset:64
	ds_read_u16 v3, v19 offset:128
	;; [unrolled: 1-line block ×3, first 2 shown]
	v_mov_b32_e32 v19, 0
	v_lshlrev_b64 v[0:1], 1, v[18:19]
	v_mov_b32_e32 v5, s29
	v_add_co_u32_e32 v0, vcc, s27, v0
	v_addc_co_u32_e32 v1, vcc, v5, v1, vcc
	s_and_saveexec_b64 s[8:9], s[0:1]
	s_cbranch_execnz .LBB228_61
; %bb.51:
	s_or_b64 exec, exec, s[8:9]
	s_and_saveexec_b64 s[8:9], s[2:3]
	s_cbranch_execnz .LBB228_62
.LBB228_52:
	s_or_b64 exec, exec, s[8:9]
	s_and_saveexec_b64 s[8:9], s[4:5]
	s_cbranch_execnz .LBB228_63
.LBB228_53:
	s_or_b64 exec, exec, s[8:9]
	s_and_saveexec_b64 s[8:9], s[6:7]
	s_cbranch_execz .LBB228_55
.LBB228_54:
	s_mul_i32 s10, s26, 0x60
	s_mov_b32 s11, 0
	s_lshl_b64 s[10:11], s[10:11], 1
	s_waitcnt lgkmcnt(1)
	v_mov_b32_e32 v3, s11
	v_add_co_u32_e32 v0, vcc, s10, v0
	v_addc_co_u32_e32 v1, vcc, v1, v3, vcc
	s_waitcnt lgkmcnt(0)
	global_store_short v[0:1], v2, off
.LBB228_55:
	s_or_b64 exec, exec, s[8:9]
	s_waitcnt lgkmcnt(0)
	; wave barrier
	s_waitcnt lgkmcnt(0)
	ds_write2_b64 v40, v[10:11], v[12:13] offset1:1
	ds_write2_b64 v40, v[14:15], v[16:17] offset0:2 offset1:3
	s_waitcnt lgkmcnt(0)
	; wave barrier
	s_waitcnt lgkmcnt(0)
	ds_read_b64 v[6:7], v21 offset:256
	ds_read_b64 v[4:5], v38 offset:512
	;; [unrolled: 1-line block ×3, first 2 shown]
	v_mov_b32_e32 v21, 0
	v_lshlrev_b64 v[2:3], 3, v[20:21]
	v_mov_b32_e32 v8, s38
	v_add_co_u32_e32 v2, vcc, s33, v2
	v_addc_co_u32_e32 v3, vcc, v8, v3, vcc
	s_and_saveexec_b64 s[8:9], s[0:1]
	s_cbranch_execnz .LBB228_64
; %bb.56:
	s_or_b64 exec, exec, s[8:9]
	s_and_saveexec_b64 s[0:1], s[2:3]
	s_cbranch_execnz .LBB228_65
.LBB228_57:
	s_or_b64 exec, exec, s[0:1]
	s_and_saveexec_b64 s[0:1], s[4:5]
	s_cbranch_execnz .LBB228_66
.LBB228_58:
	s_or_b64 exec, exec, s[0:1]
	s_and_saveexec_b64 s[0:1], s[6:7]
	s_cbranch_execz .LBB228_60
.LBB228_59:
	s_mul_i32 s0, s28, 0x60
	s_mov_b32 s1, 0
	s_lshl_b64 s[0:1], s[0:1], 3
	s_waitcnt lgkmcnt(1)
	v_mov_b32_e32 v4, s1
	v_add_co_u32_e32 v2, vcc, s0, v2
	v_addc_co_u32_e32 v3, vcc, v3, v4, vcc
	s_waitcnt lgkmcnt(0)
	global_store_dwordx2 v[2:3], v[0:1], off
.LBB228_60:
	s_endpgm
.LBB228_61:
	ds_read_u16 v5, v34
	s_waitcnt lgkmcnt(0)
	global_store_short v[0:1], v5, off
	s_or_b64 exec, exec, s[8:9]
	s_and_saveexec_b64 s[8:9], s[2:3]
	s_cbranch_execz .LBB228_52
.LBB228_62:
	s_lshl_b32 s10, s26, 5
	s_mov_b32 s11, 0
	s_lshl_b64 s[10:11], s[10:11], 1
	v_mov_b32_e32 v5, s11
	v_add_co_u32_e32 v6, vcc, s10, v0
	v_addc_co_u32_e32 v7, vcc, v1, v5, vcc
	s_waitcnt lgkmcnt(2)
	global_store_short v[6:7], v4, off
	s_or_b64 exec, exec, s[8:9]
	s_and_saveexec_b64 s[8:9], s[4:5]
	s_cbranch_execz .LBB228_53
.LBB228_63:
	s_lshl_b32 s10, s26, 6
	s_mov_b32 s11, 0
	s_lshl_b64 s[10:11], s[10:11], 1
	v_mov_b32_e32 v5, s11
	s_waitcnt lgkmcnt(2)
	v_add_co_u32_e32 v4, vcc, s10, v0
	v_addc_co_u32_e32 v5, vcc, v1, v5, vcc
	s_waitcnt lgkmcnt(1)
	global_store_short v[4:5], v3, off
	s_or_b64 exec, exec, s[8:9]
	s_and_saveexec_b64 s[8:9], s[6:7]
	s_cbranch_execnz .LBB228_54
	s_branch .LBB228_55
.LBB228_64:
	ds_read_b64 v[8:9], v37
	s_waitcnt lgkmcnt(0)
	global_store_dwordx2 v[2:3], v[8:9], off
	s_or_b64 exec, exec, s[8:9]
	s_and_saveexec_b64 s[0:1], s[2:3]
	s_cbranch_execz .LBB228_57
.LBB228_65:
	s_lshl_b32 s2, s28, 5
	s_mov_b32 s3, 0
	s_lshl_b64 s[2:3], s[2:3], 3
	v_mov_b32_e32 v9, s3
	v_add_co_u32_e32 v8, vcc, s2, v2
	v_addc_co_u32_e32 v9, vcc, v3, v9, vcc
	s_waitcnt lgkmcnt(2)
	global_store_dwordx2 v[8:9], v[6:7], off
	s_or_b64 exec, exec, s[0:1]
	s_and_saveexec_b64 s[0:1], s[4:5]
	s_cbranch_execz .LBB228_58
.LBB228_66:
	s_lshl_b32 s2, s28, 6
	s_mov_b32 s3, 0
	s_lshl_b64 s[2:3], s[2:3], 3
	s_waitcnt lgkmcnt(2)
	v_mov_b32_e32 v7, s3
	v_add_co_u32_e32 v6, vcc, s2, v2
	v_addc_co_u32_e32 v7, vcc, v3, v7, vcc
	s_waitcnt lgkmcnt(1)
	global_store_dwordx2 v[6:7], v[4:5], off
	s_or_b64 exec, exec, s[0:1]
	s_and_saveexec_b64 s[0:1], s[6:7]
	s_cbranch_execnz .LBB228_59
	s_branch .LBB228_60
	.section	.rodata,"a",@progbits
	.p2align	6, 0x0
	.amdhsa_kernel _ZN2at6native18radixSortKVInPlaceILi2ELin1ELi32ELi4EN3c104HalfEljEEvNS_4cuda6detail10TensorInfoIT3_T5_EES8_S8_S8_NS6_IT4_S8_EES8_b
		.amdhsa_group_segment_fixed_size 1056
		.amdhsa_private_segment_fixed_size 0
		.amdhsa_kernarg_size 712
		.amdhsa_user_sgpr_count 6
		.amdhsa_user_sgpr_private_segment_buffer 1
		.amdhsa_user_sgpr_dispatch_ptr 0
		.amdhsa_user_sgpr_queue_ptr 0
		.amdhsa_user_sgpr_kernarg_segment_ptr 1
		.amdhsa_user_sgpr_dispatch_id 0
		.amdhsa_user_sgpr_flat_scratch_init 0
		.amdhsa_user_sgpr_kernarg_preload_length 0
		.amdhsa_user_sgpr_kernarg_preload_offset 0
		.amdhsa_user_sgpr_private_segment_size 0
		.amdhsa_uses_dynamic_stack 0
		.amdhsa_system_sgpr_private_segment_wavefront_offset 0
		.amdhsa_system_sgpr_workgroup_id_x 1
		.amdhsa_system_sgpr_workgroup_id_y 1
		.amdhsa_system_sgpr_workgroup_id_z 1
		.amdhsa_system_sgpr_workgroup_info 0
		.amdhsa_system_vgpr_workitem_id 0
		.amdhsa_next_free_vgpr 60
		.amdhsa_next_free_sgpr 46
		.amdhsa_accum_offset 60
		.amdhsa_reserve_vcc 1
		.amdhsa_reserve_flat_scratch 0
		.amdhsa_float_round_mode_32 0
		.amdhsa_float_round_mode_16_64 0
		.amdhsa_float_denorm_mode_32 3
		.amdhsa_float_denorm_mode_16_64 3
		.amdhsa_dx10_clamp 1
		.amdhsa_ieee_mode 1
		.amdhsa_fp16_overflow 0
		.amdhsa_tg_split 0
		.amdhsa_exception_fp_ieee_invalid_op 0
		.amdhsa_exception_fp_denorm_src 0
		.amdhsa_exception_fp_ieee_div_zero 0
		.amdhsa_exception_fp_ieee_overflow 0
		.amdhsa_exception_fp_ieee_underflow 0
		.amdhsa_exception_fp_ieee_inexact 0
		.amdhsa_exception_int_div_zero 0
	.end_amdhsa_kernel
	.section	.text._ZN2at6native18radixSortKVInPlaceILi2ELin1ELi32ELi4EN3c104HalfEljEEvNS_4cuda6detail10TensorInfoIT3_T5_EES8_S8_S8_NS6_IT4_S8_EES8_b,"axG",@progbits,_ZN2at6native18radixSortKVInPlaceILi2ELin1ELi32ELi4EN3c104HalfEljEEvNS_4cuda6detail10TensorInfoIT3_T5_EES8_S8_S8_NS6_IT4_S8_EES8_b,comdat
.Lfunc_end228:
	.size	_ZN2at6native18radixSortKVInPlaceILi2ELin1ELi32ELi4EN3c104HalfEljEEvNS_4cuda6detail10TensorInfoIT3_T5_EES8_S8_S8_NS6_IT4_S8_EES8_b, .Lfunc_end228-_ZN2at6native18radixSortKVInPlaceILi2ELin1ELi32ELi4EN3c104HalfEljEEvNS_4cuda6detail10TensorInfoIT3_T5_EES8_S8_S8_NS6_IT4_S8_EES8_b
                                        ; -- End function
	.section	.AMDGPU.csdata,"",@progbits
; Kernel info:
; codeLenInByte = 5040
; NumSgprs: 50
; NumVgprs: 60
; NumAgprs: 0
; TotalNumVgprs: 60
; ScratchSize: 0
; MemoryBound: 0
; FloatMode: 240
; IeeeMode: 1
; LDSByteSize: 1056 bytes/workgroup (compile time only)
; SGPRBlocks: 6
; VGPRBlocks: 7
; NumSGPRsForWavesPerEU: 50
; NumVGPRsForWavesPerEU: 60
; AccumOffset: 60
; Occupancy: 8
; WaveLimiterHint : 1
; COMPUTE_PGM_RSRC2:SCRATCH_EN: 0
; COMPUTE_PGM_RSRC2:USER_SGPR: 6
; COMPUTE_PGM_RSRC2:TRAP_HANDLER: 0
; COMPUTE_PGM_RSRC2:TGID_X_EN: 1
; COMPUTE_PGM_RSRC2:TGID_Y_EN: 1
; COMPUTE_PGM_RSRC2:TGID_Z_EN: 1
; COMPUTE_PGM_RSRC2:TIDIG_COMP_CNT: 0
; COMPUTE_PGM_RSRC3_GFX90A:ACCUM_OFFSET: 14
; COMPUTE_PGM_RSRC3_GFX90A:TG_SPLIT: 0
	.section	.text._ZN2at6native18radixSortKVInPlaceILi2ELin1ELi16ELi2EN3c104HalfEljEEvNS_4cuda6detail10TensorInfoIT3_T5_EES8_S8_S8_NS6_IT4_S8_EES8_b,"axG",@progbits,_ZN2at6native18radixSortKVInPlaceILi2ELin1ELi16ELi2EN3c104HalfEljEEvNS_4cuda6detail10TensorInfoIT3_T5_EES8_S8_S8_NS6_IT4_S8_EES8_b,comdat
	.protected	_ZN2at6native18radixSortKVInPlaceILi2ELin1ELi16ELi2EN3c104HalfEljEEvNS_4cuda6detail10TensorInfoIT3_T5_EES8_S8_S8_NS6_IT4_S8_EES8_b ; -- Begin function _ZN2at6native18radixSortKVInPlaceILi2ELin1ELi16ELi2EN3c104HalfEljEEvNS_4cuda6detail10TensorInfoIT3_T5_EES8_S8_S8_NS6_IT4_S8_EES8_b
	.globl	_ZN2at6native18radixSortKVInPlaceILi2ELin1ELi16ELi2EN3c104HalfEljEEvNS_4cuda6detail10TensorInfoIT3_T5_EES8_S8_S8_NS6_IT4_S8_EES8_b
	.p2align	8
	.type	_ZN2at6native18radixSortKVInPlaceILi2ELin1ELi16ELi2EN3c104HalfEljEEvNS_4cuda6detail10TensorInfoIT3_T5_EES8_S8_S8_NS6_IT4_S8_EES8_b,@function
_ZN2at6native18radixSortKVInPlaceILi2ELin1ELi16ELi2EN3c104HalfEljEEvNS_4cuda6detail10TensorInfoIT3_T5_EES8_S8_S8_NS6_IT4_S8_EES8_b: ; @_ZN2at6native18radixSortKVInPlaceILi2ELin1ELi16ELi2EN3c104HalfEljEEvNS_4cuda6detail10TensorInfoIT3_T5_EES8_S8_S8_NS6_IT4_S8_EES8_b
; %bb.0:
	s_load_dwordx2 s[0:1], s[4:5], 0x1c8
	s_load_dwordx4 s[16:19], s[4:5], 0xd8
	s_waitcnt lgkmcnt(0)
	s_mul_i32 s1, s1, s8
	s_add_i32 s1, s1, s7
	s_mul_i32 s12, s1, s0
	s_add_i32 s12, s12, s6
	s_cmp_ge_u32 s12, s16
	s_cbranch_scc1 .LBB229_50
; %bb.1:
	s_load_dword s13, s[4:5], 0xc
	s_load_dwordx2 s[8:9], s[4:5], 0x6c
	s_load_dword s10, s[4:5], 0x1b8
	s_add_u32 s2, s4, 0xe8
	s_load_dwordx2 s[0:1], s[4:5], 0x0
	s_waitcnt lgkmcnt(0)
	v_cvt_f32_u32_e32 v1, s13
	s_addc_u32 s3, s5, 0
	s_sub_i32 s6, 0, s13
	s_mov_b32 s7, 0
	v_rcp_iflag_f32_e32 v1, v1
	v_mul_f32_e32 v1, 0x4f7ffffe, v1
	v_cvt_u32_f32_e32 v1, v1
	v_readfirstlane_b32 s11, v1
	s_mul_i32 s6, s6, s11
	s_mul_hi_u32 s6, s11, s6
	s_add_i32 s11, s11, s6
	s_mul_hi_u32 s14, s12, s11
	s_cmp_lt_i32 s10, 2
	s_mov_b32 s6, s12
	s_cbranch_scc1 .LBB229_4
; %bb.2:
	s_add_i32 s6, s10, -1
	s_add_i32 s15, s10, 1
	s_lshl_b64 s[10:11], s[6:7], 2
	s_add_u32 s6, s10, s2
	s_addc_u32 s11, s11, s3
	s_add_u32 s10, s6, 8
	s_addc_u32 s11, s11, 0
	s_mov_b32 s6, s12
.LBB229_3:                              ; =>This Inner Loop Header: Depth=1
	s_load_dword s16, s[10:11], 0x0
	s_load_dword s20, s[10:11], 0x64
	s_mov_b32 s19, s6
	s_waitcnt lgkmcnt(0)
	v_cvt_f32_u32_e32 v1, s16
	s_sub_i32 s6, 0, s16
	v_rcp_iflag_f32_e32 v1, v1
	v_mul_f32_e32 v1, 0x4f7ffffe, v1
	v_cvt_u32_f32_e32 v1, v1
	v_readfirstlane_b32 s21, v1
	s_mul_i32 s6, s6, s21
	s_mul_hi_u32 s6, s21, s6
	s_add_i32 s21, s21, s6
	s_mul_hi_u32 s6, s19, s21
	s_mul_i32 s21, s6, s16
	s_sub_i32 s21, s19, s21
	s_add_i32 s22, s6, 1
	s_sub_i32 s23, s21, s16
	s_cmp_ge_u32 s21, s16
	s_cselect_b32 s6, s22, s6
	s_cselect_b32 s21, s23, s21
	s_add_i32 s22, s6, 1
	s_cmp_ge_u32 s21, s16
	s_cselect_b32 s6, s22, s6
	s_mul_i32 s16, s6, s16
	s_sub_i32 s16, s19, s16
	s_mul_i32 s16, s20, s16
	s_add_i32 s15, s15, -1
	s_add_i32 s7, s16, s7
	s_add_u32 s10, s10, -4
	s_addc_u32 s11, s11, -1
	s_cmp_gt_u32 s15, 2
	s_cbranch_scc1 .LBB229_3
.LBB229_4:
	s_mul_i32 s10, s14, s13
	s_sub_i32 s10, s12, s10
	s_add_i32 s11, s14, 1
	s_sub_i32 s15, s10, s13
	s_cmp_ge_u32 s10, s13
	s_cselect_b32 s11, s11, s14
	s_cselect_b32 s10, s15, s10
	s_add_i32 s14, s11, 1
	s_cmp_ge_u32 s10, s13
	s_cselect_b32 s10, s14, s11
	s_load_dwordx2 s[20:21], s[4:5], 0x1c0
	s_mul_i32 s11, s10, s13
	s_sub_i32 s11, s12, s11
	s_mul_i32 s11, s11, s9
	s_mul_i32 s4, s10, s8
	s_add_i32 s10, s4, s11
	s_waitcnt lgkmcnt(0)
	s_bitcmp1_b32 s21, 0
	s_cselect_b64 s[4:5], -1, 0
	s_load_dwordx2 s[8:9], s[2:3], 0x0
	s_mov_b32 s11, 0xffff
	s_and_b64 s[12:13], s[4:5], exec
	s_cselect_b32 s12, s11, 0x7fff
	s_mov_b32 s11, 0
	s_lshl_b64 s[10:11], s[10:11], 1
	s_add_u32 s19, s0, s10
	s_addc_u32 s21, s1, s11
	v_cmp_gt_u32_e64 s[0:1], s17, v0
	v_mov_b32_e32 v2, s12
	v_mul_lo_u32 v10, v0, s18
	s_and_saveexec_b64 s[10:11], s[0:1]
	s_cbranch_execz .LBB229_6
; %bb.5:
	v_mov_b32_e32 v11, 0
	v_lshlrev_b64 v[2:3], 1, v[10:11]
	v_mov_b32_e32 v1, s21
	v_add_co_u32_e32 v2, vcc, s19, v2
	v_addc_co_u32_e32 v3, vcc, v1, v3, vcc
	global_load_ushort v2, v[2:3], off
.LBB229_6:
	s_or_b64 exec, exec, s[10:11]
	s_load_dword s13, s[2:3], 0x6c
	v_or_b32_e32 v1, 16, v0
	v_cmp_gt_u32_e64 s[2:3], s17, v1
	v_mov_b32_e32 v3, s12
	s_and_saveexec_b64 s[10:11], s[2:3]
	s_cbranch_execz .LBB229_8
; %bb.7:
	v_mul_lo_u32 v4, v1, s18
	v_mov_b32_e32 v5, 0
	v_lshlrev_b64 v[4:5], 1, v[4:5]
	v_mov_b32_e32 v3, s21
	v_add_co_u32_e32 v4, vcc, s19, v4
	v_addc_co_u32_e32 v5, vcc, v3, v5, vcc
	global_load_ushort v3, v[4:5], off
.LBB229_8:
	s_or_b64 exec, exec, s[10:11]
	v_lshlrev_b32_e32 v22, 1, v0
	v_lshlrev_b32_e32 v11, 2, v0
	s_waitcnt lgkmcnt(0)
	s_mul_i32 s6, s13, s6
	s_waitcnt vmcnt(0)
	ds_write_b16 v22, v2
	ds_write_b16 v22, v3 offset:32
	s_waitcnt lgkmcnt(0)
	; wave barrier
	s_waitcnt lgkmcnt(0)
	ds_read_u16 v28, v11
	ds_read_u16 v27, v11 offset:2
	s_add_i32 s12, s6, s7
	s_mov_b32 s13, 0
	s_lshl_b64 s[6:7], s[12:13], 3
	s_mov_b32 s12, s13
	s_add_u32 s30, s8, s6
	s_mov_b32 s14, s13
	s_mov_b32 s15, s13
	v_pk_mov_b32 v[2:3], s[12:13], s[12:13] op_sel:[0,1]
	s_addc_u32 s31, s9, s7
	v_pk_mov_b32 v[4:5], s[14:15], s[14:15] op_sel:[0,1]
	v_pk_mov_b32 v[2:3], 0, 0
	v_mul_lo_u32 v12, v0, s20
	s_waitcnt lgkmcnt(0)
	; wave barrier
	s_waitcnt lgkmcnt(0)
	s_and_saveexec_b64 s[6:7], s[0:1]
	s_cbranch_execz .LBB229_10
; %bb.9:
	v_mov_b32_e32 v13, 0
	v_lshlrev_b64 v[2:3], 3, v[12:13]
	v_mov_b32_e32 v4, s31
	v_add_co_u32_e32 v2, vcc, s30, v2
	v_addc_co_u32_e32 v3, vcc, v4, v3, vcc
	global_load_dwordx2 v[2:3], v[2:3], off
	v_mov_b32_e32 v4, v13
	v_mov_b32_e32 v5, v13
.LBB229_10:
	s_or_b64 exec, exec, s[6:7]
	s_xor_b64 s[22:23], s[4:5], -1
	s_and_saveexec_b64 s[4:5], s[2:3]
	s_cbranch_execz .LBB229_12
; %bb.11:
	v_mul_lo_u32 v4, v1, s20
	v_mov_b32_e32 v5, 0
	v_lshlrev_b64 v[4:5], 3, v[4:5]
	v_mov_b32_e32 v6, s31
	v_add_co_u32_e32 v4, vcc, s30, v4
	v_addc_co_u32_e32 v5, vcc, v6, v5, vcc
	global_load_dwordx2 v[4:5], v[4:5], off
.LBB229_12:
	s_or_b64 exec, exec, s[4:5]
	v_mbcnt_lo_u32_b32 v6, -1, 0
	v_lshlrev_b32_e32 v23, 3, v0
	v_lshlrev_b32_e32 v13, 3, v22
	s_getpc_b64 s[4:5]
	s_add_u32 s4, s4, _ZN7rocprim17ROCPRIM_400000_NS16block_radix_sortI6__halfLj16ELj2ElLj1ELj1ELj0ELNS0_26block_radix_rank_algorithmE1ELNS0_18block_padding_hintE2ELNS0_4arch9wavefront6targetE1EE19radix_bits_per_passE@rel32@lo+4
	s_addc_u32 s5, s5, _ZN7rocprim17ROCPRIM_400000_NS16block_radix_sortI6__halfLj16ELj2ElLj1ELj1ELj0ELNS0_26block_radix_rank_algorithmE1ELNS0_18block_padding_hintE2ELNS0_4arch9wavefront6targetE1EE19radix_bits_per_passE@rel32@hi+12
	v_mbcnt_hi_u32_b32 v6, -1, v6
	s_waitcnt vmcnt(0)
	ds_write2_b64 v23, v[2:3], v[4:5] offset1:16
	s_waitcnt lgkmcnt(0)
	; wave barrier
	s_waitcnt lgkmcnt(0)
	ds_read2_b64 v[2:5], v13 offset1:1
	s_load_dword s33, s[4:5], 0x0
	v_and_b32_e32 v7, 15, v6
	v_cmp_eq_u32_e64 s[6:7], 0, v7
	v_cmp_lt_u32_e64 s[8:9], 1, v7
	v_cmp_lt_u32_e64 s[10:11], 3, v7
	;; [unrolled: 1-line block ×3, first 2 shown]
	v_add_u32_e32 v7, -1, v6
	v_and_b32_e32 v8, 0x70, v6
	v_cmp_lt_i32_e32 vcc, v7, v8
	s_movk_i32 s4, 0x80
	v_cndmask_b32_e32 v7, v7, v6, vcc
	v_cmp_gt_u32_e64 s[4:5], s4, v0
	v_lshlrev_b32_e32 v24, 5, v0
	s_mov_b32 s34, 0
	v_cmp_eq_u32_e64 s[14:15], 15, v0
	s_movk_i32 s35, 0x70
	v_lshlrev_b32_e32 v26, 2, v7
	v_cmp_eq_u32_e64 s[16:17], 0, v6
	v_lshlrev_b32_e32 v25, 1, v22
	s_and_b64 vcc, exec, s[22:23]
	v_add_u32_e64 v29, 7, 2
	s_waitcnt lgkmcnt(0)
	; wave barrier
	s_waitcnt lgkmcnt(0)
	s_cbranch_vccz .LBB229_27
; %bb.13:
	v_mov_b32_e32 v30, 0xffff8000
	v_cmp_lt_i16_e32 vcc, -1, v28
	v_cndmask_b32_e32 v6, -1, v30, vcc
	v_cmp_lt_i16_e32 vcc, -1, v27
	v_xor_b32_e32 v20, v6, v28
	v_cndmask_b32_e32 v6, -1, v30, vcc
	v_xor_b32_e32 v21, v6, v27
	v_and_b32_e32 v31, 14, v29
	v_mov_b32_e32 v32, 0
	s_movk_i32 s36, 0x7fff
	v_pk_mov_b32 v[6:7], v[2:3], v[2:3] op_sel:[0,1]
	v_pk_mov_b32 v[8:9], v[4:5], v[4:5] op_sel:[0,1]
	s_branch .LBB229_15
.LBB229_14:                             ;   in Loop: Header=BB229_15 Depth=1
	v_lshlrev_b32_e32 v6, 1, v18
	s_waitcnt lgkmcnt(0)
	; wave barrier
	ds_write_b16 v6, v34
	v_lshlrev_b32_e32 v6, 1, v19
	ds_write_b16 v6, v33
	v_lshlrev_b32_e32 v6, 3, v18
	s_waitcnt lgkmcnt(0)
	; wave barrier
	s_waitcnt lgkmcnt(0)
	ds_read_u16 v20, v25
	ds_read_u16 v21, v25 offset:2
	s_waitcnt lgkmcnt(0)
	; wave barrier
	s_waitcnt lgkmcnt(0)
	ds_write_b64 v6, v[16:17]
	v_lshlrev_b32_e32 v6, 3, v19
	ds_write_b64 v6, v[14:15]
	s_waitcnt lgkmcnt(0)
	; wave barrier
	s_waitcnt lgkmcnt(0)
	ds_read2_b64 v[6:9], v13 offset1:1
	s_add_i32 s34, s34, 4
	s_waitcnt lgkmcnt(0)
	; wave barrier
	s_waitcnt lgkmcnt(0)
	s_cbranch_execz .LBB229_26
.LBB229_15:                             ; =>This Loop Header: Depth=1
                                        ;     Child Loop BB229_18 Depth 2
	v_pk_mov_b32 v[14:15], v[8:9], v[8:9] op_sel:[0,1]
	v_pk_mov_b32 v[16:17], v[6:7], v[6:7] op_sel:[0,1]
	v_mov_b32_e32 v34, v20
	v_mov_b32_e32 v33, v21
	s_and_saveexec_b64 s[22:23], s[4:5]
	s_cbranch_execz .LBB229_22
; %bb.16:                               ;   in Loop: Header=BB229_15 Depth=1
	s_mov_b32 s37, 0
	s_mov_b64 s[24:25], 0
	v_pk_mov_b32 v[6:7], v[0:1], v[0:1] op_sel:[0,1]
	s_branch .LBB229_18
.LBB229_17:                             ;   in Loop: Header=BB229_18 Depth=2
	s_or_b64 exec, exec, s[28:29]
	s_add_i32 s37, s37, 2
	v_cmp_eq_u32_e32 vcc, s37, v31
	v_add_u32_e32 v7, 32, v7
	s_or_b64 s[24:25], vcc, s[24:25]
	v_add_u32_e32 v6, 32, v6
	s_andn2_b64 exec, exec, s[24:25]
	s_cbranch_execz .LBB229_22
.LBB229_18:                             ;   Parent Loop BB229_15 Depth=1
                                        ; =>  This Inner Loop Header: Depth=2
	s_or_b32 s26, s37, 1
	v_cmp_le_u32_e64 s[26:27], s26, 7
	v_cmp_le_u32_e64 s[38:39], s37, 7
	s_and_saveexec_b64 s[28:29], s[38:39]
	s_cbranch_execz .LBB229_20
; %bb.19:                               ;   in Loop: Header=BB229_18 Depth=2
	v_lshlrev_b32_e32 v8, 2, v6
	ds_write_b32 v8, v32
.LBB229_20:                             ;   in Loop: Header=BB229_18 Depth=2
	s_or_b64 exec, exec, s[28:29]
	s_and_saveexec_b64 s[28:29], s[26:27]
	s_cbranch_execz .LBB229_17
; %bb.21:                               ;   in Loop: Header=BB229_18 Depth=2
	v_lshlrev_b32_e32 v8, 2, v7
	ds_write_b32 v8, v32
	s_branch .LBB229_17
.LBB229_22:                             ;   in Loop: Header=BB229_15 Depth=1
	s_or_b64 exec, exec, s[22:23]
	s_sub_i32 s22, 16, s34
	s_min_u32 s22, s33, s22
	v_cmp_ne_u16_e32 vcc, s36, v34
	s_lshl_b32 s22, -1, s22
	v_cndmask_b32_e32 v6, v30, v34, vcc
	s_not_b32 s22, s22
	v_lshrrev_b32_sdwa v6, s34, v6 dst_sel:DWORD dst_unused:UNUSED_PAD src0_sel:DWORD src1_sel:WORD_0
	v_and_b32_e32 v6, s22, v6
	v_lshrrev_b32_e32 v7, 3, v6
	v_lshlrev_b32_e32 v6, 4, v6
	v_and_or_b32 v6, v6, s35, v0
	v_lshlrev_b32_e32 v6, 1, v6
	v_add_lshl_u32 v36, v6, v7, 1
	ds_read_u16 v35, v36
	v_cmp_ne_u16_e32 vcc, s36, v33
	s_waitcnt lgkmcnt(0)
	v_add_u16_e32 v6, 1, v35
	ds_write_b16 v36, v6
	v_cndmask_b32_e32 v6, v30, v33, vcc
	v_lshrrev_b32_sdwa v6, s34, v6 dst_sel:DWORD dst_unused:UNUSED_PAD src0_sel:DWORD src1_sel:WORD_0
	v_and_b32_e32 v6, s22, v6
	v_lshrrev_b32_e32 v7, 3, v6
	v_lshlrev_b32_e32 v6, 4, v6
	v_and_or_b32 v6, v6, s35, v0
	v_lshlrev_b32_e32 v6, 1, v6
	v_add_lshl_u32 v38, v6, v7, 1
	ds_read_u16 v37, v38
	s_waitcnt lgkmcnt(0)
	v_add_u16_e32 v6, 1, v37
	ds_write_b16 v38, v6
	s_waitcnt lgkmcnt(0)
	; wave barrier
	s_waitcnt lgkmcnt(0)
	ds_read2_b32 v[20:21], v24 offset1:1
	ds_read2_b32 v[18:19], v24 offset0:2 offset1:3
	ds_read2_b32 v[6:7], v24 offset0:4 offset1:5
	;; [unrolled: 1-line block ×3, first 2 shown]
	s_waitcnt lgkmcnt(3)
	v_add_u32_e32 v39, v21, v20
	s_waitcnt lgkmcnt(2)
	v_add3_u32 v39, v39, v18, v19
	s_waitcnt lgkmcnt(1)
	v_add3_u32 v39, v39, v6, v7
	;; [unrolled: 2-line block ×3, first 2 shown]
	s_nop 1
	v_mov_b32_dpp v39, v9 row_shr:1 row_mask:0xf bank_mask:0xf
	v_cndmask_b32_e64 v39, v39, 0, s[6:7]
	v_add_u32_e32 v9, v39, v9
	s_nop 1
	v_mov_b32_dpp v39, v9 row_shr:2 row_mask:0xf bank_mask:0xf
	v_cndmask_b32_e64 v39, 0, v39, s[8:9]
	v_add_u32_e32 v9, v9, v39
	;; [unrolled: 4-line block ×4, first 2 shown]
	s_and_saveexec_b64 s[22:23], s[14:15]
	s_cbranch_execz .LBB229_24
; %bb.23:                               ;   in Loop: Header=BB229_15 Depth=1
	ds_write_b32 v32, v9 offset:512
.LBB229_24:                             ;   in Loop: Header=BB229_15 Depth=1
	s_or_b64 exec, exec, s[22:23]
	ds_bpermute_b32 v9, v26, v9
	s_waitcnt lgkmcnt(0)
	; wave barrier
	s_waitcnt lgkmcnt(0)
	ds_read_b32 v39, v32 offset:512
	s_cmp_gt_u32 s34, 11
	v_cndmask_b32_e64 v9, v9, 0, s[16:17]
	s_waitcnt lgkmcnt(0)
	v_lshl_add_u32 v9, v39, 16, v9
	v_add_u32_e32 v20, v9, v20
	v_add_u32_e32 v21, v20, v21
	ds_write2_b32 v24, v9, v20 offset1:1
	v_add_u32_e32 v9, v21, v18
	v_add_u32_e32 v18, v9, v19
	;; [unrolled: 1-line block ×5, first 2 shown]
	ds_write2_b32 v24, v21, v9 offset0:2 offset1:3
	ds_write2_b32 v24, v18, v6 offset0:4 offset1:5
	;; [unrolled: 1-line block ×3, first 2 shown]
	s_waitcnt lgkmcnt(0)
	; wave barrier
	s_waitcnt lgkmcnt(0)
	ds_read_u16 v6, v36
	ds_read_u16 v7, v38
	s_waitcnt lgkmcnt(1)
	v_add_u32_sdwa v18, v6, v35 dst_sel:DWORD dst_unused:UNUSED_PAD src0_sel:DWORD src1_sel:WORD_0
	s_waitcnt lgkmcnt(0)
	v_add_u32_sdwa v19, v7, v37 dst_sel:DWORD dst_unused:UNUSED_PAD src0_sel:DWORD src1_sel:WORD_0
	s_cbranch_scc0 .LBB229_14
; %bb.25:
                                        ; implicit-def: $vgpr8_vgpr9
                                        ; implicit-def: $sgpr34
                                        ; implicit-def: $vgpr20
                                        ; implicit-def: $vgpr21
.LBB229_26:
	v_lshlrev_b32_e32 v6, 1, v18
	s_waitcnt lgkmcnt(0)
	; wave barrier
	ds_write_b16 v6, v34
	v_lshlrev_b32_e32 v6, 1, v19
	ds_write_b16 v6, v33
	s_waitcnt lgkmcnt(0)
	; wave barrier
	s_waitcnt lgkmcnt(0)
	v_lshlrev_b32_e32 v6, 3, v18
	ds_read_b32 v18, v25
	v_lshlrev_b32_e32 v7, 3, v19
	s_waitcnt lgkmcnt(0)
	; wave barrier
	s_waitcnt lgkmcnt(0)
	ds_write_b64 v6, v[16:17]
	ds_write_b64 v7, v[14:15]
	s_waitcnt lgkmcnt(0)
	; wave barrier
	s_waitcnt lgkmcnt(0)
	ds_read2_b64 v[6:9], v13 offset1:1
	v_mov_b32_e32 v14, -1
	v_mov_b32_e32 v15, 0xffff8000
	v_cmp_lt_i16_e32 vcc, -1, v18
	v_cmp_gt_i16_sdwa s[22:23], v18, v14 src0_sel:WORD_1 src1_sel:DWORD
	v_cndmask_b32_e64 v16, v15, -1, vcc
	v_cndmask_b32_e64 v14, v15, -1, s[22:23]
	s_mov_b32 s22, 0x5040100
	v_perm_b32 v14, v14, v16, s22
	v_xor_b32_e32 v14, v14, v18
	s_branch .LBB229_42
.LBB229_27:
                                        ; implicit-def: $vgpr8_vgpr9
                                        ; implicit-def: $vgpr14
	s_cbranch_execz .LBB229_42
; %bb.28:
	v_mov_b32_e32 v18, 0x7fff
	v_cmp_gt_i16_e32 vcc, 0, v28
	s_waitcnt lgkmcnt(0)
	v_cndmask_b32_e64 v6, v18, 0, vcc
	v_cmp_gt_i16_e32 vcc, 0, v27
	v_xor_b32_e32 v16, v6, v28
	v_cndmask_b32_e64 v6, v18, 0, vcc
	s_mov_b32 s34, 0
	v_xor_b32_e32 v17, v6, v27
	v_and_b32_e32 v19, 14, v29
	v_mov_b32_e32 v20, 0
	s_movk_i32 s35, 0x8000
	s_movk_i32 s36, 0x70
	s_branch .LBB229_30
.LBB229_29:                             ;   in Loop: Header=BB229_30 Depth=1
	v_lshlrev_b32_e32 v2, 1, v14
	s_waitcnt lgkmcnt(0)
	; wave barrier
	ds_write_b16 v2, v27
	v_lshlrev_b32_e32 v2, 1, v15
	ds_write_b16 v2, v21
	v_lshlrev_b32_e32 v2, 3, v14
	s_waitcnt lgkmcnt(0)
	; wave barrier
	s_waitcnt lgkmcnt(0)
	ds_read_u16 v16, v25
	ds_read_u16 v17, v25 offset:2
	s_waitcnt lgkmcnt(0)
	; wave barrier
	s_waitcnt lgkmcnt(0)
	ds_write_b64 v2, v[8:9]
	v_lshlrev_b32_e32 v2, 3, v15
	ds_write_b64 v2, v[6:7]
	s_waitcnt lgkmcnt(0)
	; wave barrier
	s_waitcnt lgkmcnt(0)
	ds_read2_b64 v[2:5], v13 offset1:1
	s_add_i32 s34, s34, 4
	s_waitcnt lgkmcnt(0)
	; wave barrier
	s_waitcnt lgkmcnt(0)
	s_cbranch_execz .LBB229_41
.LBB229_30:                             ; =>This Loop Header: Depth=1
                                        ;     Child Loop BB229_33 Depth 2
	v_pk_mov_b32 v[6:7], v[4:5], v[4:5] op_sel:[0,1]
	v_pk_mov_b32 v[8:9], v[2:3], v[2:3] op_sel:[0,1]
	v_mov_b32_e32 v27, v16
	v_mov_b32_e32 v21, v17
	s_and_saveexec_b64 s[22:23], s[4:5]
	s_cbranch_execz .LBB229_37
; %bb.31:                               ;   in Loop: Header=BB229_30 Depth=1
	s_mov_b32 s37, 0
	s_mov_b64 s[24:25], 0
	v_pk_mov_b32 v[2:3], v[0:1], v[0:1] op_sel:[0,1]
	s_branch .LBB229_33
.LBB229_32:                             ;   in Loop: Header=BB229_33 Depth=2
	s_or_b64 exec, exec, s[28:29]
	s_add_i32 s37, s37, 2
	v_cmp_eq_u32_e32 vcc, s37, v19
	v_add_u32_e32 v3, 32, v3
	s_or_b64 s[24:25], vcc, s[24:25]
	v_add_u32_e32 v2, 32, v2
	s_andn2_b64 exec, exec, s[24:25]
	s_cbranch_execz .LBB229_37
.LBB229_33:                             ;   Parent Loop BB229_30 Depth=1
                                        ; =>  This Inner Loop Header: Depth=2
	s_or_b32 s26, s37, 1
	v_cmp_le_u32_e64 s[26:27], s26, 7
	v_cmp_le_u32_e64 s[38:39], s37, 7
	s_and_saveexec_b64 s[28:29], s[38:39]
	s_cbranch_execz .LBB229_35
; %bb.34:                               ;   in Loop: Header=BB229_33 Depth=2
	v_lshlrev_b32_e32 v4, 2, v2
	ds_write_b32 v4, v20
.LBB229_35:                             ;   in Loop: Header=BB229_33 Depth=2
	s_or_b64 exec, exec, s[28:29]
	s_and_saveexec_b64 s[28:29], s[26:27]
	s_cbranch_execz .LBB229_32
; %bb.36:                               ;   in Loop: Header=BB229_33 Depth=2
	v_lshlrev_b32_e32 v4, 2, v3
	ds_write_b32 v4, v20
	s_branch .LBB229_32
.LBB229_37:                             ;   in Loop: Header=BB229_30 Depth=1
	s_or_b64 exec, exec, s[22:23]
	s_sub_i32 s22, 16, s34
	s_min_u32 s22, s33, s22
	v_cmp_ne_u16_e32 vcc, s35, v27
	s_lshl_b32 s22, -1, s22
	v_cndmask_b32_e32 v2, v18, v27, vcc
	s_not_b32 s22, s22
	v_lshrrev_b32_sdwa v2, s34, v2 dst_sel:DWORD dst_unused:UNUSED_PAD src0_sel:DWORD src1_sel:WORD_0
	v_and_b32_e32 v2, s22, v2
	v_lshrrev_b32_e32 v3, 3, v2
	v_lshlrev_b32_e32 v2, 4, v2
	v_and_or_b32 v2, v2, s36, v0
	v_lshlrev_b32_e32 v2, 1, v2
	v_add_lshl_u32 v29, v2, v3, 1
	ds_read_u16 v28, v29
	v_cmp_ne_u16_e32 vcc, s35, v21
	s_waitcnt lgkmcnt(0)
	v_add_u16_e32 v2, 1, v28
	ds_write_b16 v29, v2
	v_cndmask_b32_e32 v2, v18, v21, vcc
	v_lshrrev_b32_sdwa v2, s34, v2 dst_sel:DWORD dst_unused:UNUSED_PAD src0_sel:DWORD src1_sel:WORD_0
	v_and_b32_e32 v2, s22, v2
	v_lshrrev_b32_e32 v3, 3, v2
	v_lshlrev_b32_e32 v2, 4, v2
	v_and_or_b32 v2, v2, s36, v0
	v_lshlrev_b32_e32 v2, 1, v2
	v_add_lshl_u32 v31, v2, v3, 1
	ds_read_u16 v30, v31
	s_waitcnt lgkmcnt(0)
	v_add_u16_e32 v2, 1, v30
	ds_write_b16 v31, v2
	s_waitcnt lgkmcnt(0)
	; wave barrier
	s_waitcnt lgkmcnt(0)
	ds_read2_b32 v[16:17], v24 offset1:1
	ds_read2_b32 v[14:15], v24 offset0:2 offset1:3
	ds_read2_b32 v[2:3], v24 offset0:4 offset1:5
	;; [unrolled: 1-line block ×3, first 2 shown]
	s_waitcnt lgkmcnt(3)
	v_add_u32_e32 v32, v17, v16
	s_waitcnt lgkmcnt(2)
	v_add3_u32 v32, v32, v14, v15
	s_waitcnt lgkmcnt(1)
	v_add3_u32 v32, v32, v2, v3
	;; [unrolled: 2-line block ×3, first 2 shown]
	s_nop 1
	v_mov_b32_dpp v32, v5 row_shr:1 row_mask:0xf bank_mask:0xf
	v_cndmask_b32_e64 v32, v32, 0, s[6:7]
	v_add_u32_e32 v5, v32, v5
	s_nop 1
	v_mov_b32_dpp v32, v5 row_shr:2 row_mask:0xf bank_mask:0xf
	v_cndmask_b32_e64 v32, 0, v32, s[8:9]
	v_add_u32_e32 v5, v5, v32
	;; [unrolled: 4-line block ×4, first 2 shown]
	s_and_saveexec_b64 s[22:23], s[14:15]
	s_cbranch_execz .LBB229_39
; %bb.38:                               ;   in Loop: Header=BB229_30 Depth=1
	ds_write_b32 v20, v5 offset:512
.LBB229_39:                             ;   in Loop: Header=BB229_30 Depth=1
	s_or_b64 exec, exec, s[22:23]
	ds_bpermute_b32 v5, v26, v5
	s_waitcnt lgkmcnt(0)
	; wave barrier
	s_waitcnt lgkmcnt(0)
	ds_read_b32 v32, v20 offset:512
	s_cmp_gt_u32 s34, 11
	v_cndmask_b32_e64 v5, v5, 0, s[16:17]
	s_waitcnt lgkmcnt(0)
	v_lshl_add_u32 v5, v32, 16, v5
	v_add_u32_e32 v16, v5, v16
	v_add_u32_e32 v17, v16, v17
	ds_write2_b32 v24, v5, v16 offset1:1
	v_add_u32_e32 v5, v17, v14
	v_add_u32_e32 v14, v5, v15
	;; [unrolled: 1-line block ×5, first 2 shown]
	ds_write2_b32 v24, v17, v5 offset0:2 offset1:3
	ds_write2_b32 v24, v14, v2 offset0:4 offset1:5
	;; [unrolled: 1-line block ×3, first 2 shown]
	s_waitcnt lgkmcnt(0)
	; wave barrier
	s_waitcnt lgkmcnt(0)
	ds_read_u16 v2, v29
	ds_read_u16 v3, v31
	s_waitcnt lgkmcnt(1)
	v_add_u32_sdwa v14, v2, v28 dst_sel:DWORD dst_unused:UNUSED_PAD src0_sel:DWORD src1_sel:WORD_0
	s_waitcnt lgkmcnt(0)
	v_add_u32_sdwa v15, v3, v30 dst_sel:DWORD dst_unused:UNUSED_PAD src0_sel:DWORD src1_sel:WORD_0
	s_cbranch_scc0 .LBB229_29
; %bb.40:
                                        ; implicit-def: $vgpr4_vgpr5
                                        ; implicit-def: $sgpr34
                                        ; implicit-def: $vgpr16
                                        ; implicit-def: $vgpr17
.LBB229_41:
	v_lshlrev_b32_e32 v0, 1, v14
	s_waitcnt lgkmcnt(0)
	; wave barrier
	ds_write_b16 v0, v27
	v_lshlrev_b32_e32 v0, 1, v15
	ds_write_b16 v0, v21
	s_waitcnt lgkmcnt(0)
	; wave barrier
	s_waitcnt lgkmcnt(0)
	ds_read_b32 v2, v25
	v_lshlrev_b32_e32 v0, 3, v14
	v_lshlrev_b32_e32 v1, 3, v15
	s_waitcnt lgkmcnt(0)
	; wave barrier
	s_waitcnt lgkmcnt(0)
	ds_write_b64 v0, v[8:9]
	ds_write_b64 v1, v[6:7]
	s_waitcnt lgkmcnt(0)
	; wave barrier
	s_waitcnt lgkmcnt(0)
	ds_read2_b64 v[6:9], v13 offset1:1
	v_mov_b32_e32 v0, 0
	v_mov_b32_e32 v1, 0x7fff
	v_cmp_gt_i16_e32 vcc, 0, v2
	v_cmp_lt_i16_sdwa s[4:5], v2, v0 src0_sel:WORD_1 src1_sel:DWORD
	v_cndmask_b32_e64 v3, v1, 0, vcc
	v_cndmask_b32_e64 v0, v1, 0, s[4:5]
	s_mov_b32 s4, 0x5040100
	v_perm_b32 v0, v0, v3, s4
	v_xor_b32_e32 v14, v0, v2
.LBB229_42:
	s_waitcnt lgkmcnt(0)
	; wave barrier
	s_waitcnt lgkmcnt(0)
	ds_write_b32 v11, v14
	s_waitcnt lgkmcnt(0)
	; wave barrier
	s_waitcnt lgkmcnt(0)
	ds_read_u16 v2, v22 offset:32
	v_mov_b32_e32 v11, 0
	v_lshlrev_b64 v[0:1], 1, v[10:11]
	v_mov_b32_e32 v3, s21
	v_add_co_u32_e32 v0, vcc, s19, v0
	v_addc_co_u32_e32 v1, vcc, v3, v1, vcc
	s_and_saveexec_b64 s[4:5], s[0:1]
	s_cbranch_execz .LBB229_44
; %bb.43:
	ds_read_u16 v3, v22
	s_waitcnt lgkmcnt(0)
	global_store_short v[0:1], v3, off
.LBB229_44:
	s_or_b64 exec, exec, s[4:5]
	s_and_saveexec_b64 s[4:5], s[2:3]
	s_cbranch_execz .LBB229_46
; %bb.45:
	s_lshl_b32 s6, s18, 4
	s_mov_b32 s7, 0
	s_lshl_b64 s[6:7], s[6:7], 1
	v_mov_b32_e32 v3, s7
	v_add_co_u32_e32 v0, vcc, s6, v0
	v_addc_co_u32_e32 v1, vcc, v1, v3, vcc
	s_waitcnt lgkmcnt(0)
	global_store_short v[0:1], v2, off
.LBB229_46:
	s_or_b64 exec, exec, s[4:5]
	s_waitcnt lgkmcnt(0)
	; wave barrier
	s_waitcnt lgkmcnt(0)
	ds_write2_b64 v13, v[6:7], v[8:9] offset1:1
	s_waitcnt lgkmcnt(0)
	; wave barrier
	s_waitcnt lgkmcnt(0)
	ds_read_b64 v[0:1], v23 offset:128
	v_mov_b32_e32 v13, 0
	v_lshlrev_b64 v[2:3], 3, v[12:13]
	v_mov_b32_e32 v4, s31
	v_add_co_u32_e32 v2, vcc, s30, v2
	v_addc_co_u32_e32 v3, vcc, v4, v3, vcc
	s_and_saveexec_b64 s[4:5], s[0:1]
	s_cbranch_execz .LBB229_48
; %bb.47:
	ds_read_b64 v[4:5], v23
	s_waitcnt lgkmcnt(0)
	global_store_dwordx2 v[2:3], v[4:5], off
.LBB229_48:
	s_or_b64 exec, exec, s[4:5]
	s_and_saveexec_b64 s[0:1], s[2:3]
	s_cbranch_execz .LBB229_50
; %bb.49:
	s_lshl_b32 s0, s20, 4
	s_mov_b32 s1, 0
	s_lshl_b64 s[0:1], s[0:1], 3
	v_mov_b32_e32 v4, s1
	v_add_co_u32_e32 v2, vcc, s0, v2
	v_addc_co_u32_e32 v3, vcc, v3, v4, vcc
	s_waitcnt lgkmcnt(0)
	global_store_dwordx2 v[2:3], v[0:1], off
.LBB229_50:
	s_endpgm
	.section	.rodata,"a",@progbits
	.p2align	6, 0x0
	.amdhsa_kernel _ZN2at6native18radixSortKVInPlaceILi2ELin1ELi16ELi2EN3c104HalfEljEEvNS_4cuda6detail10TensorInfoIT3_T5_EES8_S8_S8_NS6_IT4_S8_EES8_b
		.amdhsa_group_segment_fixed_size 528
		.amdhsa_private_segment_fixed_size 0
		.amdhsa_kernarg_size 712
		.amdhsa_user_sgpr_count 6
		.amdhsa_user_sgpr_private_segment_buffer 1
		.amdhsa_user_sgpr_dispatch_ptr 0
		.amdhsa_user_sgpr_queue_ptr 0
		.amdhsa_user_sgpr_kernarg_segment_ptr 1
		.amdhsa_user_sgpr_dispatch_id 0
		.amdhsa_user_sgpr_flat_scratch_init 0
		.amdhsa_user_sgpr_kernarg_preload_length 0
		.amdhsa_user_sgpr_kernarg_preload_offset 0
		.amdhsa_user_sgpr_private_segment_size 0
		.amdhsa_uses_dynamic_stack 0
		.amdhsa_system_sgpr_private_segment_wavefront_offset 0
		.amdhsa_system_sgpr_workgroup_id_x 1
		.amdhsa_system_sgpr_workgroup_id_y 1
		.amdhsa_system_sgpr_workgroup_id_z 1
		.amdhsa_system_sgpr_workgroup_info 0
		.amdhsa_system_vgpr_workitem_id 0
		.amdhsa_next_free_vgpr 40
		.amdhsa_next_free_sgpr 40
		.amdhsa_accum_offset 40
		.amdhsa_reserve_vcc 1
		.amdhsa_reserve_flat_scratch 0
		.amdhsa_float_round_mode_32 0
		.amdhsa_float_round_mode_16_64 0
		.amdhsa_float_denorm_mode_32 3
		.amdhsa_float_denorm_mode_16_64 3
		.amdhsa_dx10_clamp 1
		.amdhsa_ieee_mode 1
		.amdhsa_fp16_overflow 0
		.amdhsa_tg_split 0
		.amdhsa_exception_fp_ieee_invalid_op 0
		.amdhsa_exception_fp_denorm_src 0
		.amdhsa_exception_fp_ieee_div_zero 0
		.amdhsa_exception_fp_ieee_overflow 0
		.amdhsa_exception_fp_ieee_underflow 0
		.amdhsa_exception_fp_ieee_inexact 0
		.amdhsa_exception_int_div_zero 0
	.end_amdhsa_kernel
	.section	.text._ZN2at6native18radixSortKVInPlaceILi2ELin1ELi16ELi2EN3c104HalfEljEEvNS_4cuda6detail10TensorInfoIT3_T5_EES8_S8_S8_NS6_IT4_S8_EES8_b,"axG",@progbits,_ZN2at6native18radixSortKVInPlaceILi2ELin1ELi16ELi2EN3c104HalfEljEEvNS_4cuda6detail10TensorInfoIT3_T5_EES8_S8_S8_NS6_IT4_S8_EES8_b,comdat
.Lfunc_end229:
	.size	_ZN2at6native18radixSortKVInPlaceILi2ELin1ELi16ELi2EN3c104HalfEljEEvNS_4cuda6detail10TensorInfoIT3_T5_EES8_S8_S8_NS6_IT4_S8_EES8_b, .Lfunc_end229-_ZN2at6native18radixSortKVInPlaceILi2ELin1ELi16ELi2EN3c104HalfEljEEvNS_4cuda6detail10TensorInfoIT3_T5_EES8_S8_S8_NS6_IT4_S8_EES8_b
                                        ; -- End function
	.section	.AMDGPU.csdata,"",@progbits
; Kernel info:
; codeLenInByte = 3340
; NumSgprs: 44
; NumVgprs: 40
; NumAgprs: 0
; TotalNumVgprs: 40
; ScratchSize: 0
; MemoryBound: 0
; FloatMode: 240
; IeeeMode: 1
; LDSByteSize: 528 bytes/workgroup (compile time only)
; SGPRBlocks: 5
; VGPRBlocks: 4
; NumSGPRsForWavesPerEU: 44
; NumVGPRsForWavesPerEU: 40
; AccumOffset: 40
; Occupancy: 8
; WaveLimiterHint : 1
; COMPUTE_PGM_RSRC2:SCRATCH_EN: 0
; COMPUTE_PGM_RSRC2:USER_SGPR: 6
; COMPUTE_PGM_RSRC2:TRAP_HANDLER: 0
; COMPUTE_PGM_RSRC2:TGID_X_EN: 1
; COMPUTE_PGM_RSRC2:TGID_Y_EN: 1
; COMPUTE_PGM_RSRC2:TGID_Z_EN: 1
; COMPUTE_PGM_RSRC2:TIDIG_COMP_CNT: 0
; COMPUTE_PGM_RSRC3_GFX90A:ACCUM_OFFSET: 9
; COMPUTE_PGM_RSRC3_GFX90A:TG_SPLIT: 0
	.section	.text._ZN2at6native18radixSortKVInPlaceILin1ELin1ELi512ELi8EN3c104HalfEljEEvNS_4cuda6detail10TensorInfoIT3_T5_EES8_S8_S8_NS6_IT4_S8_EES8_b,"axG",@progbits,_ZN2at6native18radixSortKVInPlaceILin1ELin1ELi512ELi8EN3c104HalfEljEEvNS_4cuda6detail10TensorInfoIT3_T5_EES8_S8_S8_NS6_IT4_S8_EES8_b,comdat
	.protected	_ZN2at6native18radixSortKVInPlaceILin1ELin1ELi512ELi8EN3c104HalfEljEEvNS_4cuda6detail10TensorInfoIT3_T5_EES8_S8_S8_NS6_IT4_S8_EES8_b ; -- Begin function _ZN2at6native18radixSortKVInPlaceILin1ELin1ELi512ELi8EN3c104HalfEljEEvNS_4cuda6detail10TensorInfoIT3_T5_EES8_S8_S8_NS6_IT4_S8_EES8_b
	.globl	_ZN2at6native18radixSortKVInPlaceILin1ELin1ELi512ELi8EN3c104HalfEljEEvNS_4cuda6detail10TensorInfoIT3_T5_EES8_S8_S8_NS6_IT4_S8_EES8_b
	.p2align	8
	.type	_ZN2at6native18radixSortKVInPlaceILin1ELin1ELi512ELi8EN3c104HalfEljEEvNS_4cuda6detail10TensorInfoIT3_T5_EES8_S8_S8_NS6_IT4_S8_EES8_b,@function
_ZN2at6native18radixSortKVInPlaceILin1ELin1ELi512ELi8EN3c104HalfEljEEvNS_4cuda6detail10TensorInfoIT3_T5_EES8_S8_S8_NS6_IT4_S8_EES8_b: ; @_ZN2at6native18radixSortKVInPlaceILin1ELin1ELi512ELi8EN3c104HalfEljEEvNS_4cuda6detail10TensorInfoIT3_T5_EES8_S8_S8_NS6_IT4_S8_EES8_b
; %bb.0:
	s_load_dwordx2 s[0:1], s[4:5], 0x1c8
	s_load_dwordx4 s[48:51], s[4:5], 0xd8
	s_add_u32 s54, s4, 0x1c8
	s_addc_u32 s55, s5, 0
	s_waitcnt lgkmcnt(0)
	s_mul_i32 s1, s1, s8
	s_add_i32 s1, s1, s7
	s_mul_i32 s0, s1, s0
	s_add_i32 s20, s0, s6
	s_cmp_ge_u32 s20, s48
	s_cbranch_scc1 .LBB230_149
; %bb.1:
	s_load_dword s2, s[4:5], 0xd0
	s_mov_b32 s1, 0
	s_mov_b32 s0, s20
	s_waitcnt lgkmcnt(0)
	s_cmp_lt_i32 s2, 2
	s_cbranch_scc1 .LBB230_4
; %bb.2:
	s_add_i32 s0, s2, -1
	s_add_i32 s6, s2, 1
	s_lshl_b64 s[2:3], s[0:1], 2
	s_add_u32 s0, s2, s4
	s_addc_u32 s3, s3, s5
	s_add_u32 s2, s0, 8
	s_addc_u32 s3, s3, 0
	s_mov_b32 s0, s20
.LBB230_3:                              ; =>This Inner Loop Header: Depth=1
	s_load_dword s7, s[2:3], 0x0
	s_load_dword s9, s[2:3], 0x64
	s_mov_b32 s8, s0
	s_waitcnt lgkmcnt(0)
	v_cvt_f32_u32_e32 v1, s7
	s_sub_i32 s0, 0, s7
	v_rcp_iflag_f32_e32 v1, v1
	v_mul_f32_e32 v1, 0x4f7ffffe, v1
	v_cvt_u32_f32_e32 v1, v1
	v_readfirstlane_b32 s10, v1
	s_mul_i32 s0, s0, s10
	s_mul_hi_u32 s0, s10, s0
	s_add_i32 s10, s10, s0
	s_mul_hi_u32 s0, s8, s10
	s_mul_i32 s10, s0, s7
	s_sub_i32 s10, s8, s10
	s_add_i32 s11, s0, 1
	s_sub_i32 s12, s10, s7
	s_cmp_ge_u32 s10, s7
	s_cselect_b32 s0, s11, s0
	s_cselect_b32 s10, s12, s10
	s_add_i32 s11, s0, 1
	s_cmp_ge_u32 s10, s7
	s_cselect_b32 s0, s11, s0
	s_mul_i32 s7, s0, s7
	s_sub_i32 s7, s8, s7
	s_mul_i32 s7, s9, s7
	s_add_i32 s6, s6, -1
	s_add_i32 s1, s7, s1
	s_add_u32 s2, s2, -4
	s_addc_u32 s3, s3, -1
	s_cmp_gt_u32 s6, 2
	s_cbranch_scc1 .LBB230_3
.LBB230_4:
	s_load_dword s2, s[4:5], 0x1b8
	s_mov_b32 s17, 0
	s_waitcnt lgkmcnt(0)
	s_cmp_lt_i32 s2, 2
	s_cbranch_scc1 .LBB230_7
; %bb.5:
	s_add_i32 s16, s2, -1
	s_add_i32 s6, s2, 1
	s_lshl_b64 s[2:3], s[16:17], 2
	s_add_u32 s2, s2, s4
	s_addc_u32 s3, s3, s5
	s_add_u32 s2, s2, 0xf0
	s_addc_u32 s3, s3, 0
.LBB230_6:                              ; =>This Inner Loop Header: Depth=1
	s_load_dword s7, s[2:3], 0x0
	s_load_dword s9, s[2:3], 0x64
	s_mov_b32 s8, s20
	s_waitcnt lgkmcnt(0)
	v_cvt_f32_u32_e32 v1, s7
	s_sub_i32 s10, 0, s7
	v_rcp_iflag_f32_e32 v1, v1
	v_mul_f32_e32 v1, 0x4f7ffffe, v1
	v_cvt_u32_f32_e32 v1, v1
	v_readfirstlane_b32 s11, v1
	s_mul_i32 s10, s10, s11
	s_mul_hi_u32 s10, s11, s10
	s_add_i32 s11, s11, s10
	s_mul_hi_u32 s10, s20, s11
	s_mul_i32 s11, s10, s7
	s_sub_i32 s11, s20, s11
	s_add_i32 s12, s10, 1
	s_sub_i32 s13, s11, s7
	s_cmp_ge_u32 s11, s7
	s_cselect_b32 s10, s12, s10
	s_cselect_b32 s11, s13, s11
	s_add_i32 s12, s10, 1
	s_cmp_ge_u32 s11, s7
	s_cselect_b32 s20, s12, s10
	s_mul_i32 s7, s20, s7
	s_sub_i32 s7, s8, s7
	s_mul_i32 s7, s9, s7
	s_add_i32 s6, s6, -1
	s_add_i32 s17, s7, s17
	s_add_u32 s2, s2, -4
	s_addc_u32 s3, s3, -1
	s_cmp_gt_u32 s6, 2
	s_cbranch_scc1 .LBB230_6
.LBB230_7:
	s_load_dword s2, s[4:5], 0x6c
	s_load_dwordx2 s[52:53], s[4:5], 0x1c0
	s_mov_b32 s8, 0xffff
	v_and_b32_e32 v46, 0x3ff, v0
	v_mul_lo_u32 v42, v46, s50
	s_waitcnt lgkmcnt(0)
	s_mul_i32 s0, s2, s0
	s_load_dwordx2 s[2:3], s[4:5], 0x0
	s_add_i32 s0, s0, s1
	s_bitcmp1_b32 s53, 0
	s_cselect_b64 s[34:35], -1, 0
	s_and_b64 s[6:7], s[34:35], exec
	s_mov_b32 s1, 0
	s_cselect_b32 s16, s8, 0x7fff
	s_lshl_b64 s[0:1], s[0:1], 1
	s_waitcnt lgkmcnt(0)
	s_add_u32 s33, s2, s0
	s_addc_u32 s48, s3, s1
	v_cmp_gt_u32_e64 s[0:1], s49, v46
	v_mov_b32_e32 v1, s16
	s_and_saveexec_b64 s[2:3], s[0:1]
	s_cbranch_execz .LBB230_9
; %bb.8:
	v_mov_b32_e32 v43, 0
	v_lshlrev_b64 v[2:3], 1, v[42:43]
	v_mov_b32_e32 v1, s48
	v_add_co_u32_e32 v2, vcc, s33, v2
	v_addc_co_u32_e32 v3, vcc, v1, v3, vcc
	global_load_ushort v1, v[2:3], off
.LBB230_9:
	s_or_b64 exec, exec, s[2:3]
	v_add_u32_e32 v36, 0x200, v46
	v_cmp_gt_u32_e64 s[2:3], s49, v36
	v_mov_b32_e32 v2, s16
	s_and_saveexec_b64 s[6:7], s[2:3]
	s_cbranch_execz .LBB230_11
; %bb.10:
	v_mul_lo_u32 v2, v36, s50
	v_mov_b32_e32 v3, 0
	v_lshlrev_b64 v[2:3], 1, v[2:3]
	v_mov_b32_e32 v4, s48
	v_add_co_u32_e32 v2, vcc, s33, v2
	v_addc_co_u32_e32 v3, vcc, v4, v3, vcc
	global_load_ushort v2, v[2:3], off
.LBB230_11:
	s_or_b64 exec, exec, s[6:7]
	v_or_b32_e32 v35, 0x400, v46
	v_cmp_gt_u32_e64 s[44:45], s49, v35
	v_mov_b32_e32 v3, s16
	s_and_saveexec_b64 s[6:7], s[44:45]
	s_cbranch_execz .LBB230_13
; %bb.12:
	v_mul_lo_u32 v4, v35, s50
	v_mov_b32_e32 v5, 0
	v_lshlrev_b64 v[4:5], 1, v[4:5]
	v_mov_b32_e32 v3, s48
	v_add_co_u32_e32 v4, vcc, s33, v4
	v_addc_co_u32_e32 v5, vcc, v3, v5, vcc
	global_load_ushort v3, v[4:5], off
.LBB230_13:
	s_or_b64 exec, exec, s[6:7]
	v_add_u32_e32 v33, 0x600, v46
	v_cmp_gt_u32_e64 s[6:7], s49, v33
	v_mov_b32_e32 v4, s16
	s_and_saveexec_b64 s[8:9], s[6:7]
	s_cbranch_execz .LBB230_15
; %bb.14:
	v_mul_lo_u32 v4, v33, s50
	v_mov_b32_e32 v5, 0
	v_lshlrev_b64 v[4:5], 1, v[4:5]
	v_mov_b32_e32 v6, s48
	v_add_co_u32_e32 v4, vcc, s33, v4
	v_addc_co_u32_e32 v5, vcc, v6, v5, vcc
	global_load_ushort v4, v[4:5], off
.LBB230_15:
	s_or_b64 exec, exec, s[8:9]
	v_or_b32_e32 v30, 0x800, v46
	v_cmp_gt_u32_e64 s[8:9], s49, v30
	v_mov_b32_e32 v5, s16
	s_and_saveexec_b64 s[10:11], s[8:9]
	s_cbranch_execz .LBB230_17
; %bb.16:
	v_mul_lo_u32 v6, v30, s50
	v_mov_b32_e32 v7, 0
	v_lshlrev_b64 v[6:7], 1, v[6:7]
	v_mov_b32_e32 v5, s48
	v_add_co_u32_e32 v6, vcc, s33, v6
	v_addc_co_u32_e32 v7, vcc, v5, v7, vcc
	global_load_ushort v5, v[6:7], off
.LBB230_17:
	s_or_b64 exec, exec, s[10:11]
	v_add_u32_e32 v28, 0xa00, v46
	v_cmp_gt_u32_e64 s[10:11], s49, v28
	v_mov_b32_e32 v6, s16
	s_and_saveexec_b64 s[12:13], s[10:11]
	s_cbranch_execz .LBB230_19
; %bb.18:
	v_mul_lo_u32 v6, v28, s50
	v_mov_b32_e32 v7, 0
	v_lshlrev_b64 v[6:7], 1, v[6:7]
	v_mov_b32_e32 v8, s48
	v_add_co_u32_e32 v6, vcc, s33, v6
	v_addc_co_u32_e32 v7, vcc, v8, v7, vcc
	global_load_ushort v6, v[6:7], off
.LBB230_19:
	s_or_b64 exec, exec, s[12:13]
	s_load_dwordx2 s[18:19], s[4:5], 0xe8
	v_or_b32_e32 v26, 0xc00, v46
	v_cmp_gt_u32_e64 s[12:13], s49, v26
	v_mov_b32_e32 v7, s16
	s_and_saveexec_b64 s[14:15], s[12:13]
	s_cbranch_execz .LBB230_21
; %bb.20:
	v_mul_lo_u32 v8, v26, s50
	v_mov_b32_e32 v9, 0
	v_lshlrev_b64 v[8:9], 1, v[8:9]
	v_mov_b32_e32 v7, s48
	v_add_co_u32_e32 v8, vcc, s33, v8
	v_addc_co_u32_e32 v9, vcc, v7, v9, vcc
	global_load_ushort v7, v[8:9], off
.LBB230_21:
	s_or_b64 exec, exec, s[14:15]
	s_load_dword s21, s[4:5], 0x154
	v_add_u32_e32 v22, 0xe00, v46
	v_cmp_gt_u32_e64 s[14:15], s49, v22
	v_mov_b32_e32 v8, s16
	s_and_saveexec_b64 s[4:5], s[14:15]
	s_cbranch_execz .LBB230_23
; %bb.22:
	v_mul_lo_u32 v8, v22, s50
	v_mov_b32_e32 v9, 0
	v_lshlrev_b64 v[8:9], 1, v[8:9]
	v_mov_b32_e32 v10, s48
	v_add_co_u32_e32 v8, vcc, s33, v8
	v_addc_co_u32_e32 v9, vcc, v10, v9, vcc
	global_load_ushort v8, v[8:9], off
.LBB230_23:
	s_or_b64 exec, exec, s[4:5]
	v_lshrrev_b32_e32 v34, 5, v46
	v_and_b32_e32 v9, 30, v34
	v_add_lshl_u32 v47, v9, v46, 1
	v_lshrrev_b32_e32 v32, 5, v36
	s_waitcnt vmcnt(0)
	ds_write_b16 v47, v1
	v_and_b32_e32 v1, 62, v32
	v_lshrrev_b32_e32 v31, 5, v35
	v_add_lshl_u32 v43, v1, v46, 1
	v_and_b32_e32 v1, 62, v31
	v_lshrrev_b32_e32 v29, 5, v33
	v_add_lshl_u32 v48, v1, v46, 1
	;; [unrolled: 3-line block ×5, first 2 shown]
	v_and_b32_e32 v1, 0x7e, v23
	v_add_lshl_u32 v52, v1, v46, 1
	v_lshrrev_b32_e32 v1, 5, v22
	ds_write_b16 v43, v2 offset:1024
	v_and_b32_e32 v2, 0xfe, v1
	v_lshrrev_b32_e32 v24, 2, v46
	v_add_lshl_u32 v53, v2, v46, 1
	v_lshlrev_b32_e32 v63, 3, v46
	v_and_b32_e32 v2, 0xfe, v24
	s_waitcnt lgkmcnt(0)
	s_mul_i32 s4, s21, s20
	v_add_lshl_u32 v54, v2, v63, 1
	s_add_i32 s16, s4, s17
	s_mov_b32 s17, 0
	ds_write_b16 v48, v3 offset:2048
	ds_write_b16 v49, v4 offset:3072
	;; [unrolled: 1-line block ×6, first 2 shown]
	s_waitcnt lgkmcnt(0)
	s_barrier
	ds_read_b128 v[18:21], v54
	s_lshl_b64 s[4:5], s[16:17], 3
	s_add_u32 s49, s18, s4
	s_mov_b32 s16, s17
	s_addc_u32 s51, s19, s5
	s_mov_b32 s18, s17
	s_mov_b32 s19, s17
	;; [unrolled: 1-line block ×14, first 2 shown]
	v_pk_mov_b32 v[2:3], s[16:17], s[16:17] op_sel:[0,1]
	v_pk_mov_b32 v[4:5], s[18:19], s[18:19] op_sel:[0,1]
	;; [unrolled: 1-line block ×8, first 2 shown]
	v_pk_mov_b32 v[2:3], 0, 0
	v_mul_lo_u32 v44, v46, s52
	s_waitcnt lgkmcnt(0)
	s_barrier
	s_and_saveexec_b64 s[4:5], s[0:1]
	s_cbranch_execnz .LBB230_78
; %bb.24:
	s_or_b64 exec, exec, s[4:5]
	s_and_saveexec_b64 s[4:5], s[2:3]
	s_cbranch_execnz .LBB230_79
.LBB230_25:
	s_or_b64 exec, exec, s[4:5]
	s_and_saveexec_b64 s[4:5], s[44:45]
	s_cbranch_execnz .LBB230_80
.LBB230_26:
	s_or_b64 exec, exec, s[4:5]
	s_and_saveexec_b64 s[4:5], s[6:7]
	s_cbranch_execnz .LBB230_81
.LBB230_27:
	s_or_b64 exec, exec, s[4:5]
	s_and_saveexec_b64 s[4:5], s[8:9]
	s_cbranch_execnz .LBB230_82
.LBB230_28:
	s_or_b64 exec, exec, s[4:5]
	s_and_saveexec_b64 s[4:5], s[10:11]
	s_cbranch_execnz .LBB230_83
.LBB230_29:
	s_or_b64 exec, exec, s[4:5]
	s_and_saveexec_b64 s[4:5], s[12:13]
	s_cbranch_execnz .LBB230_84
.LBB230_30:
	s_or_b64 exec, exec, s[4:5]
	s_xor_b64 s[4:5], s[34:35], -1
	s_and_saveexec_b64 s[16:17], s[14:15]
	s_cbranch_execz .LBB230_32
.LBB230_31:
	v_mul_lo_u32 v16, v22, s52
	v_mov_b32_e32 v17, 0
	v_lshlrev_b64 v[16:17], 3, v[16:17]
	v_mov_b32_e32 v22, s51
	v_add_co_u32_e32 v16, vcc, s49, v16
	v_addc_co_u32_e32 v17, vcc, v22, v17, vcc
	global_load_dwordx2 v[16:17], v[16:17], off
.LBB230_32:
	s_or_b64 exec, exec, s[16:17]
	v_add_lshl_u32 v55, v34, v46, 3
	v_add_lshl_u32 v45, v32, v46, 3
	;; [unrolled: 1-line block ×9, first 2 shown]
	s_waitcnt vmcnt(0)
	ds_write_b64 v55, v[2:3]
	ds_write_b64 v45, v[4:5] offset:4096
	ds_write_b64 v56, v[6:7] offset:8192
	;; [unrolled: 1-line block ×7, first 2 shown]
	s_waitcnt lgkmcnt(0)
	s_barrier
	ds_read2_b64 v[14:17], v62 offset1:1
	ds_read2_b64 v[10:13], v62 offset0:2 offset1:3
	ds_read2_b64 v[6:9], v62 offset0:4 offset1:5
	;; [unrolled: 1-line block ×3, first 2 shown]
	s_and_b64 vcc, exec, s[4:5]
	v_bfe_u32 v65, v0, 10, 10
	v_bfe_u32 v66, v0, 20, 10
	v_mbcnt_lo_u32_b32 v67, -1, 0
	v_lshlrev_b32_e32 v64, 4, v46
	s_waitcnt lgkmcnt(0)
	s_barrier
	s_cbranch_vccz .LBB230_85
; %bb.33:
	s_movk_i32 s4, 0x8000
	v_pk_ashrrev_i16 v24, 15, v18 op_sel_hi:[0,1]
	v_or_b32_e32 v25, 0xffff8000, v24
	v_or_b32_sdwa v24, v24, s4 dst_sel:DWORD dst_unused:UNUSED_PAD src0_sel:WORD_1 src1_sel:DWORD
	v_pk_ashrrev_i16 v22, 15, v19 op_sel_hi:[0,1]
	v_xor_b32_sdwa v26, v24, v18 dst_sel:DWORD dst_unused:UNUSED_PAD src0_sel:DWORD src1_sel:WORD_1
	v_pk_ashrrev_i16 v24, 15, v21 op_sel_hi:[0,1]
	v_pk_ashrrev_i16 v28, 15, v20 op_sel_hi:[0,1]
	v_mbcnt_hi_u32_b32 v76, -1, v67
	v_and_b32_e32 v40, 0x3c0, v46
	v_or_b32_e32 v23, 0xffff8000, v22
	v_or_b32_sdwa v22, v22, s4 dst_sel:DWORD dst_unused:UNUSED_PAD src0_sel:WORD_1 src1_sel:DWORD
	v_xor_b32_e32 v27, v25, v18
	v_or_b32_e32 v25, 0xffff8000, v24
	v_or_b32_e32 v29, 0xffff8000, v28
	v_or_b32_sdwa v24, v24, s4 dst_sel:DWORD dst_unused:UNUSED_PAD src0_sel:WORD_1 src1_sel:DWORD
	v_or_b32_sdwa v28, v28, s4 dst_sel:DWORD dst_unused:UNUSED_PAD src0_sel:WORD_1 src1_sel:DWORD
	v_add_u32_e32 v0, v76, v40
	v_xor_b32_sdwa v22, v22, v19 dst_sel:DWORD dst_unused:UNUSED_PAD src0_sel:DWORD src1_sel:WORD_1
	v_xor_b32_e32 v23, v23, v19
	v_xor_b32_sdwa v28, v28, v20 dst_sel:DWORD dst_unused:UNUSED_PAD src0_sel:DWORD src1_sel:WORD_1
	v_xor_b32_sdwa v24, v24, v21 dst_sel:DWORD dst_unused:UNUSED_PAD src0_sel:DWORD src1_sel:WORD_1
	v_xor_b32_e32 v29, v29, v20
	v_xor_b32_e32 v25, v25, v21
	s_mov_b32 s4, 0x5040100
	v_lshlrev_b32_e32 v1, 4, v0
	v_perm_b32 v25, v24, v25, s4
	v_perm_b32 v24, v28, v29, s4
	;; [unrolled: 1-line block ×4, first 2 shown]
	v_and_b32_e32 v82, 0x1e00, v63
	ds_write_b128 v1, v[22:25]
	v_or_b32_e32 v1, v76, v82
	v_lshlrev_b32_e32 v22, 1, v1
	v_lshlrev_b32_e32 v0, 6, v0
	; wave barrier
	ds_read_u16 v79, v22
	ds_read_u16 v78, v22 offset:128
	ds_read_u16 v77, v22 offset:256
	ds_read_u16 v75, v22 offset:384
	ds_read_u16 v74, v22 offset:512
	ds_read_u16 v73, v22 offset:640
	ds_read_u16 v72, v22 offset:768
	ds_read_u16 v71, v22 offset:896
	s_waitcnt lgkmcnt(0)
	s_barrier
	ds_write2_b64 v0, v[14:15], v[16:17] offset1:1
	ds_write2_b64 v0, v[10:11], v[12:13] offset0:2 offset1:3
	ds_write2_b64 v0, v[6:7], v[8:9] offset0:4 offset1:5
	;; [unrolled: 1-line block ×3, first 2 shown]
	v_lshlrev_b32_e32 v0, 3, v1
	; wave barrier
	ds_read2st64_b64 v[34:37], v0 offset1:1
	ds_read2st64_b64 v[30:33], v0 offset0:2 offset1:3
	ds_read2st64_b64 v[26:29], v0 offset0:4 offset1:5
	;; [unrolled: 1-line block ×3, first 2 shown]
	s_waitcnt lgkmcnt(0)
	s_barrier
	s_load_dword s16, s[54:55], 0xc
	s_getpc_b64 s[4:5]
	s_add_u32 s4, s4, _ZN7rocprim17ROCPRIM_400000_NS16block_radix_sortI6__halfLj512ELj8ElLj1ELj1ELj0ELNS0_26block_radix_rank_algorithmE1ELNS0_18block_padding_hintE2ELNS0_4arch9wavefront6targetE1EE19radix_bits_per_passE@rel32@lo+4
	s_addc_u32 s5, s5, _ZN7rocprim17ROCPRIM_400000_NS16block_radix_sortI6__halfLj512ELj8ElLj1ELj1ELj0ELNS0_26block_radix_rank_algorithmE1ELNS0_18block_padding_hintE2ELNS0_4arch9wavefront6targetE1EE19radix_bits_per_passE@rel32@hi+12
	s_load_dword s46, s[4:5], 0x0
	s_movk_i32 s17, 0x7fff
	v_mov_b32_e32 v41, 0xffff8000
	s_waitcnt lgkmcnt(0)
	s_lshr_b32 s4, s16, 16
	s_and_b32 s5, s16, 0xffff
	v_mad_u32_u24 v1, v66, s4, v65
	v_mad_u64_u32 v[38:39], s[4:5], v1, s5, v[46:47]
	s_min_u32 s4, s46, 16
	s_lshl_b32 s4, -1, s4
	v_cmp_ne_u16_e32 vcc, s17, v79
	s_not_b32 s16, s4
	v_cndmask_b32_e32 v1, v41, v79, vcc
	v_lshrrev_b32_e32 v68, 6, v38
	v_and_b32_sdwa v38, s16, v1 dst_sel:DWORD dst_unused:UNUSED_PAD src0_sel:DWORD src1_sel:WORD_0
	v_lshlrev_b32_e32 v1, 3, v38
	v_add_lshl_u32 v83, v68, v1, 2
	v_and_b32_e32 v1, 1, v38
	v_add_co_u32_e32 v39, vcc, -1, v1
	v_addc_co_u32_e64 v69, s[4:5], 0, -1, vcc
	v_cmp_ne_u32_e32 vcc, 0, v1
	v_xor_b32_e32 v1, vcc_hi, v69
	v_mov_b32_e32 v0, 0
	v_and_b32_e32 v69, exec_hi, v1
	v_lshlrev_b32_e32 v1, 30, v38
	v_xor_b32_e32 v39, vcc_lo, v39
	v_cmp_gt_i64_e32 vcc, 0, v[0:1]
	v_not_b32_e32 v1, v1
	v_ashrrev_i32_e32 v1, 31, v1
	v_and_b32_e32 v39, exec_lo, v39
	v_xor_b32_e32 v70, vcc_hi, v1
	v_xor_b32_e32 v1, vcc_lo, v1
	v_and_b32_e32 v39, v39, v1
	v_lshlrev_b32_e32 v1, 29, v38
	v_cmp_gt_i64_e32 vcc, 0, v[0:1]
	v_not_b32_e32 v1, v1
	v_ashrrev_i32_e32 v1, 31, v1
	v_and_b32_e32 v69, v69, v70
	v_xor_b32_e32 v70, vcc_hi, v1
	v_xor_b32_e32 v1, vcc_lo, v1
	v_and_b32_e32 v39, v39, v1
	v_lshlrev_b32_e32 v1, 28, v38
	v_cmp_gt_i64_e32 vcc, 0, v[0:1]
	v_not_b32_e32 v1, v1
	v_ashrrev_i32_e32 v1, 31, v1
	v_and_b32_e32 v69, v69, v70
	;; [unrolled: 8-line block ×5, first 2 shown]
	v_xor_b32_e32 v70, vcc_hi, v1
	v_xor_b32_e32 v1, vcc_lo, v1
	v_and_b32_e32 v69, v69, v70
	v_and_b32_e32 v70, v39, v1
	v_lshlrev_b32_e32 v1, 24, v38
	v_cmp_gt_i64_e32 vcc, 0, v[0:1]
	v_not_b32_e32 v1, v1
	v_ashrrev_i32_e32 v1, 31, v1
	v_xor_b32_e32 v38, vcc_hi, v1
	v_xor_b32_e32 v1, vcc_lo, v1
	v_and_b32_e32 v39, v69, v38
	v_and_b32_e32 v38, v70, v1
	v_mbcnt_lo_u32_b32 v1, v38, 0
	v_mbcnt_hi_u32_b32 v84, v39, v1
	v_cmp_eq_u32_e32 vcc, 0, v84
	v_cmp_ne_u64_e64 s[4:5], 0, v[38:39]
	s_and_b64 s[18:19], s[4:5], vcc
	ds_write2_b32 v64, v0, v0 offset0:8 offset1:9
	ds_write2_b32 v64, v0, v0 offset0:10 offset1:11
	s_waitcnt lgkmcnt(0)
	s_barrier
	s_waitcnt lgkmcnt(0)
	; wave barrier
	s_and_saveexec_b64 s[4:5], s[18:19]
	s_cbranch_execz .LBB230_35
; %bb.34:
	v_bcnt_u32_b32 v1, v38, 0
	v_bcnt_u32_b32 v1, v39, v1
	ds_write_b32 v83, v1 offset:32
.LBB230_35:
	s_or_b64 exec, exec, s[4:5]
	v_cmp_ne_u16_e32 vcc, s17, v78
	v_cndmask_b32_e32 v1, v41, v78, vcc
	v_and_b32_sdwa v38, s16, v1 dst_sel:DWORD dst_unused:UNUSED_PAD src0_sel:DWORD src1_sel:WORD_0
	v_lshlrev_b32_e32 v1, 3, v38
	v_add_lshl_u32 v86, v68, v1, 2
	v_and_b32_e32 v1, 1, v38
	v_add_co_u32_e32 v39, vcc, -1, v1
	v_addc_co_u32_e64 v41, s[4:5], 0, -1, vcc
	v_cmp_ne_u32_e32 vcc, 0, v1
	v_xor_b32_e32 v1, vcc_hi, v41
	v_and_b32_e32 v41, exec_hi, v1
	v_lshlrev_b32_e32 v1, 30, v38
	v_xor_b32_e32 v39, vcc_lo, v39
	v_cmp_gt_i64_e32 vcc, 0, v[0:1]
	v_not_b32_e32 v1, v1
	v_ashrrev_i32_e32 v1, 31, v1
	v_and_b32_e32 v39, exec_lo, v39
	v_xor_b32_e32 v69, vcc_hi, v1
	v_xor_b32_e32 v1, vcc_lo, v1
	v_and_b32_e32 v39, v39, v1
	v_lshlrev_b32_e32 v1, 29, v38
	v_cmp_gt_i64_e32 vcc, 0, v[0:1]
	v_not_b32_e32 v1, v1
	v_ashrrev_i32_e32 v1, 31, v1
	v_and_b32_e32 v41, v41, v69
	v_xor_b32_e32 v69, vcc_hi, v1
	v_xor_b32_e32 v1, vcc_lo, v1
	v_and_b32_e32 v39, v39, v1
	v_lshlrev_b32_e32 v1, 28, v38
	v_cmp_gt_i64_e32 vcc, 0, v[0:1]
	v_not_b32_e32 v1, v1
	v_ashrrev_i32_e32 v1, 31, v1
	v_and_b32_e32 v41, v41, v69
	;; [unrolled: 8-line block ×5, first 2 shown]
	v_xor_b32_e32 v69, vcc_hi, v1
	v_xor_b32_e32 v1, vcc_lo, v1
	v_and_b32_e32 v39, v39, v1
	v_lshlrev_b32_e32 v1, 24, v38
	v_cmp_gt_i64_e32 vcc, 0, v[0:1]
	v_not_b32_e32 v0, v1
	v_ashrrev_i32_e32 v0, 31, v0
	v_xor_b32_e32 v1, vcc_hi, v0
	v_xor_b32_e32 v0, vcc_lo, v0
	; wave barrier
	ds_read_b32 v85, v86 offset:32
	v_and_b32_e32 v41, v41, v69
	v_and_b32_e32 v0, v39, v0
	v_and_b32_e32 v1, v41, v1
	v_mbcnt_lo_u32_b32 v38, v0, 0
	v_mbcnt_hi_u32_b32 v87, v1, v38
	v_cmp_eq_u32_e32 vcc, 0, v87
	v_cmp_ne_u64_e64 s[4:5], 0, v[0:1]
	s_and_b64 s[18:19], s[4:5], vcc
	; wave barrier
	s_and_saveexec_b64 s[4:5], s[18:19]
	s_cbranch_execz .LBB230_37
; %bb.36:
	v_bcnt_u32_b32 v0, v0, 0
	v_bcnt_u32_b32 v0, v1, v0
	s_waitcnt lgkmcnt(0)
	v_add_u32_e32 v0, v85, v0
	ds_write_b32 v86, v0 offset:32
.LBB230_37:
	s_or_b64 exec, exec, s[4:5]
	v_mov_b32_e32 v41, 0xffff8000
	v_cmp_ne_u16_e32 vcc, s17, v77
	v_cndmask_b32_e32 v0, v41, v77, vcc
	v_and_b32_sdwa v38, s16, v0 dst_sel:DWORD dst_unused:UNUSED_PAD src0_sel:DWORD src1_sel:WORD_0
	v_and_b32_e32 v1, 1, v38
	v_add_co_u32_e32 v39, vcc, -1, v1
	v_addc_co_u32_e64 v69, s[4:5], 0, -1, vcc
	v_cmp_ne_u32_e32 vcc, 0, v1
	v_lshlrev_b32_e32 v0, 3, v38
	v_xor_b32_e32 v1, vcc_hi, v69
	v_add_lshl_u32 v89, v68, v0, 2
	v_mov_b32_e32 v0, 0
	v_and_b32_e32 v69, exec_hi, v1
	v_lshlrev_b32_e32 v1, 30, v38
	v_xor_b32_e32 v39, vcc_lo, v39
	v_cmp_gt_i64_e32 vcc, 0, v[0:1]
	v_not_b32_e32 v1, v1
	v_ashrrev_i32_e32 v1, 31, v1
	v_and_b32_e32 v39, exec_lo, v39
	v_xor_b32_e32 v70, vcc_hi, v1
	v_xor_b32_e32 v1, vcc_lo, v1
	v_and_b32_e32 v39, v39, v1
	v_lshlrev_b32_e32 v1, 29, v38
	v_cmp_gt_i64_e32 vcc, 0, v[0:1]
	v_not_b32_e32 v1, v1
	v_ashrrev_i32_e32 v1, 31, v1
	v_and_b32_e32 v69, v69, v70
	v_xor_b32_e32 v70, vcc_hi, v1
	v_xor_b32_e32 v1, vcc_lo, v1
	v_and_b32_e32 v39, v39, v1
	v_lshlrev_b32_e32 v1, 28, v38
	v_cmp_gt_i64_e32 vcc, 0, v[0:1]
	v_not_b32_e32 v1, v1
	v_ashrrev_i32_e32 v1, 31, v1
	v_and_b32_e32 v69, v69, v70
	;; [unrolled: 8-line block ×5, first 2 shown]
	v_xor_b32_e32 v70, vcc_hi, v1
	v_xor_b32_e32 v1, vcc_lo, v1
	v_and_b32_e32 v69, v69, v70
	v_and_b32_e32 v70, v39, v1
	v_lshlrev_b32_e32 v1, 24, v38
	v_cmp_gt_i64_e32 vcc, 0, v[0:1]
	v_not_b32_e32 v1, v1
	v_ashrrev_i32_e32 v1, 31, v1
	v_xor_b32_e32 v38, vcc_hi, v1
	v_xor_b32_e32 v1, vcc_lo, v1
	; wave barrier
	ds_read_b32 v88, v89 offset:32
	v_and_b32_e32 v39, v69, v38
	v_and_b32_e32 v38, v70, v1
	v_mbcnt_lo_u32_b32 v1, v38, 0
	v_mbcnt_hi_u32_b32 v90, v39, v1
	v_cmp_eq_u32_e32 vcc, 0, v90
	v_cmp_ne_u64_e64 s[4:5], 0, v[38:39]
	s_and_b64 s[18:19], s[4:5], vcc
	; wave barrier
	s_and_saveexec_b64 s[4:5], s[18:19]
	s_cbranch_execz .LBB230_39
; %bb.38:
	v_bcnt_u32_b32 v1, v38, 0
	v_bcnt_u32_b32 v1, v39, v1
	s_waitcnt lgkmcnt(0)
	v_add_u32_e32 v1, v88, v1
	ds_write_b32 v89, v1 offset:32
.LBB230_39:
	s_or_b64 exec, exec, s[4:5]
	v_cmp_ne_u16_e32 vcc, s17, v75
	v_cndmask_b32_e32 v1, v41, v75, vcc
	v_and_b32_sdwa v38, s16, v1 dst_sel:DWORD dst_unused:UNUSED_PAD src0_sel:DWORD src1_sel:WORD_0
	v_lshlrev_b32_e32 v1, 3, v38
	v_add_lshl_u32 v92, v68, v1, 2
	v_and_b32_e32 v1, 1, v38
	v_add_co_u32_e32 v39, vcc, -1, v1
	v_addc_co_u32_e64 v41, s[4:5], 0, -1, vcc
	v_cmp_ne_u32_e32 vcc, 0, v1
	v_xor_b32_e32 v1, vcc_hi, v41
	v_and_b32_e32 v41, exec_hi, v1
	v_lshlrev_b32_e32 v1, 30, v38
	v_xor_b32_e32 v39, vcc_lo, v39
	v_cmp_gt_i64_e32 vcc, 0, v[0:1]
	v_not_b32_e32 v1, v1
	v_ashrrev_i32_e32 v1, 31, v1
	v_and_b32_e32 v39, exec_lo, v39
	v_xor_b32_e32 v69, vcc_hi, v1
	v_xor_b32_e32 v1, vcc_lo, v1
	v_and_b32_e32 v39, v39, v1
	v_lshlrev_b32_e32 v1, 29, v38
	v_cmp_gt_i64_e32 vcc, 0, v[0:1]
	v_not_b32_e32 v1, v1
	v_ashrrev_i32_e32 v1, 31, v1
	v_and_b32_e32 v41, v41, v69
	v_xor_b32_e32 v69, vcc_hi, v1
	v_xor_b32_e32 v1, vcc_lo, v1
	v_and_b32_e32 v39, v39, v1
	v_lshlrev_b32_e32 v1, 28, v38
	v_cmp_gt_i64_e32 vcc, 0, v[0:1]
	v_not_b32_e32 v1, v1
	v_ashrrev_i32_e32 v1, 31, v1
	v_and_b32_e32 v41, v41, v69
	;; [unrolled: 8-line block ×5, first 2 shown]
	v_xor_b32_e32 v69, vcc_hi, v1
	v_xor_b32_e32 v1, vcc_lo, v1
	v_and_b32_e32 v39, v39, v1
	v_lshlrev_b32_e32 v1, 24, v38
	v_cmp_gt_i64_e32 vcc, 0, v[0:1]
	v_not_b32_e32 v0, v1
	v_ashrrev_i32_e32 v0, 31, v0
	v_xor_b32_e32 v1, vcc_hi, v0
	v_xor_b32_e32 v0, vcc_lo, v0
	; wave barrier
	ds_read_b32 v91, v92 offset:32
	v_and_b32_e32 v41, v41, v69
	v_and_b32_e32 v0, v39, v0
	;; [unrolled: 1-line block ×3, first 2 shown]
	v_mbcnt_lo_u32_b32 v38, v0, 0
	v_mbcnt_hi_u32_b32 v93, v1, v38
	v_cmp_eq_u32_e32 vcc, 0, v93
	v_cmp_ne_u64_e64 s[4:5], 0, v[0:1]
	s_and_b64 s[18:19], s[4:5], vcc
	; wave barrier
	s_and_saveexec_b64 s[4:5], s[18:19]
	s_cbranch_execz .LBB230_41
; %bb.40:
	v_bcnt_u32_b32 v0, v0, 0
	v_bcnt_u32_b32 v0, v1, v0
	s_waitcnt lgkmcnt(0)
	v_add_u32_e32 v0, v91, v0
	ds_write_b32 v92, v0 offset:32
.LBB230_41:
	s_or_b64 exec, exec, s[4:5]
	v_mov_b32_e32 v41, 0xffff8000
	v_cmp_ne_u16_e32 vcc, s17, v74
	v_cndmask_b32_e32 v0, v41, v74, vcc
	v_and_b32_sdwa v38, s16, v0 dst_sel:DWORD dst_unused:UNUSED_PAD src0_sel:DWORD src1_sel:WORD_0
	v_and_b32_e32 v1, 1, v38
	v_add_co_u32_e32 v39, vcc, -1, v1
	v_addc_co_u32_e64 v69, s[4:5], 0, -1, vcc
	v_cmp_ne_u32_e32 vcc, 0, v1
	v_lshlrev_b32_e32 v0, 3, v38
	v_xor_b32_e32 v1, vcc_hi, v69
	v_add_lshl_u32 v95, v68, v0, 2
	v_mov_b32_e32 v0, 0
	v_and_b32_e32 v69, exec_hi, v1
	v_lshlrev_b32_e32 v1, 30, v38
	v_xor_b32_e32 v39, vcc_lo, v39
	v_cmp_gt_i64_e32 vcc, 0, v[0:1]
	v_not_b32_e32 v1, v1
	v_ashrrev_i32_e32 v1, 31, v1
	v_and_b32_e32 v39, exec_lo, v39
	v_xor_b32_e32 v70, vcc_hi, v1
	v_xor_b32_e32 v1, vcc_lo, v1
	v_and_b32_e32 v39, v39, v1
	v_lshlrev_b32_e32 v1, 29, v38
	v_cmp_gt_i64_e32 vcc, 0, v[0:1]
	v_not_b32_e32 v1, v1
	v_ashrrev_i32_e32 v1, 31, v1
	v_and_b32_e32 v69, v69, v70
	v_xor_b32_e32 v70, vcc_hi, v1
	v_xor_b32_e32 v1, vcc_lo, v1
	v_and_b32_e32 v39, v39, v1
	v_lshlrev_b32_e32 v1, 28, v38
	v_cmp_gt_i64_e32 vcc, 0, v[0:1]
	v_not_b32_e32 v1, v1
	v_ashrrev_i32_e32 v1, 31, v1
	v_and_b32_e32 v69, v69, v70
	;; [unrolled: 8-line block ×5, first 2 shown]
	v_xor_b32_e32 v70, vcc_hi, v1
	v_xor_b32_e32 v1, vcc_lo, v1
	v_and_b32_e32 v69, v69, v70
	v_and_b32_e32 v70, v39, v1
	v_lshlrev_b32_e32 v1, 24, v38
	v_cmp_gt_i64_e32 vcc, 0, v[0:1]
	v_not_b32_e32 v1, v1
	v_ashrrev_i32_e32 v1, 31, v1
	v_xor_b32_e32 v38, vcc_hi, v1
	v_xor_b32_e32 v1, vcc_lo, v1
	; wave barrier
	ds_read_b32 v94, v95 offset:32
	v_and_b32_e32 v39, v69, v38
	v_and_b32_e32 v38, v70, v1
	v_mbcnt_lo_u32_b32 v1, v38, 0
	v_mbcnt_hi_u32_b32 v96, v39, v1
	v_cmp_eq_u32_e32 vcc, 0, v96
	v_cmp_ne_u64_e64 s[4:5], 0, v[38:39]
	s_and_b64 s[18:19], s[4:5], vcc
	; wave barrier
	s_and_saveexec_b64 s[4:5], s[18:19]
	s_cbranch_execz .LBB230_43
; %bb.42:
	v_bcnt_u32_b32 v1, v38, 0
	v_bcnt_u32_b32 v1, v39, v1
	s_waitcnt lgkmcnt(0)
	v_add_u32_e32 v1, v94, v1
	ds_write_b32 v95, v1 offset:32
.LBB230_43:
	s_or_b64 exec, exec, s[4:5]
	v_cmp_ne_u16_e32 vcc, s17, v73
	v_cndmask_b32_e32 v1, v41, v73, vcc
	v_and_b32_sdwa v38, s16, v1 dst_sel:DWORD dst_unused:UNUSED_PAD src0_sel:DWORD src1_sel:WORD_0
	v_lshlrev_b32_e32 v1, 3, v38
	v_add_lshl_u32 v98, v68, v1, 2
	v_and_b32_e32 v1, 1, v38
	v_add_co_u32_e32 v39, vcc, -1, v1
	v_addc_co_u32_e64 v41, s[4:5], 0, -1, vcc
	v_cmp_ne_u32_e32 vcc, 0, v1
	v_xor_b32_e32 v1, vcc_hi, v41
	v_and_b32_e32 v41, exec_hi, v1
	v_lshlrev_b32_e32 v1, 30, v38
	v_xor_b32_e32 v39, vcc_lo, v39
	v_cmp_gt_i64_e32 vcc, 0, v[0:1]
	v_not_b32_e32 v1, v1
	v_ashrrev_i32_e32 v1, 31, v1
	v_and_b32_e32 v39, exec_lo, v39
	v_xor_b32_e32 v69, vcc_hi, v1
	v_xor_b32_e32 v1, vcc_lo, v1
	v_and_b32_e32 v39, v39, v1
	v_lshlrev_b32_e32 v1, 29, v38
	v_cmp_gt_i64_e32 vcc, 0, v[0:1]
	v_not_b32_e32 v1, v1
	v_ashrrev_i32_e32 v1, 31, v1
	v_and_b32_e32 v41, v41, v69
	v_xor_b32_e32 v69, vcc_hi, v1
	v_xor_b32_e32 v1, vcc_lo, v1
	v_and_b32_e32 v39, v39, v1
	v_lshlrev_b32_e32 v1, 28, v38
	v_cmp_gt_i64_e32 vcc, 0, v[0:1]
	v_not_b32_e32 v1, v1
	v_ashrrev_i32_e32 v1, 31, v1
	v_and_b32_e32 v41, v41, v69
	;; [unrolled: 8-line block ×5, first 2 shown]
	v_xor_b32_e32 v69, vcc_hi, v1
	v_xor_b32_e32 v1, vcc_lo, v1
	v_and_b32_e32 v39, v39, v1
	v_lshlrev_b32_e32 v1, 24, v38
	v_cmp_gt_i64_e32 vcc, 0, v[0:1]
	v_not_b32_e32 v0, v1
	v_ashrrev_i32_e32 v0, 31, v0
	v_xor_b32_e32 v1, vcc_hi, v0
	v_xor_b32_e32 v0, vcc_lo, v0
	; wave barrier
	ds_read_b32 v97, v98 offset:32
	v_and_b32_e32 v41, v41, v69
	v_and_b32_e32 v0, v39, v0
	;; [unrolled: 1-line block ×3, first 2 shown]
	v_mbcnt_lo_u32_b32 v38, v0, 0
	v_mbcnt_hi_u32_b32 v99, v1, v38
	v_cmp_eq_u32_e32 vcc, 0, v99
	v_cmp_ne_u64_e64 s[4:5], 0, v[0:1]
	s_and_b64 s[18:19], s[4:5], vcc
	; wave barrier
	s_and_saveexec_b64 s[4:5], s[18:19]
	s_cbranch_execz .LBB230_45
; %bb.44:
	v_bcnt_u32_b32 v0, v0, 0
	v_bcnt_u32_b32 v0, v1, v0
	s_waitcnt lgkmcnt(0)
	v_add_u32_e32 v0, v97, v0
	ds_write_b32 v98, v0 offset:32
.LBB230_45:
	s_or_b64 exec, exec, s[4:5]
	v_mov_b32_e32 v41, 0xffff8000
	v_cmp_ne_u16_e32 vcc, s17, v72
	v_cndmask_b32_e32 v0, v41, v72, vcc
	v_and_b32_sdwa v38, s16, v0 dst_sel:DWORD dst_unused:UNUSED_PAD src0_sel:DWORD src1_sel:WORD_0
	v_and_b32_e32 v1, 1, v38
	v_add_co_u32_e32 v39, vcc, -1, v1
	v_addc_co_u32_e64 v69, s[4:5], 0, -1, vcc
	v_cmp_ne_u32_e32 vcc, 0, v1
	v_lshlrev_b32_e32 v0, 3, v38
	v_xor_b32_e32 v1, vcc_hi, v69
	v_add_lshl_u32 v101, v68, v0, 2
	v_mov_b32_e32 v0, 0
	v_and_b32_e32 v69, exec_hi, v1
	v_lshlrev_b32_e32 v1, 30, v38
	v_xor_b32_e32 v39, vcc_lo, v39
	v_cmp_gt_i64_e32 vcc, 0, v[0:1]
	v_not_b32_e32 v1, v1
	v_ashrrev_i32_e32 v1, 31, v1
	v_and_b32_e32 v39, exec_lo, v39
	v_xor_b32_e32 v70, vcc_hi, v1
	v_xor_b32_e32 v1, vcc_lo, v1
	v_and_b32_e32 v39, v39, v1
	v_lshlrev_b32_e32 v1, 29, v38
	v_cmp_gt_i64_e32 vcc, 0, v[0:1]
	v_not_b32_e32 v1, v1
	v_ashrrev_i32_e32 v1, 31, v1
	v_and_b32_e32 v69, v69, v70
	v_xor_b32_e32 v70, vcc_hi, v1
	v_xor_b32_e32 v1, vcc_lo, v1
	v_and_b32_e32 v39, v39, v1
	v_lshlrev_b32_e32 v1, 28, v38
	v_cmp_gt_i64_e32 vcc, 0, v[0:1]
	v_not_b32_e32 v1, v1
	v_ashrrev_i32_e32 v1, 31, v1
	v_and_b32_e32 v69, v69, v70
	;; [unrolled: 8-line block ×5, first 2 shown]
	v_xor_b32_e32 v70, vcc_hi, v1
	v_xor_b32_e32 v1, vcc_lo, v1
	v_and_b32_e32 v69, v69, v70
	v_and_b32_e32 v70, v39, v1
	v_lshlrev_b32_e32 v1, 24, v38
	v_cmp_gt_i64_e32 vcc, 0, v[0:1]
	v_not_b32_e32 v1, v1
	v_ashrrev_i32_e32 v1, 31, v1
	v_xor_b32_e32 v38, vcc_hi, v1
	v_xor_b32_e32 v1, vcc_lo, v1
	; wave barrier
	ds_read_b32 v100, v101 offset:32
	v_and_b32_e32 v39, v69, v38
	v_and_b32_e32 v38, v70, v1
	v_mbcnt_lo_u32_b32 v1, v38, 0
	v_mbcnt_hi_u32_b32 v102, v39, v1
	v_cmp_eq_u32_e32 vcc, 0, v102
	v_cmp_ne_u64_e64 s[4:5], 0, v[38:39]
	s_and_b64 s[18:19], s[4:5], vcc
	; wave barrier
	s_and_saveexec_b64 s[4:5], s[18:19]
	s_cbranch_execz .LBB230_47
; %bb.46:
	v_bcnt_u32_b32 v1, v38, 0
	v_bcnt_u32_b32 v1, v39, v1
	s_waitcnt lgkmcnt(0)
	v_add_u32_e32 v1, v100, v1
	ds_write_b32 v101, v1 offset:32
.LBB230_47:
	s_or_b64 exec, exec, s[4:5]
	v_cmp_ne_u16_e32 vcc, s17, v71
	v_cndmask_b32_e32 v1, v41, v71, vcc
	v_and_b32_sdwa v38, s16, v1 dst_sel:DWORD dst_unused:UNUSED_PAD src0_sel:DWORD src1_sel:WORD_0
	v_lshlrev_b32_e32 v1, 3, v38
	v_add_lshl_u32 v104, v68, v1, 2
	v_and_b32_e32 v1, 1, v38
	v_add_co_u32_e32 v39, vcc, -1, v1
	v_min_u32_e32 v80, 0x1c0, v40
	v_addc_co_u32_e64 v40, s[4:5], 0, -1, vcc
	v_cmp_ne_u32_e32 vcc, 0, v1
	v_xor_b32_e32 v1, vcc_hi, v40
	v_and_b32_e32 v40, exec_hi, v1
	v_lshlrev_b32_e32 v1, 30, v38
	v_xor_b32_e32 v39, vcc_lo, v39
	v_cmp_gt_i64_e32 vcc, 0, v[0:1]
	v_not_b32_e32 v1, v1
	v_ashrrev_i32_e32 v1, 31, v1
	v_and_b32_e32 v39, exec_lo, v39
	v_xor_b32_e32 v41, vcc_hi, v1
	v_xor_b32_e32 v1, vcc_lo, v1
	v_and_b32_e32 v39, v39, v1
	v_lshlrev_b32_e32 v1, 29, v38
	v_cmp_gt_i64_e32 vcc, 0, v[0:1]
	v_not_b32_e32 v1, v1
	v_ashrrev_i32_e32 v1, 31, v1
	v_and_b32_e32 v40, v40, v41
	v_xor_b32_e32 v41, vcc_hi, v1
	v_xor_b32_e32 v1, vcc_lo, v1
	v_and_b32_e32 v39, v39, v1
	v_lshlrev_b32_e32 v1, 28, v38
	v_cmp_gt_i64_e32 vcc, 0, v[0:1]
	v_not_b32_e32 v1, v1
	v_ashrrev_i32_e32 v1, 31, v1
	v_and_b32_e32 v40, v40, v41
	;; [unrolled: 8-line block ×5, first 2 shown]
	v_xor_b32_e32 v41, vcc_hi, v1
	v_xor_b32_e32 v1, vcc_lo, v1
	v_and_b32_e32 v39, v39, v1
	v_lshlrev_b32_e32 v1, 24, v38
	v_cmp_gt_i64_e32 vcc, 0, v[0:1]
	v_not_b32_e32 v0, v1
	v_ashrrev_i32_e32 v0, 31, v0
	v_xor_b32_e32 v1, vcc_hi, v0
	v_xor_b32_e32 v0, vcc_lo, v0
	; wave barrier
	ds_read_b32 v103, v104 offset:32
	v_and_b32_e32 v40, v40, v41
	v_and_b32_e32 v0, v39, v0
	;; [unrolled: 1-line block ×3, first 2 shown]
	v_mbcnt_lo_u32_b32 v38, v0, 0
	v_mbcnt_hi_u32_b32 v105, v1, v38
	v_cmp_eq_u32_e32 vcc, 0, v105
	v_cmp_ne_u64_e64 s[4:5], 0, v[0:1]
	v_add_u32_e32 v69, 32, v64
	v_lshrrev_b32_e32 v70, 6, v46
	s_and_b64 s[16:17], s[4:5], vcc
	; wave barrier
	s_and_saveexec_b64 s[4:5], s[16:17]
	s_cbranch_execz .LBB230_49
; %bb.48:
	v_bcnt_u32_b32 v0, v0, 0
	v_bcnt_u32_b32 v0, v1, v0
	s_waitcnt lgkmcnt(0)
	v_add_u32_e32 v0, v103, v0
	ds_write_b32 v104, v0 offset:32
.LBB230_49:
	s_or_b64 exec, exec, s[4:5]
	; wave barrier
	s_waitcnt lgkmcnt(0)
	s_barrier
	ds_read2_b32 v[38:39], v64 offset0:8 offset1:9
	ds_read2_b32 v[40:41], v69 offset0:2 offset1:3
	v_and_b32_e32 v1, 16, v76
	v_cmp_eq_u32_e32 vcc, 0, v1
	v_or_b32_e32 v1, 63, v80
	v_cmp_eq_u32_e64 s[16:17], v1, v46
	s_waitcnt lgkmcnt(1)
	v_add_u32_e32 v1, v39, v38
	v_and_b32_e32 v0, 15, v76
	s_waitcnt lgkmcnt(0)
	v_add3_u32 v1, v1, v40, v41
	v_cmp_eq_u32_e64 s[24:25], 0, v0
	v_cmp_lt_u32_e64 s[26:27], 1, v0
	v_mov_b32_dpp v41, v1 row_shr:1 row_mask:0xf bank_mask:0xf
	v_cndmask_b32_e64 v41, v41, 0, s[24:25]
	v_add_u32_e32 v1, v41, v1
	v_cmp_lt_u32_e64 s[30:31], 3, v0
	v_cmp_lt_u32_e64 s[34:35], 7, v0
	v_mov_b32_dpp v41, v1 row_shr:2 row_mask:0xf bank_mask:0xf
	v_cndmask_b32_e64 v41, 0, v41, s[26:27]
	v_add_u32_e32 v1, v1, v41
	v_bfe_i32 v81, v76, 4, 1
	v_cmp_lt_u32_e64 s[36:37], 31, v76
	v_mov_b32_dpp v41, v1 row_shr:4 row_mask:0xf bank_mask:0xf
	v_cndmask_b32_e64 v41, 0, v41, s[30:31]
	v_add_u32_e32 v1, v1, v41
	v_lshlrev_b32_e32 v70, 2, v70
	s_nop 0
	v_mov_b32_dpp v41, v1 row_shr:8 row_mask:0xf bank_mask:0xf
	v_cndmask_b32_e64 v0, 0, v41, s[34:35]
	v_add_u32_e32 v0, v1, v0
	s_nop 1
	v_mov_b32_dpp v1, v0 row_bcast:15 row_mask:0xf bank_mask:0xf
	v_and_b32_e32 v1, v81, v1
	v_add_u32_e32 v0, v0, v1
	s_nop 1
	v_mov_b32_dpp v1, v0 row_bcast:31 row_mask:0xf bank_mask:0xf
	v_cndmask_b32_e64 v1, 0, v1, s[36:37]
	v_add_u32_e32 v1, v0, v1
	s_and_saveexec_b64 s[4:5], s[16:17]
	s_cbranch_execz .LBB230_51
; %bb.50:
	ds_write_b32 v70, v1
.LBB230_51:
	s_or_b64 exec, exec, s[4:5]
	v_and_b32_e32 v0, 7, v76
	v_cmp_gt_u32_e64 s[28:29], 8, v46
	v_lshlrev_b32_e32 v41, 2, v46
	v_cmp_eq_u32_e64 s[22:23], 0, v0
	v_cmp_lt_u32_e64 s[20:21], 1, v0
	v_cmp_lt_u32_e64 s[18:19], 3, v0
	s_waitcnt lgkmcnt(0)
	s_barrier
	s_and_saveexec_b64 s[4:5], s[28:29]
	s_cbranch_execz .LBB230_53
; %bb.52:
	ds_read_b32 v0, v41
	s_waitcnt lgkmcnt(0)
	s_nop 0
	v_mov_b32_dpp v80, v0 row_shr:1 row_mask:0xf bank_mask:0xf
	v_cndmask_b32_e64 v80, v80, 0, s[22:23]
	v_add_u32_e32 v0, v80, v0
	s_nop 1
	v_mov_b32_dpp v80, v0 row_shr:2 row_mask:0xf bank_mask:0xf
	v_cndmask_b32_e64 v80, 0, v80, s[20:21]
	v_add_u32_e32 v0, v0, v80
	;; [unrolled: 4-line block ×3, first 2 shown]
	ds_write_b32 v41, v0
.LBB230_53:
	s_or_b64 exec, exec, s[4:5]
	v_cmp_lt_u32_e64 s[38:39], 63, v46
	v_add_u32_e32 v80, -4, v70
	v_mov_b32_e32 v0, 0
	v_mov_b32_e32 v106, 0
	s_waitcnt lgkmcnt(0)
	s_barrier
	s_and_saveexec_b64 s[4:5], s[38:39]
	s_cbranch_execz .LBB230_55
; %bb.54:
	ds_read_b32 v106, v80
.LBB230_55:
	s_or_b64 exec, exec, s[4:5]
	v_add_u32_e32 v81, -1, v76
	v_and_b32_e32 v107, 64, v76
	v_cmp_lt_i32_e64 s[4:5], v81, v107
	v_cndmask_b32_e64 v81, v81, v76, s[4:5]
	v_lshlrev_b32_e32 v81, 2, v81
	s_waitcnt lgkmcnt(0)
	v_add_u32_e32 v1, v106, v1
	ds_bpermute_b32 v1, v81, v1
	v_cmp_eq_u32_e64 s[40:41], 0, v76
	v_cmp_eq_u32_e64 s[42:43], 0, v46
	v_and_or_b32 v82, v76, 63, v82
	v_lshlrev_b32_e32 v107, 1, v82
	s_waitcnt lgkmcnt(0)
	v_cndmask_b32_e64 v1, v1, v106, s[40:41]
	v_cndmask_b32_e64 v1, v1, 0, s[42:43]
	v_add_u32_e32 v38, v1, v38
	v_add_u32_e32 v39, v38, v39
	;; [unrolled: 1-line block ×3, first 2 shown]
	ds_write2_b32 v64, v1, v38 offset0:8 offset1:9
	ds_write2_b32 v69, v39, v40 offset0:2 offset1:3
	s_waitcnt lgkmcnt(0)
	s_barrier
	ds_read_b32 v1, v83 offset:32
	ds_read_b32 v38, v86 offset:32
	;; [unrolled: 1-line block ×8, first 2 shown]
	s_waitcnt lgkmcnt(7)
	v_add_u32_e32 v1, v1, v84
	s_waitcnt lgkmcnt(6)
	v_add3_u32 v38, v87, v85, v38
	s_waitcnt lgkmcnt(4)
	v_add3_u32 v84, v93, v91, v40
	v_lshlrev_b32_e32 v40, 1, v1
	v_add3_u32 v39, v90, v88, v39
	s_waitcnt lgkmcnt(0)
	s_barrier
	ds_write_b16 v40, v79
	v_lshlrev_b32_e32 v40, 1, v38
	ds_write_b16 v40, v78
	v_lshlrev_b32_e32 v40, 1, v39
	v_add3_u32 v85, v96, v94, v76
	ds_write_b16 v40, v77
	v_lshlrev_b32_e32 v40, 1, v84
	v_add3_u32 v83, v99, v97, v83
	;; [unrolled: 3-line block ×4, first 2 shown]
	ds_write_b16 v40, v73
	v_lshlrev_b32_e32 v40, 1, v86
	ds_write_b16 v40, v72
	v_lshlrev_b32_e32 v40, 1, v87
	v_lshlrev_b32_e32 v1, 3, v1
	ds_write_b16 v40, v71
	s_waitcnt lgkmcnt(0)
	s_barrier
	ds_read_u16 v77, v107
	ds_read_u16 v76, v107 offset:128
	ds_read_u16 v75, v107 offset:256
	;; [unrolled: 1-line block ×7, first 2 shown]
	s_waitcnt lgkmcnt(0)
	s_barrier
	ds_write_b64 v1, v[34:35]
	v_lshlrev_b32_e32 v1, 3, v38
	ds_write_b64 v1, v[36:37]
	v_lshlrev_b32_e32 v1, 3, v39
	ds_write_b64 v1, v[30:31]
	v_lshlrev_b32_e32 v1, 3, v84
	ds_write_b64 v1, v[32:33]
	v_lshlrev_b32_e32 v1, 3, v85
	ds_write_b64 v1, v[26:27]
	v_lshlrev_b32_e32 v1, 3, v83
	ds_write_b64 v1, v[28:29]
	v_lshlrev_b32_e32 v1, 3, v86
	s_min_u32 s4, s46, 8
	ds_write_b64 v1, v[22:23]
	v_lshlrev_b32_e32 v1, 3, v87
	s_lshl_b32 s4, -1, s4
	s_movk_i32 s56, 0x7fff
	ds_write_b64 v1, v[24:25]
	s_not_b32 s53, s4
	v_lshrrev_b16_e32 v1, 8, v77
	v_mov_b32_e32 v38, 0x80
	v_cmp_ne_u16_e64 s[4:5], s56, v77
	v_cndmask_b32_e64 v1, v38, v1, s[4:5]
	v_and_b32_sdwa v39, v1, s53 dst_sel:DWORD dst_unused:UNUSED_PAD src0_sel:WORD_0 src1_sel:DWORD
	v_lshlrev_b32_e32 v1, 3, v39
	v_add_lshl_u32 v78, v1, v68, 2
	v_and_b32_e32 v1, 1, v39
	v_lshlrev_b32_e32 v82, 3, v82
	v_add_co_u32_e64 v79, s[4:5], -1, v1
	s_waitcnt lgkmcnt(0)
	s_barrier
	ds_read2st64_b64 v[34:37], v82 offset1:1
	ds_read2st64_b64 v[30:33], v82 offset0:2 offset1:3
	ds_read2st64_b64 v[26:29], v82 offset0:4 offset1:5
	;; [unrolled: 1-line block ×3, first 2 shown]
	v_addc_co_u32_e64 v82, s[4:5], 0, -1, s[4:5]
	v_cmp_ne_u32_e64 s[4:5], 0, v1
	v_xor_b32_e32 v1, s5, v82
	v_and_b32_e32 v82, exec_hi, v1
	v_lshlrev_b32_e32 v1, 30, v39
	v_xor_b32_e32 v79, s4, v79
	v_cmp_gt_i64_e64 s[4:5], 0, v[0:1]
	v_not_b32_e32 v1, v1
	v_ashrrev_i32_e32 v1, 31, v1
	v_and_b32_e32 v79, exec_lo, v79
	v_xor_b32_e32 v83, s5, v1
	v_xor_b32_e32 v1, s4, v1
	v_and_b32_e32 v79, v79, v1
	v_lshlrev_b32_e32 v1, 29, v39
	v_cmp_gt_i64_e64 s[4:5], 0, v[0:1]
	v_not_b32_e32 v1, v1
	v_ashrrev_i32_e32 v1, 31, v1
	v_and_b32_e32 v82, v82, v83
	v_xor_b32_e32 v83, s5, v1
	v_xor_b32_e32 v1, s4, v1
	v_and_b32_e32 v79, v79, v1
	v_lshlrev_b32_e32 v1, 28, v39
	v_cmp_gt_i64_e64 s[4:5], 0, v[0:1]
	v_not_b32_e32 v1, v1
	v_ashrrev_i32_e32 v1, 31, v1
	v_and_b32_e32 v82, v82, v83
	;; [unrolled: 8-line block ×5, first 2 shown]
	v_xor_b32_e32 v83, s5, v1
	v_xor_b32_e32 v1, s4, v1
	v_and_b32_e32 v79, v79, v1
	v_lshlrev_b32_e32 v1, 24, v39
	s_waitcnt lgkmcnt(0)
	s_barrier
	ds_write2_b32 v64, v0, v0 offset0:8 offset1:9
	ds_write2_b32 v69, v0, v0 offset0:2 offset1:3
	v_cmp_gt_i64_e64 s[4:5], 0, v[0:1]
	v_not_b32_e32 v0, v1
	v_ashrrev_i32_e32 v0, 31, v0
	v_xor_b32_e32 v1, s5, v0
	v_xor_b32_e32 v0, s4, v0
	v_and_b32_e32 v82, v82, v83
	v_and_b32_e32 v0, v79, v0
	;; [unrolled: 1-line block ×3, first 2 shown]
	v_mbcnt_lo_u32_b32 v39, v0, 0
	v_mbcnt_hi_u32_b32 v79, v1, v39
	v_cmp_eq_u32_e64 s[4:5], 0, v79
	v_cmp_ne_u64_e64 s[46:47], 0, v[0:1]
	s_and_b64 s[46:47], s[46:47], s[4:5]
	s_waitcnt lgkmcnt(0)
	s_barrier
	s_waitcnt lgkmcnt(0)
	; wave barrier
	s_and_saveexec_b64 s[4:5], s[46:47]
	s_cbranch_execz .LBB230_57
; %bb.56:
	v_bcnt_u32_b32 v0, v0, 0
	v_bcnt_u32_b32 v0, v1, v0
	ds_write_b32 v78, v0 offset:32
.LBB230_57:
	s_or_b64 exec, exec, s[4:5]
	v_lshrrev_b16_e32 v0, 8, v76
	v_cmp_ne_u16_e64 s[4:5], s56, v76
	v_cndmask_b32_e64 v0, v38, v0, s[4:5]
	v_and_b32_e32 v38, s53, v0
	v_and_b32_e32 v1, 1, v38
	v_add_co_u32_e64 v39, s[4:5], -1, v1
	v_addc_co_u32_e64 v84, s[4:5], 0, -1, s[4:5]
	v_cmp_ne_u32_e64 s[4:5], 0, v1
	v_lshlrev_b32_e32 v0, 3, v38
	v_xor_b32_e32 v1, s5, v84
	v_add_lshl_u32 v83, v0, v68, 2
	v_mov_b32_e32 v0, 0
	v_and_b32_e32 v84, exec_hi, v1
	v_lshlrev_b32_e32 v1, 30, v38
	v_xor_b32_e32 v39, s4, v39
	v_cmp_gt_i64_e64 s[4:5], 0, v[0:1]
	v_not_b32_e32 v1, v1
	v_ashrrev_i32_e32 v1, 31, v1
	v_and_b32_e32 v39, exec_lo, v39
	v_xor_b32_e32 v85, s5, v1
	v_xor_b32_e32 v1, s4, v1
	v_and_b32_e32 v39, v39, v1
	v_lshlrev_b32_e32 v1, 29, v38
	v_cmp_gt_i64_e64 s[4:5], 0, v[0:1]
	v_not_b32_e32 v1, v1
	v_ashrrev_i32_e32 v1, 31, v1
	v_and_b32_e32 v84, v84, v85
	v_xor_b32_e32 v85, s5, v1
	v_xor_b32_e32 v1, s4, v1
	v_and_b32_e32 v39, v39, v1
	v_lshlrev_b32_e32 v1, 28, v38
	v_cmp_gt_i64_e64 s[4:5], 0, v[0:1]
	v_not_b32_e32 v1, v1
	v_ashrrev_i32_e32 v1, 31, v1
	v_and_b32_e32 v84, v84, v85
	;; [unrolled: 8-line block ×5, first 2 shown]
	v_xor_b32_e32 v85, s5, v1
	v_xor_b32_e32 v1, s4, v1
	v_and_b32_e32 v84, v84, v85
	v_and_b32_e32 v85, v39, v1
	v_lshlrev_b32_e32 v1, 24, v38
	v_cmp_gt_i64_e64 s[4:5], 0, v[0:1]
	v_not_b32_e32 v1, v1
	v_ashrrev_i32_e32 v1, 31, v1
	v_xor_b32_e32 v38, s5, v1
	v_xor_b32_e32 v1, s4, v1
	; wave barrier
	ds_read_b32 v82, v83 offset:32
	v_and_b32_e32 v39, v84, v38
	v_and_b32_e32 v38, v85, v1
	v_mbcnt_lo_u32_b32 v1, v38, 0
	v_mbcnt_hi_u32_b32 v84, v39, v1
	v_cmp_eq_u32_e64 s[4:5], 0, v84
	v_cmp_ne_u64_e64 s[46:47], 0, v[38:39]
	s_and_b64 s[46:47], s[46:47], s[4:5]
	; wave barrier
	s_and_saveexec_b64 s[4:5], s[46:47]
	s_cbranch_execz .LBB230_59
; %bb.58:
	v_bcnt_u32_b32 v1, v38, 0
	v_bcnt_u32_b32 v1, v39, v1
	s_waitcnt lgkmcnt(0)
	v_add_u32_e32 v1, v82, v1
	ds_write_b32 v83, v1 offset:32
.LBB230_59:
	s_or_b64 exec, exec, s[4:5]
	v_lshrrev_b16_e32 v1, 8, v75
	v_mov_b32_e32 v38, 0x80
	v_cmp_ne_u16_e64 s[4:5], s56, v75
	v_cndmask_b32_e64 v1, v38, v1, s[4:5]
	v_and_b32_e32 v39, s53, v1
	v_lshlrev_b32_e32 v1, 3, v39
	v_add_lshl_u32 v86, v1, v68, 2
	v_and_b32_e32 v1, 1, v39
	v_add_co_u32_e64 v87, s[4:5], -1, v1
	v_addc_co_u32_e64 v88, s[4:5], 0, -1, s[4:5]
	v_cmp_ne_u32_e64 s[4:5], 0, v1
	v_xor_b32_e32 v1, s5, v88
	v_and_b32_e32 v88, exec_hi, v1
	v_lshlrev_b32_e32 v1, 30, v39
	v_xor_b32_e32 v87, s4, v87
	v_cmp_gt_i64_e64 s[4:5], 0, v[0:1]
	v_not_b32_e32 v1, v1
	v_ashrrev_i32_e32 v1, 31, v1
	v_and_b32_e32 v87, exec_lo, v87
	v_xor_b32_e32 v89, s5, v1
	v_xor_b32_e32 v1, s4, v1
	v_and_b32_e32 v87, v87, v1
	v_lshlrev_b32_e32 v1, 29, v39
	v_cmp_gt_i64_e64 s[4:5], 0, v[0:1]
	v_not_b32_e32 v1, v1
	v_ashrrev_i32_e32 v1, 31, v1
	v_and_b32_e32 v88, v88, v89
	v_xor_b32_e32 v89, s5, v1
	v_xor_b32_e32 v1, s4, v1
	v_and_b32_e32 v87, v87, v1
	v_lshlrev_b32_e32 v1, 28, v39
	v_cmp_gt_i64_e64 s[4:5], 0, v[0:1]
	v_not_b32_e32 v1, v1
	v_ashrrev_i32_e32 v1, 31, v1
	v_and_b32_e32 v88, v88, v89
	;; [unrolled: 8-line block ×5, first 2 shown]
	v_xor_b32_e32 v89, s5, v1
	v_xor_b32_e32 v1, s4, v1
	v_and_b32_e32 v87, v87, v1
	v_lshlrev_b32_e32 v1, 24, v39
	v_cmp_gt_i64_e64 s[4:5], 0, v[0:1]
	v_not_b32_e32 v0, v1
	v_ashrrev_i32_e32 v0, 31, v0
	v_xor_b32_e32 v1, s5, v0
	v_xor_b32_e32 v0, s4, v0
	; wave barrier
	ds_read_b32 v85, v86 offset:32
	v_and_b32_e32 v88, v88, v89
	v_and_b32_e32 v0, v87, v0
	;; [unrolled: 1-line block ×3, first 2 shown]
	v_mbcnt_lo_u32_b32 v39, v0, 0
	v_mbcnt_hi_u32_b32 v87, v1, v39
	v_cmp_eq_u32_e64 s[4:5], 0, v87
	v_cmp_ne_u64_e64 s[46:47], 0, v[0:1]
	s_and_b64 s[46:47], s[46:47], s[4:5]
	; wave barrier
	s_and_saveexec_b64 s[4:5], s[46:47]
	s_cbranch_execz .LBB230_61
; %bb.60:
	v_bcnt_u32_b32 v0, v0, 0
	v_bcnt_u32_b32 v0, v1, v0
	s_waitcnt lgkmcnt(0)
	v_add_u32_e32 v0, v85, v0
	ds_write_b32 v86, v0 offset:32
.LBB230_61:
	s_or_b64 exec, exec, s[4:5]
	v_lshrrev_b16_e32 v0, 8, v74
	v_cmp_ne_u16_e64 s[4:5], s56, v74
	v_cndmask_b32_e64 v0, v38, v0, s[4:5]
	v_and_b32_e32 v38, s53, v0
	v_and_b32_e32 v1, 1, v38
	v_add_co_u32_e64 v39, s[4:5], -1, v1
	v_addc_co_u32_e64 v90, s[4:5], 0, -1, s[4:5]
	v_cmp_ne_u32_e64 s[4:5], 0, v1
	v_lshlrev_b32_e32 v0, 3, v38
	v_xor_b32_e32 v1, s5, v90
	v_add_lshl_u32 v89, v0, v68, 2
	v_mov_b32_e32 v0, 0
	v_and_b32_e32 v90, exec_hi, v1
	v_lshlrev_b32_e32 v1, 30, v38
	v_xor_b32_e32 v39, s4, v39
	v_cmp_gt_i64_e64 s[4:5], 0, v[0:1]
	v_not_b32_e32 v1, v1
	v_ashrrev_i32_e32 v1, 31, v1
	v_and_b32_e32 v39, exec_lo, v39
	v_xor_b32_e32 v91, s5, v1
	v_xor_b32_e32 v1, s4, v1
	v_and_b32_e32 v39, v39, v1
	v_lshlrev_b32_e32 v1, 29, v38
	v_cmp_gt_i64_e64 s[4:5], 0, v[0:1]
	v_not_b32_e32 v1, v1
	v_ashrrev_i32_e32 v1, 31, v1
	v_and_b32_e32 v90, v90, v91
	v_xor_b32_e32 v91, s5, v1
	v_xor_b32_e32 v1, s4, v1
	v_and_b32_e32 v39, v39, v1
	v_lshlrev_b32_e32 v1, 28, v38
	v_cmp_gt_i64_e64 s[4:5], 0, v[0:1]
	v_not_b32_e32 v1, v1
	v_ashrrev_i32_e32 v1, 31, v1
	v_and_b32_e32 v90, v90, v91
	;; [unrolled: 8-line block ×5, first 2 shown]
	v_xor_b32_e32 v91, s5, v1
	v_xor_b32_e32 v1, s4, v1
	v_and_b32_e32 v90, v90, v91
	v_and_b32_e32 v91, v39, v1
	v_lshlrev_b32_e32 v1, 24, v38
	v_cmp_gt_i64_e64 s[4:5], 0, v[0:1]
	v_not_b32_e32 v1, v1
	v_ashrrev_i32_e32 v1, 31, v1
	v_xor_b32_e32 v38, s5, v1
	v_xor_b32_e32 v1, s4, v1
	; wave barrier
	ds_read_b32 v88, v89 offset:32
	v_and_b32_e32 v39, v90, v38
	v_and_b32_e32 v38, v91, v1
	v_mbcnt_lo_u32_b32 v1, v38, 0
	v_mbcnt_hi_u32_b32 v90, v39, v1
	v_cmp_eq_u32_e64 s[4:5], 0, v90
	v_cmp_ne_u64_e64 s[46:47], 0, v[38:39]
	s_and_b64 s[46:47], s[46:47], s[4:5]
	; wave barrier
	s_and_saveexec_b64 s[4:5], s[46:47]
	s_cbranch_execz .LBB230_63
; %bb.62:
	v_bcnt_u32_b32 v1, v38, 0
	v_bcnt_u32_b32 v1, v39, v1
	s_waitcnt lgkmcnt(0)
	v_add_u32_e32 v1, v88, v1
	ds_write_b32 v89, v1 offset:32
.LBB230_63:
	s_or_b64 exec, exec, s[4:5]
	v_lshrrev_b16_e32 v1, 8, v73
	v_mov_b32_e32 v38, 0x80
	v_cmp_ne_u16_e64 s[4:5], s56, v73
	v_cndmask_b32_e64 v1, v38, v1, s[4:5]
	v_and_b32_e32 v39, s53, v1
	v_lshlrev_b32_e32 v1, 3, v39
	v_add_lshl_u32 v92, v1, v68, 2
	v_and_b32_e32 v1, 1, v39
	v_add_co_u32_e64 v93, s[4:5], -1, v1
	v_addc_co_u32_e64 v94, s[4:5], 0, -1, s[4:5]
	v_cmp_ne_u32_e64 s[4:5], 0, v1
	v_xor_b32_e32 v1, s5, v94
	v_and_b32_e32 v94, exec_hi, v1
	v_lshlrev_b32_e32 v1, 30, v39
	v_xor_b32_e32 v93, s4, v93
	v_cmp_gt_i64_e64 s[4:5], 0, v[0:1]
	v_not_b32_e32 v1, v1
	v_ashrrev_i32_e32 v1, 31, v1
	v_and_b32_e32 v93, exec_lo, v93
	v_xor_b32_e32 v95, s5, v1
	v_xor_b32_e32 v1, s4, v1
	v_and_b32_e32 v93, v93, v1
	v_lshlrev_b32_e32 v1, 29, v39
	v_cmp_gt_i64_e64 s[4:5], 0, v[0:1]
	v_not_b32_e32 v1, v1
	v_ashrrev_i32_e32 v1, 31, v1
	v_and_b32_e32 v94, v94, v95
	v_xor_b32_e32 v95, s5, v1
	v_xor_b32_e32 v1, s4, v1
	v_and_b32_e32 v93, v93, v1
	v_lshlrev_b32_e32 v1, 28, v39
	v_cmp_gt_i64_e64 s[4:5], 0, v[0:1]
	v_not_b32_e32 v1, v1
	v_ashrrev_i32_e32 v1, 31, v1
	v_and_b32_e32 v94, v94, v95
	;; [unrolled: 8-line block ×5, first 2 shown]
	v_xor_b32_e32 v95, s5, v1
	v_xor_b32_e32 v1, s4, v1
	v_and_b32_e32 v93, v93, v1
	v_lshlrev_b32_e32 v1, 24, v39
	v_cmp_gt_i64_e64 s[4:5], 0, v[0:1]
	v_not_b32_e32 v0, v1
	v_ashrrev_i32_e32 v0, 31, v0
	v_xor_b32_e32 v1, s5, v0
	v_xor_b32_e32 v0, s4, v0
	; wave barrier
	ds_read_b32 v91, v92 offset:32
	v_and_b32_e32 v94, v94, v95
	v_and_b32_e32 v0, v93, v0
	;; [unrolled: 1-line block ×3, first 2 shown]
	v_mbcnt_lo_u32_b32 v39, v0, 0
	v_mbcnt_hi_u32_b32 v93, v1, v39
	v_cmp_eq_u32_e64 s[4:5], 0, v93
	v_cmp_ne_u64_e64 s[46:47], 0, v[0:1]
	s_and_b64 s[46:47], s[46:47], s[4:5]
	; wave barrier
	s_and_saveexec_b64 s[4:5], s[46:47]
	s_cbranch_execz .LBB230_65
; %bb.64:
	v_bcnt_u32_b32 v0, v0, 0
	v_bcnt_u32_b32 v0, v1, v0
	s_waitcnt lgkmcnt(0)
	v_add_u32_e32 v0, v91, v0
	ds_write_b32 v92, v0 offset:32
.LBB230_65:
	s_or_b64 exec, exec, s[4:5]
	v_lshrrev_b16_e32 v0, 8, v72
	v_cmp_ne_u16_e64 s[4:5], s56, v72
	v_cndmask_b32_e64 v0, v38, v0, s[4:5]
	v_and_b32_e32 v38, s53, v0
	v_and_b32_e32 v1, 1, v38
	v_add_co_u32_e64 v39, s[4:5], -1, v1
	v_addc_co_u32_e64 v96, s[4:5], 0, -1, s[4:5]
	v_cmp_ne_u32_e64 s[4:5], 0, v1
	v_lshlrev_b32_e32 v0, 3, v38
	v_xor_b32_e32 v1, s5, v96
	v_add_lshl_u32 v95, v0, v68, 2
	v_mov_b32_e32 v0, 0
	v_and_b32_e32 v96, exec_hi, v1
	v_lshlrev_b32_e32 v1, 30, v38
	v_xor_b32_e32 v39, s4, v39
	v_cmp_gt_i64_e64 s[4:5], 0, v[0:1]
	v_not_b32_e32 v1, v1
	v_ashrrev_i32_e32 v1, 31, v1
	v_and_b32_e32 v39, exec_lo, v39
	v_xor_b32_e32 v97, s5, v1
	v_xor_b32_e32 v1, s4, v1
	v_and_b32_e32 v39, v39, v1
	v_lshlrev_b32_e32 v1, 29, v38
	v_cmp_gt_i64_e64 s[4:5], 0, v[0:1]
	v_not_b32_e32 v1, v1
	v_ashrrev_i32_e32 v1, 31, v1
	v_and_b32_e32 v96, v96, v97
	v_xor_b32_e32 v97, s5, v1
	v_xor_b32_e32 v1, s4, v1
	v_and_b32_e32 v39, v39, v1
	v_lshlrev_b32_e32 v1, 28, v38
	v_cmp_gt_i64_e64 s[4:5], 0, v[0:1]
	v_not_b32_e32 v1, v1
	v_ashrrev_i32_e32 v1, 31, v1
	v_and_b32_e32 v96, v96, v97
	;; [unrolled: 8-line block ×5, first 2 shown]
	v_xor_b32_e32 v97, s5, v1
	v_xor_b32_e32 v1, s4, v1
	v_and_b32_e32 v96, v96, v97
	v_and_b32_e32 v97, v39, v1
	v_lshlrev_b32_e32 v1, 24, v38
	v_cmp_gt_i64_e64 s[4:5], 0, v[0:1]
	v_not_b32_e32 v1, v1
	v_ashrrev_i32_e32 v1, 31, v1
	v_xor_b32_e32 v38, s5, v1
	v_xor_b32_e32 v1, s4, v1
	; wave barrier
	ds_read_b32 v94, v95 offset:32
	v_and_b32_e32 v39, v96, v38
	v_and_b32_e32 v38, v97, v1
	v_mbcnt_lo_u32_b32 v1, v38, 0
	v_mbcnt_hi_u32_b32 v96, v39, v1
	v_cmp_eq_u32_e64 s[4:5], 0, v96
	v_cmp_ne_u64_e64 s[46:47], 0, v[38:39]
	s_and_b64 s[46:47], s[46:47], s[4:5]
	; wave barrier
	s_and_saveexec_b64 s[4:5], s[46:47]
	s_cbranch_execz .LBB230_67
; %bb.66:
	v_bcnt_u32_b32 v1, v38, 0
	v_bcnt_u32_b32 v1, v39, v1
	s_waitcnt lgkmcnt(0)
	v_add_u32_e32 v1, v94, v1
	ds_write_b32 v95, v1 offset:32
.LBB230_67:
	s_or_b64 exec, exec, s[4:5]
	v_lshrrev_b16_e32 v1, 8, v71
	v_mov_b32_e32 v38, 0x80
	v_cmp_ne_u16_e64 s[4:5], s56, v71
	v_cndmask_b32_e64 v1, v38, v1, s[4:5]
	v_and_b32_e32 v39, s53, v1
	v_lshlrev_b32_e32 v1, 3, v39
	v_add_lshl_u32 v98, v1, v68, 2
	v_and_b32_e32 v1, 1, v39
	v_add_co_u32_e64 v99, s[4:5], -1, v1
	v_addc_co_u32_e64 v100, s[4:5], 0, -1, s[4:5]
	v_cmp_ne_u32_e64 s[4:5], 0, v1
	v_xor_b32_e32 v1, s5, v100
	v_and_b32_e32 v100, exec_hi, v1
	v_lshlrev_b32_e32 v1, 30, v39
	v_xor_b32_e32 v99, s4, v99
	v_cmp_gt_i64_e64 s[4:5], 0, v[0:1]
	v_not_b32_e32 v1, v1
	v_ashrrev_i32_e32 v1, 31, v1
	v_and_b32_e32 v99, exec_lo, v99
	v_xor_b32_e32 v101, s5, v1
	v_xor_b32_e32 v1, s4, v1
	v_and_b32_e32 v99, v99, v1
	v_lshlrev_b32_e32 v1, 29, v39
	v_cmp_gt_i64_e64 s[4:5], 0, v[0:1]
	v_not_b32_e32 v1, v1
	v_ashrrev_i32_e32 v1, 31, v1
	v_and_b32_e32 v100, v100, v101
	v_xor_b32_e32 v101, s5, v1
	v_xor_b32_e32 v1, s4, v1
	v_and_b32_e32 v99, v99, v1
	v_lshlrev_b32_e32 v1, 28, v39
	v_cmp_gt_i64_e64 s[4:5], 0, v[0:1]
	v_not_b32_e32 v1, v1
	v_ashrrev_i32_e32 v1, 31, v1
	v_and_b32_e32 v100, v100, v101
	;; [unrolled: 8-line block ×5, first 2 shown]
	v_xor_b32_e32 v101, s5, v1
	v_xor_b32_e32 v1, s4, v1
	v_and_b32_e32 v99, v99, v1
	v_lshlrev_b32_e32 v1, 24, v39
	v_cmp_gt_i64_e64 s[4:5], 0, v[0:1]
	v_not_b32_e32 v0, v1
	v_ashrrev_i32_e32 v0, 31, v0
	v_xor_b32_e32 v1, s5, v0
	v_xor_b32_e32 v0, s4, v0
	; wave barrier
	ds_read_b32 v97, v98 offset:32
	v_and_b32_e32 v100, v100, v101
	v_and_b32_e32 v0, v99, v0
	;; [unrolled: 1-line block ×3, first 2 shown]
	v_mbcnt_lo_u32_b32 v39, v0, 0
	v_mbcnt_hi_u32_b32 v99, v1, v39
	v_cmp_eq_u32_e64 s[4:5], 0, v99
	v_cmp_ne_u64_e64 s[46:47], 0, v[0:1]
	s_and_b64 s[46:47], s[46:47], s[4:5]
	; wave barrier
	s_and_saveexec_b64 s[4:5], s[46:47]
	s_cbranch_execz .LBB230_69
; %bb.68:
	v_bcnt_u32_b32 v0, v0, 0
	v_bcnt_u32_b32 v0, v1, v0
	s_waitcnt lgkmcnt(0)
	v_add_u32_e32 v0, v97, v0
	ds_write_b32 v98, v0 offset:32
.LBB230_69:
	s_or_b64 exec, exec, s[4:5]
	v_lshrrev_b16_e32 v0, 8, v40
	v_cmp_ne_u16_e64 s[4:5], s56, v40
	v_cndmask_b32_e64 v0, v38, v0, s[4:5]
	v_and_b32_e32 v38, s53, v0
	v_and_b32_e32 v1, 1, v38
	v_add_co_u32_e64 v39, s[4:5], -1, v1
	v_addc_co_u32_e64 v101, s[4:5], 0, -1, s[4:5]
	v_cmp_ne_u32_e64 s[4:5], 0, v1
	v_lshlrev_b32_e32 v0, 3, v38
	v_xor_b32_e32 v1, s5, v101
	v_add_lshl_u32 v100, v0, v68, 2
	v_mov_b32_e32 v0, 0
	v_and_b32_e32 v101, exec_hi, v1
	v_lshlrev_b32_e32 v1, 30, v38
	v_xor_b32_e32 v39, s4, v39
	v_cmp_gt_i64_e64 s[4:5], 0, v[0:1]
	v_not_b32_e32 v1, v1
	v_ashrrev_i32_e32 v1, 31, v1
	v_and_b32_e32 v39, exec_lo, v39
	v_xor_b32_e32 v102, s5, v1
	v_xor_b32_e32 v1, s4, v1
	v_and_b32_e32 v39, v39, v1
	v_lshlrev_b32_e32 v1, 29, v38
	v_cmp_gt_i64_e64 s[4:5], 0, v[0:1]
	v_not_b32_e32 v1, v1
	v_ashrrev_i32_e32 v1, 31, v1
	v_and_b32_e32 v101, v101, v102
	v_xor_b32_e32 v102, s5, v1
	v_xor_b32_e32 v1, s4, v1
	v_and_b32_e32 v39, v39, v1
	v_lshlrev_b32_e32 v1, 28, v38
	v_cmp_gt_i64_e64 s[4:5], 0, v[0:1]
	v_not_b32_e32 v1, v1
	v_ashrrev_i32_e32 v1, 31, v1
	v_and_b32_e32 v101, v101, v102
	;; [unrolled: 8-line block ×5, first 2 shown]
	v_xor_b32_e32 v102, s5, v1
	v_xor_b32_e32 v1, s4, v1
	v_and_b32_e32 v39, v39, v1
	v_lshlrev_b32_e32 v1, 24, v38
	v_cmp_gt_i64_e64 s[4:5], 0, v[0:1]
	v_not_b32_e32 v0, v1
	v_ashrrev_i32_e32 v0, 31, v0
	v_xor_b32_e32 v1, s5, v0
	v_xor_b32_e32 v0, s4, v0
	; wave barrier
	ds_read_b32 v68, v100 offset:32
	v_and_b32_e32 v101, v101, v102
	v_and_b32_e32 v0, v39, v0
	;; [unrolled: 1-line block ×3, first 2 shown]
	v_mbcnt_lo_u32_b32 v38, v0, 0
	v_mbcnt_hi_u32_b32 v101, v1, v38
	v_cmp_eq_u32_e64 s[4:5], 0, v101
	v_cmp_ne_u64_e64 s[46:47], 0, v[0:1]
	s_and_b64 s[46:47], s[46:47], s[4:5]
	; wave barrier
	s_and_saveexec_b64 s[4:5], s[46:47]
	s_cbranch_execz .LBB230_71
; %bb.70:
	v_bcnt_u32_b32 v0, v0, 0
	v_bcnt_u32_b32 v0, v1, v0
	s_waitcnt lgkmcnt(0)
	v_add_u32_e32 v0, v68, v0
	ds_write_b32 v100, v0 offset:32
.LBB230_71:
	s_or_b64 exec, exec, s[4:5]
	; wave barrier
	s_waitcnt lgkmcnt(0)
	s_barrier
	ds_read2_b32 v[38:39], v64 offset0:8 offset1:9
	ds_read2_b32 v[0:1], v69 offset0:2 offset1:3
	s_waitcnt lgkmcnt(1)
	v_add_u32_e32 v102, v39, v38
	s_waitcnt lgkmcnt(0)
	v_add3_u32 v1, v102, v0, v1
	s_nop 1
	v_mov_b32_dpp v102, v1 row_shr:1 row_mask:0xf bank_mask:0xf
	v_cndmask_b32_e64 v102, v102, 0, s[24:25]
	v_add_u32_e32 v1, v102, v1
	s_nop 1
	v_mov_b32_dpp v102, v1 row_shr:2 row_mask:0xf bank_mask:0xf
	v_cndmask_b32_e64 v102, 0, v102, s[26:27]
	v_add_u32_e32 v1, v1, v102
	;; [unrolled: 4-line block ×4, first 2 shown]
	s_nop 1
	v_mov_b32_dpp v102, v1 row_bcast:15 row_mask:0xf bank_mask:0xf
	v_cndmask_b32_e64 v102, v102, 0, vcc
	v_add_u32_e32 v1, v1, v102
	s_nop 1
	v_mov_b32_dpp v102, v1 row_bcast:31 row_mask:0xf bank_mask:0xf
	v_cndmask_b32_e64 v102, 0, v102, s[36:37]
	v_add_u32_e32 v102, v1, v102
	s_and_saveexec_b64 s[4:5], s[16:17]
	s_cbranch_execz .LBB230_73
; %bb.72:
	ds_write_b32 v70, v102
.LBB230_73:
	s_or_b64 exec, exec, s[4:5]
	s_waitcnt lgkmcnt(0)
	s_barrier
	s_and_saveexec_b64 s[4:5], s[28:29]
	s_cbranch_execz .LBB230_75
; %bb.74:
	ds_read_b32 v1, v41
	s_waitcnt lgkmcnt(0)
	s_nop 0
	v_mov_b32_dpp v70, v1 row_shr:1 row_mask:0xf bank_mask:0xf
	v_cndmask_b32_e64 v70, v70, 0, s[22:23]
	v_add_u32_e32 v1, v70, v1
	s_nop 1
	v_mov_b32_dpp v70, v1 row_shr:2 row_mask:0xf bank_mask:0xf
	v_cndmask_b32_e64 v70, 0, v70, s[20:21]
	v_add_u32_e32 v1, v1, v70
	;; [unrolled: 4-line block ×3, first 2 shown]
	ds_write_b32 v41, v1
.LBB230_75:
	s_or_b64 exec, exec, s[4:5]
	v_mov_b32_e32 v1, 0
	v_mov_b32_e32 v41, 0
	s_waitcnt lgkmcnt(0)
	s_barrier
	s_and_saveexec_b64 s[4:5], s[38:39]
	s_cbranch_execz .LBB230_77
; %bb.76:
	ds_read_b32 v41, v80
.LBB230_77:
	s_or_b64 exec, exec, s[4:5]
	s_waitcnt lgkmcnt(0)
	v_add_u32_e32 v70, v41, v102
	ds_bpermute_b32 v70, v81, v70
	s_mov_b32 s16, 0x5040100
	s_waitcnt lgkmcnt(0)
	v_cndmask_b32_e64 v41, v70, v41, s[40:41]
	v_cndmask_b32_e64 v41, v41, 0, s[42:43]
	v_add_u32_e32 v38, v41, v38
	v_add_u32_e32 v39, v38, v39
	;; [unrolled: 1-line block ×3, first 2 shown]
	ds_write2_b32 v64, v41, v38 offset0:8 offset1:9
	ds_write2_b32 v69, v39, v0 offset0:2 offset1:3
	s_waitcnt lgkmcnt(0)
	s_barrier
	ds_read_b32 v0, v100 offset:32
	ds_read_b32 v38, v98 offset:32
	;; [unrolled: 1-line block ×4, first 2 shown]
	s_waitcnt lgkmcnt(3)
	v_add3_u32 v0, v101, v68, v0
	ds_read_b32 v68, v89 offset:32
	ds_read_b32 v69, v86 offset:32
	;; [unrolled: 1-line block ×4, first 2 shown]
	s_waitcnt lgkmcnt(0)
	s_barrier
	v_add3_u32 v69, v87, v85, v69
	v_add3_u32 v70, v84, v82, v70
	v_add_u32_e32 v78, v78, v79
	v_lshlrev_b32_e32 v79, 1, v78
	ds_write_b16 v79, v77
	v_lshlrev_b32_e32 v77, 1, v70
	v_add3_u32 v68, v90, v88, v68
	ds_write_b16 v77, v76
	v_lshlrev_b32_e32 v76, 1, v69
	v_add3_u32 v41, v93, v91, v41
	;; [unrolled: 3-line block ×4, first 2 shown]
	ds_write_b16 v74, v73
	v_lshlrev_b32_e32 v73, 1, v39
	ds_write_b16 v73, v72
	v_lshlrev_b32_e32 v72, 1, v38
	;; [unrolled: 2-line block ×4, first 2 shown]
	s_waitcnt lgkmcnt(0)
	s_barrier
	v_lshlrev_b32_e32 v72, 3, v41
	v_lshlrev_b32_e32 v73, 3, v39
	;; [unrolled: 1-line block ×3, first 2 shown]
	ds_read_b128 v[38:41], v40
	v_mov_b32_e32 v77, 0xffff8000
	v_lshlrev_b32_e32 v71, 3, v78
	v_lshlrev_b32_e32 v75, 3, v63
	;; [unrolled: 1-line block ×3, first 2 shown]
	s_waitcnt lgkmcnt(0)
	v_cmp_lt_i16_sdwa vcc, v38, v1 src0_sel:WORD_1 src1_sel:DWORD
	v_cndmask_b32_e32 v78, -1, v77, vcc
	v_cmp_gt_i16_e32 vcc, 0, v38
	v_lshlrev_b32_e32 v69, 3, v69
	v_lshlrev_b32_e32 v68, 3, v68
	;; [unrolled: 1-line block ×3, first 2 shown]
	v_cndmask_b32_e32 v79, -1, v77, vcc
	v_cmp_lt_i16_e32 vcc, -1, v39
	s_barrier
	ds_write_b64 v71, v[34:35]
	ds_write_b64 v70, v[36:37]
	;; [unrolled: 1-line block ×8, first 2 shown]
	s_waitcnt lgkmcnt(0)
	s_barrier
	ds_read2_b64 v[22:25], v75 offset1:1
	ds_read2_b64 v[26:29], v75 offset0:2 offset1:3
	ds_read2_b64 v[30:33], v75 offset0:4 offset1:5
	;; [unrolled: 1-line block ×3, first 2 shown]
	v_mov_b32_e32 v76, -1
	v_cndmask_b32_e64 v81, v77, -1, vcc
	v_cmp_lt_i16_sdwa vcc, v40, v1 src0_sel:WORD_1 src1_sel:DWORD
	v_cmp_gt_i16_sdwa s[4:5], v39, v76 src0_sel:WORD_1 src1_sel:DWORD
	v_cndmask_b32_e32 v0, -1, v77, vcc
	v_cmp_gt_i16_e32 vcc, 0, v40
	v_cndmask_b32_e64 v80, v77, -1, s[4:5]
	v_cndmask_b32_e32 v1, -1, v77, vcc
	v_cmp_gt_i16_sdwa s[4:5], v41, v76 src0_sel:WORD_1 src1_sel:DWORD
	v_cmp_lt_i16_e32 vcc, -1, v41
	v_cndmask_b32_e64 v68, v77, -1, s[4:5]
	v_cndmask_b32_e64 v69, v77, -1, vcc
	v_xor_b32_e32 v81, v81, v39
	v_xor_b32_sdwa v39, v80, v39 dst_sel:DWORD dst_unused:UNUSED_PAD src0_sel:DWORD src1_sel:WORD_1
	v_xor_b32_e32 v79, v79, v38
	v_xor_b32_sdwa v38, v78, v38 dst_sel:DWORD dst_unused:UNUSED_PAD src0_sel:DWORD src1_sel:WORD_1
	;; [unrolled: 2-line block ×4, first 2 shown]
	v_perm_b32 v39, v39, v81, s16
	v_perm_b32 v38, v38, v79, s16
	;; [unrolled: 1-line block ×4, first 2 shown]
	s_branch .LBB230_131
.LBB230_78:
	v_mov_b32_e32 v45, 0
	v_lshlrev_b64 v[2:3], 3, v[44:45]
	v_mov_b32_e32 v4, s51
	v_add_co_u32_e32 v2, vcc, s49, v2
	v_addc_co_u32_e32 v3, vcc, v4, v3, vcc
	global_load_dwordx2 v[2:3], v[2:3], off
	v_mov_b32_e32 v4, v45
	v_mov_b32_e32 v5, v45
	;; [unrolled: 1-line block ×14, first 2 shown]
	s_or_b64 exec, exec, s[4:5]
	s_and_saveexec_b64 s[4:5], s[2:3]
	s_cbranch_execz .LBB230_25
.LBB230_79:
	v_mul_lo_u32 v4, v36, s52
	v_mov_b32_e32 v5, 0
	v_lshlrev_b64 v[4:5], 3, v[4:5]
	v_mov_b32_e32 v36, s51
	v_add_co_u32_e32 v4, vcc, s49, v4
	v_addc_co_u32_e32 v5, vcc, v36, v5, vcc
	global_load_dwordx2 v[4:5], v[4:5], off
	s_or_b64 exec, exec, s[4:5]
	s_and_saveexec_b64 s[4:5], s[44:45]
	s_cbranch_execz .LBB230_26
.LBB230_80:
	v_mul_lo_u32 v6, v35, s52
	v_mov_b32_e32 v7, 0
	v_lshlrev_b64 v[6:7], 3, v[6:7]
	v_mov_b32_e32 v35, s51
	v_add_co_u32_e32 v6, vcc, s49, v6
	v_addc_co_u32_e32 v7, vcc, v35, v7, vcc
	global_load_dwordx2 v[6:7], v[6:7], off
	s_or_b64 exec, exec, s[4:5]
	s_and_saveexec_b64 s[4:5], s[6:7]
	s_cbranch_execz .LBB230_27
.LBB230_81:
	v_mul_lo_u32 v8, v33, s52
	v_mov_b32_e32 v9, 0
	v_lshlrev_b64 v[8:9], 3, v[8:9]
	v_mov_b32_e32 v33, s51
	v_add_co_u32_e32 v8, vcc, s49, v8
	v_addc_co_u32_e32 v9, vcc, v33, v9, vcc
	global_load_dwordx2 v[8:9], v[8:9], off
	s_or_b64 exec, exec, s[4:5]
	s_and_saveexec_b64 s[4:5], s[8:9]
	s_cbranch_execz .LBB230_28
.LBB230_82:
	v_mul_lo_u32 v10, v30, s52
	v_mov_b32_e32 v11, 0
	v_lshlrev_b64 v[10:11], 3, v[10:11]
	v_mov_b32_e32 v30, s51
	v_add_co_u32_e32 v10, vcc, s49, v10
	v_addc_co_u32_e32 v11, vcc, v30, v11, vcc
	global_load_dwordx2 v[10:11], v[10:11], off
	s_or_b64 exec, exec, s[4:5]
	s_and_saveexec_b64 s[4:5], s[10:11]
	s_cbranch_execz .LBB230_29
.LBB230_83:
	v_mul_lo_u32 v12, v28, s52
	v_mov_b32_e32 v13, 0
	v_lshlrev_b64 v[12:13], 3, v[12:13]
	v_mov_b32_e32 v28, s51
	v_add_co_u32_e32 v12, vcc, s49, v12
	v_addc_co_u32_e32 v13, vcc, v28, v13, vcc
	global_load_dwordx2 v[12:13], v[12:13], off
	s_or_b64 exec, exec, s[4:5]
	s_and_saveexec_b64 s[4:5], s[12:13]
	s_cbranch_execz .LBB230_30
.LBB230_84:
	v_mul_lo_u32 v14, v26, s52
	v_mov_b32_e32 v15, 0
	v_lshlrev_b64 v[14:15], 3, v[14:15]
	v_mov_b32_e32 v26, s51
	v_add_co_u32_e32 v14, vcc, s49, v14
	v_addc_co_u32_e32 v15, vcc, v26, v15, vcc
	global_load_dwordx2 v[14:15], v[14:15], off
	s_or_b64 exec, exec, s[4:5]
	s_xor_b64 s[4:5], s[34:35], -1
	s_and_saveexec_b64 s[16:17], s[14:15]
	s_cbranch_execnz .LBB230_31
	s_branch .LBB230_32
.LBB230_85:
                                        ; implicit-def: $vgpr36_vgpr37
                                        ; implicit-def: $vgpr32_vgpr33
                                        ; implicit-def: $vgpr28_vgpr29
                                        ; implicit-def: $vgpr24_vgpr25
                                        ; implicit-def: $vgpr40_vgpr41
	s_cbranch_execz .LBB230_131
; %bb.86:
	s_waitcnt lgkmcnt(3)
	v_mov_b32_e32 v22, 0
	s_waitcnt lgkmcnt(0)
	v_mov_b32_e32 v35, 0x7fff
	v_cmp_gt_i16_e32 vcc, 0, v19
	v_cmp_lt_i16_sdwa s[4:5], v19, v22 src0_sel:WORD_1 src1_sel:DWORD
	v_cndmask_b32_e64 v23, v35, 0, vcc
	v_cmp_gt_i16_e32 vcc, 0, v18
	v_cndmask_b32_e64 v25, v35, 0, s[4:5]
	v_cmp_lt_i16_sdwa s[4:5], v18, v22 src0_sel:WORD_1 src1_sel:DWORD
	v_cndmask_b32_e64 v24, v35, 0, vcc
	v_cndmask_b32_e64 v27, v35, 0, s[4:5]
	v_cmp_gt_i16_e32 vcc, 0, v21
	v_cmp_lt_i16_sdwa s[4:5], v21, v22 src0_sel:WORD_1 src1_sel:DWORD
	v_xor_b32_sdwa v25, v25, v19 dst_sel:DWORD dst_unused:UNUSED_PAD src0_sel:DWORD src1_sel:WORD_1
	v_xor_b32_e32 v19, v23, v19
	v_cndmask_b32_e64 v23, v35, 0, vcc
	v_cmp_gt_i16_e32 vcc, 0, v20
	v_cndmask_b32_e64 v28, v35, 0, s[4:5]
	v_cmp_lt_i16_sdwa s[4:5], v20, v22 src0_sel:WORD_1 src1_sel:DWORD
	v_mbcnt_hi_u32_b32 v26, -1, v67
	v_and_b32_e32 v34, 0x3c0, v46
	v_xor_b32_sdwa v27, v27, v18 dst_sel:DWORD dst_unused:UNUSED_PAD src0_sel:DWORD src1_sel:WORD_1
	v_xor_b32_e32 v18, v24, v18
	v_cndmask_b32_e64 v24, v35, 0, vcc
	v_cndmask_b32_e64 v29, v35, 0, s[4:5]
	v_add_u32_e32 v0, v26, v34
	v_xor_b32_sdwa v29, v29, v20 dst_sel:DWORD dst_unused:UNUSED_PAD src0_sel:DWORD src1_sel:WORD_1
	v_xor_b32_sdwa v28, v28, v21 dst_sel:DWORD dst_unused:UNUSED_PAD src0_sel:DWORD src1_sel:WORD_1
	v_xor_b32_e32 v20, v24, v20
	v_xor_b32_e32 v21, v23, v21
	s_mov_b32 s4, 0x5040100
	v_lshlrev_b32_e32 v1, 4, v0
	v_perm_b32 v21, v28, v21, s4
	v_perm_b32 v20, v29, v20, s4
	;; [unrolled: 1-line block ×4, first 2 shown]
	v_and_b32_e32 v36, 0x1e00, v63
	ds_write_b128 v1, v[18:21]
	v_or_b32_e32 v1, v26, v36
	v_lshlrev_b32_e32 v18, 1, v1
	v_lshlrev_b32_e32 v0, 6, v0
	; wave barrier
	ds_read_u16 v33, v18
	ds_read_u16 v32, v18 offset:128
	ds_read_u16 v31, v18 offset:256
	ds_read_u16 v30, v18 offset:384
	ds_read_u16 v29, v18 offset:512
	ds_read_u16 v28, v18 offset:640
	ds_read_u16 v27, v18 offset:768
	ds_read_u16 v25, v18 offset:896
	s_waitcnt lgkmcnt(0)
	s_barrier
	ds_write2_b64 v0, v[14:15], v[16:17] offset1:1
	ds_write2_b64 v0, v[10:11], v[12:13] offset0:2 offset1:3
	ds_write2_b64 v0, v[6:7], v[8:9] offset0:4 offset1:5
	;; [unrolled: 1-line block ×3, first 2 shown]
	v_lshlrev_b32_e32 v0, 3, v1
	; wave barrier
	ds_read2st64_b64 v[12:15], v0 offset1:1
	ds_read2st64_b64 v[8:11], v0 offset0:2 offset1:3
	ds_read2st64_b64 v[4:7], v0 offset0:4 offset1:5
	;; [unrolled: 1-line block ×3, first 2 shown]
	s_waitcnt lgkmcnt(0)
	s_barrier
	s_load_dword s16, s[54:55], 0xc
	s_getpc_b64 s[4:5]
	s_add_u32 s4, s4, _ZN7rocprim17ROCPRIM_400000_NS16block_radix_sortI6__halfLj512ELj8ElLj1ELj1ELj0ELNS0_26block_radix_rank_algorithmE1ELNS0_18block_padding_hintE2ELNS0_4arch9wavefront6targetE1EE19radix_bits_per_passE@rel32@lo+4
	s_addc_u32 s5, s5, _ZN7rocprim17ROCPRIM_400000_NS16block_radix_sortI6__halfLj512ELj8ElLj1ELj1ELj0ELNS0_26block_radix_rank_algorithmE1ELNS0_18block_padding_hintE2ELNS0_4arch9wavefront6targetE1EE19radix_bits_per_passE@rel32@hi+12
	s_load_dword s46, s[4:5], 0x0
	s_movk_i32 s17, 0x8000
	v_cmp_ne_u16_e32 vcc, s17, v33
	s_waitcnt lgkmcnt(0)
	s_lshr_b32 s4, s16, 16
	s_and_b32 s5, s16, 0xffff
	v_mad_u32_u24 v16, v66, s4, v65
	v_mad_u64_u32 v[16:17], s[4:5], v16, s5, v[46:47]
	s_min_u32 s4, s46, 16
	s_lshl_b32 s4, -1, s4
	v_lshrrev_b32_e32 v24, 6, v16
	s_not_b32 s16, s4
	v_cndmask_b32_e32 v16, v35, v33, vcc
	v_and_b32_sdwa v16, s16, v16 dst_sel:DWORD dst_unused:UNUSED_PAD src0_sel:DWORD src1_sel:WORD_0
	v_lshlrev_b32_e32 v17, 3, v16
	v_add_lshl_u32 v37, v24, v17, 2
	v_and_b32_e32 v17, 1, v16
	v_add_co_u32_e32 v18, vcc, -1, v17
	v_addc_co_u32_e64 v19, s[4:5], 0, -1, vcc
	v_cmp_ne_u32_e32 vcc, 0, v17
	v_lshlrev_b32_e32 v23, 30, v16
	v_xor_b32_e32 v17, vcc_hi, v19
	v_not_b32_e32 v19, v23
	v_xor_b32_e32 v18, vcc_lo, v18
	v_cmp_gt_i64_e32 vcc, 0, v[22:23]
	v_ashrrev_i32_e32 v19, 31, v19
	v_and_b32_e32 v18, exec_lo, v18
	v_xor_b32_e32 v20, vcc_hi, v19
	v_xor_b32_e32 v19, vcc_lo, v19
	v_lshlrev_b32_e32 v23, 29, v16
	v_and_b32_e32 v18, v18, v19
	v_not_b32_e32 v19, v23
	v_and_b32_e32 v17, exec_hi, v17
	v_cmp_gt_i64_e32 vcc, 0, v[22:23]
	v_ashrrev_i32_e32 v19, 31, v19
	v_and_b32_e32 v17, v17, v20
	v_xor_b32_e32 v20, vcc_hi, v19
	v_xor_b32_e32 v19, vcc_lo, v19
	v_lshlrev_b32_e32 v23, 28, v16
	v_and_b32_e32 v18, v18, v19
	v_not_b32_e32 v19, v23
	v_cmp_gt_i64_e32 vcc, 0, v[22:23]
	v_ashrrev_i32_e32 v19, 31, v19
	v_and_b32_e32 v17, v17, v20
	v_xor_b32_e32 v20, vcc_hi, v19
	v_xor_b32_e32 v19, vcc_lo, v19
	v_lshlrev_b32_e32 v23, 27, v16
	v_and_b32_e32 v18, v18, v19
	v_not_b32_e32 v19, v23
	;; [unrolled: 8-line block ×3, first 2 shown]
	v_cmp_gt_i64_e32 vcc, 0, v[22:23]
	v_ashrrev_i32_e32 v19, 31, v19
	v_and_b32_e32 v17, v17, v20
	v_xor_b32_e32 v20, vcc_hi, v19
	v_xor_b32_e32 v19, vcc_lo, v19
	v_lshlrev_b32_e32 v23, 25, v16
	v_and_b32_e32 v18, v18, v19
	v_cmp_gt_i64_e32 vcc, 0, v[22:23]
	v_not_b32_e32 v19, v23
	v_lshlrev_b32_e32 v23, 24, v16
	v_ashrrev_i32_e32 v19, 31, v19
	v_not_b32_e32 v16, v23
	v_and_b32_e32 v17, v17, v20
	v_xor_b32_e32 v20, vcc_hi, v19
	v_xor_b32_e32 v19, vcc_lo, v19
	v_cmp_gt_i64_e32 vcc, 0, v[22:23]
	v_ashrrev_i32_e32 v16, 31, v16
	v_and_b32_e32 v18, v18, v19
	v_xor_b32_e32 v19, vcc_hi, v16
	v_xor_b32_e32 v16, vcc_lo, v16
	v_and_b32_e32 v17, v17, v20
	v_and_b32_e32 v16, v18, v16
	;; [unrolled: 1-line block ×3, first 2 shown]
	v_mbcnt_lo_u32_b32 v18, v16, 0
	v_mbcnt_hi_u32_b32 v38, v17, v18
	v_cmp_eq_u32_e32 vcc, 0, v38
	v_cmp_ne_u64_e64 s[4:5], 0, v[16:17]
	s_and_b64 s[18:19], s[4:5], vcc
	ds_write2_b32 v64, v22, v22 offset0:8 offset1:9
	ds_write2_b32 v64, v22, v22 offset0:10 offset1:11
	s_waitcnt lgkmcnt(0)
	s_barrier
	s_waitcnt lgkmcnt(0)
	; wave barrier
	s_and_saveexec_b64 s[4:5], s[18:19]
	s_cbranch_execz .LBB230_88
; %bb.87:
	v_bcnt_u32_b32 v16, v16, 0
	v_bcnt_u32_b32 v16, v17, v16
	ds_write_b32 v37, v16 offset:32
.LBB230_88:
	s_or_b64 exec, exec, s[4:5]
	v_cmp_ne_u16_e32 vcc, s17, v32
	v_cndmask_b32_e32 v16, v35, v32, vcc
	v_and_b32_sdwa v16, s16, v16 dst_sel:DWORD dst_unused:UNUSED_PAD src0_sel:DWORD src1_sel:WORD_0
	v_lshlrev_b32_e32 v17, 3, v16
	v_add_lshl_u32 v40, v24, v17, 2
	v_and_b32_e32 v17, 1, v16
	v_add_co_u32_e32 v18, vcc, -1, v17
	v_addc_co_u32_e64 v19, s[4:5], 0, -1, vcc
	v_cmp_ne_u32_e32 vcc, 0, v17
	v_lshlrev_b32_e32 v23, 30, v16
	v_xor_b32_e32 v17, vcc_hi, v19
	v_not_b32_e32 v19, v23
	v_xor_b32_e32 v18, vcc_lo, v18
	v_cmp_gt_i64_e32 vcc, 0, v[22:23]
	v_ashrrev_i32_e32 v19, 31, v19
	v_and_b32_e32 v18, exec_lo, v18
	v_xor_b32_e32 v20, vcc_hi, v19
	v_xor_b32_e32 v19, vcc_lo, v19
	v_lshlrev_b32_e32 v23, 29, v16
	v_and_b32_e32 v18, v18, v19
	v_not_b32_e32 v19, v23
	v_and_b32_e32 v17, exec_hi, v17
	v_cmp_gt_i64_e32 vcc, 0, v[22:23]
	v_ashrrev_i32_e32 v19, 31, v19
	v_and_b32_e32 v17, v17, v20
	v_xor_b32_e32 v20, vcc_hi, v19
	v_xor_b32_e32 v19, vcc_lo, v19
	v_lshlrev_b32_e32 v23, 28, v16
	v_and_b32_e32 v18, v18, v19
	v_not_b32_e32 v19, v23
	v_cmp_gt_i64_e32 vcc, 0, v[22:23]
	v_ashrrev_i32_e32 v19, 31, v19
	v_and_b32_e32 v17, v17, v20
	v_xor_b32_e32 v20, vcc_hi, v19
	v_xor_b32_e32 v19, vcc_lo, v19
	v_lshlrev_b32_e32 v23, 27, v16
	v_and_b32_e32 v18, v18, v19
	v_not_b32_e32 v19, v23
	;; [unrolled: 8-line block ×3, first 2 shown]
	v_cmp_gt_i64_e32 vcc, 0, v[22:23]
	v_ashrrev_i32_e32 v19, 31, v19
	v_and_b32_e32 v17, v17, v20
	v_xor_b32_e32 v20, vcc_hi, v19
	v_xor_b32_e32 v19, vcc_lo, v19
	v_lshlrev_b32_e32 v23, 25, v16
	v_and_b32_e32 v18, v18, v19
	v_cmp_gt_i64_e32 vcc, 0, v[22:23]
	v_not_b32_e32 v19, v23
	v_lshlrev_b32_e32 v23, 24, v16
	v_ashrrev_i32_e32 v19, 31, v19
	v_not_b32_e32 v16, v23
	v_and_b32_e32 v17, v17, v20
	v_xor_b32_e32 v20, vcc_hi, v19
	v_xor_b32_e32 v19, vcc_lo, v19
	v_cmp_gt_i64_e32 vcc, 0, v[22:23]
	v_ashrrev_i32_e32 v16, 31, v16
	v_and_b32_e32 v18, v18, v19
	v_xor_b32_e32 v19, vcc_hi, v16
	v_xor_b32_e32 v16, vcc_lo, v16
	; wave barrier
	ds_read_b32 v39, v40 offset:32
	v_and_b32_e32 v17, v17, v20
	v_and_b32_e32 v16, v18, v16
	v_and_b32_e32 v17, v17, v19
	v_mbcnt_lo_u32_b32 v18, v16, 0
	v_mbcnt_hi_u32_b32 v41, v17, v18
	v_cmp_eq_u32_e32 vcc, 0, v41
	v_cmp_ne_u64_e64 s[4:5], 0, v[16:17]
	s_and_b64 s[18:19], s[4:5], vcc
	; wave barrier
	s_and_saveexec_b64 s[4:5], s[18:19]
	s_cbranch_execz .LBB230_90
; %bb.89:
	v_bcnt_u32_b32 v16, v16, 0
	v_bcnt_u32_b32 v16, v17, v16
	s_waitcnt lgkmcnt(0)
	v_add_u32_e32 v16, v39, v16
	ds_write_b32 v40, v16 offset:32
.LBB230_90:
	s_or_b64 exec, exec, s[4:5]
	v_mov_b32_e32 v20, 0x7fff
	v_cmp_ne_u16_e32 vcc, s17, v31
	v_cndmask_b32_e32 v16, v20, v31, vcc
	v_and_b32_sdwa v18, s16, v16 dst_sel:DWORD dst_unused:UNUSED_PAD src0_sel:DWORD src1_sel:WORD_0
	v_and_b32_e32 v17, 1, v18
	v_add_co_u32_e32 v19, vcc, -1, v17
	v_addc_co_u32_e64 v21, s[4:5], 0, -1, vcc
	v_cmp_ne_u32_e32 vcc, 0, v17
	v_lshlrev_b32_e32 v16, 3, v18
	v_xor_b32_e32 v17, vcc_hi, v21
	v_add_lshl_u32 v66, v24, v16, 2
	v_mov_b32_e32 v16, 0
	v_and_b32_e32 v21, exec_hi, v17
	v_lshlrev_b32_e32 v17, 30, v18
	v_xor_b32_e32 v19, vcc_lo, v19
	v_cmp_gt_i64_e32 vcc, 0, v[16:17]
	v_not_b32_e32 v17, v17
	v_ashrrev_i32_e32 v17, 31, v17
	v_and_b32_e32 v19, exec_lo, v19
	v_xor_b32_e32 v22, vcc_hi, v17
	v_xor_b32_e32 v17, vcc_lo, v17
	v_and_b32_e32 v19, v19, v17
	v_lshlrev_b32_e32 v17, 29, v18
	v_cmp_gt_i64_e32 vcc, 0, v[16:17]
	v_not_b32_e32 v17, v17
	v_ashrrev_i32_e32 v17, 31, v17
	v_and_b32_e32 v21, v21, v22
	v_xor_b32_e32 v22, vcc_hi, v17
	v_xor_b32_e32 v17, vcc_lo, v17
	v_and_b32_e32 v19, v19, v17
	v_lshlrev_b32_e32 v17, 28, v18
	v_cmp_gt_i64_e32 vcc, 0, v[16:17]
	v_not_b32_e32 v17, v17
	v_ashrrev_i32_e32 v17, 31, v17
	v_and_b32_e32 v21, v21, v22
	;; [unrolled: 8-line block ×5, first 2 shown]
	v_xor_b32_e32 v22, vcc_hi, v17
	v_xor_b32_e32 v17, vcc_lo, v17
	v_and_b32_e32 v21, v21, v22
	v_and_b32_e32 v22, v19, v17
	v_lshlrev_b32_e32 v17, 24, v18
	v_cmp_gt_i64_e32 vcc, 0, v[16:17]
	v_not_b32_e32 v17, v17
	v_ashrrev_i32_e32 v17, 31, v17
	v_xor_b32_e32 v18, vcc_hi, v17
	v_xor_b32_e32 v17, vcc_lo, v17
	; wave barrier
	ds_read_b32 v65, v66 offset:32
	v_and_b32_e32 v19, v21, v18
	v_and_b32_e32 v18, v22, v17
	v_mbcnt_lo_u32_b32 v17, v18, 0
	v_mbcnt_hi_u32_b32 v67, v19, v17
	v_cmp_eq_u32_e32 vcc, 0, v67
	v_cmp_ne_u64_e64 s[4:5], 0, v[18:19]
	s_and_b64 s[18:19], s[4:5], vcc
	; wave barrier
	s_and_saveexec_b64 s[4:5], s[18:19]
	s_cbranch_execz .LBB230_92
; %bb.91:
	v_bcnt_u32_b32 v17, v18, 0
	v_bcnt_u32_b32 v17, v19, v17
	s_waitcnt lgkmcnt(0)
	v_add_u32_e32 v17, v65, v17
	ds_write_b32 v66, v17 offset:32
.LBB230_92:
	s_or_b64 exec, exec, s[4:5]
	v_cmp_ne_u16_e32 vcc, s17, v30
	v_cndmask_b32_e32 v17, v20, v30, vcc
	v_and_b32_sdwa v18, s16, v17 dst_sel:DWORD dst_unused:UNUSED_PAD src0_sel:DWORD src1_sel:WORD_0
	v_lshlrev_b32_e32 v17, 3, v18
	v_add_lshl_u32 v69, v24, v17, 2
	v_and_b32_e32 v17, 1, v18
	v_add_co_u32_e32 v19, vcc, -1, v17
	v_addc_co_u32_e64 v20, s[4:5], 0, -1, vcc
	v_cmp_ne_u32_e32 vcc, 0, v17
	v_xor_b32_e32 v17, vcc_hi, v20
	v_and_b32_e32 v20, exec_hi, v17
	v_lshlrev_b32_e32 v17, 30, v18
	v_xor_b32_e32 v19, vcc_lo, v19
	v_cmp_gt_i64_e32 vcc, 0, v[16:17]
	v_not_b32_e32 v17, v17
	v_ashrrev_i32_e32 v17, 31, v17
	v_and_b32_e32 v19, exec_lo, v19
	v_xor_b32_e32 v21, vcc_hi, v17
	v_xor_b32_e32 v17, vcc_lo, v17
	v_and_b32_e32 v19, v19, v17
	v_lshlrev_b32_e32 v17, 29, v18
	v_cmp_gt_i64_e32 vcc, 0, v[16:17]
	v_not_b32_e32 v17, v17
	v_ashrrev_i32_e32 v17, 31, v17
	v_and_b32_e32 v20, v20, v21
	v_xor_b32_e32 v21, vcc_hi, v17
	v_xor_b32_e32 v17, vcc_lo, v17
	v_and_b32_e32 v19, v19, v17
	v_lshlrev_b32_e32 v17, 28, v18
	v_cmp_gt_i64_e32 vcc, 0, v[16:17]
	v_not_b32_e32 v17, v17
	v_ashrrev_i32_e32 v17, 31, v17
	v_and_b32_e32 v20, v20, v21
	;; [unrolled: 8-line block ×5, first 2 shown]
	v_xor_b32_e32 v21, vcc_hi, v17
	v_xor_b32_e32 v17, vcc_lo, v17
	v_and_b32_e32 v19, v19, v17
	v_lshlrev_b32_e32 v17, 24, v18
	v_cmp_gt_i64_e32 vcc, 0, v[16:17]
	v_not_b32_e32 v16, v17
	v_ashrrev_i32_e32 v16, 31, v16
	v_xor_b32_e32 v17, vcc_hi, v16
	v_xor_b32_e32 v16, vcc_lo, v16
	; wave barrier
	ds_read_b32 v68, v69 offset:32
	v_and_b32_e32 v20, v20, v21
	v_and_b32_e32 v16, v19, v16
	;; [unrolled: 1-line block ×3, first 2 shown]
	v_mbcnt_lo_u32_b32 v18, v16, 0
	v_mbcnt_hi_u32_b32 v70, v17, v18
	v_cmp_eq_u32_e32 vcc, 0, v70
	v_cmp_ne_u64_e64 s[4:5], 0, v[16:17]
	s_and_b64 s[18:19], s[4:5], vcc
	; wave barrier
	s_and_saveexec_b64 s[4:5], s[18:19]
	s_cbranch_execz .LBB230_94
; %bb.93:
	v_bcnt_u32_b32 v16, v16, 0
	v_bcnt_u32_b32 v16, v17, v16
	s_waitcnt lgkmcnt(0)
	v_add_u32_e32 v16, v68, v16
	ds_write_b32 v69, v16 offset:32
.LBB230_94:
	s_or_b64 exec, exec, s[4:5]
	v_mov_b32_e32 v20, 0x7fff
	v_cmp_ne_u16_e32 vcc, s17, v29
	v_cndmask_b32_e32 v16, v20, v29, vcc
	v_and_b32_sdwa v18, s16, v16 dst_sel:DWORD dst_unused:UNUSED_PAD src0_sel:DWORD src1_sel:WORD_0
	v_and_b32_e32 v17, 1, v18
	v_add_co_u32_e32 v19, vcc, -1, v17
	v_addc_co_u32_e64 v21, s[4:5], 0, -1, vcc
	v_cmp_ne_u32_e32 vcc, 0, v17
	v_lshlrev_b32_e32 v16, 3, v18
	v_xor_b32_e32 v17, vcc_hi, v21
	v_add_lshl_u32 v72, v24, v16, 2
	v_mov_b32_e32 v16, 0
	v_and_b32_e32 v21, exec_hi, v17
	v_lshlrev_b32_e32 v17, 30, v18
	v_xor_b32_e32 v19, vcc_lo, v19
	v_cmp_gt_i64_e32 vcc, 0, v[16:17]
	v_not_b32_e32 v17, v17
	v_ashrrev_i32_e32 v17, 31, v17
	v_and_b32_e32 v19, exec_lo, v19
	v_xor_b32_e32 v22, vcc_hi, v17
	v_xor_b32_e32 v17, vcc_lo, v17
	v_and_b32_e32 v19, v19, v17
	v_lshlrev_b32_e32 v17, 29, v18
	v_cmp_gt_i64_e32 vcc, 0, v[16:17]
	v_not_b32_e32 v17, v17
	v_ashrrev_i32_e32 v17, 31, v17
	v_and_b32_e32 v21, v21, v22
	v_xor_b32_e32 v22, vcc_hi, v17
	v_xor_b32_e32 v17, vcc_lo, v17
	v_and_b32_e32 v19, v19, v17
	v_lshlrev_b32_e32 v17, 28, v18
	v_cmp_gt_i64_e32 vcc, 0, v[16:17]
	v_not_b32_e32 v17, v17
	v_ashrrev_i32_e32 v17, 31, v17
	v_and_b32_e32 v21, v21, v22
	v_xor_b32_e32 v22, vcc_hi, v17
	v_xor_b32_e32 v17, vcc_lo, v17
	v_and_b32_e32 v19, v19, v17
	v_lshlrev_b32_e32 v17, 27, v18
	v_cmp_gt_i64_e32 vcc, 0, v[16:17]
	v_not_b32_e32 v17, v17
	v_ashrrev_i32_e32 v17, 31, v17
	v_and_b32_e32 v21, v21, v22
	v_xor_b32_e32 v22, vcc_hi, v17
	v_xor_b32_e32 v17, vcc_lo, v17
	v_and_b32_e32 v19, v19, v17
	v_lshlrev_b32_e32 v17, 26, v18
	v_cmp_gt_i64_e32 vcc, 0, v[16:17]
	v_not_b32_e32 v17, v17
	v_ashrrev_i32_e32 v17, 31, v17
	v_and_b32_e32 v21, v21, v22
	v_xor_b32_e32 v22, vcc_hi, v17
	v_xor_b32_e32 v17, vcc_lo, v17
	v_and_b32_e32 v19, v19, v17
	v_lshlrev_b32_e32 v17, 25, v18
	v_cmp_gt_i64_e32 vcc, 0, v[16:17]
	v_not_b32_e32 v17, v17
	v_ashrrev_i32_e32 v17, 31, v17
	v_and_b32_e32 v21, v21, v22
	v_xor_b32_e32 v22, vcc_hi, v17
	v_xor_b32_e32 v17, vcc_lo, v17
	v_and_b32_e32 v21, v21, v22
	v_and_b32_e32 v22, v19, v17
	v_lshlrev_b32_e32 v17, 24, v18
	v_cmp_gt_i64_e32 vcc, 0, v[16:17]
	v_not_b32_e32 v17, v17
	v_ashrrev_i32_e32 v17, 31, v17
	v_xor_b32_e32 v18, vcc_hi, v17
	v_xor_b32_e32 v17, vcc_lo, v17
	; wave barrier
	ds_read_b32 v71, v72 offset:32
	v_and_b32_e32 v19, v21, v18
	v_and_b32_e32 v18, v22, v17
	v_mbcnt_lo_u32_b32 v17, v18, 0
	v_mbcnt_hi_u32_b32 v73, v19, v17
	v_cmp_eq_u32_e32 vcc, 0, v73
	v_cmp_ne_u64_e64 s[4:5], 0, v[18:19]
	s_and_b64 s[18:19], s[4:5], vcc
	; wave barrier
	s_and_saveexec_b64 s[4:5], s[18:19]
	s_cbranch_execz .LBB230_96
; %bb.95:
	v_bcnt_u32_b32 v17, v18, 0
	v_bcnt_u32_b32 v17, v19, v17
	s_waitcnt lgkmcnt(0)
	v_add_u32_e32 v17, v71, v17
	ds_write_b32 v72, v17 offset:32
.LBB230_96:
	s_or_b64 exec, exec, s[4:5]
	v_cmp_ne_u16_e32 vcc, s17, v28
	v_cndmask_b32_e32 v17, v20, v28, vcc
	v_and_b32_sdwa v18, s16, v17 dst_sel:DWORD dst_unused:UNUSED_PAD src0_sel:DWORD src1_sel:WORD_0
	v_lshlrev_b32_e32 v17, 3, v18
	v_add_lshl_u32 v75, v24, v17, 2
	v_and_b32_e32 v17, 1, v18
	v_add_co_u32_e32 v19, vcc, -1, v17
	v_addc_co_u32_e64 v20, s[4:5], 0, -1, vcc
	v_cmp_ne_u32_e32 vcc, 0, v17
	v_xor_b32_e32 v17, vcc_hi, v20
	v_and_b32_e32 v20, exec_hi, v17
	v_lshlrev_b32_e32 v17, 30, v18
	v_xor_b32_e32 v19, vcc_lo, v19
	v_cmp_gt_i64_e32 vcc, 0, v[16:17]
	v_not_b32_e32 v17, v17
	v_ashrrev_i32_e32 v17, 31, v17
	v_and_b32_e32 v19, exec_lo, v19
	v_xor_b32_e32 v21, vcc_hi, v17
	v_xor_b32_e32 v17, vcc_lo, v17
	v_and_b32_e32 v19, v19, v17
	v_lshlrev_b32_e32 v17, 29, v18
	v_cmp_gt_i64_e32 vcc, 0, v[16:17]
	v_not_b32_e32 v17, v17
	v_ashrrev_i32_e32 v17, 31, v17
	v_and_b32_e32 v20, v20, v21
	v_xor_b32_e32 v21, vcc_hi, v17
	v_xor_b32_e32 v17, vcc_lo, v17
	v_and_b32_e32 v19, v19, v17
	v_lshlrev_b32_e32 v17, 28, v18
	v_cmp_gt_i64_e32 vcc, 0, v[16:17]
	v_not_b32_e32 v17, v17
	v_ashrrev_i32_e32 v17, 31, v17
	v_and_b32_e32 v20, v20, v21
	;; [unrolled: 8-line block ×5, first 2 shown]
	v_xor_b32_e32 v21, vcc_hi, v17
	v_xor_b32_e32 v17, vcc_lo, v17
	v_and_b32_e32 v19, v19, v17
	v_lshlrev_b32_e32 v17, 24, v18
	v_cmp_gt_i64_e32 vcc, 0, v[16:17]
	v_not_b32_e32 v16, v17
	v_ashrrev_i32_e32 v16, 31, v16
	v_xor_b32_e32 v17, vcc_hi, v16
	v_xor_b32_e32 v16, vcc_lo, v16
	; wave barrier
	ds_read_b32 v74, v75 offset:32
	v_and_b32_e32 v20, v20, v21
	v_and_b32_e32 v16, v19, v16
	v_and_b32_e32 v17, v20, v17
	v_mbcnt_lo_u32_b32 v18, v16, 0
	v_mbcnt_hi_u32_b32 v76, v17, v18
	v_cmp_eq_u32_e32 vcc, 0, v76
	v_cmp_ne_u64_e64 s[4:5], 0, v[16:17]
	s_and_b64 s[18:19], s[4:5], vcc
	; wave barrier
	s_and_saveexec_b64 s[4:5], s[18:19]
	s_cbranch_execz .LBB230_98
; %bb.97:
	v_bcnt_u32_b32 v16, v16, 0
	v_bcnt_u32_b32 v16, v17, v16
	s_waitcnt lgkmcnt(0)
	v_add_u32_e32 v16, v74, v16
	ds_write_b32 v75, v16 offset:32
.LBB230_98:
	s_or_b64 exec, exec, s[4:5]
	v_mov_b32_e32 v20, 0x7fff
	v_cmp_ne_u16_e32 vcc, s17, v27
	v_cndmask_b32_e32 v16, v20, v27, vcc
	v_and_b32_sdwa v18, s16, v16 dst_sel:DWORD dst_unused:UNUSED_PAD src0_sel:DWORD src1_sel:WORD_0
	v_and_b32_e32 v17, 1, v18
	v_add_co_u32_e32 v19, vcc, -1, v17
	v_addc_co_u32_e64 v21, s[4:5], 0, -1, vcc
	v_cmp_ne_u32_e32 vcc, 0, v17
	v_lshlrev_b32_e32 v16, 3, v18
	v_xor_b32_e32 v17, vcc_hi, v21
	v_add_lshl_u32 v78, v24, v16, 2
	v_mov_b32_e32 v16, 0
	v_and_b32_e32 v21, exec_hi, v17
	v_lshlrev_b32_e32 v17, 30, v18
	v_xor_b32_e32 v19, vcc_lo, v19
	v_cmp_gt_i64_e32 vcc, 0, v[16:17]
	v_not_b32_e32 v17, v17
	v_ashrrev_i32_e32 v17, 31, v17
	v_and_b32_e32 v19, exec_lo, v19
	v_xor_b32_e32 v22, vcc_hi, v17
	v_xor_b32_e32 v17, vcc_lo, v17
	v_and_b32_e32 v19, v19, v17
	v_lshlrev_b32_e32 v17, 29, v18
	v_cmp_gt_i64_e32 vcc, 0, v[16:17]
	v_not_b32_e32 v17, v17
	v_ashrrev_i32_e32 v17, 31, v17
	v_and_b32_e32 v21, v21, v22
	v_xor_b32_e32 v22, vcc_hi, v17
	v_xor_b32_e32 v17, vcc_lo, v17
	v_and_b32_e32 v19, v19, v17
	v_lshlrev_b32_e32 v17, 28, v18
	v_cmp_gt_i64_e32 vcc, 0, v[16:17]
	v_not_b32_e32 v17, v17
	v_ashrrev_i32_e32 v17, 31, v17
	v_and_b32_e32 v21, v21, v22
	;; [unrolled: 8-line block ×5, first 2 shown]
	v_xor_b32_e32 v22, vcc_hi, v17
	v_xor_b32_e32 v17, vcc_lo, v17
	v_and_b32_e32 v21, v21, v22
	v_and_b32_e32 v22, v19, v17
	v_lshlrev_b32_e32 v17, 24, v18
	v_cmp_gt_i64_e32 vcc, 0, v[16:17]
	v_not_b32_e32 v17, v17
	v_ashrrev_i32_e32 v17, 31, v17
	v_xor_b32_e32 v18, vcc_hi, v17
	v_xor_b32_e32 v17, vcc_lo, v17
	; wave barrier
	ds_read_b32 v77, v78 offset:32
	v_and_b32_e32 v19, v21, v18
	v_and_b32_e32 v18, v22, v17
	v_mbcnt_lo_u32_b32 v17, v18, 0
	v_mbcnt_hi_u32_b32 v79, v19, v17
	v_cmp_eq_u32_e32 vcc, 0, v79
	v_cmp_ne_u64_e64 s[4:5], 0, v[18:19]
	s_and_b64 s[18:19], s[4:5], vcc
	; wave barrier
	s_and_saveexec_b64 s[4:5], s[18:19]
	s_cbranch_execz .LBB230_100
; %bb.99:
	v_bcnt_u32_b32 v17, v18, 0
	v_bcnt_u32_b32 v17, v19, v17
	s_waitcnt lgkmcnt(0)
	v_add_u32_e32 v17, v77, v17
	ds_write_b32 v78, v17 offset:32
.LBB230_100:
	s_or_b64 exec, exec, s[4:5]
	v_cmp_ne_u16_e32 vcc, s17, v25
	v_cndmask_b32_e32 v17, v20, v25, vcc
	v_and_b32_sdwa v18, s16, v17 dst_sel:DWORD dst_unused:UNUSED_PAD src0_sel:DWORD src1_sel:WORD_0
	v_lshlrev_b32_e32 v17, 3, v18
	v_add_lshl_u32 v81, v24, v17, 2
	v_and_b32_e32 v17, 1, v18
	v_add_co_u32_e32 v19, vcc, -1, v17
	v_addc_co_u32_e64 v20, s[4:5], 0, -1, vcc
	v_cmp_ne_u32_e32 vcc, 0, v17
	v_xor_b32_e32 v17, vcc_hi, v20
	v_and_b32_e32 v20, exec_hi, v17
	v_lshlrev_b32_e32 v17, 30, v18
	v_xor_b32_e32 v19, vcc_lo, v19
	v_cmp_gt_i64_e32 vcc, 0, v[16:17]
	v_not_b32_e32 v17, v17
	v_ashrrev_i32_e32 v17, 31, v17
	v_and_b32_e32 v19, exec_lo, v19
	v_xor_b32_e32 v21, vcc_hi, v17
	v_xor_b32_e32 v17, vcc_lo, v17
	v_and_b32_e32 v19, v19, v17
	v_lshlrev_b32_e32 v17, 29, v18
	v_cmp_gt_i64_e32 vcc, 0, v[16:17]
	v_not_b32_e32 v17, v17
	v_ashrrev_i32_e32 v17, 31, v17
	v_and_b32_e32 v20, v20, v21
	v_xor_b32_e32 v21, vcc_hi, v17
	v_xor_b32_e32 v17, vcc_lo, v17
	v_and_b32_e32 v19, v19, v17
	v_lshlrev_b32_e32 v17, 28, v18
	v_cmp_gt_i64_e32 vcc, 0, v[16:17]
	v_not_b32_e32 v17, v17
	v_ashrrev_i32_e32 v17, 31, v17
	v_and_b32_e32 v20, v20, v21
	;; [unrolled: 8-line block ×5, first 2 shown]
	v_xor_b32_e32 v21, vcc_hi, v17
	v_xor_b32_e32 v17, vcc_lo, v17
	v_and_b32_e32 v19, v19, v17
	v_lshlrev_b32_e32 v17, 24, v18
	v_cmp_gt_i64_e32 vcc, 0, v[16:17]
	v_not_b32_e32 v16, v17
	v_ashrrev_i32_e32 v16, 31, v16
	v_xor_b32_e32 v17, vcc_hi, v16
	v_xor_b32_e32 v16, vcc_lo, v16
	; wave barrier
	ds_read_b32 v80, v81 offset:32
	v_and_b32_e32 v20, v20, v21
	v_and_b32_e32 v16, v19, v16
	;; [unrolled: 1-line block ×3, first 2 shown]
	v_mbcnt_lo_u32_b32 v18, v16, 0
	v_mbcnt_hi_u32_b32 v82, v17, v18
	v_cmp_eq_u32_e32 vcc, 0, v82
	v_cmp_ne_u64_e64 s[4:5], 0, v[16:17]
	v_add_u32_e32 v22, 32, v64
	v_lshrrev_b32_e32 v23, 6, v46
	v_min_u32_e32 v34, 0x1c0, v34
	s_and_b64 s[16:17], s[4:5], vcc
	; wave barrier
	s_and_saveexec_b64 s[4:5], s[16:17]
	s_cbranch_execz .LBB230_102
; %bb.101:
	v_bcnt_u32_b32 v16, v16, 0
	v_bcnt_u32_b32 v16, v17, v16
	s_waitcnt lgkmcnt(0)
	v_add_u32_e32 v16, v80, v16
	ds_write_b32 v81, v16 offset:32
.LBB230_102:
	s_or_b64 exec, exec, s[4:5]
	; wave barrier
	s_waitcnt lgkmcnt(0)
	s_barrier
	ds_read2_b32 v[18:19], v64 offset0:8 offset1:9
	ds_read2_b32 v[20:21], v22 offset0:2 offset1:3
	v_and_b32_e32 v17, 16, v26
	v_cmp_eq_u32_e32 vcc, 0, v17
	v_or_b32_e32 v17, 63, v34
	v_cmp_eq_u32_e64 s[16:17], v17, v46
	s_waitcnt lgkmcnt(1)
	v_add_u32_e32 v17, v19, v18
	v_and_b32_e32 v16, 15, v26
	s_waitcnt lgkmcnt(0)
	v_add3_u32 v17, v17, v20, v21
	v_cmp_eq_u32_e64 s[24:25], 0, v16
	v_cmp_lt_u32_e64 s[26:27], 1, v16
	v_mov_b32_dpp v21, v17 row_shr:1 row_mask:0xf bank_mask:0xf
	v_cndmask_b32_e64 v21, v21, 0, s[24:25]
	v_add_u32_e32 v17, v21, v17
	v_cmp_lt_u32_e64 s[30:31], 3, v16
	v_cmp_lt_u32_e64 s[34:35], 7, v16
	v_mov_b32_dpp v21, v17 row_shr:2 row_mask:0xf bank_mask:0xf
	v_cndmask_b32_e64 v21, 0, v21, s[26:27]
	v_add_u32_e32 v17, v17, v21
	v_bfe_i32 v35, v26, 4, 1
	v_cmp_lt_u32_e64 s[36:37], 31, v26
	v_mov_b32_dpp v21, v17 row_shr:4 row_mask:0xf bank_mask:0xf
	v_cndmask_b32_e64 v21, 0, v21, s[30:31]
	v_add_u32_e32 v17, v17, v21
	v_lshlrev_b32_e32 v23, 2, v23
	s_nop 0
	v_mov_b32_dpp v21, v17 row_shr:8 row_mask:0xf bank_mask:0xf
	v_cndmask_b32_e64 v16, 0, v21, s[34:35]
	v_add_u32_e32 v16, v17, v16
	s_nop 1
	v_mov_b32_dpp v17, v16 row_bcast:15 row_mask:0xf bank_mask:0xf
	v_and_b32_e32 v17, v35, v17
	v_add_u32_e32 v16, v16, v17
	s_nop 1
	v_mov_b32_dpp v17, v16 row_bcast:31 row_mask:0xf bank_mask:0xf
	v_cndmask_b32_e64 v17, 0, v17, s[36:37]
	v_add_u32_e32 v17, v16, v17
	s_and_saveexec_b64 s[4:5], s[16:17]
	s_cbranch_execz .LBB230_104
; %bb.103:
	ds_write_b32 v23, v17
.LBB230_104:
	s_or_b64 exec, exec, s[4:5]
	v_and_b32_e32 v16, 7, v26
	v_cmp_gt_u32_e64 s[28:29], 8, v46
	v_lshlrev_b32_e32 v21, 2, v46
	v_cmp_eq_u32_e64 s[22:23], 0, v16
	v_cmp_lt_u32_e64 s[20:21], 1, v16
	v_cmp_lt_u32_e64 s[18:19], 3, v16
	s_waitcnt lgkmcnt(0)
	s_barrier
	s_and_saveexec_b64 s[4:5], s[28:29]
	s_cbranch_execz .LBB230_106
; %bb.105:
	ds_read_b32 v16, v21
	s_waitcnt lgkmcnt(0)
	s_nop 0
	v_mov_b32_dpp v34, v16 row_shr:1 row_mask:0xf bank_mask:0xf
	v_cndmask_b32_e64 v34, v34, 0, s[22:23]
	v_add_u32_e32 v16, v34, v16
	s_nop 1
	v_mov_b32_dpp v34, v16 row_shr:2 row_mask:0xf bank_mask:0xf
	v_cndmask_b32_e64 v34, 0, v34, s[20:21]
	v_add_u32_e32 v16, v16, v34
	;; [unrolled: 4-line block ×3, first 2 shown]
	ds_write_b32 v21, v16
.LBB230_106:
	s_or_b64 exec, exec, s[4:5]
	v_cmp_lt_u32_e64 s[38:39], 63, v46
	v_add_u32_e32 v34, -4, v23
	v_mov_b32_e32 v16, 0
	v_mov_b32_e32 v83, 0
	s_waitcnt lgkmcnt(0)
	s_barrier
	s_and_saveexec_b64 s[4:5], s[38:39]
	s_cbranch_execz .LBB230_108
; %bb.107:
	ds_read_b32 v83, v34
.LBB230_108:
	s_or_b64 exec, exec, s[4:5]
	v_add_u32_e32 v35, -1, v26
	v_and_b32_e32 v84, 64, v26
	v_cmp_lt_i32_e64 s[4:5], v35, v84
	v_cndmask_b32_e64 v35, v35, v26, s[4:5]
	v_lshlrev_b32_e32 v35, 2, v35
	s_waitcnt lgkmcnt(0)
	v_add_u32_e32 v17, v83, v17
	ds_bpermute_b32 v17, v35, v17
	v_cmp_eq_u32_e64 s[40:41], 0, v26
	v_cmp_eq_u32_e64 s[42:43], 0, v46
	v_and_or_b32 v36, v26, 63, v36
	v_lshlrev_b32_e32 v84, 1, v36
	s_waitcnt lgkmcnt(0)
	v_cndmask_b32_e64 v17, v17, v83, s[40:41]
	v_cndmask_b32_e64 v17, v17, 0, s[42:43]
	v_add_u32_e32 v18, v17, v18
	v_add_u32_e32 v19, v18, v19
	;; [unrolled: 1-line block ×3, first 2 shown]
	ds_write2_b32 v64, v17, v18 offset0:8 offset1:9
	ds_write2_b32 v22, v19, v20 offset0:2 offset1:3
	s_waitcnt lgkmcnt(0)
	s_barrier
	ds_read_b32 v17, v37 offset:32
	ds_read_b32 v18, v40 offset:32
	ds_read_b32 v19, v66 offset:32
	ds_read_b32 v20, v69 offset:32
	ds_read_b32 v26, v72 offset:32
	ds_read_b32 v37, v75 offset:32
	ds_read_b32 v40, v78 offset:32
	ds_read_b32 v46, v81 offset:32
	s_waitcnt lgkmcnt(7)
	v_add_u32_e32 v17, v17, v38
	s_waitcnt lgkmcnt(6)
	v_add3_u32 v18, v41, v39, v18
	s_waitcnt lgkmcnt(4)
	v_add3_u32 v38, v70, v68, v20
	v_lshlrev_b32_e32 v20, 1, v17
	v_add3_u32 v19, v67, v65, v19
	s_waitcnt lgkmcnt(0)
	s_barrier
	ds_write_b16 v20, v33
	v_lshlrev_b32_e32 v20, 1, v18
	ds_write_b16 v20, v32
	v_lshlrev_b32_e32 v20, 1, v19
	v_add3_u32 v39, v73, v71, v26
	ds_write_b16 v20, v31
	v_lshlrev_b32_e32 v20, 1, v38
	v_add3_u32 v37, v76, v74, v37
	;; [unrolled: 3-line block ×4, first 2 shown]
	ds_write_b16 v20, v28
	v_lshlrev_b32_e32 v20, 1, v40
	ds_write_b16 v20, v27
	v_lshlrev_b32_e32 v20, 1, v41
	v_lshlrev_b32_e32 v17, 3, v17
	s_min_u32 s4, s46, 8
	ds_write_b16 v20, v25
	s_waitcnt lgkmcnt(0)
	s_barrier
	ds_read_u16 v31, v84
	ds_read_u16 v30, v84 offset:128
	ds_read_u16 v29, v84 offset:256
	;; [unrolled: 1-line block ×7, first 2 shown]
	s_waitcnt lgkmcnt(0)
	s_barrier
	ds_write_b64 v17, v[12:13]
	v_lshlrev_b32_e32 v12, 3, v18
	s_lshl_b32 s4, -1, s4
	s_movk_i32 s54, 0x8000
	ds_write_b64 v12, v[14:15]
	v_lshlrev_b32_e32 v12, 3, v19
	s_not_b32 s53, s4
	v_lshrrev_b16_e32 v17, 8, v31
	v_mov_b32_e32 v18, 0x7f
	v_cmp_ne_u16_e64 s[4:5], s54, v31
	ds_write_b64 v12, v[8:9]
	v_lshlrev_b32_e32 v8, 3, v38
	v_cndmask_b32_e64 v17, v18, v17, s[4:5]
	ds_write_b64 v8, v[10:11]
	v_lshlrev_b32_e32 v8, 3, v39
	v_and_b32_sdwa v19, v17, s53 dst_sel:DWORD dst_unused:UNUSED_PAD src0_sel:WORD_0 src1_sel:DWORD
	ds_write_b64 v8, v[4:5]
	v_lshlrev_b32_e32 v4, 3, v37
	v_lshlrev_b32_e32 v17, 3, v19
	ds_write_b64 v4, v[6:7]
	v_lshlrev_b32_e32 v4, 3, v40
	v_add_lshl_u32 v32, v17, v24, 2
	v_and_b32_e32 v17, 1, v19
	v_lshlrev_b32_e32 v36, 3, v36
	ds_write_b64 v4, v[0:1]
	v_lshlrev_b32_e32 v0, 3, v41
	v_add_co_u32_e64 v33, s[4:5], -1, v17
	ds_write_b64 v0, v[2:3]
	s_waitcnt lgkmcnt(0)
	s_barrier
	ds_read2st64_b64 v[12:15], v36 offset1:1
	ds_read2st64_b64 v[8:11], v36 offset0:2 offset1:3
	ds_read2st64_b64 v[4:7], v36 offset0:4 offset1:5
	;; [unrolled: 1-line block ×3, first 2 shown]
	v_addc_co_u32_e64 v36, s[4:5], 0, -1, s[4:5]
	v_cmp_ne_u32_e64 s[4:5], 0, v17
	v_xor_b32_e32 v17, s5, v36
	v_and_b32_e32 v36, exec_hi, v17
	v_lshlrev_b32_e32 v17, 30, v19
	v_xor_b32_e32 v33, s4, v33
	v_cmp_gt_i64_e64 s[4:5], 0, v[16:17]
	v_not_b32_e32 v17, v17
	v_ashrrev_i32_e32 v17, 31, v17
	v_and_b32_e32 v33, exec_lo, v33
	v_xor_b32_e32 v37, s5, v17
	v_xor_b32_e32 v17, s4, v17
	v_and_b32_e32 v33, v33, v17
	v_lshlrev_b32_e32 v17, 29, v19
	v_cmp_gt_i64_e64 s[4:5], 0, v[16:17]
	v_not_b32_e32 v17, v17
	v_ashrrev_i32_e32 v17, 31, v17
	v_and_b32_e32 v36, v36, v37
	v_xor_b32_e32 v37, s5, v17
	v_xor_b32_e32 v17, s4, v17
	v_and_b32_e32 v33, v33, v17
	v_lshlrev_b32_e32 v17, 28, v19
	v_cmp_gt_i64_e64 s[4:5], 0, v[16:17]
	v_not_b32_e32 v17, v17
	v_ashrrev_i32_e32 v17, 31, v17
	v_and_b32_e32 v36, v36, v37
	;; [unrolled: 8-line block ×5, first 2 shown]
	v_xor_b32_e32 v37, s5, v17
	v_xor_b32_e32 v17, s4, v17
	v_and_b32_e32 v33, v33, v17
	v_lshlrev_b32_e32 v17, 24, v19
	s_waitcnt lgkmcnt(0)
	s_barrier
	ds_write2_b32 v64, v16, v16 offset0:8 offset1:9
	ds_write2_b32 v22, v16, v16 offset0:2 offset1:3
	v_cmp_gt_i64_e64 s[4:5], 0, v[16:17]
	v_not_b32_e32 v16, v17
	v_ashrrev_i32_e32 v16, 31, v16
	v_xor_b32_e32 v17, s5, v16
	v_xor_b32_e32 v16, s4, v16
	v_and_b32_e32 v36, v36, v37
	v_and_b32_e32 v16, v33, v16
	;; [unrolled: 1-line block ×3, first 2 shown]
	v_mbcnt_lo_u32_b32 v19, v16, 0
	v_mbcnt_hi_u32_b32 v33, v17, v19
	v_cmp_eq_u32_e64 s[4:5], 0, v33
	v_cmp_ne_u64_e64 s[46:47], 0, v[16:17]
	s_and_b64 s[46:47], s[46:47], s[4:5]
	s_waitcnt lgkmcnt(0)
	s_barrier
	s_waitcnt lgkmcnt(0)
	; wave barrier
	s_and_saveexec_b64 s[4:5], s[46:47]
	s_cbranch_execz .LBB230_110
; %bb.109:
	v_bcnt_u32_b32 v16, v16, 0
	v_bcnt_u32_b32 v16, v17, v16
	ds_write_b32 v32, v16 offset:32
.LBB230_110:
	s_or_b64 exec, exec, s[4:5]
	v_lshrrev_b16_e32 v16, 8, v30
	v_cmp_ne_u16_e64 s[4:5], s54, v30
	v_cndmask_b32_e64 v16, v18, v16, s[4:5]
	v_and_b32_e32 v18, s53, v16
	v_and_b32_e32 v17, 1, v18
	v_add_co_u32_e64 v19, s[4:5], -1, v17
	v_addc_co_u32_e64 v38, s[4:5], 0, -1, s[4:5]
	v_cmp_ne_u32_e64 s[4:5], 0, v17
	v_lshlrev_b32_e32 v16, 3, v18
	v_xor_b32_e32 v17, s5, v38
	v_add_lshl_u32 v37, v16, v24, 2
	v_mov_b32_e32 v16, 0
	v_and_b32_e32 v38, exec_hi, v17
	v_lshlrev_b32_e32 v17, 30, v18
	v_xor_b32_e32 v19, s4, v19
	v_cmp_gt_i64_e64 s[4:5], 0, v[16:17]
	v_not_b32_e32 v17, v17
	v_ashrrev_i32_e32 v17, 31, v17
	v_and_b32_e32 v19, exec_lo, v19
	v_xor_b32_e32 v39, s5, v17
	v_xor_b32_e32 v17, s4, v17
	v_and_b32_e32 v19, v19, v17
	v_lshlrev_b32_e32 v17, 29, v18
	v_cmp_gt_i64_e64 s[4:5], 0, v[16:17]
	v_not_b32_e32 v17, v17
	v_ashrrev_i32_e32 v17, 31, v17
	v_and_b32_e32 v38, v38, v39
	v_xor_b32_e32 v39, s5, v17
	v_xor_b32_e32 v17, s4, v17
	v_and_b32_e32 v19, v19, v17
	v_lshlrev_b32_e32 v17, 28, v18
	v_cmp_gt_i64_e64 s[4:5], 0, v[16:17]
	v_not_b32_e32 v17, v17
	v_ashrrev_i32_e32 v17, 31, v17
	v_and_b32_e32 v38, v38, v39
	;; [unrolled: 8-line block ×5, first 2 shown]
	v_xor_b32_e32 v39, s5, v17
	v_xor_b32_e32 v17, s4, v17
	v_and_b32_e32 v38, v38, v39
	v_and_b32_e32 v39, v19, v17
	v_lshlrev_b32_e32 v17, 24, v18
	v_cmp_gt_i64_e64 s[4:5], 0, v[16:17]
	v_not_b32_e32 v17, v17
	v_ashrrev_i32_e32 v17, 31, v17
	v_xor_b32_e32 v18, s5, v17
	v_xor_b32_e32 v17, s4, v17
	; wave barrier
	ds_read_b32 v36, v37 offset:32
	v_and_b32_e32 v19, v38, v18
	v_and_b32_e32 v18, v39, v17
	v_mbcnt_lo_u32_b32 v17, v18, 0
	v_mbcnt_hi_u32_b32 v38, v19, v17
	v_cmp_eq_u32_e64 s[4:5], 0, v38
	v_cmp_ne_u64_e64 s[46:47], 0, v[18:19]
	s_and_b64 s[46:47], s[46:47], s[4:5]
	; wave barrier
	s_and_saveexec_b64 s[4:5], s[46:47]
	s_cbranch_execz .LBB230_112
; %bb.111:
	v_bcnt_u32_b32 v17, v18, 0
	v_bcnt_u32_b32 v17, v19, v17
	s_waitcnt lgkmcnt(0)
	v_add_u32_e32 v17, v36, v17
	ds_write_b32 v37, v17 offset:32
.LBB230_112:
	s_or_b64 exec, exec, s[4:5]
	v_lshrrev_b16_e32 v17, 8, v29
	v_mov_b32_e32 v18, 0x7f
	v_cmp_ne_u16_e64 s[4:5], s54, v29
	v_cndmask_b32_e64 v17, v18, v17, s[4:5]
	v_and_b32_e32 v19, s53, v17
	v_lshlrev_b32_e32 v17, 3, v19
	v_add_lshl_u32 v40, v17, v24, 2
	v_and_b32_e32 v17, 1, v19
	v_add_co_u32_e64 v41, s[4:5], -1, v17
	v_addc_co_u32_e64 v46, s[4:5], 0, -1, s[4:5]
	v_cmp_ne_u32_e64 s[4:5], 0, v17
	v_xor_b32_e32 v17, s5, v46
	v_and_b32_e32 v46, exec_hi, v17
	v_lshlrev_b32_e32 v17, 30, v19
	v_xor_b32_e32 v41, s4, v41
	v_cmp_gt_i64_e64 s[4:5], 0, v[16:17]
	v_not_b32_e32 v17, v17
	v_ashrrev_i32_e32 v17, 31, v17
	v_and_b32_e32 v41, exec_lo, v41
	v_xor_b32_e32 v65, s5, v17
	v_xor_b32_e32 v17, s4, v17
	v_and_b32_e32 v41, v41, v17
	v_lshlrev_b32_e32 v17, 29, v19
	v_cmp_gt_i64_e64 s[4:5], 0, v[16:17]
	v_not_b32_e32 v17, v17
	v_ashrrev_i32_e32 v17, 31, v17
	v_and_b32_e32 v46, v46, v65
	v_xor_b32_e32 v65, s5, v17
	v_xor_b32_e32 v17, s4, v17
	v_and_b32_e32 v41, v41, v17
	v_lshlrev_b32_e32 v17, 28, v19
	v_cmp_gt_i64_e64 s[4:5], 0, v[16:17]
	v_not_b32_e32 v17, v17
	v_ashrrev_i32_e32 v17, 31, v17
	v_and_b32_e32 v46, v46, v65
	;; [unrolled: 8-line block ×5, first 2 shown]
	v_xor_b32_e32 v65, s5, v17
	v_xor_b32_e32 v17, s4, v17
	v_and_b32_e32 v41, v41, v17
	v_lshlrev_b32_e32 v17, 24, v19
	v_cmp_gt_i64_e64 s[4:5], 0, v[16:17]
	v_not_b32_e32 v16, v17
	v_ashrrev_i32_e32 v16, 31, v16
	v_xor_b32_e32 v17, s5, v16
	v_xor_b32_e32 v16, s4, v16
	; wave barrier
	ds_read_b32 v39, v40 offset:32
	v_and_b32_e32 v46, v46, v65
	v_and_b32_e32 v16, v41, v16
	;; [unrolled: 1-line block ×3, first 2 shown]
	v_mbcnt_lo_u32_b32 v19, v16, 0
	v_mbcnt_hi_u32_b32 v41, v17, v19
	v_cmp_eq_u32_e64 s[4:5], 0, v41
	v_cmp_ne_u64_e64 s[46:47], 0, v[16:17]
	s_and_b64 s[46:47], s[46:47], s[4:5]
	; wave barrier
	s_and_saveexec_b64 s[4:5], s[46:47]
	s_cbranch_execz .LBB230_114
; %bb.113:
	v_bcnt_u32_b32 v16, v16, 0
	v_bcnt_u32_b32 v16, v17, v16
	s_waitcnt lgkmcnt(0)
	v_add_u32_e32 v16, v39, v16
	ds_write_b32 v40, v16 offset:32
.LBB230_114:
	s_or_b64 exec, exec, s[4:5]
	v_lshrrev_b16_e32 v16, 8, v28
	v_cmp_ne_u16_e64 s[4:5], s54, v28
	v_cndmask_b32_e64 v16, v18, v16, s[4:5]
	v_and_b32_e32 v18, s53, v16
	v_and_b32_e32 v17, 1, v18
	v_add_co_u32_e64 v19, s[4:5], -1, v17
	v_addc_co_u32_e64 v66, s[4:5], 0, -1, s[4:5]
	v_cmp_ne_u32_e64 s[4:5], 0, v17
	v_lshlrev_b32_e32 v16, 3, v18
	v_xor_b32_e32 v17, s5, v66
	v_add_lshl_u32 v65, v16, v24, 2
	v_mov_b32_e32 v16, 0
	v_and_b32_e32 v66, exec_hi, v17
	v_lshlrev_b32_e32 v17, 30, v18
	v_xor_b32_e32 v19, s4, v19
	v_cmp_gt_i64_e64 s[4:5], 0, v[16:17]
	v_not_b32_e32 v17, v17
	v_ashrrev_i32_e32 v17, 31, v17
	v_and_b32_e32 v19, exec_lo, v19
	v_xor_b32_e32 v67, s5, v17
	v_xor_b32_e32 v17, s4, v17
	v_and_b32_e32 v19, v19, v17
	v_lshlrev_b32_e32 v17, 29, v18
	v_cmp_gt_i64_e64 s[4:5], 0, v[16:17]
	v_not_b32_e32 v17, v17
	v_ashrrev_i32_e32 v17, 31, v17
	v_and_b32_e32 v66, v66, v67
	v_xor_b32_e32 v67, s5, v17
	v_xor_b32_e32 v17, s4, v17
	v_and_b32_e32 v19, v19, v17
	v_lshlrev_b32_e32 v17, 28, v18
	v_cmp_gt_i64_e64 s[4:5], 0, v[16:17]
	v_not_b32_e32 v17, v17
	v_ashrrev_i32_e32 v17, 31, v17
	v_and_b32_e32 v66, v66, v67
	v_xor_b32_e32 v67, s5, v17
	v_xor_b32_e32 v17, s4, v17
	v_and_b32_e32 v19, v19, v17
	v_lshlrev_b32_e32 v17, 27, v18
	v_cmp_gt_i64_e64 s[4:5], 0, v[16:17]
	v_not_b32_e32 v17, v17
	v_ashrrev_i32_e32 v17, 31, v17
	v_and_b32_e32 v66, v66, v67
	v_xor_b32_e32 v67, s5, v17
	v_xor_b32_e32 v17, s4, v17
	v_and_b32_e32 v19, v19, v17
	v_lshlrev_b32_e32 v17, 26, v18
	v_cmp_gt_i64_e64 s[4:5], 0, v[16:17]
	v_not_b32_e32 v17, v17
	v_ashrrev_i32_e32 v17, 31, v17
	v_and_b32_e32 v66, v66, v67
	v_xor_b32_e32 v67, s5, v17
	v_xor_b32_e32 v17, s4, v17
	v_and_b32_e32 v19, v19, v17
	v_lshlrev_b32_e32 v17, 25, v18
	v_cmp_gt_i64_e64 s[4:5], 0, v[16:17]
	v_not_b32_e32 v17, v17
	v_ashrrev_i32_e32 v17, 31, v17
	v_and_b32_e32 v66, v66, v67
	v_xor_b32_e32 v67, s5, v17
	v_xor_b32_e32 v17, s4, v17
	v_and_b32_e32 v66, v66, v67
	v_and_b32_e32 v67, v19, v17
	v_lshlrev_b32_e32 v17, 24, v18
	v_cmp_gt_i64_e64 s[4:5], 0, v[16:17]
	v_not_b32_e32 v17, v17
	v_ashrrev_i32_e32 v17, 31, v17
	v_xor_b32_e32 v18, s5, v17
	v_xor_b32_e32 v17, s4, v17
	; wave barrier
	ds_read_b32 v46, v65 offset:32
	v_and_b32_e32 v19, v66, v18
	v_and_b32_e32 v18, v67, v17
	v_mbcnt_lo_u32_b32 v17, v18, 0
	v_mbcnt_hi_u32_b32 v66, v19, v17
	v_cmp_eq_u32_e64 s[4:5], 0, v66
	v_cmp_ne_u64_e64 s[46:47], 0, v[18:19]
	s_and_b64 s[46:47], s[46:47], s[4:5]
	; wave barrier
	s_and_saveexec_b64 s[4:5], s[46:47]
	s_cbranch_execz .LBB230_116
; %bb.115:
	v_bcnt_u32_b32 v17, v18, 0
	v_bcnt_u32_b32 v17, v19, v17
	s_waitcnt lgkmcnt(0)
	v_add_u32_e32 v17, v46, v17
	ds_write_b32 v65, v17 offset:32
.LBB230_116:
	s_or_b64 exec, exec, s[4:5]
	v_lshrrev_b16_e32 v17, 8, v27
	v_mov_b32_e32 v18, 0x7f
	v_cmp_ne_u16_e64 s[4:5], s54, v27
	v_cndmask_b32_e64 v17, v18, v17, s[4:5]
	v_and_b32_e32 v19, s53, v17
	v_lshlrev_b32_e32 v17, 3, v19
	v_add_lshl_u32 v68, v17, v24, 2
	v_and_b32_e32 v17, 1, v19
	v_add_co_u32_e64 v69, s[4:5], -1, v17
	v_addc_co_u32_e64 v70, s[4:5], 0, -1, s[4:5]
	v_cmp_ne_u32_e64 s[4:5], 0, v17
	v_xor_b32_e32 v17, s5, v70
	v_and_b32_e32 v70, exec_hi, v17
	v_lshlrev_b32_e32 v17, 30, v19
	v_xor_b32_e32 v69, s4, v69
	v_cmp_gt_i64_e64 s[4:5], 0, v[16:17]
	v_not_b32_e32 v17, v17
	v_ashrrev_i32_e32 v17, 31, v17
	v_and_b32_e32 v69, exec_lo, v69
	v_xor_b32_e32 v71, s5, v17
	v_xor_b32_e32 v17, s4, v17
	v_and_b32_e32 v69, v69, v17
	v_lshlrev_b32_e32 v17, 29, v19
	v_cmp_gt_i64_e64 s[4:5], 0, v[16:17]
	v_not_b32_e32 v17, v17
	v_ashrrev_i32_e32 v17, 31, v17
	v_and_b32_e32 v70, v70, v71
	v_xor_b32_e32 v71, s5, v17
	v_xor_b32_e32 v17, s4, v17
	v_and_b32_e32 v69, v69, v17
	v_lshlrev_b32_e32 v17, 28, v19
	v_cmp_gt_i64_e64 s[4:5], 0, v[16:17]
	v_not_b32_e32 v17, v17
	v_ashrrev_i32_e32 v17, 31, v17
	v_and_b32_e32 v70, v70, v71
	;; [unrolled: 8-line block ×5, first 2 shown]
	v_xor_b32_e32 v71, s5, v17
	v_xor_b32_e32 v17, s4, v17
	v_and_b32_e32 v69, v69, v17
	v_lshlrev_b32_e32 v17, 24, v19
	v_cmp_gt_i64_e64 s[4:5], 0, v[16:17]
	v_not_b32_e32 v16, v17
	v_ashrrev_i32_e32 v16, 31, v16
	v_xor_b32_e32 v17, s5, v16
	v_xor_b32_e32 v16, s4, v16
	; wave barrier
	ds_read_b32 v67, v68 offset:32
	v_and_b32_e32 v70, v70, v71
	v_and_b32_e32 v16, v69, v16
	;; [unrolled: 1-line block ×3, first 2 shown]
	v_mbcnt_lo_u32_b32 v19, v16, 0
	v_mbcnt_hi_u32_b32 v69, v17, v19
	v_cmp_eq_u32_e64 s[4:5], 0, v69
	v_cmp_ne_u64_e64 s[46:47], 0, v[16:17]
	s_and_b64 s[46:47], s[46:47], s[4:5]
	; wave barrier
	s_and_saveexec_b64 s[4:5], s[46:47]
	s_cbranch_execz .LBB230_118
; %bb.117:
	v_bcnt_u32_b32 v16, v16, 0
	v_bcnt_u32_b32 v16, v17, v16
	s_waitcnt lgkmcnt(0)
	v_add_u32_e32 v16, v67, v16
	ds_write_b32 v68, v16 offset:32
.LBB230_118:
	s_or_b64 exec, exec, s[4:5]
	v_lshrrev_b16_e32 v16, 8, v26
	v_cmp_ne_u16_e64 s[4:5], s54, v26
	v_cndmask_b32_e64 v16, v18, v16, s[4:5]
	v_and_b32_e32 v18, s53, v16
	v_and_b32_e32 v17, 1, v18
	v_add_co_u32_e64 v19, s[4:5], -1, v17
	v_addc_co_u32_e64 v72, s[4:5], 0, -1, s[4:5]
	v_cmp_ne_u32_e64 s[4:5], 0, v17
	v_lshlrev_b32_e32 v16, 3, v18
	v_xor_b32_e32 v17, s5, v72
	v_add_lshl_u32 v71, v16, v24, 2
	v_mov_b32_e32 v16, 0
	v_and_b32_e32 v72, exec_hi, v17
	v_lshlrev_b32_e32 v17, 30, v18
	v_xor_b32_e32 v19, s4, v19
	v_cmp_gt_i64_e64 s[4:5], 0, v[16:17]
	v_not_b32_e32 v17, v17
	v_ashrrev_i32_e32 v17, 31, v17
	v_and_b32_e32 v19, exec_lo, v19
	v_xor_b32_e32 v73, s5, v17
	v_xor_b32_e32 v17, s4, v17
	v_and_b32_e32 v19, v19, v17
	v_lshlrev_b32_e32 v17, 29, v18
	v_cmp_gt_i64_e64 s[4:5], 0, v[16:17]
	v_not_b32_e32 v17, v17
	v_ashrrev_i32_e32 v17, 31, v17
	v_and_b32_e32 v72, v72, v73
	v_xor_b32_e32 v73, s5, v17
	v_xor_b32_e32 v17, s4, v17
	v_and_b32_e32 v19, v19, v17
	v_lshlrev_b32_e32 v17, 28, v18
	v_cmp_gt_i64_e64 s[4:5], 0, v[16:17]
	v_not_b32_e32 v17, v17
	v_ashrrev_i32_e32 v17, 31, v17
	v_and_b32_e32 v72, v72, v73
	;; [unrolled: 8-line block ×5, first 2 shown]
	v_xor_b32_e32 v73, s5, v17
	v_xor_b32_e32 v17, s4, v17
	v_and_b32_e32 v72, v72, v73
	v_and_b32_e32 v73, v19, v17
	v_lshlrev_b32_e32 v17, 24, v18
	v_cmp_gt_i64_e64 s[4:5], 0, v[16:17]
	v_not_b32_e32 v17, v17
	v_ashrrev_i32_e32 v17, 31, v17
	v_xor_b32_e32 v18, s5, v17
	v_xor_b32_e32 v17, s4, v17
	; wave barrier
	ds_read_b32 v70, v71 offset:32
	v_and_b32_e32 v19, v72, v18
	v_and_b32_e32 v18, v73, v17
	v_mbcnt_lo_u32_b32 v17, v18, 0
	v_mbcnt_hi_u32_b32 v72, v19, v17
	v_cmp_eq_u32_e64 s[4:5], 0, v72
	v_cmp_ne_u64_e64 s[46:47], 0, v[18:19]
	s_and_b64 s[46:47], s[46:47], s[4:5]
	; wave barrier
	s_and_saveexec_b64 s[4:5], s[46:47]
	s_cbranch_execz .LBB230_120
; %bb.119:
	v_bcnt_u32_b32 v17, v18, 0
	v_bcnt_u32_b32 v17, v19, v17
	s_waitcnt lgkmcnt(0)
	v_add_u32_e32 v17, v70, v17
	ds_write_b32 v71, v17 offset:32
.LBB230_120:
	s_or_b64 exec, exec, s[4:5]
	v_lshrrev_b16_e32 v17, 8, v25
	v_mov_b32_e32 v18, 0x7f
	v_cmp_ne_u16_e64 s[4:5], s54, v25
	v_cndmask_b32_e64 v17, v18, v17, s[4:5]
	v_and_b32_e32 v19, s53, v17
	v_lshlrev_b32_e32 v17, 3, v19
	v_add_lshl_u32 v74, v17, v24, 2
	v_and_b32_e32 v17, 1, v19
	v_add_co_u32_e64 v75, s[4:5], -1, v17
	v_addc_co_u32_e64 v76, s[4:5], 0, -1, s[4:5]
	v_cmp_ne_u32_e64 s[4:5], 0, v17
	v_xor_b32_e32 v17, s5, v76
	v_and_b32_e32 v76, exec_hi, v17
	v_lshlrev_b32_e32 v17, 30, v19
	v_xor_b32_e32 v75, s4, v75
	v_cmp_gt_i64_e64 s[4:5], 0, v[16:17]
	v_not_b32_e32 v17, v17
	v_ashrrev_i32_e32 v17, 31, v17
	v_and_b32_e32 v75, exec_lo, v75
	v_xor_b32_e32 v77, s5, v17
	v_xor_b32_e32 v17, s4, v17
	v_and_b32_e32 v75, v75, v17
	v_lshlrev_b32_e32 v17, 29, v19
	v_cmp_gt_i64_e64 s[4:5], 0, v[16:17]
	v_not_b32_e32 v17, v17
	v_ashrrev_i32_e32 v17, 31, v17
	v_and_b32_e32 v76, v76, v77
	v_xor_b32_e32 v77, s5, v17
	v_xor_b32_e32 v17, s4, v17
	v_and_b32_e32 v75, v75, v17
	v_lshlrev_b32_e32 v17, 28, v19
	v_cmp_gt_i64_e64 s[4:5], 0, v[16:17]
	v_not_b32_e32 v17, v17
	v_ashrrev_i32_e32 v17, 31, v17
	v_and_b32_e32 v76, v76, v77
	;; [unrolled: 8-line block ×5, first 2 shown]
	v_xor_b32_e32 v77, s5, v17
	v_xor_b32_e32 v17, s4, v17
	v_and_b32_e32 v75, v75, v17
	v_lshlrev_b32_e32 v17, 24, v19
	v_cmp_gt_i64_e64 s[4:5], 0, v[16:17]
	v_not_b32_e32 v16, v17
	v_ashrrev_i32_e32 v16, 31, v16
	v_xor_b32_e32 v17, s5, v16
	v_xor_b32_e32 v16, s4, v16
	; wave barrier
	ds_read_b32 v73, v74 offset:32
	v_and_b32_e32 v76, v76, v77
	v_and_b32_e32 v16, v75, v16
	;; [unrolled: 1-line block ×3, first 2 shown]
	v_mbcnt_lo_u32_b32 v19, v16, 0
	v_mbcnt_hi_u32_b32 v75, v17, v19
	v_cmp_eq_u32_e64 s[4:5], 0, v75
	v_cmp_ne_u64_e64 s[46:47], 0, v[16:17]
	s_and_b64 s[46:47], s[46:47], s[4:5]
	; wave barrier
	s_and_saveexec_b64 s[4:5], s[46:47]
	s_cbranch_execz .LBB230_122
; %bb.121:
	v_bcnt_u32_b32 v16, v16, 0
	v_bcnt_u32_b32 v16, v17, v16
	s_waitcnt lgkmcnt(0)
	v_add_u32_e32 v16, v73, v16
	ds_write_b32 v74, v16 offset:32
.LBB230_122:
	s_or_b64 exec, exec, s[4:5]
	v_lshrrev_b16_e32 v16, 8, v20
	v_cmp_ne_u16_e64 s[4:5], s54, v20
	v_cndmask_b32_e64 v16, v18, v16, s[4:5]
	v_and_b32_e32 v18, s53, v16
	v_and_b32_e32 v17, 1, v18
	v_add_co_u32_e64 v19, s[4:5], -1, v17
	v_addc_co_u32_e64 v77, s[4:5], 0, -1, s[4:5]
	v_cmp_ne_u32_e64 s[4:5], 0, v17
	v_lshlrev_b32_e32 v16, 3, v18
	v_xor_b32_e32 v17, s5, v77
	v_add_lshl_u32 v76, v16, v24, 2
	v_mov_b32_e32 v16, 0
	v_and_b32_e32 v77, exec_hi, v17
	v_lshlrev_b32_e32 v17, 30, v18
	v_xor_b32_e32 v19, s4, v19
	v_cmp_gt_i64_e64 s[4:5], 0, v[16:17]
	v_not_b32_e32 v17, v17
	v_ashrrev_i32_e32 v17, 31, v17
	v_and_b32_e32 v19, exec_lo, v19
	v_xor_b32_e32 v78, s5, v17
	v_xor_b32_e32 v17, s4, v17
	v_and_b32_e32 v19, v19, v17
	v_lshlrev_b32_e32 v17, 29, v18
	v_cmp_gt_i64_e64 s[4:5], 0, v[16:17]
	v_not_b32_e32 v17, v17
	v_ashrrev_i32_e32 v17, 31, v17
	v_and_b32_e32 v77, v77, v78
	v_xor_b32_e32 v78, s5, v17
	v_xor_b32_e32 v17, s4, v17
	v_and_b32_e32 v19, v19, v17
	v_lshlrev_b32_e32 v17, 28, v18
	v_cmp_gt_i64_e64 s[4:5], 0, v[16:17]
	v_not_b32_e32 v17, v17
	v_ashrrev_i32_e32 v17, 31, v17
	v_and_b32_e32 v77, v77, v78
	;; [unrolled: 8-line block ×5, first 2 shown]
	v_xor_b32_e32 v78, s5, v17
	v_xor_b32_e32 v17, s4, v17
	v_and_b32_e32 v19, v19, v17
	v_lshlrev_b32_e32 v17, 24, v18
	v_cmp_gt_i64_e64 s[4:5], 0, v[16:17]
	v_not_b32_e32 v16, v17
	v_ashrrev_i32_e32 v16, 31, v16
	v_xor_b32_e32 v17, s5, v16
	v_xor_b32_e32 v16, s4, v16
	; wave barrier
	ds_read_b32 v24, v76 offset:32
	v_and_b32_e32 v77, v77, v78
	v_and_b32_e32 v16, v19, v16
	;; [unrolled: 1-line block ×3, first 2 shown]
	v_mbcnt_lo_u32_b32 v18, v16, 0
	v_mbcnt_hi_u32_b32 v77, v17, v18
	v_cmp_eq_u32_e64 s[4:5], 0, v77
	v_cmp_ne_u64_e64 s[46:47], 0, v[16:17]
	s_and_b64 s[46:47], s[46:47], s[4:5]
	; wave barrier
	s_and_saveexec_b64 s[4:5], s[46:47]
	s_cbranch_execz .LBB230_124
; %bb.123:
	v_bcnt_u32_b32 v16, v16, 0
	v_bcnt_u32_b32 v16, v17, v16
	s_waitcnt lgkmcnt(0)
	v_add_u32_e32 v16, v24, v16
	ds_write_b32 v76, v16 offset:32
.LBB230_124:
	s_or_b64 exec, exec, s[4:5]
	; wave barrier
	s_waitcnt lgkmcnt(0)
	s_barrier
	ds_read2_b32 v[18:19], v64 offset0:8 offset1:9
	ds_read2_b32 v[16:17], v22 offset0:2 offset1:3
	s_waitcnt lgkmcnt(1)
	v_add_u32_e32 v78, v19, v18
	s_waitcnt lgkmcnt(0)
	v_add3_u32 v17, v78, v16, v17
	s_nop 1
	v_mov_b32_dpp v78, v17 row_shr:1 row_mask:0xf bank_mask:0xf
	v_cndmask_b32_e64 v78, v78, 0, s[24:25]
	v_add_u32_e32 v17, v78, v17
	s_nop 1
	v_mov_b32_dpp v78, v17 row_shr:2 row_mask:0xf bank_mask:0xf
	v_cndmask_b32_e64 v78, 0, v78, s[26:27]
	v_add_u32_e32 v17, v17, v78
	;; [unrolled: 4-line block ×4, first 2 shown]
	s_nop 1
	v_mov_b32_dpp v78, v17 row_bcast:15 row_mask:0xf bank_mask:0xf
	v_cndmask_b32_e64 v78, v78, 0, vcc
	v_add_u32_e32 v17, v17, v78
	s_nop 1
	v_mov_b32_dpp v78, v17 row_bcast:31 row_mask:0xf bank_mask:0xf
	v_cndmask_b32_e64 v78, 0, v78, s[36:37]
	v_add_u32_e32 v78, v17, v78
	s_and_saveexec_b64 s[4:5], s[16:17]
	s_cbranch_execz .LBB230_126
; %bb.125:
	ds_write_b32 v23, v78
.LBB230_126:
	s_or_b64 exec, exec, s[4:5]
	s_waitcnt lgkmcnt(0)
	s_barrier
	s_and_saveexec_b64 s[4:5], s[28:29]
	s_cbranch_execz .LBB230_128
; %bb.127:
	ds_read_b32 v17, v21
	s_waitcnt lgkmcnt(0)
	s_nop 0
	v_mov_b32_dpp v23, v17 row_shr:1 row_mask:0xf bank_mask:0xf
	v_cndmask_b32_e64 v23, v23, 0, s[22:23]
	v_add_u32_e32 v17, v23, v17
	s_nop 1
	v_mov_b32_dpp v23, v17 row_shr:2 row_mask:0xf bank_mask:0xf
	v_cndmask_b32_e64 v23, 0, v23, s[20:21]
	v_add_u32_e32 v17, v17, v23
	;; [unrolled: 4-line block ×3, first 2 shown]
	ds_write_b32 v21, v17
.LBB230_128:
	s_or_b64 exec, exec, s[4:5]
	v_mov_b32_e32 v17, 0
	v_mov_b32_e32 v21, 0
	s_waitcnt lgkmcnt(0)
	s_barrier
	s_and_saveexec_b64 s[4:5], s[38:39]
	s_cbranch_execz .LBB230_130
; %bb.129:
	ds_read_b32 v21, v34
.LBB230_130:
	s_or_b64 exec, exec, s[4:5]
	s_waitcnt lgkmcnt(0)
	v_add_u32_e32 v23, v21, v78
	ds_bpermute_b32 v23, v35, v23
	v_lshlrev_b32_e32 v34, 3, v63
	s_mov_b32 s16, 0x5040100
	s_waitcnt lgkmcnt(0)
	v_cndmask_b32_e64 v21, v23, v21, s[40:41]
	v_cndmask_b32_e64 v21, v21, 0, s[42:43]
	v_add_u32_e32 v18, v21, v18
	v_add_u32_e32 v19, v18, v19
	;; [unrolled: 1-line block ×3, first 2 shown]
	ds_write2_b32 v64, v21, v18 offset0:8 offset1:9
	ds_write2_b32 v22, v19, v16 offset0:2 offset1:3
	s_waitcnt lgkmcnt(0)
	s_barrier
	ds_read_b32 v16, v76 offset:32
	ds_read_b32 v18, v74 offset:32
	;; [unrolled: 1-line block ×4, first 2 shown]
	s_waitcnt lgkmcnt(3)
	v_add3_u32 v16, v77, v24, v16
	ds_read_b32 v22, v65 offset:32
	ds_read_b32 v23, v40 offset:32
	;; [unrolled: 1-line block ×4, first 2 shown]
	s_waitcnt lgkmcnt(0)
	s_barrier
	v_add3_u32 v23, v41, v39, v23
	v_add3_u32 v24, v38, v36, v24
	v_add_u32_e32 v32, v32, v33
	v_lshlrev_b32_e32 v33, 1, v32
	ds_write_b16 v33, v31
	v_lshlrev_b32_e32 v31, 1, v24
	v_add3_u32 v22, v66, v46, v22
	ds_write_b16 v31, v30
	v_lshlrev_b32_e32 v30, 1, v23
	v_add3_u32 v21, v69, v67, v21
	;; [unrolled: 3-line block ×4, first 2 shown]
	ds_write_b16 v28, v27
	v_lshlrev_b32_e32 v27, 1, v19
	ds_write_b16 v27, v26
	v_lshlrev_b32_e32 v26, 1, v18
	;; [unrolled: 2-line block ×4, first 2 shown]
	s_waitcnt lgkmcnt(0)
	s_barrier
	v_lshlrev_b32_e32 v26, 3, v21
	v_lshlrev_b32_e32 v27, 3, v19
	;; [unrolled: 1-line block ×3, first 2 shown]
	ds_read_b128 v[18:21], v20
	v_mov_b32_e32 v40, -1
	v_mov_b32_e32 v41, 0x7fff
	v_lshlrev_b32_e32 v25, 3, v32
	v_lshlrev_b32_e32 v24, 3, v24
	s_waitcnt lgkmcnt(0)
	v_cmp_gt_i16_sdwa vcc, v18, v40 src0_sel:WORD_1 src1_sel:DWORD
	v_cndmask_b32_e32 v29, 0, v41, vcc
	v_cmp_lt_i16_e32 vcc, -1, v18
	v_cndmask_b32_e32 v30, 0, v41, vcc
	v_cmp_lt_i16_sdwa s[4:5], v19, v17 src0_sel:WORD_1 src1_sel:DWORD
	v_cmp_gt_i16_e32 vcc, 0, v19
	v_cndmask_b32_e64 v31, v41, 0, s[4:5]
	v_cndmask_b32_e64 v32, v41, 0, vcc
	v_lshlrev_b32_e32 v23, 3, v23
	v_lshlrev_b32_e32 v22, 3, v22
	v_xor_b32_e32 v32, v32, v19
	v_xor_b32_sdwa v19, v31, v19 dst_sel:DWORD dst_unused:UNUSED_PAD src0_sel:DWORD src1_sel:WORD_1
	v_lshlrev_b32_e32 v16, 3, v16
	v_perm_b32 v39, v19, v32, s16
	v_xor_b32_e32 v19, v30, v18
	v_xor_b32_sdwa v18, v29, v18 dst_sel:DWORD dst_unused:UNUSED_PAD src0_sel:DWORD src1_sel:WORD_1
	s_barrier
	ds_write_b64 v25, v[12:13]
	ds_write_b64 v24, v[14:15]
	;; [unrolled: 1-line block ×8, first 2 shown]
	s_waitcnt lgkmcnt(0)
	s_barrier
	ds_read2_b64 v[22:25], v34 offset1:1
	ds_read2_b64 v[26:29], v34 offset0:2 offset1:3
	ds_read2_b64 v[30:33], v34 offset0:4 offset1:5
	;; [unrolled: 1-line block ×3, first 2 shown]
	v_cmp_gt_i16_sdwa vcc, v20, v40 src0_sel:WORD_1 src1_sel:DWORD
	v_cndmask_b32_e32 v0, 0, v41, vcc
	v_cmp_lt_i16_e32 vcc, -1, v20
	v_cndmask_b32_e32 v1, 0, v41, vcc
	v_cmp_lt_i16_sdwa s[4:5], v21, v17 src0_sel:WORD_1 src1_sel:DWORD
	v_cmp_gt_i16_e32 vcc, 0, v21
	v_cndmask_b32_e64 v2, v41, 0, s[4:5]
	v_cndmask_b32_e64 v3, v41, 0, vcc
	v_xor_b32_e32 v3, v3, v21
	v_xor_b32_sdwa v2, v2, v21 dst_sel:DWORD dst_unused:UNUSED_PAD src0_sel:DWORD src1_sel:WORD_1
	v_xor_b32_e32 v1, v1, v20
	v_xor_b32_sdwa v0, v0, v20 dst_sel:DWORD dst_unused:UNUSED_PAD src0_sel:DWORD src1_sel:WORD_1
	v_perm_b32 v38, v18, v19, s16
	v_perm_b32 v41, v2, v3, s16
	;; [unrolled: 1-line block ×3, first 2 shown]
.LBB230_131:
	s_waitcnt lgkmcnt(0)
	s_barrier
	ds_write_b128 v54, v[38:41]
	s_waitcnt lgkmcnt(0)
	s_barrier
	ds_read_u16 v8, v43 offset:1024
	ds_read_u16 v7, v48 offset:2048
	;; [unrolled: 1-line block ×7, first 2 shown]
	v_mov_b32_e32 v43, 0
	v_lshlrev_b64 v[0:1], 1, v[42:43]
	v_mov_b32_e32 v9, s48
	v_add_co_u32_e32 v0, vcc, s33, v0
	v_addc_co_u32_e32 v1, vcc, v9, v1, vcc
	s_and_saveexec_b64 s[4:5], s[0:1]
	s_cbranch_execnz .LBB230_150
; %bb.132:
	s_or_b64 exec, exec, s[4:5]
	s_and_saveexec_b64 s[4:5], s[2:3]
	s_cbranch_execnz .LBB230_151
.LBB230_133:
	s_or_b64 exec, exec, s[4:5]
	s_and_saveexec_b64 s[4:5], s[44:45]
	s_cbranch_execnz .LBB230_152
.LBB230_134:
	s_or_b64 exec, exec, s[4:5]
	s_and_saveexec_b64 s[4:5], s[6:7]
	s_cbranch_execnz .LBB230_153
.LBB230_135:
	s_or_b64 exec, exec, s[4:5]
	s_and_saveexec_b64 s[4:5], s[8:9]
	s_cbranch_execnz .LBB230_154
.LBB230_136:
	s_or_b64 exec, exec, s[4:5]
	s_and_saveexec_b64 s[4:5], s[10:11]
	s_cbranch_execnz .LBB230_155
.LBB230_137:
	s_or_b64 exec, exec, s[4:5]
	s_and_saveexec_b64 s[4:5], s[12:13]
	s_cbranch_execnz .LBB230_156
.LBB230_138:
	s_or_b64 exec, exec, s[4:5]
	s_and_saveexec_b64 s[4:5], s[14:15]
	s_cbranch_execz .LBB230_140
.LBB230_139:
	s_mul_i32 s16, s50, 0xe00
	s_mov_b32 s17, 0
	s_lshl_b64 s[16:17], s[16:17], 1
	s_waitcnt lgkmcnt(1)
	v_mov_b32_e32 v3, s17
	v_add_co_u32_e32 v0, vcc, s16, v0
	v_addc_co_u32_e32 v1, vcc, v1, v3, vcc
	s_waitcnt lgkmcnt(0)
	global_store_short v[0:1], v2, off
.LBB230_140:
	s_or_b64 exec, exec, s[4:5]
	s_waitcnt lgkmcnt(0)
	s_barrier
	ds_write2_b64 v62, v[22:23], v[24:25] offset1:1
	ds_write2_b64 v62, v[26:27], v[28:29] offset0:2 offset1:3
	ds_write2_b64 v62, v[30:31], v[32:33] offset0:4 offset1:5
	;; [unrolled: 1-line block ×3, first 2 shown]
	s_waitcnt lgkmcnt(0)
	s_barrier
	ds_read_b64 v[14:15], v45 offset:4096
	ds_read_b64 v[12:13], v56 offset:8192
	;; [unrolled: 1-line block ×7, first 2 shown]
	v_mov_b32_e32 v45, 0
	v_lshlrev_b64 v[2:3], 3, v[44:45]
	v_mov_b32_e32 v16, s51
	v_add_co_u32_e32 v2, vcc, s49, v2
	v_addc_co_u32_e32 v3, vcc, v16, v3, vcc
	s_and_saveexec_b64 s[4:5], s[0:1]
	s_cbranch_execnz .LBB230_157
; %bb.141:
	s_or_b64 exec, exec, s[4:5]
	s_and_saveexec_b64 s[0:1], s[2:3]
	s_cbranch_execnz .LBB230_158
.LBB230_142:
	s_or_b64 exec, exec, s[0:1]
	s_and_saveexec_b64 s[0:1], s[44:45]
	s_cbranch_execnz .LBB230_159
.LBB230_143:
	s_or_b64 exec, exec, s[0:1]
	s_and_saveexec_b64 s[0:1], s[6:7]
	s_cbranch_execnz .LBB230_160
.LBB230_144:
	s_or_b64 exec, exec, s[0:1]
	s_and_saveexec_b64 s[0:1], s[8:9]
	s_cbranch_execnz .LBB230_161
.LBB230_145:
	s_or_b64 exec, exec, s[0:1]
	s_and_saveexec_b64 s[0:1], s[10:11]
	s_cbranch_execnz .LBB230_162
.LBB230_146:
	s_or_b64 exec, exec, s[0:1]
	s_and_saveexec_b64 s[0:1], s[12:13]
	s_cbranch_execnz .LBB230_163
.LBB230_147:
	s_or_b64 exec, exec, s[0:1]
	s_and_saveexec_b64 s[0:1], s[14:15]
	s_cbranch_execz .LBB230_149
.LBB230_148:
	s_mul_i32 s0, s52, 0xe00
	s_mov_b32 s1, 0
	s_lshl_b64 s[0:1], s[0:1], 3
	s_waitcnt lgkmcnt(1)
	v_mov_b32_e32 v4, s1
	v_add_co_u32_e32 v2, vcc, s0, v2
	v_addc_co_u32_e32 v3, vcc, v3, v4, vcc
	s_waitcnt lgkmcnt(0)
	global_store_dwordx2 v[2:3], v[0:1], off
.LBB230_149:
	s_endpgm
.LBB230_150:
	ds_read_u16 v9, v47
	s_waitcnt lgkmcnt(0)
	global_store_short v[0:1], v9, off
	s_or_b64 exec, exec, s[4:5]
	s_and_saveexec_b64 s[4:5], s[2:3]
	s_cbranch_execz .LBB230_133
.LBB230_151:
	s_lshl_b32 s16, s50, 9
	s_mov_b32 s17, 0
	s_lshl_b64 s[16:17], s[16:17], 1
	v_mov_b32_e32 v9, s17
	v_add_co_u32_e32 v10, vcc, s16, v0
	v_addc_co_u32_e32 v11, vcc, v1, v9, vcc
	s_waitcnt lgkmcnt(6)
	global_store_short v[10:11], v8, off
	s_or_b64 exec, exec, s[4:5]
	s_and_saveexec_b64 s[4:5], s[44:45]
	s_cbranch_execz .LBB230_134
.LBB230_152:
	s_lshl_b32 s16, s50, 10
	s_mov_b32 s17, 0
	s_lshl_b64 s[16:17], s[16:17], 1
	v_mov_b32_e32 v9, s17
	s_waitcnt lgkmcnt(6)
	v_add_co_u32_e32 v8, vcc, s16, v0
	v_addc_co_u32_e32 v9, vcc, v1, v9, vcc
	s_waitcnt lgkmcnt(5)
	global_store_short v[8:9], v7, off
	s_or_b64 exec, exec, s[4:5]
	s_and_saveexec_b64 s[4:5], s[6:7]
	s_cbranch_execz .LBB230_135
.LBB230_153:
	s_mul_i32 s16, s50, 0x600
	s_mov_b32 s17, 0
	s_lshl_b64 s[16:17], s[16:17], 1
	s_waitcnt lgkmcnt(5)
	v_mov_b32_e32 v7, s17
	v_add_co_u32_e32 v8, vcc, s16, v0
	v_addc_co_u32_e32 v9, vcc, v1, v7, vcc
	s_waitcnt lgkmcnt(4)
	global_store_short v[8:9], v6, off
	s_or_b64 exec, exec, s[4:5]
	s_and_saveexec_b64 s[4:5], s[8:9]
	s_cbranch_execz .LBB230_136
.LBB230_154:
	s_lshl_b32 s16, s50, 11
	s_mov_b32 s17, 0
	s_lshl_b64 s[16:17], s[16:17], 1
	s_waitcnt lgkmcnt(5)
	v_mov_b32_e32 v7, s17
	s_waitcnt lgkmcnt(4)
	v_add_co_u32_e32 v6, vcc, s16, v0
	v_addc_co_u32_e32 v7, vcc, v1, v7, vcc
	s_waitcnt lgkmcnt(3)
	global_store_short v[6:7], v5, off
	s_or_b64 exec, exec, s[4:5]
	s_and_saveexec_b64 s[4:5], s[10:11]
	s_cbranch_execz .LBB230_137
.LBB230_155:
	s_mul_i32 s16, s50, 0xa00
	s_mov_b32 s17, 0
	s_lshl_b64 s[16:17], s[16:17], 1
	s_waitcnt lgkmcnt(3)
	v_mov_b32_e32 v5, s17
	v_add_co_u32_e32 v6, vcc, s16, v0
	v_addc_co_u32_e32 v7, vcc, v1, v5, vcc
	s_waitcnt lgkmcnt(2)
	global_store_short v[6:7], v4, off
	s_or_b64 exec, exec, s[4:5]
	s_and_saveexec_b64 s[4:5], s[12:13]
	s_cbranch_execz .LBB230_138
.LBB230_156:
	s_mul_i32 s16, s50, 0xc00
	s_mov_b32 s17, 0
	s_lshl_b64 s[16:17], s[16:17], 1
	s_waitcnt lgkmcnt(3)
	v_mov_b32_e32 v5, s17
	s_waitcnt lgkmcnt(2)
	v_add_co_u32_e32 v4, vcc, s16, v0
	v_addc_co_u32_e32 v5, vcc, v1, v5, vcc
	s_waitcnt lgkmcnt(1)
	global_store_short v[4:5], v3, off
	s_or_b64 exec, exec, s[4:5]
	s_and_saveexec_b64 s[4:5], s[14:15]
	s_cbranch_execnz .LBB230_139
	s_branch .LBB230_140
.LBB230_157:
	ds_read_b64 v[16:17], v55
	s_waitcnt lgkmcnt(0)
	global_store_dwordx2 v[2:3], v[16:17], off
	s_or_b64 exec, exec, s[4:5]
	s_and_saveexec_b64 s[0:1], s[2:3]
	s_cbranch_execz .LBB230_142
.LBB230_158:
	s_lshl_b32 s2, s52, 9
	s_mov_b32 s3, 0
	s_lshl_b64 s[2:3], s[2:3], 3
	v_mov_b32_e32 v17, s3
	v_add_co_u32_e32 v16, vcc, s2, v2
	v_addc_co_u32_e32 v17, vcc, v3, v17, vcc
	s_waitcnt lgkmcnt(6)
	global_store_dwordx2 v[16:17], v[14:15], off
	s_or_b64 exec, exec, s[0:1]
	s_and_saveexec_b64 s[0:1], s[44:45]
	s_cbranch_execz .LBB230_143
.LBB230_159:
	s_lshl_b32 s2, s52, 10
	s_mov_b32 s3, 0
	s_lshl_b64 s[2:3], s[2:3], 3
	s_waitcnt lgkmcnt(6)
	v_mov_b32_e32 v15, s3
	v_add_co_u32_e32 v14, vcc, s2, v2
	v_addc_co_u32_e32 v15, vcc, v3, v15, vcc
	s_waitcnt lgkmcnt(5)
	global_store_dwordx2 v[14:15], v[12:13], off
	s_or_b64 exec, exec, s[0:1]
	s_and_saveexec_b64 s[0:1], s[6:7]
	s_cbranch_execz .LBB230_144
.LBB230_160:
	s_mul_i32 s2, s52, 0x600
	s_mov_b32 s3, 0
	s_lshl_b64 s[2:3], s[2:3], 3
	s_waitcnt lgkmcnt(5)
	v_mov_b32_e32 v13, s3
	v_add_co_u32_e32 v12, vcc, s2, v2
	v_addc_co_u32_e32 v13, vcc, v3, v13, vcc
	s_waitcnt lgkmcnt(4)
	global_store_dwordx2 v[12:13], v[10:11], off
	s_or_b64 exec, exec, s[0:1]
	s_and_saveexec_b64 s[0:1], s[8:9]
	s_cbranch_execz .LBB230_145
.LBB230_161:
	s_lshl_b32 s2, s52, 11
	s_mov_b32 s3, 0
	s_lshl_b64 s[2:3], s[2:3], 3
	s_waitcnt lgkmcnt(4)
	v_mov_b32_e32 v11, s3
	v_add_co_u32_e32 v10, vcc, s2, v2
	v_addc_co_u32_e32 v11, vcc, v3, v11, vcc
	s_waitcnt lgkmcnt(3)
	global_store_dwordx2 v[10:11], v[8:9], off
	s_or_b64 exec, exec, s[0:1]
	s_and_saveexec_b64 s[0:1], s[10:11]
	s_cbranch_execz .LBB230_146
.LBB230_162:
	s_mul_i32 s2, s52, 0xa00
	s_mov_b32 s3, 0
	s_lshl_b64 s[2:3], s[2:3], 3
	s_waitcnt lgkmcnt(3)
	v_mov_b32_e32 v9, s3
	v_add_co_u32_e32 v8, vcc, s2, v2
	v_addc_co_u32_e32 v9, vcc, v3, v9, vcc
	s_waitcnt lgkmcnt(2)
	global_store_dwordx2 v[8:9], v[6:7], off
	s_or_b64 exec, exec, s[0:1]
	s_and_saveexec_b64 s[0:1], s[12:13]
	s_cbranch_execz .LBB230_147
.LBB230_163:
	s_mul_i32 s2, s52, 0xc00
	s_mov_b32 s3, 0
	s_lshl_b64 s[2:3], s[2:3], 3
	s_waitcnt lgkmcnt(2)
	v_mov_b32_e32 v7, s3
	v_add_co_u32_e32 v6, vcc, s2, v2
	v_addc_co_u32_e32 v7, vcc, v3, v7, vcc
	s_waitcnt lgkmcnt(1)
	global_store_dwordx2 v[6:7], v[4:5], off
	s_or_b64 exec, exec, s[0:1]
	s_and_saveexec_b64 s[0:1], s[14:15]
	s_cbranch_execnz .LBB230_148
	s_branch .LBB230_149
	.section	.rodata,"a",@progbits
	.p2align	6, 0x0
	.amdhsa_kernel _ZN2at6native18radixSortKVInPlaceILin1ELin1ELi512ELi8EN3c104HalfEljEEvNS_4cuda6detail10TensorInfoIT3_T5_EES8_S8_S8_NS6_IT4_S8_EES8_b
		.amdhsa_group_segment_fixed_size 33792
		.amdhsa_private_segment_fixed_size 0
		.amdhsa_kernarg_size 712
		.amdhsa_user_sgpr_count 6
		.amdhsa_user_sgpr_private_segment_buffer 1
		.amdhsa_user_sgpr_dispatch_ptr 0
		.amdhsa_user_sgpr_queue_ptr 0
		.amdhsa_user_sgpr_kernarg_segment_ptr 1
		.amdhsa_user_sgpr_dispatch_id 0
		.amdhsa_user_sgpr_flat_scratch_init 0
		.amdhsa_user_sgpr_kernarg_preload_length 0
		.amdhsa_user_sgpr_kernarg_preload_offset 0
		.amdhsa_user_sgpr_private_segment_size 0
		.amdhsa_uses_dynamic_stack 0
		.amdhsa_system_sgpr_private_segment_wavefront_offset 0
		.amdhsa_system_sgpr_workgroup_id_x 1
		.amdhsa_system_sgpr_workgroup_id_y 1
		.amdhsa_system_sgpr_workgroup_id_z 1
		.amdhsa_system_sgpr_workgroup_info 0
		.amdhsa_system_vgpr_workitem_id 2
		.amdhsa_next_free_vgpr 108
		.amdhsa_next_free_sgpr 57
		.amdhsa_accum_offset 108
		.amdhsa_reserve_vcc 1
		.amdhsa_reserve_flat_scratch 0
		.amdhsa_float_round_mode_32 0
		.amdhsa_float_round_mode_16_64 0
		.amdhsa_float_denorm_mode_32 3
		.amdhsa_float_denorm_mode_16_64 3
		.amdhsa_dx10_clamp 1
		.amdhsa_ieee_mode 1
		.amdhsa_fp16_overflow 0
		.amdhsa_tg_split 0
		.amdhsa_exception_fp_ieee_invalid_op 0
		.amdhsa_exception_fp_denorm_src 0
		.amdhsa_exception_fp_ieee_div_zero 0
		.amdhsa_exception_fp_ieee_overflow 0
		.amdhsa_exception_fp_ieee_underflow 0
		.amdhsa_exception_fp_ieee_inexact 0
		.amdhsa_exception_int_div_zero 0
	.end_amdhsa_kernel
	.section	.text._ZN2at6native18radixSortKVInPlaceILin1ELin1ELi512ELi8EN3c104HalfEljEEvNS_4cuda6detail10TensorInfoIT3_T5_EES8_S8_S8_NS6_IT4_S8_EES8_b,"axG",@progbits,_ZN2at6native18radixSortKVInPlaceILin1ELin1ELi512ELi8EN3c104HalfEljEEvNS_4cuda6detail10TensorInfoIT3_T5_EES8_S8_S8_NS6_IT4_S8_EES8_b,comdat
.Lfunc_end230:
	.size	_ZN2at6native18radixSortKVInPlaceILin1ELin1ELi512ELi8EN3c104HalfEljEEvNS_4cuda6detail10TensorInfoIT3_T5_EES8_S8_S8_NS6_IT4_S8_EES8_b, .Lfunc_end230-_ZN2at6native18radixSortKVInPlaceILin1ELin1ELi512ELi8EN3c104HalfEljEEvNS_4cuda6detail10TensorInfoIT3_T5_EES8_S8_S8_NS6_IT4_S8_EES8_b
                                        ; -- End function
	.section	.AMDGPU.csdata,"",@progbits
; Kernel info:
; codeLenInByte = 21724
; NumSgprs: 61
; NumVgprs: 108
; NumAgprs: 0
; TotalNumVgprs: 108
; ScratchSize: 0
; MemoryBound: 0
; FloatMode: 240
; IeeeMode: 1
; LDSByteSize: 33792 bytes/workgroup (compile time only)
; SGPRBlocks: 7
; VGPRBlocks: 13
; NumSGPRsForWavesPerEU: 61
; NumVGPRsForWavesPerEU: 108
; AccumOffset: 108
; Occupancy: 2
; WaveLimiterHint : 1
; COMPUTE_PGM_RSRC2:SCRATCH_EN: 0
; COMPUTE_PGM_RSRC2:USER_SGPR: 6
; COMPUTE_PGM_RSRC2:TRAP_HANDLER: 0
; COMPUTE_PGM_RSRC2:TGID_X_EN: 1
; COMPUTE_PGM_RSRC2:TGID_Y_EN: 1
; COMPUTE_PGM_RSRC2:TGID_Z_EN: 1
; COMPUTE_PGM_RSRC2:TIDIG_COMP_CNT: 2
; COMPUTE_PGM_RSRC3_GFX90A:ACCUM_OFFSET: 26
; COMPUTE_PGM_RSRC3_GFX90A:TG_SPLIT: 0
	.section	.text._ZN2at6native18radixSortKVInPlaceILin1ELin1ELi256ELi8EN3c104HalfEljEEvNS_4cuda6detail10TensorInfoIT3_T5_EES8_S8_S8_NS6_IT4_S8_EES8_b,"axG",@progbits,_ZN2at6native18radixSortKVInPlaceILin1ELin1ELi256ELi8EN3c104HalfEljEEvNS_4cuda6detail10TensorInfoIT3_T5_EES8_S8_S8_NS6_IT4_S8_EES8_b,comdat
	.protected	_ZN2at6native18radixSortKVInPlaceILin1ELin1ELi256ELi8EN3c104HalfEljEEvNS_4cuda6detail10TensorInfoIT3_T5_EES8_S8_S8_NS6_IT4_S8_EES8_b ; -- Begin function _ZN2at6native18radixSortKVInPlaceILin1ELin1ELi256ELi8EN3c104HalfEljEEvNS_4cuda6detail10TensorInfoIT3_T5_EES8_S8_S8_NS6_IT4_S8_EES8_b
	.globl	_ZN2at6native18radixSortKVInPlaceILin1ELin1ELi256ELi8EN3c104HalfEljEEvNS_4cuda6detail10TensorInfoIT3_T5_EES8_S8_S8_NS6_IT4_S8_EES8_b
	.p2align	8
	.type	_ZN2at6native18radixSortKVInPlaceILin1ELin1ELi256ELi8EN3c104HalfEljEEvNS_4cuda6detail10TensorInfoIT3_T5_EES8_S8_S8_NS6_IT4_S8_EES8_b,@function
_ZN2at6native18radixSortKVInPlaceILin1ELin1ELi256ELi8EN3c104HalfEljEEvNS_4cuda6detail10TensorInfoIT3_T5_EES8_S8_S8_NS6_IT4_S8_EES8_b: ; @_ZN2at6native18radixSortKVInPlaceILin1ELin1ELi256ELi8EN3c104HalfEljEEvNS_4cuda6detail10TensorInfoIT3_T5_EES8_S8_S8_NS6_IT4_S8_EES8_b
; %bb.0:
	s_load_dwordx2 s[0:1], s[4:5], 0x1c8
	s_load_dwordx4 s[44:47], s[4:5], 0xd8
	s_add_u32 s50, s4, 0x1c8
	s_addc_u32 s51, s5, 0
	s_waitcnt lgkmcnt(0)
	s_mul_i32 s1, s1, s8
	s_add_i32 s1, s1, s7
	s_mul_i32 s0, s1, s0
	s_add_i32 s20, s0, s6
	s_cmp_ge_u32 s20, s44
	s_cbranch_scc1 .LBB231_149
; %bb.1:
	s_load_dword s2, s[4:5], 0xd0
	s_mov_b32 s1, 0
	s_mov_b32 s0, s20
	s_waitcnt lgkmcnt(0)
	s_cmp_lt_i32 s2, 2
	s_cbranch_scc1 .LBB231_4
; %bb.2:
	s_add_i32 s0, s2, -1
	s_add_i32 s6, s2, 1
	s_lshl_b64 s[2:3], s[0:1], 2
	s_add_u32 s0, s2, s4
	s_addc_u32 s3, s3, s5
	s_add_u32 s2, s0, 8
	s_addc_u32 s3, s3, 0
	s_mov_b32 s0, s20
.LBB231_3:                              ; =>This Inner Loop Header: Depth=1
	s_load_dword s7, s[2:3], 0x0
	s_load_dword s9, s[2:3], 0x64
	s_mov_b32 s8, s0
	s_waitcnt lgkmcnt(0)
	v_cvt_f32_u32_e32 v1, s7
	s_sub_i32 s0, 0, s7
	v_rcp_iflag_f32_e32 v1, v1
	v_mul_f32_e32 v1, 0x4f7ffffe, v1
	v_cvt_u32_f32_e32 v1, v1
	v_readfirstlane_b32 s10, v1
	s_mul_i32 s0, s0, s10
	s_mul_hi_u32 s0, s10, s0
	s_add_i32 s10, s10, s0
	s_mul_hi_u32 s0, s8, s10
	s_mul_i32 s10, s0, s7
	s_sub_i32 s10, s8, s10
	s_add_i32 s11, s0, 1
	s_sub_i32 s12, s10, s7
	s_cmp_ge_u32 s10, s7
	s_cselect_b32 s0, s11, s0
	s_cselect_b32 s10, s12, s10
	s_add_i32 s11, s0, 1
	s_cmp_ge_u32 s10, s7
	s_cselect_b32 s0, s11, s0
	s_mul_i32 s7, s0, s7
	s_sub_i32 s7, s8, s7
	s_mul_i32 s7, s9, s7
	s_add_i32 s6, s6, -1
	s_add_i32 s1, s7, s1
	s_add_u32 s2, s2, -4
	s_addc_u32 s3, s3, -1
	s_cmp_gt_u32 s6, 2
	s_cbranch_scc1 .LBB231_3
.LBB231_4:
	s_load_dword s2, s[4:5], 0x1b8
	s_mov_b32 s17, 0
	s_waitcnt lgkmcnt(0)
	s_cmp_lt_i32 s2, 2
	s_cbranch_scc1 .LBB231_7
; %bb.5:
	s_add_i32 s16, s2, -1
	s_add_i32 s6, s2, 1
	s_lshl_b64 s[2:3], s[16:17], 2
	s_add_u32 s2, s2, s4
	s_addc_u32 s3, s3, s5
	s_add_u32 s2, s2, 0xf0
	s_addc_u32 s3, s3, 0
.LBB231_6:                              ; =>This Inner Loop Header: Depth=1
	s_load_dword s7, s[2:3], 0x0
	s_load_dword s9, s[2:3], 0x64
	s_mov_b32 s8, s20
	s_waitcnt lgkmcnt(0)
	v_cvt_f32_u32_e32 v1, s7
	s_sub_i32 s10, 0, s7
	v_rcp_iflag_f32_e32 v1, v1
	v_mul_f32_e32 v1, 0x4f7ffffe, v1
	v_cvt_u32_f32_e32 v1, v1
	v_readfirstlane_b32 s11, v1
	s_mul_i32 s10, s10, s11
	s_mul_hi_u32 s10, s11, s10
	s_add_i32 s11, s11, s10
	s_mul_hi_u32 s10, s20, s11
	s_mul_i32 s11, s10, s7
	s_sub_i32 s11, s20, s11
	s_add_i32 s12, s10, 1
	s_sub_i32 s13, s11, s7
	s_cmp_ge_u32 s11, s7
	s_cselect_b32 s10, s12, s10
	s_cselect_b32 s11, s13, s11
	s_add_i32 s12, s10, 1
	s_cmp_ge_u32 s11, s7
	s_cselect_b32 s20, s12, s10
	s_mul_i32 s7, s20, s7
	s_sub_i32 s7, s8, s7
	s_mul_i32 s7, s9, s7
	s_add_i32 s6, s6, -1
	s_add_i32 s17, s7, s17
	s_add_u32 s2, s2, -4
	s_addc_u32 s3, s3, -1
	s_cmp_gt_u32 s6, 2
	s_cbranch_scc1 .LBB231_6
.LBB231_7:
	s_load_dword s2, s[4:5], 0x6c
	s_load_dwordx2 s[48:49], s[4:5], 0x1c0
	s_mov_b32 s8, 0xffff
	v_and_b32_e32 v46, 0x3ff, v0
	v_mul_lo_u32 v42, v46, s46
	s_waitcnt lgkmcnt(0)
	s_mul_i32 s0, s2, s0
	s_load_dwordx2 s[2:3], s[4:5], 0x0
	s_add_i32 s0, s0, s1
	s_bitcmp1_b32 s49, 0
	s_cselect_b64 s[34:35], -1, 0
	s_and_b64 s[6:7], s[34:35], exec
	s_mov_b32 s1, 0
	s_cselect_b32 s16, s8, 0x7fff
	s_lshl_b64 s[0:1], s[0:1], 1
	s_waitcnt lgkmcnt(0)
	s_add_u32 s33, s2, s0
	s_addc_u32 s47, s3, s1
	v_cmp_gt_u32_e64 s[0:1], s45, v46
	v_mov_b32_e32 v1, s16
	s_and_saveexec_b64 s[2:3], s[0:1]
	s_cbranch_execz .LBB231_9
; %bb.8:
	v_mov_b32_e32 v43, 0
	v_lshlrev_b64 v[2:3], 1, v[42:43]
	v_mov_b32_e32 v1, s47
	v_add_co_u32_e32 v2, vcc, s33, v2
	v_addc_co_u32_e32 v3, vcc, v1, v3, vcc
	global_load_ushort v1, v[2:3], off
.LBB231_9:
	s_or_b64 exec, exec, s[2:3]
	v_add_u32_e32 v36, 0x100, v46
	v_cmp_gt_u32_e64 s[2:3], s45, v36
	v_mov_b32_e32 v2, s16
	s_and_saveexec_b64 s[6:7], s[2:3]
	s_cbranch_execz .LBB231_11
; %bb.10:
	v_mul_lo_u32 v2, v36, s46
	v_mov_b32_e32 v3, 0
	v_lshlrev_b64 v[2:3], 1, v[2:3]
	v_mov_b32_e32 v4, s47
	v_add_co_u32_e32 v2, vcc, s33, v2
	v_addc_co_u32_e32 v3, vcc, v4, v3, vcc
	global_load_ushort v2, v[2:3], off
.LBB231_11:
	s_or_b64 exec, exec, s[6:7]
	v_add_u32_e32 v35, 0x200, v46
	v_cmp_gt_u32_e64 s[42:43], s45, v35
	v_mov_b32_e32 v3, s16
	s_and_saveexec_b64 s[6:7], s[42:43]
	s_cbranch_execz .LBB231_13
; %bb.12:
	v_mul_lo_u32 v4, v35, s46
	v_mov_b32_e32 v5, 0
	v_lshlrev_b64 v[4:5], 1, v[4:5]
	v_mov_b32_e32 v3, s47
	v_add_co_u32_e32 v4, vcc, s33, v4
	v_addc_co_u32_e32 v5, vcc, v3, v5, vcc
	global_load_ushort v3, v[4:5], off
.LBB231_13:
	;; [unrolled: 15-line block ×3, first 2 shown]
	s_or_b64 exec, exec, s[8:9]
	v_or_b32_e32 v30, 0x400, v46
	v_cmp_gt_u32_e64 s[8:9], s45, v30
	v_mov_b32_e32 v5, s16
	s_and_saveexec_b64 s[10:11], s[8:9]
	s_cbranch_execz .LBB231_17
; %bb.16:
	v_mul_lo_u32 v6, v30, s46
	v_mov_b32_e32 v7, 0
	v_lshlrev_b64 v[6:7], 1, v[6:7]
	v_mov_b32_e32 v5, s47
	v_add_co_u32_e32 v6, vcc, s33, v6
	v_addc_co_u32_e32 v7, vcc, v5, v7, vcc
	global_load_ushort v5, v[6:7], off
.LBB231_17:
	s_or_b64 exec, exec, s[10:11]
	v_add_u32_e32 v28, 0x500, v46
	v_cmp_gt_u32_e64 s[10:11], s45, v28
	v_mov_b32_e32 v6, s16
	s_and_saveexec_b64 s[12:13], s[10:11]
	s_cbranch_execz .LBB231_19
; %bb.18:
	v_mul_lo_u32 v6, v28, s46
	v_mov_b32_e32 v7, 0
	v_lshlrev_b64 v[6:7], 1, v[6:7]
	v_mov_b32_e32 v8, s47
	v_add_co_u32_e32 v6, vcc, s33, v6
	v_addc_co_u32_e32 v7, vcc, v8, v7, vcc
	global_load_ushort v6, v[6:7], off
.LBB231_19:
	s_or_b64 exec, exec, s[12:13]
	s_load_dwordx2 s[18:19], s[4:5], 0xe8
	v_add_u32_e32 v26, 0x600, v46
	v_cmp_gt_u32_e64 s[12:13], s45, v26
	v_mov_b32_e32 v7, s16
	s_and_saveexec_b64 s[14:15], s[12:13]
	s_cbranch_execz .LBB231_21
; %bb.20:
	v_mul_lo_u32 v8, v26, s46
	v_mov_b32_e32 v9, 0
	v_lshlrev_b64 v[8:9], 1, v[8:9]
	v_mov_b32_e32 v7, s47
	v_add_co_u32_e32 v8, vcc, s33, v8
	v_addc_co_u32_e32 v9, vcc, v7, v9, vcc
	global_load_ushort v7, v[8:9], off
.LBB231_21:
	s_or_b64 exec, exec, s[14:15]
	s_load_dword s21, s[4:5], 0x154
	v_add_u32_e32 v22, 0x700, v46
	v_cmp_gt_u32_e64 s[14:15], s45, v22
	v_mov_b32_e32 v8, s16
	s_and_saveexec_b64 s[4:5], s[14:15]
	s_cbranch_execz .LBB231_23
; %bb.22:
	v_mul_lo_u32 v8, v22, s46
	v_mov_b32_e32 v9, 0
	v_lshlrev_b64 v[8:9], 1, v[8:9]
	v_mov_b32_e32 v10, s47
	v_add_co_u32_e32 v8, vcc, s33, v8
	v_addc_co_u32_e32 v9, vcc, v10, v9, vcc
	global_load_ushort v8, v[8:9], off
.LBB231_23:
	s_or_b64 exec, exec, s[4:5]
	v_lshrrev_b32_e32 v34, 5, v46
	v_and_b32_e32 v9, 30, v34
	v_add_lshl_u32 v47, v9, v46, 1
	v_lshrrev_b32_e32 v32, 5, v36
	s_waitcnt vmcnt(0)
	ds_write_b16 v47, v1
	v_and_b32_e32 v1, 62, v32
	v_lshrrev_b32_e32 v31, 5, v35
	v_add_lshl_u32 v43, v1, v46, 1
	v_and_b32_e32 v1, 62, v31
	v_lshrrev_b32_e32 v29, 5, v33
	v_add_lshl_u32 v48, v1, v46, 1
	;; [unrolled: 3-line block ×5, first 2 shown]
	v_and_b32_e32 v1, 0x7e, v23
	v_add_lshl_u32 v52, v1, v46, 1
	v_lshrrev_b32_e32 v1, 5, v22
	ds_write_b16 v43, v2 offset:512
	v_and_b32_e32 v2, 0x7e, v1
	v_lshrrev_b32_e32 v24, 2, v46
	v_add_lshl_u32 v53, v2, v46, 1
	v_lshlrev_b32_e32 v63, 3, v46
	v_and_b32_e32 v2, 0xfe, v24
	s_waitcnt lgkmcnt(0)
	s_mul_i32 s4, s21, s20
	v_add_lshl_u32 v54, v2, v63, 1
	s_add_i32 s16, s4, s17
	s_mov_b32 s17, 0
	ds_write_b16 v48, v3 offset:1024
	ds_write_b16 v49, v4 offset:1536
	;; [unrolled: 1-line block ×6, first 2 shown]
	s_waitcnt lgkmcnt(0)
	s_barrier
	ds_read_b128 v[18:21], v54
	s_lshl_b64 s[4:5], s[16:17], 3
	s_add_u32 s49, s18, s4
	s_mov_b32 s16, s17
	s_addc_u32 s52, s19, s5
	s_mov_b32 s18, s17
	s_mov_b32 s19, s17
	;; [unrolled: 1-line block ×14, first 2 shown]
	v_pk_mov_b32 v[2:3], s[16:17], s[16:17] op_sel:[0,1]
	v_pk_mov_b32 v[4:5], s[18:19], s[18:19] op_sel:[0,1]
	;; [unrolled: 1-line block ×8, first 2 shown]
	v_pk_mov_b32 v[2:3], 0, 0
	v_mul_lo_u32 v44, v46, s48
	s_waitcnt lgkmcnt(0)
	s_barrier
	s_and_saveexec_b64 s[4:5], s[0:1]
	s_cbranch_execnz .LBB231_78
; %bb.24:
	s_or_b64 exec, exec, s[4:5]
	s_and_saveexec_b64 s[4:5], s[2:3]
	s_cbranch_execnz .LBB231_79
.LBB231_25:
	s_or_b64 exec, exec, s[4:5]
	s_and_saveexec_b64 s[4:5], s[42:43]
	s_cbranch_execnz .LBB231_80
.LBB231_26:
	s_or_b64 exec, exec, s[4:5]
	s_and_saveexec_b64 s[4:5], s[6:7]
	s_cbranch_execnz .LBB231_81
.LBB231_27:
	s_or_b64 exec, exec, s[4:5]
	s_and_saveexec_b64 s[4:5], s[8:9]
	s_cbranch_execnz .LBB231_82
.LBB231_28:
	s_or_b64 exec, exec, s[4:5]
	s_and_saveexec_b64 s[4:5], s[10:11]
	s_cbranch_execnz .LBB231_83
.LBB231_29:
	s_or_b64 exec, exec, s[4:5]
	s_and_saveexec_b64 s[4:5], s[12:13]
	s_cbranch_execnz .LBB231_84
.LBB231_30:
	s_or_b64 exec, exec, s[4:5]
	s_xor_b64 s[4:5], s[34:35], -1
	s_and_saveexec_b64 s[16:17], s[14:15]
	s_cbranch_execz .LBB231_32
.LBB231_31:
	v_mul_lo_u32 v16, v22, s48
	v_mov_b32_e32 v17, 0
	v_lshlrev_b64 v[16:17], 3, v[16:17]
	v_mov_b32_e32 v22, s52
	v_add_co_u32_e32 v16, vcc, s49, v16
	v_addc_co_u32_e32 v17, vcc, v22, v17, vcc
	global_load_dwordx2 v[16:17], v[16:17], off
.LBB231_32:
	s_or_b64 exec, exec, s[16:17]
	v_add_lshl_u32 v55, v34, v46, 3
	v_add_lshl_u32 v45, v32, v46, 3
	;; [unrolled: 1-line block ×9, first 2 shown]
	s_waitcnt vmcnt(0)
	ds_write_b64 v55, v[2:3]
	ds_write_b64 v45, v[4:5] offset:2048
	ds_write_b64 v56, v[6:7] offset:4096
	;; [unrolled: 1-line block ×7, first 2 shown]
	s_waitcnt lgkmcnt(0)
	s_barrier
	ds_read2_b64 v[14:17], v62 offset1:1
	ds_read2_b64 v[10:13], v62 offset0:2 offset1:3
	ds_read2_b64 v[6:9], v62 offset0:4 offset1:5
	;; [unrolled: 1-line block ×3, first 2 shown]
	s_and_b64 vcc, exec, s[4:5]
	v_bfe_u32 v65, v0, 10, 10
	v_bfe_u32 v66, v0, 20, 10
	v_mbcnt_lo_u32_b32 v67, -1, 0
	v_lshlrev_b32_e32 v64, 4, v46
	s_waitcnt lgkmcnt(0)
	s_barrier
	s_cbranch_vccz .LBB231_85
; %bb.33:
	s_movk_i32 s4, 0x8000
	v_pk_ashrrev_i16 v24, 15, v18 op_sel_hi:[0,1]
	v_or_b32_e32 v25, 0xffff8000, v24
	v_or_b32_sdwa v24, v24, s4 dst_sel:DWORD dst_unused:UNUSED_PAD src0_sel:WORD_1 src1_sel:DWORD
	v_pk_ashrrev_i16 v22, 15, v19 op_sel_hi:[0,1]
	v_xor_b32_sdwa v26, v24, v18 dst_sel:DWORD dst_unused:UNUSED_PAD src0_sel:DWORD src1_sel:WORD_1
	v_pk_ashrrev_i16 v24, 15, v21 op_sel_hi:[0,1]
	v_pk_ashrrev_i16 v28, 15, v20 op_sel_hi:[0,1]
	v_mbcnt_hi_u32_b32 v76, -1, v67
	v_and_b32_e32 v40, 0x3c0, v46
	v_or_b32_e32 v23, 0xffff8000, v22
	v_or_b32_sdwa v22, v22, s4 dst_sel:DWORD dst_unused:UNUSED_PAD src0_sel:WORD_1 src1_sel:DWORD
	v_xor_b32_e32 v27, v25, v18
	v_or_b32_e32 v25, 0xffff8000, v24
	v_or_b32_e32 v29, 0xffff8000, v28
	v_or_b32_sdwa v24, v24, s4 dst_sel:DWORD dst_unused:UNUSED_PAD src0_sel:WORD_1 src1_sel:DWORD
	v_or_b32_sdwa v28, v28, s4 dst_sel:DWORD dst_unused:UNUSED_PAD src0_sel:WORD_1 src1_sel:DWORD
	v_add_u32_e32 v0, v76, v40
	v_xor_b32_sdwa v22, v22, v19 dst_sel:DWORD dst_unused:UNUSED_PAD src0_sel:DWORD src1_sel:WORD_1
	v_xor_b32_e32 v23, v23, v19
	v_xor_b32_sdwa v28, v28, v20 dst_sel:DWORD dst_unused:UNUSED_PAD src0_sel:DWORD src1_sel:WORD_1
	v_xor_b32_sdwa v24, v24, v21 dst_sel:DWORD dst_unused:UNUSED_PAD src0_sel:DWORD src1_sel:WORD_1
	v_xor_b32_e32 v29, v29, v20
	v_xor_b32_e32 v25, v25, v21
	s_mov_b32 s4, 0x5040100
	v_lshlrev_b32_e32 v1, 4, v0
	v_perm_b32 v25, v24, v25, s4
	v_perm_b32 v24, v28, v29, s4
	;; [unrolled: 1-line block ×4, first 2 shown]
	v_and_b32_e32 v82, 0x1e00, v63
	ds_write_b128 v1, v[22:25]
	v_or_b32_e32 v1, v76, v82
	v_lshlrev_b32_e32 v22, 1, v1
	v_lshlrev_b32_e32 v0, 6, v0
	; wave barrier
	ds_read_u16 v79, v22
	ds_read_u16 v78, v22 offset:128
	ds_read_u16 v77, v22 offset:256
	;; [unrolled: 1-line block ×7, first 2 shown]
	s_waitcnt lgkmcnt(0)
	s_barrier
	ds_write2_b64 v0, v[14:15], v[16:17] offset1:1
	ds_write2_b64 v0, v[10:11], v[12:13] offset0:2 offset1:3
	ds_write2_b64 v0, v[6:7], v[8:9] offset0:4 offset1:5
	;; [unrolled: 1-line block ×3, first 2 shown]
	v_lshlrev_b32_e32 v0, 3, v1
	; wave barrier
	ds_read2st64_b64 v[34:37], v0 offset1:1
	ds_read2st64_b64 v[30:33], v0 offset0:2 offset1:3
	ds_read2st64_b64 v[26:29], v0 offset0:4 offset1:5
	;; [unrolled: 1-line block ×3, first 2 shown]
	s_waitcnt lgkmcnt(0)
	s_barrier
	s_load_dword s16, s[50:51], 0xc
	s_getpc_b64 s[4:5]
	s_add_u32 s4, s4, _ZN7rocprim17ROCPRIM_400000_NS16block_radix_sortI6__halfLj256ELj8ElLj1ELj1ELj0ELNS0_26block_radix_rank_algorithmE1ELNS0_18block_padding_hintE2ELNS0_4arch9wavefront6targetE1EE19radix_bits_per_passE@rel32@lo+4
	s_addc_u32 s5, s5, _ZN7rocprim17ROCPRIM_400000_NS16block_radix_sortI6__halfLj256ELj8ElLj1ELj1ELj0ELNS0_26block_radix_rank_algorithmE1ELNS0_18block_padding_hintE2ELNS0_4arch9wavefront6targetE1EE19radix_bits_per_passE@rel32@hi+12
	s_load_dword s44, s[4:5], 0x0
	s_movk_i32 s17, 0x7fff
	v_mov_b32_e32 v41, 0xffff8000
	s_waitcnt lgkmcnt(0)
	s_lshr_b32 s4, s16, 16
	s_and_b32 s5, s16, 0xffff
	v_mad_u32_u24 v1, v66, s4, v65
	v_mad_u64_u32 v[38:39], s[4:5], v1, s5, v[46:47]
	s_min_u32 s4, s44, 16
	s_lshl_b32 s4, -1, s4
	v_cmp_ne_u16_e32 vcc, s17, v79
	s_not_b32 s16, s4
	v_cndmask_b32_e32 v1, v41, v79, vcc
	v_lshrrev_b32_e32 v68, 6, v38
	v_and_b32_sdwa v38, s16, v1 dst_sel:DWORD dst_unused:UNUSED_PAD src0_sel:DWORD src1_sel:WORD_0
	v_lshlrev_b32_e32 v1, 2, v38
	v_add_lshl_u32 v83, v68, v1, 2
	v_and_b32_e32 v1, 1, v38
	v_add_co_u32_e32 v39, vcc, -1, v1
	v_addc_co_u32_e64 v69, s[4:5], 0, -1, vcc
	v_cmp_ne_u32_e32 vcc, 0, v1
	v_xor_b32_e32 v1, vcc_hi, v69
	v_mov_b32_e32 v0, 0
	v_and_b32_e32 v69, exec_hi, v1
	v_lshlrev_b32_e32 v1, 30, v38
	v_xor_b32_e32 v39, vcc_lo, v39
	v_cmp_gt_i64_e32 vcc, 0, v[0:1]
	v_not_b32_e32 v1, v1
	v_ashrrev_i32_e32 v1, 31, v1
	v_and_b32_e32 v39, exec_lo, v39
	v_xor_b32_e32 v70, vcc_hi, v1
	v_xor_b32_e32 v1, vcc_lo, v1
	v_and_b32_e32 v39, v39, v1
	v_lshlrev_b32_e32 v1, 29, v38
	v_cmp_gt_i64_e32 vcc, 0, v[0:1]
	v_not_b32_e32 v1, v1
	v_ashrrev_i32_e32 v1, 31, v1
	v_and_b32_e32 v69, v69, v70
	v_xor_b32_e32 v70, vcc_hi, v1
	v_xor_b32_e32 v1, vcc_lo, v1
	v_and_b32_e32 v39, v39, v1
	v_lshlrev_b32_e32 v1, 28, v38
	v_cmp_gt_i64_e32 vcc, 0, v[0:1]
	v_not_b32_e32 v1, v1
	v_ashrrev_i32_e32 v1, 31, v1
	v_and_b32_e32 v69, v69, v70
	;; [unrolled: 8-line block ×5, first 2 shown]
	v_xor_b32_e32 v70, vcc_hi, v1
	v_xor_b32_e32 v1, vcc_lo, v1
	v_and_b32_e32 v69, v69, v70
	v_and_b32_e32 v70, v39, v1
	v_lshlrev_b32_e32 v1, 24, v38
	v_cmp_gt_i64_e32 vcc, 0, v[0:1]
	v_not_b32_e32 v1, v1
	v_ashrrev_i32_e32 v1, 31, v1
	v_xor_b32_e32 v38, vcc_hi, v1
	v_xor_b32_e32 v1, vcc_lo, v1
	v_and_b32_e32 v39, v69, v38
	v_and_b32_e32 v38, v70, v1
	v_mbcnt_lo_u32_b32 v1, v38, 0
	v_mbcnt_hi_u32_b32 v84, v39, v1
	v_cmp_eq_u32_e32 vcc, 0, v84
	v_cmp_ne_u64_e64 s[4:5], 0, v[38:39]
	s_and_b64 s[18:19], s[4:5], vcc
	ds_write2_b32 v64, v0, v0 offset0:4 offset1:5
	ds_write2_b32 v64, v0, v0 offset0:6 offset1:7
	s_waitcnt lgkmcnt(0)
	s_barrier
	s_waitcnt lgkmcnt(0)
	; wave barrier
	s_and_saveexec_b64 s[4:5], s[18:19]
	s_cbranch_execz .LBB231_35
; %bb.34:
	v_bcnt_u32_b32 v1, v38, 0
	v_bcnt_u32_b32 v1, v39, v1
	ds_write_b32 v83, v1 offset:16
.LBB231_35:
	s_or_b64 exec, exec, s[4:5]
	v_cmp_ne_u16_e32 vcc, s17, v78
	v_cndmask_b32_e32 v1, v41, v78, vcc
	v_and_b32_sdwa v38, s16, v1 dst_sel:DWORD dst_unused:UNUSED_PAD src0_sel:DWORD src1_sel:WORD_0
	v_lshlrev_b32_e32 v1, 2, v38
	v_add_lshl_u32 v86, v68, v1, 2
	v_and_b32_e32 v1, 1, v38
	v_add_co_u32_e32 v39, vcc, -1, v1
	v_addc_co_u32_e64 v41, s[4:5], 0, -1, vcc
	v_cmp_ne_u32_e32 vcc, 0, v1
	v_xor_b32_e32 v1, vcc_hi, v41
	v_and_b32_e32 v41, exec_hi, v1
	v_lshlrev_b32_e32 v1, 30, v38
	v_xor_b32_e32 v39, vcc_lo, v39
	v_cmp_gt_i64_e32 vcc, 0, v[0:1]
	v_not_b32_e32 v1, v1
	v_ashrrev_i32_e32 v1, 31, v1
	v_and_b32_e32 v39, exec_lo, v39
	v_xor_b32_e32 v69, vcc_hi, v1
	v_xor_b32_e32 v1, vcc_lo, v1
	v_and_b32_e32 v39, v39, v1
	v_lshlrev_b32_e32 v1, 29, v38
	v_cmp_gt_i64_e32 vcc, 0, v[0:1]
	v_not_b32_e32 v1, v1
	v_ashrrev_i32_e32 v1, 31, v1
	v_and_b32_e32 v41, v41, v69
	v_xor_b32_e32 v69, vcc_hi, v1
	v_xor_b32_e32 v1, vcc_lo, v1
	v_and_b32_e32 v39, v39, v1
	v_lshlrev_b32_e32 v1, 28, v38
	v_cmp_gt_i64_e32 vcc, 0, v[0:1]
	v_not_b32_e32 v1, v1
	v_ashrrev_i32_e32 v1, 31, v1
	v_and_b32_e32 v41, v41, v69
	;; [unrolled: 8-line block ×5, first 2 shown]
	v_xor_b32_e32 v69, vcc_hi, v1
	v_xor_b32_e32 v1, vcc_lo, v1
	v_and_b32_e32 v39, v39, v1
	v_lshlrev_b32_e32 v1, 24, v38
	v_cmp_gt_i64_e32 vcc, 0, v[0:1]
	v_not_b32_e32 v0, v1
	v_ashrrev_i32_e32 v0, 31, v0
	v_xor_b32_e32 v1, vcc_hi, v0
	v_xor_b32_e32 v0, vcc_lo, v0
	; wave barrier
	ds_read_b32 v85, v86 offset:16
	v_and_b32_e32 v41, v41, v69
	v_and_b32_e32 v0, v39, v0
	v_and_b32_e32 v1, v41, v1
	v_mbcnt_lo_u32_b32 v38, v0, 0
	v_mbcnt_hi_u32_b32 v87, v1, v38
	v_cmp_eq_u32_e32 vcc, 0, v87
	v_cmp_ne_u64_e64 s[4:5], 0, v[0:1]
	s_and_b64 s[18:19], s[4:5], vcc
	; wave barrier
	s_and_saveexec_b64 s[4:5], s[18:19]
	s_cbranch_execz .LBB231_37
; %bb.36:
	v_bcnt_u32_b32 v0, v0, 0
	v_bcnt_u32_b32 v0, v1, v0
	s_waitcnt lgkmcnt(0)
	v_add_u32_e32 v0, v85, v0
	ds_write_b32 v86, v0 offset:16
.LBB231_37:
	s_or_b64 exec, exec, s[4:5]
	v_mov_b32_e32 v41, 0xffff8000
	v_cmp_ne_u16_e32 vcc, s17, v77
	v_cndmask_b32_e32 v0, v41, v77, vcc
	v_and_b32_sdwa v38, s16, v0 dst_sel:DWORD dst_unused:UNUSED_PAD src0_sel:DWORD src1_sel:WORD_0
	v_and_b32_e32 v1, 1, v38
	v_add_co_u32_e32 v39, vcc, -1, v1
	v_addc_co_u32_e64 v69, s[4:5], 0, -1, vcc
	v_cmp_ne_u32_e32 vcc, 0, v1
	v_lshlrev_b32_e32 v0, 2, v38
	v_xor_b32_e32 v1, vcc_hi, v69
	v_add_lshl_u32 v89, v68, v0, 2
	v_mov_b32_e32 v0, 0
	v_and_b32_e32 v69, exec_hi, v1
	v_lshlrev_b32_e32 v1, 30, v38
	v_xor_b32_e32 v39, vcc_lo, v39
	v_cmp_gt_i64_e32 vcc, 0, v[0:1]
	v_not_b32_e32 v1, v1
	v_ashrrev_i32_e32 v1, 31, v1
	v_and_b32_e32 v39, exec_lo, v39
	v_xor_b32_e32 v70, vcc_hi, v1
	v_xor_b32_e32 v1, vcc_lo, v1
	v_and_b32_e32 v39, v39, v1
	v_lshlrev_b32_e32 v1, 29, v38
	v_cmp_gt_i64_e32 vcc, 0, v[0:1]
	v_not_b32_e32 v1, v1
	v_ashrrev_i32_e32 v1, 31, v1
	v_and_b32_e32 v69, v69, v70
	v_xor_b32_e32 v70, vcc_hi, v1
	v_xor_b32_e32 v1, vcc_lo, v1
	v_and_b32_e32 v39, v39, v1
	v_lshlrev_b32_e32 v1, 28, v38
	v_cmp_gt_i64_e32 vcc, 0, v[0:1]
	v_not_b32_e32 v1, v1
	v_ashrrev_i32_e32 v1, 31, v1
	v_and_b32_e32 v69, v69, v70
	;; [unrolled: 8-line block ×5, first 2 shown]
	v_xor_b32_e32 v70, vcc_hi, v1
	v_xor_b32_e32 v1, vcc_lo, v1
	v_and_b32_e32 v69, v69, v70
	v_and_b32_e32 v70, v39, v1
	v_lshlrev_b32_e32 v1, 24, v38
	v_cmp_gt_i64_e32 vcc, 0, v[0:1]
	v_not_b32_e32 v1, v1
	v_ashrrev_i32_e32 v1, 31, v1
	v_xor_b32_e32 v38, vcc_hi, v1
	v_xor_b32_e32 v1, vcc_lo, v1
	; wave barrier
	ds_read_b32 v88, v89 offset:16
	v_and_b32_e32 v39, v69, v38
	v_and_b32_e32 v38, v70, v1
	v_mbcnt_lo_u32_b32 v1, v38, 0
	v_mbcnt_hi_u32_b32 v90, v39, v1
	v_cmp_eq_u32_e32 vcc, 0, v90
	v_cmp_ne_u64_e64 s[4:5], 0, v[38:39]
	s_and_b64 s[18:19], s[4:5], vcc
	; wave barrier
	s_and_saveexec_b64 s[4:5], s[18:19]
	s_cbranch_execz .LBB231_39
; %bb.38:
	v_bcnt_u32_b32 v1, v38, 0
	v_bcnt_u32_b32 v1, v39, v1
	s_waitcnt lgkmcnt(0)
	v_add_u32_e32 v1, v88, v1
	ds_write_b32 v89, v1 offset:16
.LBB231_39:
	s_or_b64 exec, exec, s[4:5]
	v_cmp_ne_u16_e32 vcc, s17, v75
	v_cndmask_b32_e32 v1, v41, v75, vcc
	v_and_b32_sdwa v38, s16, v1 dst_sel:DWORD dst_unused:UNUSED_PAD src0_sel:DWORD src1_sel:WORD_0
	v_lshlrev_b32_e32 v1, 2, v38
	v_add_lshl_u32 v92, v68, v1, 2
	v_and_b32_e32 v1, 1, v38
	v_add_co_u32_e32 v39, vcc, -1, v1
	v_addc_co_u32_e64 v41, s[4:5], 0, -1, vcc
	v_cmp_ne_u32_e32 vcc, 0, v1
	v_xor_b32_e32 v1, vcc_hi, v41
	v_and_b32_e32 v41, exec_hi, v1
	v_lshlrev_b32_e32 v1, 30, v38
	v_xor_b32_e32 v39, vcc_lo, v39
	v_cmp_gt_i64_e32 vcc, 0, v[0:1]
	v_not_b32_e32 v1, v1
	v_ashrrev_i32_e32 v1, 31, v1
	v_and_b32_e32 v39, exec_lo, v39
	v_xor_b32_e32 v69, vcc_hi, v1
	v_xor_b32_e32 v1, vcc_lo, v1
	v_and_b32_e32 v39, v39, v1
	v_lshlrev_b32_e32 v1, 29, v38
	v_cmp_gt_i64_e32 vcc, 0, v[0:1]
	v_not_b32_e32 v1, v1
	v_ashrrev_i32_e32 v1, 31, v1
	v_and_b32_e32 v41, v41, v69
	v_xor_b32_e32 v69, vcc_hi, v1
	v_xor_b32_e32 v1, vcc_lo, v1
	v_and_b32_e32 v39, v39, v1
	v_lshlrev_b32_e32 v1, 28, v38
	v_cmp_gt_i64_e32 vcc, 0, v[0:1]
	v_not_b32_e32 v1, v1
	v_ashrrev_i32_e32 v1, 31, v1
	v_and_b32_e32 v41, v41, v69
	;; [unrolled: 8-line block ×5, first 2 shown]
	v_xor_b32_e32 v69, vcc_hi, v1
	v_xor_b32_e32 v1, vcc_lo, v1
	v_and_b32_e32 v39, v39, v1
	v_lshlrev_b32_e32 v1, 24, v38
	v_cmp_gt_i64_e32 vcc, 0, v[0:1]
	v_not_b32_e32 v0, v1
	v_ashrrev_i32_e32 v0, 31, v0
	v_xor_b32_e32 v1, vcc_hi, v0
	v_xor_b32_e32 v0, vcc_lo, v0
	; wave barrier
	ds_read_b32 v91, v92 offset:16
	v_and_b32_e32 v41, v41, v69
	v_and_b32_e32 v0, v39, v0
	;; [unrolled: 1-line block ×3, first 2 shown]
	v_mbcnt_lo_u32_b32 v38, v0, 0
	v_mbcnt_hi_u32_b32 v93, v1, v38
	v_cmp_eq_u32_e32 vcc, 0, v93
	v_cmp_ne_u64_e64 s[4:5], 0, v[0:1]
	s_and_b64 s[18:19], s[4:5], vcc
	; wave barrier
	s_and_saveexec_b64 s[4:5], s[18:19]
	s_cbranch_execz .LBB231_41
; %bb.40:
	v_bcnt_u32_b32 v0, v0, 0
	v_bcnt_u32_b32 v0, v1, v0
	s_waitcnt lgkmcnt(0)
	v_add_u32_e32 v0, v91, v0
	ds_write_b32 v92, v0 offset:16
.LBB231_41:
	s_or_b64 exec, exec, s[4:5]
	v_mov_b32_e32 v41, 0xffff8000
	v_cmp_ne_u16_e32 vcc, s17, v74
	v_cndmask_b32_e32 v0, v41, v74, vcc
	v_and_b32_sdwa v38, s16, v0 dst_sel:DWORD dst_unused:UNUSED_PAD src0_sel:DWORD src1_sel:WORD_0
	v_and_b32_e32 v1, 1, v38
	v_add_co_u32_e32 v39, vcc, -1, v1
	v_addc_co_u32_e64 v69, s[4:5], 0, -1, vcc
	v_cmp_ne_u32_e32 vcc, 0, v1
	v_lshlrev_b32_e32 v0, 2, v38
	v_xor_b32_e32 v1, vcc_hi, v69
	v_add_lshl_u32 v95, v68, v0, 2
	v_mov_b32_e32 v0, 0
	v_and_b32_e32 v69, exec_hi, v1
	v_lshlrev_b32_e32 v1, 30, v38
	v_xor_b32_e32 v39, vcc_lo, v39
	v_cmp_gt_i64_e32 vcc, 0, v[0:1]
	v_not_b32_e32 v1, v1
	v_ashrrev_i32_e32 v1, 31, v1
	v_and_b32_e32 v39, exec_lo, v39
	v_xor_b32_e32 v70, vcc_hi, v1
	v_xor_b32_e32 v1, vcc_lo, v1
	v_and_b32_e32 v39, v39, v1
	v_lshlrev_b32_e32 v1, 29, v38
	v_cmp_gt_i64_e32 vcc, 0, v[0:1]
	v_not_b32_e32 v1, v1
	v_ashrrev_i32_e32 v1, 31, v1
	v_and_b32_e32 v69, v69, v70
	v_xor_b32_e32 v70, vcc_hi, v1
	v_xor_b32_e32 v1, vcc_lo, v1
	v_and_b32_e32 v39, v39, v1
	v_lshlrev_b32_e32 v1, 28, v38
	v_cmp_gt_i64_e32 vcc, 0, v[0:1]
	v_not_b32_e32 v1, v1
	v_ashrrev_i32_e32 v1, 31, v1
	v_and_b32_e32 v69, v69, v70
	;; [unrolled: 8-line block ×5, first 2 shown]
	v_xor_b32_e32 v70, vcc_hi, v1
	v_xor_b32_e32 v1, vcc_lo, v1
	v_and_b32_e32 v69, v69, v70
	v_and_b32_e32 v70, v39, v1
	v_lshlrev_b32_e32 v1, 24, v38
	v_cmp_gt_i64_e32 vcc, 0, v[0:1]
	v_not_b32_e32 v1, v1
	v_ashrrev_i32_e32 v1, 31, v1
	v_xor_b32_e32 v38, vcc_hi, v1
	v_xor_b32_e32 v1, vcc_lo, v1
	; wave barrier
	ds_read_b32 v94, v95 offset:16
	v_and_b32_e32 v39, v69, v38
	v_and_b32_e32 v38, v70, v1
	v_mbcnt_lo_u32_b32 v1, v38, 0
	v_mbcnt_hi_u32_b32 v96, v39, v1
	v_cmp_eq_u32_e32 vcc, 0, v96
	v_cmp_ne_u64_e64 s[4:5], 0, v[38:39]
	s_and_b64 s[18:19], s[4:5], vcc
	; wave barrier
	s_and_saveexec_b64 s[4:5], s[18:19]
	s_cbranch_execz .LBB231_43
; %bb.42:
	v_bcnt_u32_b32 v1, v38, 0
	v_bcnt_u32_b32 v1, v39, v1
	s_waitcnt lgkmcnt(0)
	v_add_u32_e32 v1, v94, v1
	ds_write_b32 v95, v1 offset:16
.LBB231_43:
	s_or_b64 exec, exec, s[4:5]
	v_cmp_ne_u16_e32 vcc, s17, v73
	v_cndmask_b32_e32 v1, v41, v73, vcc
	v_and_b32_sdwa v38, s16, v1 dst_sel:DWORD dst_unused:UNUSED_PAD src0_sel:DWORD src1_sel:WORD_0
	v_lshlrev_b32_e32 v1, 2, v38
	v_add_lshl_u32 v98, v68, v1, 2
	v_and_b32_e32 v1, 1, v38
	v_add_co_u32_e32 v39, vcc, -1, v1
	v_addc_co_u32_e64 v41, s[4:5], 0, -1, vcc
	v_cmp_ne_u32_e32 vcc, 0, v1
	v_xor_b32_e32 v1, vcc_hi, v41
	v_and_b32_e32 v41, exec_hi, v1
	v_lshlrev_b32_e32 v1, 30, v38
	v_xor_b32_e32 v39, vcc_lo, v39
	v_cmp_gt_i64_e32 vcc, 0, v[0:1]
	v_not_b32_e32 v1, v1
	v_ashrrev_i32_e32 v1, 31, v1
	v_and_b32_e32 v39, exec_lo, v39
	v_xor_b32_e32 v69, vcc_hi, v1
	v_xor_b32_e32 v1, vcc_lo, v1
	v_and_b32_e32 v39, v39, v1
	v_lshlrev_b32_e32 v1, 29, v38
	v_cmp_gt_i64_e32 vcc, 0, v[0:1]
	v_not_b32_e32 v1, v1
	v_ashrrev_i32_e32 v1, 31, v1
	v_and_b32_e32 v41, v41, v69
	v_xor_b32_e32 v69, vcc_hi, v1
	v_xor_b32_e32 v1, vcc_lo, v1
	v_and_b32_e32 v39, v39, v1
	v_lshlrev_b32_e32 v1, 28, v38
	v_cmp_gt_i64_e32 vcc, 0, v[0:1]
	v_not_b32_e32 v1, v1
	v_ashrrev_i32_e32 v1, 31, v1
	v_and_b32_e32 v41, v41, v69
	;; [unrolled: 8-line block ×5, first 2 shown]
	v_xor_b32_e32 v69, vcc_hi, v1
	v_xor_b32_e32 v1, vcc_lo, v1
	v_and_b32_e32 v39, v39, v1
	v_lshlrev_b32_e32 v1, 24, v38
	v_cmp_gt_i64_e32 vcc, 0, v[0:1]
	v_not_b32_e32 v0, v1
	v_ashrrev_i32_e32 v0, 31, v0
	v_xor_b32_e32 v1, vcc_hi, v0
	v_xor_b32_e32 v0, vcc_lo, v0
	; wave barrier
	ds_read_b32 v97, v98 offset:16
	v_and_b32_e32 v41, v41, v69
	v_and_b32_e32 v0, v39, v0
	v_and_b32_e32 v1, v41, v1
	v_mbcnt_lo_u32_b32 v38, v0, 0
	v_mbcnt_hi_u32_b32 v99, v1, v38
	v_cmp_eq_u32_e32 vcc, 0, v99
	v_cmp_ne_u64_e64 s[4:5], 0, v[0:1]
	s_and_b64 s[18:19], s[4:5], vcc
	; wave barrier
	s_and_saveexec_b64 s[4:5], s[18:19]
	s_cbranch_execz .LBB231_45
; %bb.44:
	v_bcnt_u32_b32 v0, v0, 0
	v_bcnt_u32_b32 v0, v1, v0
	s_waitcnt lgkmcnt(0)
	v_add_u32_e32 v0, v97, v0
	ds_write_b32 v98, v0 offset:16
.LBB231_45:
	s_or_b64 exec, exec, s[4:5]
	v_mov_b32_e32 v41, 0xffff8000
	v_cmp_ne_u16_e32 vcc, s17, v72
	v_cndmask_b32_e32 v0, v41, v72, vcc
	v_and_b32_sdwa v38, s16, v0 dst_sel:DWORD dst_unused:UNUSED_PAD src0_sel:DWORD src1_sel:WORD_0
	v_and_b32_e32 v1, 1, v38
	v_add_co_u32_e32 v39, vcc, -1, v1
	v_addc_co_u32_e64 v69, s[4:5], 0, -1, vcc
	v_cmp_ne_u32_e32 vcc, 0, v1
	v_lshlrev_b32_e32 v0, 2, v38
	v_xor_b32_e32 v1, vcc_hi, v69
	v_add_lshl_u32 v101, v68, v0, 2
	v_mov_b32_e32 v0, 0
	v_and_b32_e32 v69, exec_hi, v1
	v_lshlrev_b32_e32 v1, 30, v38
	v_xor_b32_e32 v39, vcc_lo, v39
	v_cmp_gt_i64_e32 vcc, 0, v[0:1]
	v_not_b32_e32 v1, v1
	v_ashrrev_i32_e32 v1, 31, v1
	v_and_b32_e32 v39, exec_lo, v39
	v_xor_b32_e32 v70, vcc_hi, v1
	v_xor_b32_e32 v1, vcc_lo, v1
	v_and_b32_e32 v39, v39, v1
	v_lshlrev_b32_e32 v1, 29, v38
	v_cmp_gt_i64_e32 vcc, 0, v[0:1]
	v_not_b32_e32 v1, v1
	v_ashrrev_i32_e32 v1, 31, v1
	v_and_b32_e32 v69, v69, v70
	v_xor_b32_e32 v70, vcc_hi, v1
	v_xor_b32_e32 v1, vcc_lo, v1
	v_and_b32_e32 v39, v39, v1
	v_lshlrev_b32_e32 v1, 28, v38
	v_cmp_gt_i64_e32 vcc, 0, v[0:1]
	v_not_b32_e32 v1, v1
	v_ashrrev_i32_e32 v1, 31, v1
	v_and_b32_e32 v69, v69, v70
	;; [unrolled: 8-line block ×5, first 2 shown]
	v_xor_b32_e32 v70, vcc_hi, v1
	v_xor_b32_e32 v1, vcc_lo, v1
	v_and_b32_e32 v69, v69, v70
	v_and_b32_e32 v70, v39, v1
	v_lshlrev_b32_e32 v1, 24, v38
	v_cmp_gt_i64_e32 vcc, 0, v[0:1]
	v_not_b32_e32 v1, v1
	v_ashrrev_i32_e32 v1, 31, v1
	v_xor_b32_e32 v38, vcc_hi, v1
	v_xor_b32_e32 v1, vcc_lo, v1
	; wave barrier
	ds_read_b32 v100, v101 offset:16
	v_and_b32_e32 v39, v69, v38
	v_and_b32_e32 v38, v70, v1
	v_mbcnt_lo_u32_b32 v1, v38, 0
	v_mbcnt_hi_u32_b32 v102, v39, v1
	v_cmp_eq_u32_e32 vcc, 0, v102
	v_cmp_ne_u64_e64 s[4:5], 0, v[38:39]
	s_and_b64 s[18:19], s[4:5], vcc
	; wave barrier
	s_and_saveexec_b64 s[4:5], s[18:19]
	s_cbranch_execz .LBB231_47
; %bb.46:
	v_bcnt_u32_b32 v1, v38, 0
	v_bcnt_u32_b32 v1, v39, v1
	s_waitcnt lgkmcnt(0)
	v_add_u32_e32 v1, v100, v1
	ds_write_b32 v101, v1 offset:16
.LBB231_47:
	s_or_b64 exec, exec, s[4:5]
	v_cmp_ne_u16_e32 vcc, s17, v71
	v_cndmask_b32_e32 v1, v41, v71, vcc
	v_and_b32_sdwa v38, s16, v1 dst_sel:DWORD dst_unused:UNUSED_PAD src0_sel:DWORD src1_sel:WORD_0
	v_lshlrev_b32_e32 v1, 2, v38
	v_add_lshl_u32 v104, v68, v1, 2
	v_and_b32_e32 v1, 1, v38
	v_add_co_u32_e32 v39, vcc, -1, v1
	v_min_u32_e32 v80, 0xc0, v40
	v_addc_co_u32_e64 v40, s[4:5], 0, -1, vcc
	v_cmp_ne_u32_e32 vcc, 0, v1
	v_xor_b32_e32 v1, vcc_hi, v40
	v_and_b32_e32 v40, exec_hi, v1
	v_lshlrev_b32_e32 v1, 30, v38
	v_xor_b32_e32 v39, vcc_lo, v39
	v_cmp_gt_i64_e32 vcc, 0, v[0:1]
	v_not_b32_e32 v1, v1
	v_ashrrev_i32_e32 v1, 31, v1
	v_and_b32_e32 v39, exec_lo, v39
	v_xor_b32_e32 v41, vcc_hi, v1
	v_xor_b32_e32 v1, vcc_lo, v1
	v_and_b32_e32 v39, v39, v1
	v_lshlrev_b32_e32 v1, 29, v38
	v_cmp_gt_i64_e32 vcc, 0, v[0:1]
	v_not_b32_e32 v1, v1
	v_ashrrev_i32_e32 v1, 31, v1
	v_and_b32_e32 v40, v40, v41
	v_xor_b32_e32 v41, vcc_hi, v1
	v_xor_b32_e32 v1, vcc_lo, v1
	v_and_b32_e32 v39, v39, v1
	v_lshlrev_b32_e32 v1, 28, v38
	v_cmp_gt_i64_e32 vcc, 0, v[0:1]
	v_not_b32_e32 v1, v1
	v_ashrrev_i32_e32 v1, 31, v1
	v_and_b32_e32 v40, v40, v41
	;; [unrolled: 8-line block ×5, first 2 shown]
	v_xor_b32_e32 v41, vcc_hi, v1
	v_xor_b32_e32 v1, vcc_lo, v1
	v_and_b32_e32 v39, v39, v1
	v_lshlrev_b32_e32 v1, 24, v38
	v_cmp_gt_i64_e32 vcc, 0, v[0:1]
	v_not_b32_e32 v0, v1
	v_ashrrev_i32_e32 v0, 31, v0
	v_xor_b32_e32 v1, vcc_hi, v0
	v_xor_b32_e32 v0, vcc_lo, v0
	; wave barrier
	ds_read_b32 v103, v104 offset:16
	v_and_b32_e32 v40, v40, v41
	v_and_b32_e32 v0, v39, v0
	v_and_b32_e32 v1, v40, v1
	v_mbcnt_lo_u32_b32 v38, v0, 0
	v_mbcnt_hi_u32_b32 v105, v1, v38
	v_cmp_eq_u32_e32 vcc, 0, v105
	v_cmp_ne_u64_e64 s[4:5], 0, v[0:1]
	v_add_u32_e32 v69, 16, v64
	v_lshrrev_b32_e32 v70, 6, v46
	s_and_b64 s[16:17], s[4:5], vcc
	; wave barrier
	s_and_saveexec_b64 s[4:5], s[16:17]
	s_cbranch_execz .LBB231_49
; %bb.48:
	v_bcnt_u32_b32 v0, v0, 0
	v_bcnt_u32_b32 v0, v1, v0
	s_waitcnt lgkmcnt(0)
	v_add_u32_e32 v0, v103, v0
	ds_write_b32 v104, v0 offset:16
.LBB231_49:
	s_or_b64 exec, exec, s[4:5]
	; wave barrier
	s_waitcnt lgkmcnt(0)
	s_barrier
	ds_read2_b32 v[38:39], v64 offset0:4 offset1:5
	ds_read2_b32 v[40:41], v69 offset0:2 offset1:3
	v_and_b32_e32 v1, 16, v76
	v_cmp_eq_u32_e32 vcc, 0, v1
	v_or_b32_e32 v1, 63, v80
	v_cmp_eq_u32_e64 s[16:17], v1, v46
	s_waitcnt lgkmcnt(1)
	v_add_u32_e32 v1, v39, v38
	v_and_b32_e32 v0, 15, v76
	s_waitcnt lgkmcnt(0)
	v_add3_u32 v1, v1, v40, v41
	v_cmp_eq_u32_e64 s[22:23], 0, v0
	v_cmp_lt_u32_e64 s[24:25], 1, v0
	v_mov_b32_dpp v41, v1 row_shr:1 row_mask:0xf bank_mask:0xf
	v_cndmask_b32_e64 v41, v41, 0, s[22:23]
	v_add_u32_e32 v1, v41, v1
	v_cmp_lt_u32_e64 s[28:29], 3, v0
	v_cmp_lt_u32_e64 s[30:31], 7, v0
	v_mov_b32_dpp v41, v1 row_shr:2 row_mask:0xf bank_mask:0xf
	v_cndmask_b32_e64 v41, 0, v41, s[24:25]
	v_add_u32_e32 v1, v1, v41
	v_bfe_i32 v81, v76, 4, 1
	v_cmp_lt_u32_e64 s[34:35], 31, v76
	v_mov_b32_dpp v41, v1 row_shr:4 row_mask:0xf bank_mask:0xf
	v_cndmask_b32_e64 v41, 0, v41, s[28:29]
	v_add_u32_e32 v1, v1, v41
	v_lshlrev_b32_e32 v70, 2, v70
	s_nop 0
	v_mov_b32_dpp v41, v1 row_shr:8 row_mask:0xf bank_mask:0xf
	v_cndmask_b32_e64 v0, 0, v41, s[30:31]
	v_add_u32_e32 v0, v1, v0
	s_nop 1
	v_mov_b32_dpp v1, v0 row_bcast:15 row_mask:0xf bank_mask:0xf
	v_and_b32_e32 v1, v81, v1
	v_add_u32_e32 v0, v0, v1
	s_nop 1
	v_mov_b32_dpp v1, v0 row_bcast:31 row_mask:0xf bank_mask:0xf
	v_cndmask_b32_e64 v1, 0, v1, s[34:35]
	v_add_u32_e32 v1, v0, v1
	s_and_saveexec_b64 s[4:5], s[16:17]
	s_cbranch_execz .LBB231_51
; %bb.50:
	ds_write_b32 v70, v1
.LBB231_51:
	s_or_b64 exec, exec, s[4:5]
	v_and_b32_e32 v0, 3, v76
	v_cmp_gt_u32_e64 s[26:27], 4, v46
	v_lshlrev_b32_e32 v41, 2, v46
	v_cmp_eq_u32_e64 s[20:21], 0, v0
	v_cmp_lt_u32_e64 s[18:19], 1, v0
	s_waitcnt lgkmcnt(0)
	s_barrier
	s_and_saveexec_b64 s[4:5], s[26:27]
	s_cbranch_execz .LBB231_53
; %bb.52:
	ds_read_b32 v0, v41
	s_waitcnt lgkmcnt(0)
	s_nop 0
	v_mov_b32_dpp v80, v0 row_shr:1 row_mask:0xf bank_mask:0xf
	v_cndmask_b32_e64 v80, v80, 0, s[20:21]
	v_add_u32_e32 v0, v80, v0
	s_nop 1
	v_mov_b32_dpp v80, v0 row_shr:2 row_mask:0xf bank_mask:0xf
	v_cndmask_b32_e64 v80, 0, v80, s[18:19]
	v_add_u32_e32 v0, v0, v80
	ds_write_b32 v41, v0
.LBB231_53:
	s_or_b64 exec, exec, s[4:5]
	v_cmp_lt_u32_e64 s[36:37], 63, v46
	v_add_u32_e32 v80, -4, v70
	v_mov_b32_e32 v0, 0
	v_mov_b32_e32 v106, 0
	s_waitcnt lgkmcnt(0)
	s_barrier
	s_and_saveexec_b64 s[4:5], s[36:37]
	s_cbranch_execz .LBB231_55
; %bb.54:
	ds_read_b32 v106, v80
.LBB231_55:
	s_or_b64 exec, exec, s[4:5]
	v_add_u32_e32 v81, -1, v76
	v_and_b32_e32 v107, 64, v76
	v_cmp_lt_i32_e64 s[4:5], v81, v107
	v_cndmask_b32_e64 v81, v81, v76, s[4:5]
	v_lshlrev_b32_e32 v81, 2, v81
	s_waitcnt lgkmcnt(0)
	v_add_u32_e32 v1, v106, v1
	ds_bpermute_b32 v1, v81, v1
	v_cmp_eq_u32_e64 s[38:39], 0, v76
	v_cmp_eq_u32_e64 s[40:41], 0, v46
	v_and_or_b32 v82, v76, 63, v82
	v_lshlrev_b32_e32 v107, 1, v82
	s_waitcnt lgkmcnt(0)
	v_cndmask_b32_e64 v1, v1, v106, s[38:39]
	v_cndmask_b32_e64 v1, v1, 0, s[40:41]
	v_add_u32_e32 v38, v1, v38
	v_add_u32_e32 v39, v38, v39
	;; [unrolled: 1-line block ×3, first 2 shown]
	ds_write2_b32 v64, v1, v38 offset0:4 offset1:5
	ds_write2_b32 v69, v39, v40 offset0:2 offset1:3
	s_waitcnt lgkmcnt(0)
	s_barrier
	ds_read_b32 v1, v83 offset:16
	ds_read_b32 v38, v86 offset:16
	;; [unrolled: 1-line block ×8, first 2 shown]
	s_waitcnt lgkmcnt(7)
	v_add_u32_e32 v1, v1, v84
	s_waitcnt lgkmcnt(6)
	v_add3_u32 v38, v87, v85, v38
	s_waitcnt lgkmcnt(4)
	v_add3_u32 v84, v93, v91, v40
	v_lshlrev_b32_e32 v40, 1, v1
	v_add3_u32 v39, v90, v88, v39
	s_waitcnt lgkmcnt(0)
	s_barrier
	ds_write_b16 v40, v79
	v_lshlrev_b32_e32 v40, 1, v38
	ds_write_b16 v40, v78
	v_lshlrev_b32_e32 v40, 1, v39
	v_add3_u32 v85, v96, v94, v76
	ds_write_b16 v40, v77
	v_lshlrev_b32_e32 v40, 1, v84
	v_add3_u32 v83, v99, v97, v83
	ds_write_b16 v40, v75
	v_lshlrev_b32_e32 v40, 1, v85
	v_add3_u32 v86, v102, v100, v86
	ds_write_b16 v40, v74
	v_lshlrev_b32_e32 v40, 1, v83
	v_add3_u32 v87, v105, v103, v89
	ds_write_b16 v40, v73
	v_lshlrev_b32_e32 v40, 1, v86
	ds_write_b16 v40, v72
	v_lshlrev_b32_e32 v40, 1, v87
	v_lshlrev_b32_e32 v1, 3, v1
	ds_write_b16 v40, v71
	s_waitcnt lgkmcnt(0)
	s_barrier
	ds_read_u16 v77, v107
	ds_read_u16 v76, v107 offset:128
	ds_read_u16 v75, v107 offset:256
	;; [unrolled: 1-line block ×7, first 2 shown]
	s_waitcnt lgkmcnt(0)
	s_barrier
	ds_write_b64 v1, v[34:35]
	v_lshlrev_b32_e32 v1, 3, v38
	ds_write_b64 v1, v[36:37]
	v_lshlrev_b32_e32 v1, 3, v39
	;; [unrolled: 2-line block ×6, first 2 shown]
	s_min_u32 s4, s44, 8
	ds_write_b64 v1, v[22:23]
	v_lshlrev_b32_e32 v1, 3, v87
	s_lshl_b32 s4, -1, s4
	s_movk_i32 s54, 0x7fff
	ds_write_b64 v1, v[24:25]
	s_not_b32 s53, s4
	v_lshrrev_b16_e32 v1, 8, v77
	v_mov_b32_e32 v38, 0x80
	v_cmp_ne_u16_e64 s[4:5], s54, v77
	v_cndmask_b32_e64 v1, v38, v1, s[4:5]
	v_and_b32_sdwa v39, v1, s53 dst_sel:DWORD dst_unused:UNUSED_PAD src0_sel:WORD_0 src1_sel:DWORD
	v_lshlrev_b32_e32 v1, 2, v39
	v_add_lshl_u32 v78, v1, v68, 2
	v_and_b32_e32 v1, 1, v39
	v_lshlrev_b32_e32 v82, 3, v82
	v_add_co_u32_e64 v79, s[4:5], -1, v1
	s_waitcnt lgkmcnt(0)
	s_barrier
	ds_read2st64_b64 v[34:37], v82 offset1:1
	ds_read2st64_b64 v[30:33], v82 offset0:2 offset1:3
	ds_read2st64_b64 v[26:29], v82 offset0:4 offset1:5
	;; [unrolled: 1-line block ×3, first 2 shown]
	v_addc_co_u32_e64 v82, s[4:5], 0, -1, s[4:5]
	v_cmp_ne_u32_e64 s[4:5], 0, v1
	v_xor_b32_e32 v1, s5, v82
	v_and_b32_e32 v82, exec_hi, v1
	v_lshlrev_b32_e32 v1, 30, v39
	v_xor_b32_e32 v79, s4, v79
	v_cmp_gt_i64_e64 s[4:5], 0, v[0:1]
	v_not_b32_e32 v1, v1
	v_ashrrev_i32_e32 v1, 31, v1
	v_and_b32_e32 v79, exec_lo, v79
	v_xor_b32_e32 v83, s5, v1
	v_xor_b32_e32 v1, s4, v1
	v_and_b32_e32 v79, v79, v1
	v_lshlrev_b32_e32 v1, 29, v39
	v_cmp_gt_i64_e64 s[4:5], 0, v[0:1]
	v_not_b32_e32 v1, v1
	v_ashrrev_i32_e32 v1, 31, v1
	v_and_b32_e32 v82, v82, v83
	v_xor_b32_e32 v83, s5, v1
	v_xor_b32_e32 v1, s4, v1
	v_and_b32_e32 v79, v79, v1
	v_lshlrev_b32_e32 v1, 28, v39
	v_cmp_gt_i64_e64 s[4:5], 0, v[0:1]
	v_not_b32_e32 v1, v1
	v_ashrrev_i32_e32 v1, 31, v1
	v_and_b32_e32 v82, v82, v83
	;; [unrolled: 8-line block ×5, first 2 shown]
	v_xor_b32_e32 v83, s5, v1
	v_xor_b32_e32 v1, s4, v1
	v_and_b32_e32 v79, v79, v1
	v_lshlrev_b32_e32 v1, 24, v39
	s_waitcnt lgkmcnt(0)
	s_barrier
	ds_write2_b32 v64, v0, v0 offset0:4 offset1:5
	ds_write2_b32 v69, v0, v0 offset0:2 offset1:3
	v_cmp_gt_i64_e64 s[4:5], 0, v[0:1]
	v_not_b32_e32 v0, v1
	v_ashrrev_i32_e32 v0, 31, v0
	v_xor_b32_e32 v1, s5, v0
	v_xor_b32_e32 v0, s4, v0
	v_and_b32_e32 v82, v82, v83
	v_and_b32_e32 v0, v79, v0
	;; [unrolled: 1-line block ×3, first 2 shown]
	v_mbcnt_lo_u32_b32 v39, v0, 0
	v_mbcnt_hi_u32_b32 v79, v1, v39
	v_cmp_eq_u32_e64 s[4:5], 0, v79
	v_cmp_ne_u64_e64 s[44:45], 0, v[0:1]
	s_and_b64 s[44:45], s[44:45], s[4:5]
	s_waitcnt lgkmcnt(0)
	s_barrier
	s_waitcnt lgkmcnt(0)
	; wave barrier
	s_and_saveexec_b64 s[4:5], s[44:45]
	s_cbranch_execz .LBB231_57
; %bb.56:
	v_bcnt_u32_b32 v0, v0, 0
	v_bcnt_u32_b32 v0, v1, v0
	ds_write_b32 v78, v0 offset:16
.LBB231_57:
	s_or_b64 exec, exec, s[4:5]
	v_lshrrev_b16_e32 v0, 8, v76
	v_cmp_ne_u16_e64 s[4:5], s54, v76
	v_cndmask_b32_e64 v0, v38, v0, s[4:5]
	v_and_b32_e32 v38, s53, v0
	v_and_b32_e32 v1, 1, v38
	v_add_co_u32_e64 v39, s[4:5], -1, v1
	v_addc_co_u32_e64 v84, s[4:5], 0, -1, s[4:5]
	v_cmp_ne_u32_e64 s[4:5], 0, v1
	v_lshlrev_b32_e32 v0, 2, v38
	v_xor_b32_e32 v1, s5, v84
	v_add_lshl_u32 v83, v0, v68, 2
	v_mov_b32_e32 v0, 0
	v_and_b32_e32 v84, exec_hi, v1
	v_lshlrev_b32_e32 v1, 30, v38
	v_xor_b32_e32 v39, s4, v39
	v_cmp_gt_i64_e64 s[4:5], 0, v[0:1]
	v_not_b32_e32 v1, v1
	v_ashrrev_i32_e32 v1, 31, v1
	v_and_b32_e32 v39, exec_lo, v39
	v_xor_b32_e32 v85, s5, v1
	v_xor_b32_e32 v1, s4, v1
	v_and_b32_e32 v39, v39, v1
	v_lshlrev_b32_e32 v1, 29, v38
	v_cmp_gt_i64_e64 s[4:5], 0, v[0:1]
	v_not_b32_e32 v1, v1
	v_ashrrev_i32_e32 v1, 31, v1
	v_and_b32_e32 v84, v84, v85
	v_xor_b32_e32 v85, s5, v1
	v_xor_b32_e32 v1, s4, v1
	v_and_b32_e32 v39, v39, v1
	v_lshlrev_b32_e32 v1, 28, v38
	v_cmp_gt_i64_e64 s[4:5], 0, v[0:1]
	v_not_b32_e32 v1, v1
	v_ashrrev_i32_e32 v1, 31, v1
	v_and_b32_e32 v84, v84, v85
	;; [unrolled: 8-line block ×5, first 2 shown]
	v_xor_b32_e32 v85, s5, v1
	v_xor_b32_e32 v1, s4, v1
	v_and_b32_e32 v84, v84, v85
	v_and_b32_e32 v85, v39, v1
	v_lshlrev_b32_e32 v1, 24, v38
	v_cmp_gt_i64_e64 s[4:5], 0, v[0:1]
	v_not_b32_e32 v1, v1
	v_ashrrev_i32_e32 v1, 31, v1
	v_xor_b32_e32 v38, s5, v1
	v_xor_b32_e32 v1, s4, v1
	; wave barrier
	ds_read_b32 v82, v83 offset:16
	v_and_b32_e32 v39, v84, v38
	v_and_b32_e32 v38, v85, v1
	v_mbcnt_lo_u32_b32 v1, v38, 0
	v_mbcnt_hi_u32_b32 v84, v39, v1
	v_cmp_eq_u32_e64 s[4:5], 0, v84
	v_cmp_ne_u64_e64 s[44:45], 0, v[38:39]
	s_and_b64 s[44:45], s[44:45], s[4:5]
	; wave barrier
	s_and_saveexec_b64 s[4:5], s[44:45]
	s_cbranch_execz .LBB231_59
; %bb.58:
	v_bcnt_u32_b32 v1, v38, 0
	v_bcnt_u32_b32 v1, v39, v1
	s_waitcnt lgkmcnt(0)
	v_add_u32_e32 v1, v82, v1
	ds_write_b32 v83, v1 offset:16
.LBB231_59:
	s_or_b64 exec, exec, s[4:5]
	v_lshrrev_b16_e32 v1, 8, v75
	v_mov_b32_e32 v38, 0x80
	v_cmp_ne_u16_e64 s[4:5], s54, v75
	v_cndmask_b32_e64 v1, v38, v1, s[4:5]
	v_and_b32_e32 v39, s53, v1
	v_lshlrev_b32_e32 v1, 2, v39
	v_add_lshl_u32 v86, v1, v68, 2
	v_and_b32_e32 v1, 1, v39
	v_add_co_u32_e64 v87, s[4:5], -1, v1
	v_addc_co_u32_e64 v88, s[4:5], 0, -1, s[4:5]
	v_cmp_ne_u32_e64 s[4:5], 0, v1
	v_xor_b32_e32 v1, s5, v88
	v_and_b32_e32 v88, exec_hi, v1
	v_lshlrev_b32_e32 v1, 30, v39
	v_xor_b32_e32 v87, s4, v87
	v_cmp_gt_i64_e64 s[4:5], 0, v[0:1]
	v_not_b32_e32 v1, v1
	v_ashrrev_i32_e32 v1, 31, v1
	v_and_b32_e32 v87, exec_lo, v87
	v_xor_b32_e32 v89, s5, v1
	v_xor_b32_e32 v1, s4, v1
	v_and_b32_e32 v87, v87, v1
	v_lshlrev_b32_e32 v1, 29, v39
	v_cmp_gt_i64_e64 s[4:5], 0, v[0:1]
	v_not_b32_e32 v1, v1
	v_ashrrev_i32_e32 v1, 31, v1
	v_and_b32_e32 v88, v88, v89
	v_xor_b32_e32 v89, s5, v1
	v_xor_b32_e32 v1, s4, v1
	v_and_b32_e32 v87, v87, v1
	v_lshlrev_b32_e32 v1, 28, v39
	v_cmp_gt_i64_e64 s[4:5], 0, v[0:1]
	v_not_b32_e32 v1, v1
	v_ashrrev_i32_e32 v1, 31, v1
	v_and_b32_e32 v88, v88, v89
	v_xor_b32_e32 v89, s5, v1
	v_xor_b32_e32 v1, s4, v1
	v_and_b32_e32 v87, v87, v1
	v_lshlrev_b32_e32 v1, 27, v39
	v_cmp_gt_i64_e64 s[4:5], 0, v[0:1]
	v_not_b32_e32 v1, v1
	v_ashrrev_i32_e32 v1, 31, v1
	v_and_b32_e32 v88, v88, v89
	v_xor_b32_e32 v89, s5, v1
	v_xor_b32_e32 v1, s4, v1
	v_and_b32_e32 v87, v87, v1
	v_lshlrev_b32_e32 v1, 26, v39
	v_cmp_gt_i64_e64 s[4:5], 0, v[0:1]
	v_not_b32_e32 v1, v1
	v_ashrrev_i32_e32 v1, 31, v1
	v_and_b32_e32 v88, v88, v89
	v_xor_b32_e32 v89, s5, v1
	v_xor_b32_e32 v1, s4, v1
	v_and_b32_e32 v87, v87, v1
	v_lshlrev_b32_e32 v1, 25, v39
	v_cmp_gt_i64_e64 s[4:5], 0, v[0:1]
	v_not_b32_e32 v1, v1
	v_ashrrev_i32_e32 v1, 31, v1
	v_and_b32_e32 v88, v88, v89
	v_xor_b32_e32 v89, s5, v1
	v_xor_b32_e32 v1, s4, v1
	v_and_b32_e32 v87, v87, v1
	v_lshlrev_b32_e32 v1, 24, v39
	v_cmp_gt_i64_e64 s[4:5], 0, v[0:1]
	v_not_b32_e32 v0, v1
	v_ashrrev_i32_e32 v0, 31, v0
	v_xor_b32_e32 v1, s5, v0
	v_xor_b32_e32 v0, s4, v0
	; wave barrier
	ds_read_b32 v85, v86 offset:16
	v_and_b32_e32 v88, v88, v89
	v_and_b32_e32 v0, v87, v0
	;; [unrolled: 1-line block ×3, first 2 shown]
	v_mbcnt_lo_u32_b32 v39, v0, 0
	v_mbcnt_hi_u32_b32 v87, v1, v39
	v_cmp_eq_u32_e64 s[4:5], 0, v87
	v_cmp_ne_u64_e64 s[44:45], 0, v[0:1]
	s_and_b64 s[44:45], s[44:45], s[4:5]
	; wave barrier
	s_and_saveexec_b64 s[4:5], s[44:45]
	s_cbranch_execz .LBB231_61
; %bb.60:
	v_bcnt_u32_b32 v0, v0, 0
	v_bcnt_u32_b32 v0, v1, v0
	s_waitcnt lgkmcnt(0)
	v_add_u32_e32 v0, v85, v0
	ds_write_b32 v86, v0 offset:16
.LBB231_61:
	s_or_b64 exec, exec, s[4:5]
	v_lshrrev_b16_e32 v0, 8, v74
	v_cmp_ne_u16_e64 s[4:5], s54, v74
	v_cndmask_b32_e64 v0, v38, v0, s[4:5]
	v_and_b32_e32 v38, s53, v0
	v_and_b32_e32 v1, 1, v38
	v_add_co_u32_e64 v39, s[4:5], -1, v1
	v_addc_co_u32_e64 v90, s[4:5], 0, -1, s[4:5]
	v_cmp_ne_u32_e64 s[4:5], 0, v1
	v_lshlrev_b32_e32 v0, 2, v38
	v_xor_b32_e32 v1, s5, v90
	v_add_lshl_u32 v89, v0, v68, 2
	v_mov_b32_e32 v0, 0
	v_and_b32_e32 v90, exec_hi, v1
	v_lshlrev_b32_e32 v1, 30, v38
	v_xor_b32_e32 v39, s4, v39
	v_cmp_gt_i64_e64 s[4:5], 0, v[0:1]
	v_not_b32_e32 v1, v1
	v_ashrrev_i32_e32 v1, 31, v1
	v_and_b32_e32 v39, exec_lo, v39
	v_xor_b32_e32 v91, s5, v1
	v_xor_b32_e32 v1, s4, v1
	v_and_b32_e32 v39, v39, v1
	v_lshlrev_b32_e32 v1, 29, v38
	v_cmp_gt_i64_e64 s[4:5], 0, v[0:1]
	v_not_b32_e32 v1, v1
	v_ashrrev_i32_e32 v1, 31, v1
	v_and_b32_e32 v90, v90, v91
	v_xor_b32_e32 v91, s5, v1
	v_xor_b32_e32 v1, s4, v1
	v_and_b32_e32 v39, v39, v1
	v_lshlrev_b32_e32 v1, 28, v38
	v_cmp_gt_i64_e64 s[4:5], 0, v[0:1]
	v_not_b32_e32 v1, v1
	v_ashrrev_i32_e32 v1, 31, v1
	v_and_b32_e32 v90, v90, v91
	;; [unrolled: 8-line block ×5, first 2 shown]
	v_xor_b32_e32 v91, s5, v1
	v_xor_b32_e32 v1, s4, v1
	v_and_b32_e32 v90, v90, v91
	v_and_b32_e32 v91, v39, v1
	v_lshlrev_b32_e32 v1, 24, v38
	v_cmp_gt_i64_e64 s[4:5], 0, v[0:1]
	v_not_b32_e32 v1, v1
	v_ashrrev_i32_e32 v1, 31, v1
	v_xor_b32_e32 v38, s5, v1
	v_xor_b32_e32 v1, s4, v1
	; wave barrier
	ds_read_b32 v88, v89 offset:16
	v_and_b32_e32 v39, v90, v38
	v_and_b32_e32 v38, v91, v1
	v_mbcnt_lo_u32_b32 v1, v38, 0
	v_mbcnt_hi_u32_b32 v90, v39, v1
	v_cmp_eq_u32_e64 s[4:5], 0, v90
	v_cmp_ne_u64_e64 s[44:45], 0, v[38:39]
	s_and_b64 s[44:45], s[44:45], s[4:5]
	; wave barrier
	s_and_saveexec_b64 s[4:5], s[44:45]
	s_cbranch_execz .LBB231_63
; %bb.62:
	v_bcnt_u32_b32 v1, v38, 0
	v_bcnt_u32_b32 v1, v39, v1
	s_waitcnt lgkmcnt(0)
	v_add_u32_e32 v1, v88, v1
	ds_write_b32 v89, v1 offset:16
.LBB231_63:
	s_or_b64 exec, exec, s[4:5]
	v_lshrrev_b16_e32 v1, 8, v73
	v_mov_b32_e32 v38, 0x80
	v_cmp_ne_u16_e64 s[4:5], s54, v73
	v_cndmask_b32_e64 v1, v38, v1, s[4:5]
	v_and_b32_e32 v39, s53, v1
	v_lshlrev_b32_e32 v1, 2, v39
	v_add_lshl_u32 v92, v1, v68, 2
	v_and_b32_e32 v1, 1, v39
	v_add_co_u32_e64 v93, s[4:5], -1, v1
	v_addc_co_u32_e64 v94, s[4:5], 0, -1, s[4:5]
	v_cmp_ne_u32_e64 s[4:5], 0, v1
	v_xor_b32_e32 v1, s5, v94
	v_and_b32_e32 v94, exec_hi, v1
	v_lshlrev_b32_e32 v1, 30, v39
	v_xor_b32_e32 v93, s4, v93
	v_cmp_gt_i64_e64 s[4:5], 0, v[0:1]
	v_not_b32_e32 v1, v1
	v_ashrrev_i32_e32 v1, 31, v1
	v_and_b32_e32 v93, exec_lo, v93
	v_xor_b32_e32 v95, s5, v1
	v_xor_b32_e32 v1, s4, v1
	v_and_b32_e32 v93, v93, v1
	v_lshlrev_b32_e32 v1, 29, v39
	v_cmp_gt_i64_e64 s[4:5], 0, v[0:1]
	v_not_b32_e32 v1, v1
	v_ashrrev_i32_e32 v1, 31, v1
	v_and_b32_e32 v94, v94, v95
	v_xor_b32_e32 v95, s5, v1
	v_xor_b32_e32 v1, s4, v1
	v_and_b32_e32 v93, v93, v1
	v_lshlrev_b32_e32 v1, 28, v39
	v_cmp_gt_i64_e64 s[4:5], 0, v[0:1]
	v_not_b32_e32 v1, v1
	v_ashrrev_i32_e32 v1, 31, v1
	v_and_b32_e32 v94, v94, v95
	;; [unrolled: 8-line block ×5, first 2 shown]
	v_xor_b32_e32 v95, s5, v1
	v_xor_b32_e32 v1, s4, v1
	v_and_b32_e32 v93, v93, v1
	v_lshlrev_b32_e32 v1, 24, v39
	v_cmp_gt_i64_e64 s[4:5], 0, v[0:1]
	v_not_b32_e32 v0, v1
	v_ashrrev_i32_e32 v0, 31, v0
	v_xor_b32_e32 v1, s5, v0
	v_xor_b32_e32 v0, s4, v0
	; wave barrier
	ds_read_b32 v91, v92 offset:16
	v_and_b32_e32 v94, v94, v95
	v_and_b32_e32 v0, v93, v0
	;; [unrolled: 1-line block ×3, first 2 shown]
	v_mbcnt_lo_u32_b32 v39, v0, 0
	v_mbcnt_hi_u32_b32 v93, v1, v39
	v_cmp_eq_u32_e64 s[4:5], 0, v93
	v_cmp_ne_u64_e64 s[44:45], 0, v[0:1]
	s_and_b64 s[44:45], s[44:45], s[4:5]
	; wave barrier
	s_and_saveexec_b64 s[4:5], s[44:45]
	s_cbranch_execz .LBB231_65
; %bb.64:
	v_bcnt_u32_b32 v0, v0, 0
	v_bcnt_u32_b32 v0, v1, v0
	s_waitcnt lgkmcnt(0)
	v_add_u32_e32 v0, v91, v0
	ds_write_b32 v92, v0 offset:16
.LBB231_65:
	s_or_b64 exec, exec, s[4:5]
	v_lshrrev_b16_e32 v0, 8, v72
	v_cmp_ne_u16_e64 s[4:5], s54, v72
	v_cndmask_b32_e64 v0, v38, v0, s[4:5]
	v_and_b32_e32 v38, s53, v0
	v_and_b32_e32 v1, 1, v38
	v_add_co_u32_e64 v39, s[4:5], -1, v1
	v_addc_co_u32_e64 v96, s[4:5], 0, -1, s[4:5]
	v_cmp_ne_u32_e64 s[4:5], 0, v1
	v_lshlrev_b32_e32 v0, 2, v38
	v_xor_b32_e32 v1, s5, v96
	v_add_lshl_u32 v95, v0, v68, 2
	v_mov_b32_e32 v0, 0
	v_and_b32_e32 v96, exec_hi, v1
	v_lshlrev_b32_e32 v1, 30, v38
	v_xor_b32_e32 v39, s4, v39
	v_cmp_gt_i64_e64 s[4:5], 0, v[0:1]
	v_not_b32_e32 v1, v1
	v_ashrrev_i32_e32 v1, 31, v1
	v_and_b32_e32 v39, exec_lo, v39
	v_xor_b32_e32 v97, s5, v1
	v_xor_b32_e32 v1, s4, v1
	v_and_b32_e32 v39, v39, v1
	v_lshlrev_b32_e32 v1, 29, v38
	v_cmp_gt_i64_e64 s[4:5], 0, v[0:1]
	v_not_b32_e32 v1, v1
	v_ashrrev_i32_e32 v1, 31, v1
	v_and_b32_e32 v96, v96, v97
	v_xor_b32_e32 v97, s5, v1
	v_xor_b32_e32 v1, s4, v1
	v_and_b32_e32 v39, v39, v1
	v_lshlrev_b32_e32 v1, 28, v38
	v_cmp_gt_i64_e64 s[4:5], 0, v[0:1]
	v_not_b32_e32 v1, v1
	v_ashrrev_i32_e32 v1, 31, v1
	v_and_b32_e32 v96, v96, v97
	;; [unrolled: 8-line block ×5, first 2 shown]
	v_xor_b32_e32 v97, s5, v1
	v_xor_b32_e32 v1, s4, v1
	v_and_b32_e32 v96, v96, v97
	v_and_b32_e32 v97, v39, v1
	v_lshlrev_b32_e32 v1, 24, v38
	v_cmp_gt_i64_e64 s[4:5], 0, v[0:1]
	v_not_b32_e32 v1, v1
	v_ashrrev_i32_e32 v1, 31, v1
	v_xor_b32_e32 v38, s5, v1
	v_xor_b32_e32 v1, s4, v1
	; wave barrier
	ds_read_b32 v94, v95 offset:16
	v_and_b32_e32 v39, v96, v38
	v_and_b32_e32 v38, v97, v1
	v_mbcnt_lo_u32_b32 v1, v38, 0
	v_mbcnt_hi_u32_b32 v96, v39, v1
	v_cmp_eq_u32_e64 s[4:5], 0, v96
	v_cmp_ne_u64_e64 s[44:45], 0, v[38:39]
	s_and_b64 s[44:45], s[44:45], s[4:5]
	; wave barrier
	s_and_saveexec_b64 s[4:5], s[44:45]
	s_cbranch_execz .LBB231_67
; %bb.66:
	v_bcnt_u32_b32 v1, v38, 0
	v_bcnt_u32_b32 v1, v39, v1
	s_waitcnt lgkmcnt(0)
	v_add_u32_e32 v1, v94, v1
	ds_write_b32 v95, v1 offset:16
.LBB231_67:
	s_or_b64 exec, exec, s[4:5]
	v_lshrrev_b16_e32 v1, 8, v71
	v_mov_b32_e32 v38, 0x80
	v_cmp_ne_u16_e64 s[4:5], s54, v71
	v_cndmask_b32_e64 v1, v38, v1, s[4:5]
	v_and_b32_e32 v39, s53, v1
	v_lshlrev_b32_e32 v1, 2, v39
	v_add_lshl_u32 v98, v1, v68, 2
	v_and_b32_e32 v1, 1, v39
	v_add_co_u32_e64 v99, s[4:5], -1, v1
	v_addc_co_u32_e64 v100, s[4:5], 0, -1, s[4:5]
	v_cmp_ne_u32_e64 s[4:5], 0, v1
	v_xor_b32_e32 v1, s5, v100
	v_and_b32_e32 v100, exec_hi, v1
	v_lshlrev_b32_e32 v1, 30, v39
	v_xor_b32_e32 v99, s4, v99
	v_cmp_gt_i64_e64 s[4:5], 0, v[0:1]
	v_not_b32_e32 v1, v1
	v_ashrrev_i32_e32 v1, 31, v1
	v_and_b32_e32 v99, exec_lo, v99
	v_xor_b32_e32 v101, s5, v1
	v_xor_b32_e32 v1, s4, v1
	v_and_b32_e32 v99, v99, v1
	v_lshlrev_b32_e32 v1, 29, v39
	v_cmp_gt_i64_e64 s[4:5], 0, v[0:1]
	v_not_b32_e32 v1, v1
	v_ashrrev_i32_e32 v1, 31, v1
	v_and_b32_e32 v100, v100, v101
	v_xor_b32_e32 v101, s5, v1
	v_xor_b32_e32 v1, s4, v1
	v_and_b32_e32 v99, v99, v1
	v_lshlrev_b32_e32 v1, 28, v39
	v_cmp_gt_i64_e64 s[4:5], 0, v[0:1]
	v_not_b32_e32 v1, v1
	v_ashrrev_i32_e32 v1, 31, v1
	v_and_b32_e32 v100, v100, v101
	;; [unrolled: 8-line block ×5, first 2 shown]
	v_xor_b32_e32 v101, s5, v1
	v_xor_b32_e32 v1, s4, v1
	v_and_b32_e32 v99, v99, v1
	v_lshlrev_b32_e32 v1, 24, v39
	v_cmp_gt_i64_e64 s[4:5], 0, v[0:1]
	v_not_b32_e32 v0, v1
	v_ashrrev_i32_e32 v0, 31, v0
	v_xor_b32_e32 v1, s5, v0
	v_xor_b32_e32 v0, s4, v0
	; wave barrier
	ds_read_b32 v97, v98 offset:16
	v_and_b32_e32 v100, v100, v101
	v_and_b32_e32 v0, v99, v0
	;; [unrolled: 1-line block ×3, first 2 shown]
	v_mbcnt_lo_u32_b32 v39, v0, 0
	v_mbcnt_hi_u32_b32 v99, v1, v39
	v_cmp_eq_u32_e64 s[4:5], 0, v99
	v_cmp_ne_u64_e64 s[44:45], 0, v[0:1]
	s_and_b64 s[44:45], s[44:45], s[4:5]
	; wave barrier
	s_and_saveexec_b64 s[4:5], s[44:45]
	s_cbranch_execz .LBB231_69
; %bb.68:
	v_bcnt_u32_b32 v0, v0, 0
	v_bcnt_u32_b32 v0, v1, v0
	s_waitcnt lgkmcnt(0)
	v_add_u32_e32 v0, v97, v0
	ds_write_b32 v98, v0 offset:16
.LBB231_69:
	s_or_b64 exec, exec, s[4:5]
	v_lshrrev_b16_e32 v0, 8, v40
	v_cmp_ne_u16_e64 s[4:5], s54, v40
	v_cndmask_b32_e64 v0, v38, v0, s[4:5]
	v_and_b32_e32 v38, s53, v0
	v_and_b32_e32 v1, 1, v38
	v_add_co_u32_e64 v39, s[4:5], -1, v1
	v_addc_co_u32_e64 v101, s[4:5], 0, -1, s[4:5]
	v_cmp_ne_u32_e64 s[4:5], 0, v1
	v_lshlrev_b32_e32 v0, 2, v38
	v_xor_b32_e32 v1, s5, v101
	v_add_lshl_u32 v100, v0, v68, 2
	v_mov_b32_e32 v0, 0
	v_and_b32_e32 v101, exec_hi, v1
	v_lshlrev_b32_e32 v1, 30, v38
	v_xor_b32_e32 v39, s4, v39
	v_cmp_gt_i64_e64 s[4:5], 0, v[0:1]
	v_not_b32_e32 v1, v1
	v_ashrrev_i32_e32 v1, 31, v1
	v_and_b32_e32 v39, exec_lo, v39
	v_xor_b32_e32 v102, s5, v1
	v_xor_b32_e32 v1, s4, v1
	v_and_b32_e32 v39, v39, v1
	v_lshlrev_b32_e32 v1, 29, v38
	v_cmp_gt_i64_e64 s[4:5], 0, v[0:1]
	v_not_b32_e32 v1, v1
	v_ashrrev_i32_e32 v1, 31, v1
	v_and_b32_e32 v101, v101, v102
	v_xor_b32_e32 v102, s5, v1
	v_xor_b32_e32 v1, s4, v1
	v_and_b32_e32 v39, v39, v1
	v_lshlrev_b32_e32 v1, 28, v38
	v_cmp_gt_i64_e64 s[4:5], 0, v[0:1]
	v_not_b32_e32 v1, v1
	v_ashrrev_i32_e32 v1, 31, v1
	v_and_b32_e32 v101, v101, v102
	;; [unrolled: 8-line block ×5, first 2 shown]
	v_xor_b32_e32 v102, s5, v1
	v_xor_b32_e32 v1, s4, v1
	v_and_b32_e32 v39, v39, v1
	v_lshlrev_b32_e32 v1, 24, v38
	v_cmp_gt_i64_e64 s[4:5], 0, v[0:1]
	v_not_b32_e32 v0, v1
	v_ashrrev_i32_e32 v0, 31, v0
	v_xor_b32_e32 v1, s5, v0
	v_xor_b32_e32 v0, s4, v0
	; wave barrier
	ds_read_b32 v68, v100 offset:16
	v_and_b32_e32 v101, v101, v102
	v_and_b32_e32 v0, v39, v0
	;; [unrolled: 1-line block ×3, first 2 shown]
	v_mbcnt_lo_u32_b32 v38, v0, 0
	v_mbcnt_hi_u32_b32 v101, v1, v38
	v_cmp_eq_u32_e64 s[4:5], 0, v101
	v_cmp_ne_u64_e64 s[44:45], 0, v[0:1]
	s_and_b64 s[44:45], s[44:45], s[4:5]
	; wave barrier
	s_and_saveexec_b64 s[4:5], s[44:45]
	s_cbranch_execz .LBB231_71
; %bb.70:
	v_bcnt_u32_b32 v0, v0, 0
	v_bcnt_u32_b32 v0, v1, v0
	s_waitcnt lgkmcnt(0)
	v_add_u32_e32 v0, v68, v0
	ds_write_b32 v100, v0 offset:16
.LBB231_71:
	s_or_b64 exec, exec, s[4:5]
	; wave barrier
	s_waitcnt lgkmcnt(0)
	s_barrier
	ds_read2_b32 v[38:39], v64 offset0:4 offset1:5
	ds_read2_b32 v[0:1], v69 offset0:2 offset1:3
	s_waitcnt lgkmcnt(1)
	v_add_u32_e32 v102, v39, v38
	s_waitcnt lgkmcnt(0)
	v_add3_u32 v1, v102, v0, v1
	s_nop 1
	v_mov_b32_dpp v102, v1 row_shr:1 row_mask:0xf bank_mask:0xf
	v_cndmask_b32_e64 v102, v102, 0, s[22:23]
	v_add_u32_e32 v1, v102, v1
	s_nop 1
	v_mov_b32_dpp v102, v1 row_shr:2 row_mask:0xf bank_mask:0xf
	v_cndmask_b32_e64 v102, 0, v102, s[24:25]
	v_add_u32_e32 v1, v1, v102
	;; [unrolled: 4-line block ×4, first 2 shown]
	s_nop 1
	v_mov_b32_dpp v102, v1 row_bcast:15 row_mask:0xf bank_mask:0xf
	v_cndmask_b32_e64 v102, v102, 0, vcc
	v_add_u32_e32 v1, v1, v102
	s_nop 1
	v_mov_b32_dpp v102, v1 row_bcast:31 row_mask:0xf bank_mask:0xf
	v_cndmask_b32_e64 v102, 0, v102, s[34:35]
	v_add_u32_e32 v102, v1, v102
	s_and_saveexec_b64 s[4:5], s[16:17]
	s_cbranch_execz .LBB231_73
; %bb.72:
	ds_write_b32 v70, v102
.LBB231_73:
	s_or_b64 exec, exec, s[4:5]
	s_waitcnt lgkmcnt(0)
	s_barrier
	s_and_saveexec_b64 s[4:5], s[26:27]
	s_cbranch_execz .LBB231_75
; %bb.74:
	ds_read_b32 v1, v41
	s_waitcnt lgkmcnt(0)
	s_nop 0
	v_mov_b32_dpp v70, v1 row_shr:1 row_mask:0xf bank_mask:0xf
	v_cndmask_b32_e64 v70, v70, 0, s[20:21]
	v_add_u32_e32 v1, v70, v1
	s_nop 1
	v_mov_b32_dpp v70, v1 row_shr:2 row_mask:0xf bank_mask:0xf
	v_cndmask_b32_e64 v70, 0, v70, s[18:19]
	v_add_u32_e32 v1, v1, v70
	ds_write_b32 v41, v1
.LBB231_75:
	s_or_b64 exec, exec, s[4:5]
	v_mov_b32_e32 v1, 0
	v_mov_b32_e32 v41, 0
	s_waitcnt lgkmcnt(0)
	s_barrier
	s_and_saveexec_b64 s[4:5], s[36:37]
	s_cbranch_execz .LBB231_77
; %bb.76:
	ds_read_b32 v41, v80
.LBB231_77:
	s_or_b64 exec, exec, s[4:5]
	s_waitcnt lgkmcnt(0)
	v_add_u32_e32 v70, v41, v102
	ds_bpermute_b32 v70, v81, v70
	s_mov_b32 s16, 0x5040100
	s_waitcnt lgkmcnt(0)
	v_cndmask_b32_e64 v41, v70, v41, s[38:39]
	v_cndmask_b32_e64 v41, v41, 0, s[40:41]
	v_add_u32_e32 v38, v41, v38
	v_add_u32_e32 v39, v38, v39
	;; [unrolled: 1-line block ×3, first 2 shown]
	ds_write2_b32 v64, v41, v38 offset0:4 offset1:5
	ds_write2_b32 v69, v39, v0 offset0:2 offset1:3
	s_waitcnt lgkmcnt(0)
	s_barrier
	ds_read_b32 v0, v100 offset:16
	ds_read_b32 v38, v98 offset:16
	;; [unrolled: 1-line block ×4, first 2 shown]
	s_waitcnt lgkmcnt(3)
	v_add3_u32 v0, v101, v68, v0
	ds_read_b32 v68, v89 offset:16
	ds_read_b32 v69, v86 offset:16
	;; [unrolled: 1-line block ×4, first 2 shown]
	s_waitcnt lgkmcnt(0)
	s_barrier
	v_add3_u32 v69, v87, v85, v69
	v_add3_u32 v70, v84, v82, v70
	v_add_u32_e32 v78, v78, v79
	v_lshlrev_b32_e32 v79, 1, v78
	ds_write_b16 v79, v77
	v_lshlrev_b32_e32 v77, 1, v70
	v_add3_u32 v68, v90, v88, v68
	ds_write_b16 v77, v76
	v_lshlrev_b32_e32 v76, 1, v69
	v_add3_u32 v41, v93, v91, v41
	;; [unrolled: 3-line block ×4, first 2 shown]
	ds_write_b16 v74, v73
	v_lshlrev_b32_e32 v73, 1, v39
	ds_write_b16 v73, v72
	v_lshlrev_b32_e32 v72, 1, v38
	;; [unrolled: 2-line block ×4, first 2 shown]
	s_waitcnt lgkmcnt(0)
	s_barrier
	v_lshlrev_b32_e32 v72, 3, v41
	v_lshlrev_b32_e32 v73, 3, v39
	;; [unrolled: 1-line block ×3, first 2 shown]
	ds_read_b128 v[38:41], v40
	v_mov_b32_e32 v77, 0xffff8000
	v_lshlrev_b32_e32 v71, 3, v78
	v_lshlrev_b32_e32 v75, 3, v63
	;; [unrolled: 1-line block ×3, first 2 shown]
	s_waitcnt lgkmcnt(0)
	v_cmp_lt_i16_sdwa vcc, v38, v1 src0_sel:WORD_1 src1_sel:DWORD
	v_cndmask_b32_e32 v78, -1, v77, vcc
	v_cmp_gt_i16_e32 vcc, 0, v38
	v_lshlrev_b32_e32 v69, 3, v69
	v_lshlrev_b32_e32 v68, 3, v68
	;; [unrolled: 1-line block ×3, first 2 shown]
	v_cndmask_b32_e32 v79, -1, v77, vcc
	v_cmp_lt_i16_e32 vcc, -1, v39
	s_barrier
	ds_write_b64 v71, v[34:35]
	ds_write_b64 v70, v[36:37]
	;; [unrolled: 1-line block ×8, first 2 shown]
	s_waitcnt lgkmcnt(0)
	s_barrier
	ds_read2_b64 v[22:25], v75 offset1:1
	ds_read2_b64 v[26:29], v75 offset0:2 offset1:3
	ds_read2_b64 v[30:33], v75 offset0:4 offset1:5
	;; [unrolled: 1-line block ×3, first 2 shown]
	v_mov_b32_e32 v76, -1
	v_cndmask_b32_e64 v81, v77, -1, vcc
	v_cmp_lt_i16_sdwa vcc, v40, v1 src0_sel:WORD_1 src1_sel:DWORD
	v_cmp_gt_i16_sdwa s[4:5], v39, v76 src0_sel:WORD_1 src1_sel:DWORD
	v_cndmask_b32_e32 v0, -1, v77, vcc
	v_cmp_gt_i16_e32 vcc, 0, v40
	v_cndmask_b32_e64 v80, v77, -1, s[4:5]
	v_cndmask_b32_e32 v1, -1, v77, vcc
	v_cmp_gt_i16_sdwa s[4:5], v41, v76 src0_sel:WORD_1 src1_sel:DWORD
	v_cmp_lt_i16_e32 vcc, -1, v41
	v_cndmask_b32_e64 v68, v77, -1, s[4:5]
	v_cndmask_b32_e64 v69, v77, -1, vcc
	v_xor_b32_e32 v81, v81, v39
	v_xor_b32_sdwa v39, v80, v39 dst_sel:DWORD dst_unused:UNUSED_PAD src0_sel:DWORD src1_sel:WORD_1
	v_xor_b32_e32 v79, v79, v38
	v_xor_b32_sdwa v38, v78, v38 dst_sel:DWORD dst_unused:UNUSED_PAD src0_sel:DWORD src1_sel:WORD_1
	;; [unrolled: 2-line block ×4, first 2 shown]
	v_perm_b32 v39, v39, v81, s16
	v_perm_b32 v38, v38, v79, s16
	;; [unrolled: 1-line block ×4, first 2 shown]
	s_branch .LBB231_131
.LBB231_78:
	v_mov_b32_e32 v45, 0
	v_lshlrev_b64 v[2:3], 3, v[44:45]
	v_mov_b32_e32 v4, s52
	v_add_co_u32_e32 v2, vcc, s49, v2
	v_addc_co_u32_e32 v3, vcc, v4, v3, vcc
	global_load_dwordx2 v[2:3], v[2:3], off
	v_mov_b32_e32 v4, v45
	v_mov_b32_e32 v5, v45
	;; [unrolled: 1-line block ×14, first 2 shown]
	s_or_b64 exec, exec, s[4:5]
	s_and_saveexec_b64 s[4:5], s[2:3]
	s_cbranch_execz .LBB231_25
.LBB231_79:
	v_mul_lo_u32 v4, v36, s48
	v_mov_b32_e32 v5, 0
	v_lshlrev_b64 v[4:5], 3, v[4:5]
	v_mov_b32_e32 v36, s52
	v_add_co_u32_e32 v4, vcc, s49, v4
	v_addc_co_u32_e32 v5, vcc, v36, v5, vcc
	global_load_dwordx2 v[4:5], v[4:5], off
	s_or_b64 exec, exec, s[4:5]
	s_and_saveexec_b64 s[4:5], s[42:43]
	s_cbranch_execz .LBB231_26
.LBB231_80:
	v_mul_lo_u32 v6, v35, s48
	v_mov_b32_e32 v7, 0
	v_lshlrev_b64 v[6:7], 3, v[6:7]
	v_mov_b32_e32 v35, s52
	v_add_co_u32_e32 v6, vcc, s49, v6
	v_addc_co_u32_e32 v7, vcc, v35, v7, vcc
	global_load_dwordx2 v[6:7], v[6:7], off
	s_or_b64 exec, exec, s[4:5]
	s_and_saveexec_b64 s[4:5], s[6:7]
	s_cbranch_execz .LBB231_27
.LBB231_81:
	v_mul_lo_u32 v8, v33, s48
	v_mov_b32_e32 v9, 0
	v_lshlrev_b64 v[8:9], 3, v[8:9]
	v_mov_b32_e32 v33, s52
	v_add_co_u32_e32 v8, vcc, s49, v8
	v_addc_co_u32_e32 v9, vcc, v33, v9, vcc
	global_load_dwordx2 v[8:9], v[8:9], off
	s_or_b64 exec, exec, s[4:5]
	s_and_saveexec_b64 s[4:5], s[8:9]
	s_cbranch_execz .LBB231_28
.LBB231_82:
	v_mul_lo_u32 v10, v30, s48
	v_mov_b32_e32 v11, 0
	v_lshlrev_b64 v[10:11], 3, v[10:11]
	v_mov_b32_e32 v30, s52
	v_add_co_u32_e32 v10, vcc, s49, v10
	v_addc_co_u32_e32 v11, vcc, v30, v11, vcc
	global_load_dwordx2 v[10:11], v[10:11], off
	s_or_b64 exec, exec, s[4:5]
	s_and_saveexec_b64 s[4:5], s[10:11]
	s_cbranch_execz .LBB231_29
.LBB231_83:
	v_mul_lo_u32 v12, v28, s48
	v_mov_b32_e32 v13, 0
	v_lshlrev_b64 v[12:13], 3, v[12:13]
	v_mov_b32_e32 v28, s52
	v_add_co_u32_e32 v12, vcc, s49, v12
	v_addc_co_u32_e32 v13, vcc, v28, v13, vcc
	global_load_dwordx2 v[12:13], v[12:13], off
	s_or_b64 exec, exec, s[4:5]
	s_and_saveexec_b64 s[4:5], s[12:13]
	s_cbranch_execz .LBB231_30
.LBB231_84:
	v_mul_lo_u32 v14, v26, s48
	v_mov_b32_e32 v15, 0
	v_lshlrev_b64 v[14:15], 3, v[14:15]
	v_mov_b32_e32 v26, s52
	v_add_co_u32_e32 v14, vcc, s49, v14
	v_addc_co_u32_e32 v15, vcc, v26, v15, vcc
	global_load_dwordx2 v[14:15], v[14:15], off
	s_or_b64 exec, exec, s[4:5]
	s_xor_b64 s[4:5], s[34:35], -1
	s_and_saveexec_b64 s[16:17], s[14:15]
	s_cbranch_execnz .LBB231_31
	s_branch .LBB231_32
.LBB231_85:
                                        ; implicit-def: $vgpr36_vgpr37
                                        ; implicit-def: $vgpr32_vgpr33
                                        ; implicit-def: $vgpr28_vgpr29
                                        ; implicit-def: $vgpr24_vgpr25
                                        ; implicit-def: $vgpr40_vgpr41
	s_cbranch_execz .LBB231_131
; %bb.86:
	s_waitcnt lgkmcnt(3)
	v_mov_b32_e32 v22, 0
	s_waitcnt lgkmcnt(0)
	v_mov_b32_e32 v35, 0x7fff
	v_cmp_gt_i16_e32 vcc, 0, v19
	v_cmp_lt_i16_sdwa s[4:5], v19, v22 src0_sel:WORD_1 src1_sel:DWORD
	v_cndmask_b32_e64 v23, v35, 0, vcc
	v_cmp_gt_i16_e32 vcc, 0, v18
	v_cndmask_b32_e64 v25, v35, 0, s[4:5]
	v_cmp_lt_i16_sdwa s[4:5], v18, v22 src0_sel:WORD_1 src1_sel:DWORD
	v_cndmask_b32_e64 v24, v35, 0, vcc
	v_cndmask_b32_e64 v27, v35, 0, s[4:5]
	v_cmp_gt_i16_e32 vcc, 0, v21
	v_cmp_lt_i16_sdwa s[4:5], v21, v22 src0_sel:WORD_1 src1_sel:DWORD
	v_xor_b32_sdwa v25, v25, v19 dst_sel:DWORD dst_unused:UNUSED_PAD src0_sel:DWORD src1_sel:WORD_1
	v_xor_b32_e32 v19, v23, v19
	v_cndmask_b32_e64 v23, v35, 0, vcc
	v_cmp_gt_i16_e32 vcc, 0, v20
	v_cndmask_b32_e64 v28, v35, 0, s[4:5]
	v_cmp_lt_i16_sdwa s[4:5], v20, v22 src0_sel:WORD_1 src1_sel:DWORD
	v_mbcnt_hi_u32_b32 v26, -1, v67
	v_and_b32_e32 v34, 0x3c0, v46
	v_xor_b32_sdwa v27, v27, v18 dst_sel:DWORD dst_unused:UNUSED_PAD src0_sel:DWORD src1_sel:WORD_1
	v_xor_b32_e32 v18, v24, v18
	v_cndmask_b32_e64 v24, v35, 0, vcc
	v_cndmask_b32_e64 v29, v35, 0, s[4:5]
	v_add_u32_e32 v0, v26, v34
	v_xor_b32_sdwa v29, v29, v20 dst_sel:DWORD dst_unused:UNUSED_PAD src0_sel:DWORD src1_sel:WORD_1
	v_xor_b32_sdwa v28, v28, v21 dst_sel:DWORD dst_unused:UNUSED_PAD src0_sel:DWORD src1_sel:WORD_1
	v_xor_b32_e32 v20, v24, v20
	v_xor_b32_e32 v21, v23, v21
	s_mov_b32 s4, 0x5040100
	v_lshlrev_b32_e32 v1, 4, v0
	v_perm_b32 v21, v28, v21, s4
	v_perm_b32 v20, v29, v20, s4
	;; [unrolled: 1-line block ×4, first 2 shown]
	v_and_b32_e32 v36, 0x1e00, v63
	ds_write_b128 v1, v[18:21]
	v_or_b32_e32 v1, v26, v36
	v_lshlrev_b32_e32 v18, 1, v1
	v_lshlrev_b32_e32 v0, 6, v0
	; wave barrier
	ds_read_u16 v33, v18
	ds_read_u16 v32, v18 offset:128
	ds_read_u16 v31, v18 offset:256
	;; [unrolled: 1-line block ×7, first 2 shown]
	s_waitcnt lgkmcnt(0)
	s_barrier
	ds_write2_b64 v0, v[14:15], v[16:17] offset1:1
	ds_write2_b64 v0, v[10:11], v[12:13] offset0:2 offset1:3
	ds_write2_b64 v0, v[6:7], v[8:9] offset0:4 offset1:5
	;; [unrolled: 1-line block ×3, first 2 shown]
	v_lshlrev_b32_e32 v0, 3, v1
	; wave barrier
	ds_read2st64_b64 v[12:15], v0 offset1:1
	ds_read2st64_b64 v[8:11], v0 offset0:2 offset1:3
	ds_read2st64_b64 v[4:7], v0 offset0:4 offset1:5
	;; [unrolled: 1-line block ×3, first 2 shown]
	s_waitcnt lgkmcnt(0)
	s_barrier
	s_load_dword s16, s[50:51], 0xc
	s_getpc_b64 s[4:5]
	s_add_u32 s4, s4, _ZN7rocprim17ROCPRIM_400000_NS16block_radix_sortI6__halfLj256ELj8ElLj1ELj1ELj0ELNS0_26block_radix_rank_algorithmE1ELNS0_18block_padding_hintE2ELNS0_4arch9wavefront6targetE1EE19radix_bits_per_passE@rel32@lo+4
	s_addc_u32 s5, s5, _ZN7rocprim17ROCPRIM_400000_NS16block_radix_sortI6__halfLj256ELj8ElLj1ELj1ELj0ELNS0_26block_radix_rank_algorithmE1ELNS0_18block_padding_hintE2ELNS0_4arch9wavefront6targetE1EE19radix_bits_per_passE@rel32@hi+12
	s_load_dword s44, s[4:5], 0x0
	s_movk_i32 s17, 0x8000
	v_cmp_ne_u16_e32 vcc, s17, v33
	s_waitcnt lgkmcnt(0)
	s_lshr_b32 s4, s16, 16
	s_and_b32 s5, s16, 0xffff
	v_mad_u32_u24 v16, v66, s4, v65
	v_mad_u64_u32 v[16:17], s[4:5], v16, s5, v[46:47]
	s_min_u32 s4, s44, 16
	s_lshl_b32 s4, -1, s4
	v_lshrrev_b32_e32 v24, 6, v16
	s_not_b32 s16, s4
	v_cndmask_b32_e32 v16, v35, v33, vcc
	v_and_b32_sdwa v16, s16, v16 dst_sel:DWORD dst_unused:UNUSED_PAD src0_sel:DWORD src1_sel:WORD_0
	v_lshlrev_b32_e32 v17, 2, v16
	v_add_lshl_u32 v37, v24, v17, 2
	v_and_b32_e32 v17, 1, v16
	v_add_co_u32_e32 v18, vcc, -1, v17
	v_addc_co_u32_e64 v19, s[4:5], 0, -1, vcc
	v_cmp_ne_u32_e32 vcc, 0, v17
	v_lshlrev_b32_e32 v23, 30, v16
	v_xor_b32_e32 v17, vcc_hi, v19
	v_not_b32_e32 v19, v23
	v_xor_b32_e32 v18, vcc_lo, v18
	v_cmp_gt_i64_e32 vcc, 0, v[22:23]
	v_ashrrev_i32_e32 v19, 31, v19
	v_and_b32_e32 v18, exec_lo, v18
	v_xor_b32_e32 v20, vcc_hi, v19
	v_xor_b32_e32 v19, vcc_lo, v19
	v_lshlrev_b32_e32 v23, 29, v16
	v_and_b32_e32 v18, v18, v19
	v_not_b32_e32 v19, v23
	v_and_b32_e32 v17, exec_hi, v17
	v_cmp_gt_i64_e32 vcc, 0, v[22:23]
	v_ashrrev_i32_e32 v19, 31, v19
	v_and_b32_e32 v17, v17, v20
	v_xor_b32_e32 v20, vcc_hi, v19
	v_xor_b32_e32 v19, vcc_lo, v19
	v_lshlrev_b32_e32 v23, 28, v16
	v_and_b32_e32 v18, v18, v19
	v_not_b32_e32 v19, v23
	v_cmp_gt_i64_e32 vcc, 0, v[22:23]
	v_ashrrev_i32_e32 v19, 31, v19
	v_and_b32_e32 v17, v17, v20
	v_xor_b32_e32 v20, vcc_hi, v19
	v_xor_b32_e32 v19, vcc_lo, v19
	v_lshlrev_b32_e32 v23, 27, v16
	v_and_b32_e32 v18, v18, v19
	v_not_b32_e32 v19, v23
	v_cmp_gt_i64_e32 vcc, 0, v[22:23]
	v_ashrrev_i32_e32 v19, 31, v19
	v_and_b32_e32 v17, v17, v20
	v_xor_b32_e32 v20, vcc_hi, v19
	v_xor_b32_e32 v19, vcc_lo, v19
	v_lshlrev_b32_e32 v23, 26, v16
	v_and_b32_e32 v18, v18, v19
	v_not_b32_e32 v19, v23
	v_cmp_gt_i64_e32 vcc, 0, v[22:23]
	v_ashrrev_i32_e32 v19, 31, v19
	v_and_b32_e32 v17, v17, v20
	v_xor_b32_e32 v20, vcc_hi, v19
	v_xor_b32_e32 v19, vcc_lo, v19
	v_lshlrev_b32_e32 v23, 25, v16
	v_and_b32_e32 v18, v18, v19
	v_cmp_gt_i64_e32 vcc, 0, v[22:23]
	v_not_b32_e32 v19, v23
	v_lshlrev_b32_e32 v23, 24, v16
	v_ashrrev_i32_e32 v19, 31, v19
	v_not_b32_e32 v16, v23
	v_and_b32_e32 v17, v17, v20
	v_xor_b32_e32 v20, vcc_hi, v19
	v_xor_b32_e32 v19, vcc_lo, v19
	v_cmp_gt_i64_e32 vcc, 0, v[22:23]
	v_ashrrev_i32_e32 v16, 31, v16
	v_and_b32_e32 v18, v18, v19
	v_xor_b32_e32 v19, vcc_hi, v16
	v_xor_b32_e32 v16, vcc_lo, v16
	v_and_b32_e32 v17, v17, v20
	v_and_b32_e32 v16, v18, v16
	;; [unrolled: 1-line block ×3, first 2 shown]
	v_mbcnt_lo_u32_b32 v18, v16, 0
	v_mbcnt_hi_u32_b32 v38, v17, v18
	v_cmp_eq_u32_e32 vcc, 0, v38
	v_cmp_ne_u64_e64 s[4:5], 0, v[16:17]
	s_and_b64 s[18:19], s[4:5], vcc
	ds_write2_b32 v64, v22, v22 offset0:4 offset1:5
	ds_write2_b32 v64, v22, v22 offset0:6 offset1:7
	s_waitcnt lgkmcnt(0)
	s_barrier
	s_waitcnt lgkmcnt(0)
	; wave barrier
	s_and_saveexec_b64 s[4:5], s[18:19]
	s_cbranch_execz .LBB231_88
; %bb.87:
	v_bcnt_u32_b32 v16, v16, 0
	v_bcnt_u32_b32 v16, v17, v16
	ds_write_b32 v37, v16 offset:16
.LBB231_88:
	s_or_b64 exec, exec, s[4:5]
	v_cmp_ne_u16_e32 vcc, s17, v32
	v_cndmask_b32_e32 v16, v35, v32, vcc
	v_and_b32_sdwa v16, s16, v16 dst_sel:DWORD dst_unused:UNUSED_PAD src0_sel:DWORD src1_sel:WORD_0
	v_lshlrev_b32_e32 v17, 2, v16
	v_add_lshl_u32 v40, v24, v17, 2
	v_and_b32_e32 v17, 1, v16
	v_add_co_u32_e32 v18, vcc, -1, v17
	v_addc_co_u32_e64 v19, s[4:5], 0, -1, vcc
	v_cmp_ne_u32_e32 vcc, 0, v17
	v_lshlrev_b32_e32 v23, 30, v16
	v_xor_b32_e32 v17, vcc_hi, v19
	v_not_b32_e32 v19, v23
	v_xor_b32_e32 v18, vcc_lo, v18
	v_cmp_gt_i64_e32 vcc, 0, v[22:23]
	v_ashrrev_i32_e32 v19, 31, v19
	v_and_b32_e32 v18, exec_lo, v18
	v_xor_b32_e32 v20, vcc_hi, v19
	v_xor_b32_e32 v19, vcc_lo, v19
	v_lshlrev_b32_e32 v23, 29, v16
	v_and_b32_e32 v18, v18, v19
	v_not_b32_e32 v19, v23
	v_and_b32_e32 v17, exec_hi, v17
	v_cmp_gt_i64_e32 vcc, 0, v[22:23]
	v_ashrrev_i32_e32 v19, 31, v19
	v_and_b32_e32 v17, v17, v20
	v_xor_b32_e32 v20, vcc_hi, v19
	v_xor_b32_e32 v19, vcc_lo, v19
	v_lshlrev_b32_e32 v23, 28, v16
	v_and_b32_e32 v18, v18, v19
	v_not_b32_e32 v19, v23
	v_cmp_gt_i64_e32 vcc, 0, v[22:23]
	v_ashrrev_i32_e32 v19, 31, v19
	v_and_b32_e32 v17, v17, v20
	v_xor_b32_e32 v20, vcc_hi, v19
	v_xor_b32_e32 v19, vcc_lo, v19
	v_lshlrev_b32_e32 v23, 27, v16
	v_and_b32_e32 v18, v18, v19
	v_not_b32_e32 v19, v23
	;; [unrolled: 8-line block ×3, first 2 shown]
	v_cmp_gt_i64_e32 vcc, 0, v[22:23]
	v_ashrrev_i32_e32 v19, 31, v19
	v_and_b32_e32 v17, v17, v20
	v_xor_b32_e32 v20, vcc_hi, v19
	v_xor_b32_e32 v19, vcc_lo, v19
	v_lshlrev_b32_e32 v23, 25, v16
	v_and_b32_e32 v18, v18, v19
	v_cmp_gt_i64_e32 vcc, 0, v[22:23]
	v_not_b32_e32 v19, v23
	v_lshlrev_b32_e32 v23, 24, v16
	v_ashrrev_i32_e32 v19, 31, v19
	v_not_b32_e32 v16, v23
	v_and_b32_e32 v17, v17, v20
	v_xor_b32_e32 v20, vcc_hi, v19
	v_xor_b32_e32 v19, vcc_lo, v19
	v_cmp_gt_i64_e32 vcc, 0, v[22:23]
	v_ashrrev_i32_e32 v16, 31, v16
	v_and_b32_e32 v18, v18, v19
	v_xor_b32_e32 v19, vcc_hi, v16
	v_xor_b32_e32 v16, vcc_lo, v16
	; wave barrier
	ds_read_b32 v39, v40 offset:16
	v_and_b32_e32 v17, v17, v20
	v_and_b32_e32 v16, v18, v16
	v_and_b32_e32 v17, v17, v19
	v_mbcnt_lo_u32_b32 v18, v16, 0
	v_mbcnt_hi_u32_b32 v41, v17, v18
	v_cmp_eq_u32_e32 vcc, 0, v41
	v_cmp_ne_u64_e64 s[4:5], 0, v[16:17]
	s_and_b64 s[18:19], s[4:5], vcc
	; wave barrier
	s_and_saveexec_b64 s[4:5], s[18:19]
	s_cbranch_execz .LBB231_90
; %bb.89:
	v_bcnt_u32_b32 v16, v16, 0
	v_bcnt_u32_b32 v16, v17, v16
	s_waitcnt lgkmcnt(0)
	v_add_u32_e32 v16, v39, v16
	ds_write_b32 v40, v16 offset:16
.LBB231_90:
	s_or_b64 exec, exec, s[4:5]
	v_mov_b32_e32 v20, 0x7fff
	v_cmp_ne_u16_e32 vcc, s17, v31
	v_cndmask_b32_e32 v16, v20, v31, vcc
	v_and_b32_sdwa v18, s16, v16 dst_sel:DWORD dst_unused:UNUSED_PAD src0_sel:DWORD src1_sel:WORD_0
	v_and_b32_e32 v17, 1, v18
	v_add_co_u32_e32 v19, vcc, -1, v17
	v_addc_co_u32_e64 v21, s[4:5], 0, -1, vcc
	v_cmp_ne_u32_e32 vcc, 0, v17
	v_lshlrev_b32_e32 v16, 2, v18
	v_xor_b32_e32 v17, vcc_hi, v21
	v_add_lshl_u32 v66, v24, v16, 2
	v_mov_b32_e32 v16, 0
	v_and_b32_e32 v21, exec_hi, v17
	v_lshlrev_b32_e32 v17, 30, v18
	v_xor_b32_e32 v19, vcc_lo, v19
	v_cmp_gt_i64_e32 vcc, 0, v[16:17]
	v_not_b32_e32 v17, v17
	v_ashrrev_i32_e32 v17, 31, v17
	v_and_b32_e32 v19, exec_lo, v19
	v_xor_b32_e32 v22, vcc_hi, v17
	v_xor_b32_e32 v17, vcc_lo, v17
	v_and_b32_e32 v19, v19, v17
	v_lshlrev_b32_e32 v17, 29, v18
	v_cmp_gt_i64_e32 vcc, 0, v[16:17]
	v_not_b32_e32 v17, v17
	v_ashrrev_i32_e32 v17, 31, v17
	v_and_b32_e32 v21, v21, v22
	v_xor_b32_e32 v22, vcc_hi, v17
	v_xor_b32_e32 v17, vcc_lo, v17
	v_and_b32_e32 v19, v19, v17
	v_lshlrev_b32_e32 v17, 28, v18
	v_cmp_gt_i64_e32 vcc, 0, v[16:17]
	v_not_b32_e32 v17, v17
	v_ashrrev_i32_e32 v17, 31, v17
	v_and_b32_e32 v21, v21, v22
	;; [unrolled: 8-line block ×5, first 2 shown]
	v_xor_b32_e32 v22, vcc_hi, v17
	v_xor_b32_e32 v17, vcc_lo, v17
	v_and_b32_e32 v21, v21, v22
	v_and_b32_e32 v22, v19, v17
	v_lshlrev_b32_e32 v17, 24, v18
	v_cmp_gt_i64_e32 vcc, 0, v[16:17]
	v_not_b32_e32 v17, v17
	v_ashrrev_i32_e32 v17, 31, v17
	v_xor_b32_e32 v18, vcc_hi, v17
	v_xor_b32_e32 v17, vcc_lo, v17
	; wave barrier
	ds_read_b32 v65, v66 offset:16
	v_and_b32_e32 v19, v21, v18
	v_and_b32_e32 v18, v22, v17
	v_mbcnt_lo_u32_b32 v17, v18, 0
	v_mbcnt_hi_u32_b32 v67, v19, v17
	v_cmp_eq_u32_e32 vcc, 0, v67
	v_cmp_ne_u64_e64 s[4:5], 0, v[18:19]
	s_and_b64 s[18:19], s[4:5], vcc
	; wave barrier
	s_and_saveexec_b64 s[4:5], s[18:19]
	s_cbranch_execz .LBB231_92
; %bb.91:
	v_bcnt_u32_b32 v17, v18, 0
	v_bcnt_u32_b32 v17, v19, v17
	s_waitcnt lgkmcnt(0)
	v_add_u32_e32 v17, v65, v17
	ds_write_b32 v66, v17 offset:16
.LBB231_92:
	s_or_b64 exec, exec, s[4:5]
	v_cmp_ne_u16_e32 vcc, s17, v30
	v_cndmask_b32_e32 v17, v20, v30, vcc
	v_and_b32_sdwa v18, s16, v17 dst_sel:DWORD dst_unused:UNUSED_PAD src0_sel:DWORD src1_sel:WORD_0
	v_lshlrev_b32_e32 v17, 2, v18
	v_add_lshl_u32 v69, v24, v17, 2
	v_and_b32_e32 v17, 1, v18
	v_add_co_u32_e32 v19, vcc, -1, v17
	v_addc_co_u32_e64 v20, s[4:5], 0, -1, vcc
	v_cmp_ne_u32_e32 vcc, 0, v17
	v_xor_b32_e32 v17, vcc_hi, v20
	v_and_b32_e32 v20, exec_hi, v17
	v_lshlrev_b32_e32 v17, 30, v18
	v_xor_b32_e32 v19, vcc_lo, v19
	v_cmp_gt_i64_e32 vcc, 0, v[16:17]
	v_not_b32_e32 v17, v17
	v_ashrrev_i32_e32 v17, 31, v17
	v_and_b32_e32 v19, exec_lo, v19
	v_xor_b32_e32 v21, vcc_hi, v17
	v_xor_b32_e32 v17, vcc_lo, v17
	v_and_b32_e32 v19, v19, v17
	v_lshlrev_b32_e32 v17, 29, v18
	v_cmp_gt_i64_e32 vcc, 0, v[16:17]
	v_not_b32_e32 v17, v17
	v_ashrrev_i32_e32 v17, 31, v17
	v_and_b32_e32 v20, v20, v21
	v_xor_b32_e32 v21, vcc_hi, v17
	v_xor_b32_e32 v17, vcc_lo, v17
	v_and_b32_e32 v19, v19, v17
	v_lshlrev_b32_e32 v17, 28, v18
	v_cmp_gt_i64_e32 vcc, 0, v[16:17]
	v_not_b32_e32 v17, v17
	v_ashrrev_i32_e32 v17, 31, v17
	v_and_b32_e32 v20, v20, v21
	;; [unrolled: 8-line block ×5, first 2 shown]
	v_xor_b32_e32 v21, vcc_hi, v17
	v_xor_b32_e32 v17, vcc_lo, v17
	v_and_b32_e32 v19, v19, v17
	v_lshlrev_b32_e32 v17, 24, v18
	v_cmp_gt_i64_e32 vcc, 0, v[16:17]
	v_not_b32_e32 v16, v17
	v_ashrrev_i32_e32 v16, 31, v16
	v_xor_b32_e32 v17, vcc_hi, v16
	v_xor_b32_e32 v16, vcc_lo, v16
	; wave barrier
	ds_read_b32 v68, v69 offset:16
	v_and_b32_e32 v20, v20, v21
	v_and_b32_e32 v16, v19, v16
	;; [unrolled: 1-line block ×3, first 2 shown]
	v_mbcnt_lo_u32_b32 v18, v16, 0
	v_mbcnt_hi_u32_b32 v70, v17, v18
	v_cmp_eq_u32_e32 vcc, 0, v70
	v_cmp_ne_u64_e64 s[4:5], 0, v[16:17]
	s_and_b64 s[18:19], s[4:5], vcc
	; wave barrier
	s_and_saveexec_b64 s[4:5], s[18:19]
	s_cbranch_execz .LBB231_94
; %bb.93:
	v_bcnt_u32_b32 v16, v16, 0
	v_bcnt_u32_b32 v16, v17, v16
	s_waitcnt lgkmcnt(0)
	v_add_u32_e32 v16, v68, v16
	ds_write_b32 v69, v16 offset:16
.LBB231_94:
	s_or_b64 exec, exec, s[4:5]
	v_mov_b32_e32 v20, 0x7fff
	v_cmp_ne_u16_e32 vcc, s17, v29
	v_cndmask_b32_e32 v16, v20, v29, vcc
	v_and_b32_sdwa v18, s16, v16 dst_sel:DWORD dst_unused:UNUSED_PAD src0_sel:DWORD src1_sel:WORD_0
	v_and_b32_e32 v17, 1, v18
	v_add_co_u32_e32 v19, vcc, -1, v17
	v_addc_co_u32_e64 v21, s[4:5], 0, -1, vcc
	v_cmp_ne_u32_e32 vcc, 0, v17
	v_lshlrev_b32_e32 v16, 2, v18
	v_xor_b32_e32 v17, vcc_hi, v21
	v_add_lshl_u32 v72, v24, v16, 2
	v_mov_b32_e32 v16, 0
	v_and_b32_e32 v21, exec_hi, v17
	v_lshlrev_b32_e32 v17, 30, v18
	v_xor_b32_e32 v19, vcc_lo, v19
	v_cmp_gt_i64_e32 vcc, 0, v[16:17]
	v_not_b32_e32 v17, v17
	v_ashrrev_i32_e32 v17, 31, v17
	v_and_b32_e32 v19, exec_lo, v19
	v_xor_b32_e32 v22, vcc_hi, v17
	v_xor_b32_e32 v17, vcc_lo, v17
	v_and_b32_e32 v19, v19, v17
	v_lshlrev_b32_e32 v17, 29, v18
	v_cmp_gt_i64_e32 vcc, 0, v[16:17]
	v_not_b32_e32 v17, v17
	v_ashrrev_i32_e32 v17, 31, v17
	v_and_b32_e32 v21, v21, v22
	v_xor_b32_e32 v22, vcc_hi, v17
	v_xor_b32_e32 v17, vcc_lo, v17
	v_and_b32_e32 v19, v19, v17
	v_lshlrev_b32_e32 v17, 28, v18
	v_cmp_gt_i64_e32 vcc, 0, v[16:17]
	v_not_b32_e32 v17, v17
	v_ashrrev_i32_e32 v17, 31, v17
	v_and_b32_e32 v21, v21, v22
	;; [unrolled: 8-line block ×5, first 2 shown]
	v_xor_b32_e32 v22, vcc_hi, v17
	v_xor_b32_e32 v17, vcc_lo, v17
	v_and_b32_e32 v21, v21, v22
	v_and_b32_e32 v22, v19, v17
	v_lshlrev_b32_e32 v17, 24, v18
	v_cmp_gt_i64_e32 vcc, 0, v[16:17]
	v_not_b32_e32 v17, v17
	v_ashrrev_i32_e32 v17, 31, v17
	v_xor_b32_e32 v18, vcc_hi, v17
	v_xor_b32_e32 v17, vcc_lo, v17
	; wave barrier
	ds_read_b32 v71, v72 offset:16
	v_and_b32_e32 v19, v21, v18
	v_and_b32_e32 v18, v22, v17
	v_mbcnt_lo_u32_b32 v17, v18, 0
	v_mbcnt_hi_u32_b32 v73, v19, v17
	v_cmp_eq_u32_e32 vcc, 0, v73
	v_cmp_ne_u64_e64 s[4:5], 0, v[18:19]
	s_and_b64 s[18:19], s[4:5], vcc
	; wave barrier
	s_and_saveexec_b64 s[4:5], s[18:19]
	s_cbranch_execz .LBB231_96
; %bb.95:
	v_bcnt_u32_b32 v17, v18, 0
	v_bcnt_u32_b32 v17, v19, v17
	s_waitcnt lgkmcnt(0)
	v_add_u32_e32 v17, v71, v17
	ds_write_b32 v72, v17 offset:16
.LBB231_96:
	s_or_b64 exec, exec, s[4:5]
	v_cmp_ne_u16_e32 vcc, s17, v28
	v_cndmask_b32_e32 v17, v20, v28, vcc
	v_and_b32_sdwa v18, s16, v17 dst_sel:DWORD dst_unused:UNUSED_PAD src0_sel:DWORD src1_sel:WORD_0
	v_lshlrev_b32_e32 v17, 2, v18
	v_add_lshl_u32 v75, v24, v17, 2
	v_and_b32_e32 v17, 1, v18
	v_add_co_u32_e32 v19, vcc, -1, v17
	v_addc_co_u32_e64 v20, s[4:5], 0, -1, vcc
	v_cmp_ne_u32_e32 vcc, 0, v17
	v_xor_b32_e32 v17, vcc_hi, v20
	v_and_b32_e32 v20, exec_hi, v17
	v_lshlrev_b32_e32 v17, 30, v18
	v_xor_b32_e32 v19, vcc_lo, v19
	v_cmp_gt_i64_e32 vcc, 0, v[16:17]
	v_not_b32_e32 v17, v17
	v_ashrrev_i32_e32 v17, 31, v17
	v_and_b32_e32 v19, exec_lo, v19
	v_xor_b32_e32 v21, vcc_hi, v17
	v_xor_b32_e32 v17, vcc_lo, v17
	v_and_b32_e32 v19, v19, v17
	v_lshlrev_b32_e32 v17, 29, v18
	v_cmp_gt_i64_e32 vcc, 0, v[16:17]
	v_not_b32_e32 v17, v17
	v_ashrrev_i32_e32 v17, 31, v17
	v_and_b32_e32 v20, v20, v21
	v_xor_b32_e32 v21, vcc_hi, v17
	v_xor_b32_e32 v17, vcc_lo, v17
	v_and_b32_e32 v19, v19, v17
	v_lshlrev_b32_e32 v17, 28, v18
	v_cmp_gt_i64_e32 vcc, 0, v[16:17]
	v_not_b32_e32 v17, v17
	v_ashrrev_i32_e32 v17, 31, v17
	v_and_b32_e32 v20, v20, v21
	;; [unrolled: 8-line block ×5, first 2 shown]
	v_xor_b32_e32 v21, vcc_hi, v17
	v_xor_b32_e32 v17, vcc_lo, v17
	v_and_b32_e32 v19, v19, v17
	v_lshlrev_b32_e32 v17, 24, v18
	v_cmp_gt_i64_e32 vcc, 0, v[16:17]
	v_not_b32_e32 v16, v17
	v_ashrrev_i32_e32 v16, 31, v16
	v_xor_b32_e32 v17, vcc_hi, v16
	v_xor_b32_e32 v16, vcc_lo, v16
	; wave barrier
	ds_read_b32 v74, v75 offset:16
	v_and_b32_e32 v20, v20, v21
	v_and_b32_e32 v16, v19, v16
	;; [unrolled: 1-line block ×3, first 2 shown]
	v_mbcnt_lo_u32_b32 v18, v16, 0
	v_mbcnt_hi_u32_b32 v76, v17, v18
	v_cmp_eq_u32_e32 vcc, 0, v76
	v_cmp_ne_u64_e64 s[4:5], 0, v[16:17]
	s_and_b64 s[18:19], s[4:5], vcc
	; wave barrier
	s_and_saveexec_b64 s[4:5], s[18:19]
	s_cbranch_execz .LBB231_98
; %bb.97:
	v_bcnt_u32_b32 v16, v16, 0
	v_bcnt_u32_b32 v16, v17, v16
	s_waitcnt lgkmcnt(0)
	v_add_u32_e32 v16, v74, v16
	ds_write_b32 v75, v16 offset:16
.LBB231_98:
	s_or_b64 exec, exec, s[4:5]
	v_mov_b32_e32 v20, 0x7fff
	v_cmp_ne_u16_e32 vcc, s17, v27
	v_cndmask_b32_e32 v16, v20, v27, vcc
	v_and_b32_sdwa v18, s16, v16 dst_sel:DWORD dst_unused:UNUSED_PAD src0_sel:DWORD src1_sel:WORD_0
	v_and_b32_e32 v17, 1, v18
	v_add_co_u32_e32 v19, vcc, -1, v17
	v_addc_co_u32_e64 v21, s[4:5], 0, -1, vcc
	v_cmp_ne_u32_e32 vcc, 0, v17
	v_lshlrev_b32_e32 v16, 2, v18
	v_xor_b32_e32 v17, vcc_hi, v21
	v_add_lshl_u32 v78, v24, v16, 2
	v_mov_b32_e32 v16, 0
	v_and_b32_e32 v21, exec_hi, v17
	v_lshlrev_b32_e32 v17, 30, v18
	v_xor_b32_e32 v19, vcc_lo, v19
	v_cmp_gt_i64_e32 vcc, 0, v[16:17]
	v_not_b32_e32 v17, v17
	v_ashrrev_i32_e32 v17, 31, v17
	v_and_b32_e32 v19, exec_lo, v19
	v_xor_b32_e32 v22, vcc_hi, v17
	v_xor_b32_e32 v17, vcc_lo, v17
	v_and_b32_e32 v19, v19, v17
	v_lshlrev_b32_e32 v17, 29, v18
	v_cmp_gt_i64_e32 vcc, 0, v[16:17]
	v_not_b32_e32 v17, v17
	v_ashrrev_i32_e32 v17, 31, v17
	v_and_b32_e32 v21, v21, v22
	v_xor_b32_e32 v22, vcc_hi, v17
	v_xor_b32_e32 v17, vcc_lo, v17
	v_and_b32_e32 v19, v19, v17
	v_lshlrev_b32_e32 v17, 28, v18
	v_cmp_gt_i64_e32 vcc, 0, v[16:17]
	v_not_b32_e32 v17, v17
	v_ashrrev_i32_e32 v17, 31, v17
	v_and_b32_e32 v21, v21, v22
	;; [unrolled: 8-line block ×5, first 2 shown]
	v_xor_b32_e32 v22, vcc_hi, v17
	v_xor_b32_e32 v17, vcc_lo, v17
	v_and_b32_e32 v21, v21, v22
	v_and_b32_e32 v22, v19, v17
	v_lshlrev_b32_e32 v17, 24, v18
	v_cmp_gt_i64_e32 vcc, 0, v[16:17]
	v_not_b32_e32 v17, v17
	v_ashrrev_i32_e32 v17, 31, v17
	v_xor_b32_e32 v18, vcc_hi, v17
	v_xor_b32_e32 v17, vcc_lo, v17
	; wave barrier
	ds_read_b32 v77, v78 offset:16
	v_and_b32_e32 v19, v21, v18
	v_and_b32_e32 v18, v22, v17
	v_mbcnt_lo_u32_b32 v17, v18, 0
	v_mbcnt_hi_u32_b32 v79, v19, v17
	v_cmp_eq_u32_e32 vcc, 0, v79
	v_cmp_ne_u64_e64 s[4:5], 0, v[18:19]
	s_and_b64 s[18:19], s[4:5], vcc
	; wave barrier
	s_and_saveexec_b64 s[4:5], s[18:19]
	s_cbranch_execz .LBB231_100
; %bb.99:
	v_bcnt_u32_b32 v17, v18, 0
	v_bcnt_u32_b32 v17, v19, v17
	s_waitcnt lgkmcnt(0)
	v_add_u32_e32 v17, v77, v17
	ds_write_b32 v78, v17 offset:16
.LBB231_100:
	s_or_b64 exec, exec, s[4:5]
	v_cmp_ne_u16_e32 vcc, s17, v25
	v_cndmask_b32_e32 v17, v20, v25, vcc
	v_and_b32_sdwa v18, s16, v17 dst_sel:DWORD dst_unused:UNUSED_PAD src0_sel:DWORD src1_sel:WORD_0
	v_lshlrev_b32_e32 v17, 2, v18
	v_add_lshl_u32 v81, v24, v17, 2
	v_and_b32_e32 v17, 1, v18
	v_add_co_u32_e32 v19, vcc, -1, v17
	v_addc_co_u32_e64 v20, s[4:5], 0, -1, vcc
	v_cmp_ne_u32_e32 vcc, 0, v17
	v_xor_b32_e32 v17, vcc_hi, v20
	v_and_b32_e32 v20, exec_hi, v17
	v_lshlrev_b32_e32 v17, 30, v18
	v_xor_b32_e32 v19, vcc_lo, v19
	v_cmp_gt_i64_e32 vcc, 0, v[16:17]
	v_not_b32_e32 v17, v17
	v_ashrrev_i32_e32 v17, 31, v17
	v_and_b32_e32 v19, exec_lo, v19
	v_xor_b32_e32 v21, vcc_hi, v17
	v_xor_b32_e32 v17, vcc_lo, v17
	v_and_b32_e32 v19, v19, v17
	v_lshlrev_b32_e32 v17, 29, v18
	v_cmp_gt_i64_e32 vcc, 0, v[16:17]
	v_not_b32_e32 v17, v17
	v_ashrrev_i32_e32 v17, 31, v17
	v_and_b32_e32 v20, v20, v21
	v_xor_b32_e32 v21, vcc_hi, v17
	v_xor_b32_e32 v17, vcc_lo, v17
	v_and_b32_e32 v19, v19, v17
	v_lshlrev_b32_e32 v17, 28, v18
	v_cmp_gt_i64_e32 vcc, 0, v[16:17]
	v_not_b32_e32 v17, v17
	v_ashrrev_i32_e32 v17, 31, v17
	v_and_b32_e32 v20, v20, v21
	;; [unrolled: 8-line block ×5, first 2 shown]
	v_xor_b32_e32 v21, vcc_hi, v17
	v_xor_b32_e32 v17, vcc_lo, v17
	v_and_b32_e32 v19, v19, v17
	v_lshlrev_b32_e32 v17, 24, v18
	v_cmp_gt_i64_e32 vcc, 0, v[16:17]
	v_not_b32_e32 v16, v17
	v_ashrrev_i32_e32 v16, 31, v16
	v_xor_b32_e32 v17, vcc_hi, v16
	v_xor_b32_e32 v16, vcc_lo, v16
	; wave barrier
	ds_read_b32 v80, v81 offset:16
	v_and_b32_e32 v20, v20, v21
	v_and_b32_e32 v16, v19, v16
	;; [unrolled: 1-line block ×3, first 2 shown]
	v_mbcnt_lo_u32_b32 v18, v16, 0
	v_mbcnt_hi_u32_b32 v82, v17, v18
	v_cmp_eq_u32_e32 vcc, 0, v82
	v_cmp_ne_u64_e64 s[4:5], 0, v[16:17]
	v_add_u32_e32 v22, 16, v64
	v_lshrrev_b32_e32 v23, 6, v46
	v_min_u32_e32 v34, 0xc0, v34
	s_and_b64 s[16:17], s[4:5], vcc
	; wave barrier
	s_and_saveexec_b64 s[4:5], s[16:17]
	s_cbranch_execz .LBB231_102
; %bb.101:
	v_bcnt_u32_b32 v16, v16, 0
	v_bcnt_u32_b32 v16, v17, v16
	s_waitcnt lgkmcnt(0)
	v_add_u32_e32 v16, v80, v16
	ds_write_b32 v81, v16 offset:16
.LBB231_102:
	s_or_b64 exec, exec, s[4:5]
	; wave barrier
	s_waitcnt lgkmcnt(0)
	s_barrier
	ds_read2_b32 v[18:19], v64 offset0:4 offset1:5
	ds_read2_b32 v[20:21], v22 offset0:2 offset1:3
	v_and_b32_e32 v17, 16, v26
	v_cmp_eq_u32_e32 vcc, 0, v17
	v_or_b32_e32 v17, 63, v34
	v_cmp_eq_u32_e64 s[16:17], v17, v46
	s_waitcnt lgkmcnt(1)
	v_add_u32_e32 v17, v19, v18
	v_and_b32_e32 v16, 15, v26
	s_waitcnt lgkmcnt(0)
	v_add3_u32 v17, v17, v20, v21
	v_cmp_eq_u32_e64 s[22:23], 0, v16
	v_cmp_lt_u32_e64 s[24:25], 1, v16
	v_mov_b32_dpp v21, v17 row_shr:1 row_mask:0xf bank_mask:0xf
	v_cndmask_b32_e64 v21, v21, 0, s[22:23]
	v_add_u32_e32 v17, v21, v17
	v_cmp_lt_u32_e64 s[28:29], 3, v16
	v_cmp_lt_u32_e64 s[30:31], 7, v16
	v_mov_b32_dpp v21, v17 row_shr:2 row_mask:0xf bank_mask:0xf
	v_cndmask_b32_e64 v21, 0, v21, s[24:25]
	v_add_u32_e32 v17, v17, v21
	v_bfe_i32 v35, v26, 4, 1
	v_cmp_lt_u32_e64 s[34:35], 31, v26
	v_mov_b32_dpp v21, v17 row_shr:4 row_mask:0xf bank_mask:0xf
	v_cndmask_b32_e64 v21, 0, v21, s[28:29]
	v_add_u32_e32 v17, v17, v21
	v_lshlrev_b32_e32 v23, 2, v23
	s_nop 0
	v_mov_b32_dpp v21, v17 row_shr:8 row_mask:0xf bank_mask:0xf
	v_cndmask_b32_e64 v16, 0, v21, s[30:31]
	v_add_u32_e32 v16, v17, v16
	s_nop 1
	v_mov_b32_dpp v17, v16 row_bcast:15 row_mask:0xf bank_mask:0xf
	v_and_b32_e32 v17, v35, v17
	v_add_u32_e32 v16, v16, v17
	s_nop 1
	v_mov_b32_dpp v17, v16 row_bcast:31 row_mask:0xf bank_mask:0xf
	v_cndmask_b32_e64 v17, 0, v17, s[34:35]
	v_add_u32_e32 v17, v16, v17
	s_and_saveexec_b64 s[4:5], s[16:17]
	s_cbranch_execz .LBB231_104
; %bb.103:
	ds_write_b32 v23, v17
.LBB231_104:
	s_or_b64 exec, exec, s[4:5]
	v_and_b32_e32 v16, 3, v26
	v_cmp_gt_u32_e64 s[26:27], 4, v46
	v_lshlrev_b32_e32 v21, 2, v46
	v_cmp_eq_u32_e64 s[20:21], 0, v16
	v_cmp_lt_u32_e64 s[18:19], 1, v16
	s_waitcnt lgkmcnt(0)
	s_barrier
	s_and_saveexec_b64 s[4:5], s[26:27]
	s_cbranch_execz .LBB231_106
; %bb.105:
	ds_read_b32 v16, v21
	s_waitcnt lgkmcnt(0)
	s_nop 0
	v_mov_b32_dpp v34, v16 row_shr:1 row_mask:0xf bank_mask:0xf
	v_cndmask_b32_e64 v34, v34, 0, s[20:21]
	v_add_u32_e32 v16, v34, v16
	s_nop 1
	v_mov_b32_dpp v34, v16 row_shr:2 row_mask:0xf bank_mask:0xf
	v_cndmask_b32_e64 v34, 0, v34, s[18:19]
	v_add_u32_e32 v16, v16, v34
	ds_write_b32 v21, v16
.LBB231_106:
	s_or_b64 exec, exec, s[4:5]
	v_cmp_lt_u32_e64 s[36:37], 63, v46
	v_add_u32_e32 v34, -4, v23
	v_mov_b32_e32 v16, 0
	v_mov_b32_e32 v83, 0
	s_waitcnt lgkmcnt(0)
	s_barrier
	s_and_saveexec_b64 s[4:5], s[36:37]
	s_cbranch_execz .LBB231_108
; %bb.107:
	ds_read_b32 v83, v34
.LBB231_108:
	s_or_b64 exec, exec, s[4:5]
	v_add_u32_e32 v35, -1, v26
	v_and_b32_e32 v84, 64, v26
	v_cmp_lt_i32_e64 s[4:5], v35, v84
	v_cndmask_b32_e64 v35, v35, v26, s[4:5]
	v_lshlrev_b32_e32 v35, 2, v35
	s_waitcnt lgkmcnt(0)
	v_add_u32_e32 v17, v83, v17
	ds_bpermute_b32 v17, v35, v17
	v_cmp_eq_u32_e64 s[38:39], 0, v26
	v_cmp_eq_u32_e64 s[40:41], 0, v46
	v_and_or_b32 v36, v26, 63, v36
	v_lshlrev_b32_e32 v84, 1, v36
	s_waitcnt lgkmcnt(0)
	v_cndmask_b32_e64 v17, v17, v83, s[38:39]
	v_cndmask_b32_e64 v17, v17, 0, s[40:41]
	v_add_u32_e32 v18, v17, v18
	v_add_u32_e32 v19, v18, v19
	v_add_u32_e32 v20, v19, v20
	ds_write2_b32 v64, v17, v18 offset0:4 offset1:5
	ds_write2_b32 v22, v19, v20 offset0:2 offset1:3
	s_waitcnt lgkmcnt(0)
	s_barrier
	ds_read_b32 v17, v37 offset:16
	ds_read_b32 v18, v40 offset:16
	;; [unrolled: 1-line block ×8, first 2 shown]
	s_waitcnt lgkmcnt(7)
	v_add_u32_e32 v17, v17, v38
	s_waitcnt lgkmcnt(6)
	v_add3_u32 v18, v41, v39, v18
	s_waitcnt lgkmcnt(4)
	v_add3_u32 v38, v70, v68, v20
	v_lshlrev_b32_e32 v20, 1, v17
	v_add3_u32 v19, v67, v65, v19
	s_waitcnt lgkmcnt(0)
	s_barrier
	ds_write_b16 v20, v33
	v_lshlrev_b32_e32 v20, 1, v18
	ds_write_b16 v20, v32
	v_lshlrev_b32_e32 v20, 1, v19
	v_add3_u32 v39, v73, v71, v26
	ds_write_b16 v20, v31
	v_lshlrev_b32_e32 v20, 1, v38
	v_add3_u32 v37, v76, v74, v37
	;; [unrolled: 3-line block ×4, first 2 shown]
	ds_write_b16 v20, v28
	v_lshlrev_b32_e32 v20, 1, v40
	ds_write_b16 v20, v27
	v_lshlrev_b32_e32 v20, 1, v41
	v_lshlrev_b32_e32 v17, 3, v17
	s_min_u32 s4, s44, 8
	ds_write_b16 v20, v25
	s_waitcnt lgkmcnt(0)
	s_barrier
	ds_read_u16 v31, v84
	ds_read_u16 v30, v84 offset:128
	ds_read_u16 v29, v84 offset:256
	;; [unrolled: 1-line block ×7, first 2 shown]
	s_waitcnt lgkmcnt(0)
	s_barrier
	ds_write_b64 v17, v[12:13]
	v_lshlrev_b32_e32 v12, 3, v18
	s_lshl_b32 s4, -1, s4
	s_movk_i32 s51, 0x8000
	ds_write_b64 v12, v[14:15]
	v_lshlrev_b32_e32 v12, 3, v19
	s_not_b32 s50, s4
	v_lshrrev_b16_e32 v17, 8, v31
	v_mov_b32_e32 v18, 0x7f
	v_cmp_ne_u16_e64 s[4:5], s51, v31
	ds_write_b64 v12, v[8:9]
	v_lshlrev_b32_e32 v8, 3, v38
	v_cndmask_b32_e64 v17, v18, v17, s[4:5]
	ds_write_b64 v8, v[10:11]
	v_lshlrev_b32_e32 v8, 3, v39
	v_and_b32_sdwa v19, v17, s50 dst_sel:DWORD dst_unused:UNUSED_PAD src0_sel:WORD_0 src1_sel:DWORD
	ds_write_b64 v8, v[4:5]
	v_lshlrev_b32_e32 v4, 3, v37
	v_lshlrev_b32_e32 v17, 2, v19
	ds_write_b64 v4, v[6:7]
	v_lshlrev_b32_e32 v4, 3, v40
	v_add_lshl_u32 v32, v17, v24, 2
	v_and_b32_e32 v17, 1, v19
	v_lshlrev_b32_e32 v36, 3, v36
	ds_write_b64 v4, v[0:1]
	v_lshlrev_b32_e32 v0, 3, v41
	v_add_co_u32_e64 v33, s[4:5], -1, v17
	ds_write_b64 v0, v[2:3]
	s_waitcnt lgkmcnt(0)
	s_barrier
	ds_read2st64_b64 v[12:15], v36 offset1:1
	ds_read2st64_b64 v[8:11], v36 offset0:2 offset1:3
	ds_read2st64_b64 v[4:7], v36 offset0:4 offset1:5
	;; [unrolled: 1-line block ×3, first 2 shown]
	v_addc_co_u32_e64 v36, s[4:5], 0, -1, s[4:5]
	v_cmp_ne_u32_e64 s[4:5], 0, v17
	v_xor_b32_e32 v17, s5, v36
	v_and_b32_e32 v36, exec_hi, v17
	v_lshlrev_b32_e32 v17, 30, v19
	v_xor_b32_e32 v33, s4, v33
	v_cmp_gt_i64_e64 s[4:5], 0, v[16:17]
	v_not_b32_e32 v17, v17
	v_ashrrev_i32_e32 v17, 31, v17
	v_and_b32_e32 v33, exec_lo, v33
	v_xor_b32_e32 v37, s5, v17
	v_xor_b32_e32 v17, s4, v17
	v_and_b32_e32 v33, v33, v17
	v_lshlrev_b32_e32 v17, 29, v19
	v_cmp_gt_i64_e64 s[4:5], 0, v[16:17]
	v_not_b32_e32 v17, v17
	v_ashrrev_i32_e32 v17, 31, v17
	v_and_b32_e32 v36, v36, v37
	v_xor_b32_e32 v37, s5, v17
	v_xor_b32_e32 v17, s4, v17
	v_and_b32_e32 v33, v33, v17
	v_lshlrev_b32_e32 v17, 28, v19
	v_cmp_gt_i64_e64 s[4:5], 0, v[16:17]
	v_not_b32_e32 v17, v17
	v_ashrrev_i32_e32 v17, 31, v17
	v_and_b32_e32 v36, v36, v37
	;; [unrolled: 8-line block ×5, first 2 shown]
	v_xor_b32_e32 v37, s5, v17
	v_xor_b32_e32 v17, s4, v17
	v_and_b32_e32 v33, v33, v17
	v_lshlrev_b32_e32 v17, 24, v19
	s_waitcnt lgkmcnt(0)
	s_barrier
	ds_write2_b32 v64, v16, v16 offset0:4 offset1:5
	ds_write2_b32 v22, v16, v16 offset0:2 offset1:3
	v_cmp_gt_i64_e64 s[4:5], 0, v[16:17]
	v_not_b32_e32 v16, v17
	v_ashrrev_i32_e32 v16, 31, v16
	v_xor_b32_e32 v17, s5, v16
	v_xor_b32_e32 v16, s4, v16
	v_and_b32_e32 v36, v36, v37
	v_and_b32_e32 v16, v33, v16
	;; [unrolled: 1-line block ×3, first 2 shown]
	v_mbcnt_lo_u32_b32 v19, v16, 0
	v_mbcnt_hi_u32_b32 v33, v17, v19
	v_cmp_eq_u32_e64 s[4:5], 0, v33
	v_cmp_ne_u64_e64 s[44:45], 0, v[16:17]
	s_and_b64 s[44:45], s[44:45], s[4:5]
	s_waitcnt lgkmcnt(0)
	s_barrier
	s_waitcnt lgkmcnt(0)
	; wave barrier
	s_and_saveexec_b64 s[4:5], s[44:45]
	s_cbranch_execz .LBB231_110
; %bb.109:
	v_bcnt_u32_b32 v16, v16, 0
	v_bcnt_u32_b32 v16, v17, v16
	ds_write_b32 v32, v16 offset:16
.LBB231_110:
	s_or_b64 exec, exec, s[4:5]
	v_lshrrev_b16_e32 v16, 8, v30
	v_cmp_ne_u16_e64 s[4:5], s51, v30
	v_cndmask_b32_e64 v16, v18, v16, s[4:5]
	v_and_b32_e32 v18, s50, v16
	v_and_b32_e32 v17, 1, v18
	v_add_co_u32_e64 v19, s[4:5], -1, v17
	v_addc_co_u32_e64 v38, s[4:5], 0, -1, s[4:5]
	v_cmp_ne_u32_e64 s[4:5], 0, v17
	v_lshlrev_b32_e32 v16, 2, v18
	v_xor_b32_e32 v17, s5, v38
	v_add_lshl_u32 v37, v16, v24, 2
	v_mov_b32_e32 v16, 0
	v_and_b32_e32 v38, exec_hi, v17
	v_lshlrev_b32_e32 v17, 30, v18
	v_xor_b32_e32 v19, s4, v19
	v_cmp_gt_i64_e64 s[4:5], 0, v[16:17]
	v_not_b32_e32 v17, v17
	v_ashrrev_i32_e32 v17, 31, v17
	v_and_b32_e32 v19, exec_lo, v19
	v_xor_b32_e32 v39, s5, v17
	v_xor_b32_e32 v17, s4, v17
	v_and_b32_e32 v19, v19, v17
	v_lshlrev_b32_e32 v17, 29, v18
	v_cmp_gt_i64_e64 s[4:5], 0, v[16:17]
	v_not_b32_e32 v17, v17
	v_ashrrev_i32_e32 v17, 31, v17
	v_and_b32_e32 v38, v38, v39
	v_xor_b32_e32 v39, s5, v17
	v_xor_b32_e32 v17, s4, v17
	v_and_b32_e32 v19, v19, v17
	v_lshlrev_b32_e32 v17, 28, v18
	v_cmp_gt_i64_e64 s[4:5], 0, v[16:17]
	v_not_b32_e32 v17, v17
	v_ashrrev_i32_e32 v17, 31, v17
	v_and_b32_e32 v38, v38, v39
	;; [unrolled: 8-line block ×5, first 2 shown]
	v_xor_b32_e32 v39, s5, v17
	v_xor_b32_e32 v17, s4, v17
	v_and_b32_e32 v38, v38, v39
	v_and_b32_e32 v39, v19, v17
	v_lshlrev_b32_e32 v17, 24, v18
	v_cmp_gt_i64_e64 s[4:5], 0, v[16:17]
	v_not_b32_e32 v17, v17
	v_ashrrev_i32_e32 v17, 31, v17
	v_xor_b32_e32 v18, s5, v17
	v_xor_b32_e32 v17, s4, v17
	; wave barrier
	ds_read_b32 v36, v37 offset:16
	v_and_b32_e32 v19, v38, v18
	v_and_b32_e32 v18, v39, v17
	v_mbcnt_lo_u32_b32 v17, v18, 0
	v_mbcnt_hi_u32_b32 v38, v19, v17
	v_cmp_eq_u32_e64 s[4:5], 0, v38
	v_cmp_ne_u64_e64 s[44:45], 0, v[18:19]
	s_and_b64 s[44:45], s[44:45], s[4:5]
	; wave barrier
	s_and_saveexec_b64 s[4:5], s[44:45]
	s_cbranch_execz .LBB231_112
; %bb.111:
	v_bcnt_u32_b32 v17, v18, 0
	v_bcnt_u32_b32 v17, v19, v17
	s_waitcnt lgkmcnt(0)
	v_add_u32_e32 v17, v36, v17
	ds_write_b32 v37, v17 offset:16
.LBB231_112:
	s_or_b64 exec, exec, s[4:5]
	v_lshrrev_b16_e32 v17, 8, v29
	v_mov_b32_e32 v18, 0x7f
	v_cmp_ne_u16_e64 s[4:5], s51, v29
	v_cndmask_b32_e64 v17, v18, v17, s[4:5]
	v_and_b32_e32 v19, s50, v17
	v_lshlrev_b32_e32 v17, 2, v19
	v_add_lshl_u32 v40, v17, v24, 2
	v_and_b32_e32 v17, 1, v19
	v_add_co_u32_e64 v41, s[4:5], -1, v17
	v_addc_co_u32_e64 v46, s[4:5], 0, -1, s[4:5]
	v_cmp_ne_u32_e64 s[4:5], 0, v17
	v_xor_b32_e32 v17, s5, v46
	v_and_b32_e32 v46, exec_hi, v17
	v_lshlrev_b32_e32 v17, 30, v19
	v_xor_b32_e32 v41, s4, v41
	v_cmp_gt_i64_e64 s[4:5], 0, v[16:17]
	v_not_b32_e32 v17, v17
	v_ashrrev_i32_e32 v17, 31, v17
	v_and_b32_e32 v41, exec_lo, v41
	v_xor_b32_e32 v65, s5, v17
	v_xor_b32_e32 v17, s4, v17
	v_and_b32_e32 v41, v41, v17
	v_lshlrev_b32_e32 v17, 29, v19
	v_cmp_gt_i64_e64 s[4:5], 0, v[16:17]
	v_not_b32_e32 v17, v17
	v_ashrrev_i32_e32 v17, 31, v17
	v_and_b32_e32 v46, v46, v65
	v_xor_b32_e32 v65, s5, v17
	v_xor_b32_e32 v17, s4, v17
	v_and_b32_e32 v41, v41, v17
	v_lshlrev_b32_e32 v17, 28, v19
	v_cmp_gt_i64_e64 s[4:5], 0, v[16:17]
	v_not_b32_e32 v17, v17
	v_ashrrev_i32_e32 v17, 31, v17
	v_and_b32_e32 v46, v46, v65
	;; [unrolled: 8-line block ×5, first 2 shown]
	v_xor_b32_e32 v65, s5, v17
	v_xor_b32_e32 v17, s4, v17
	v_and_b32_e32 v41, v41, v17
	v_lshlrev_b32_e32 v17, 24, v19
	v_cmp_gt_i64_e64 s[4:5], 0, v[16:17]
	v_not_b32_e32 v16, v17
	v_ashrrev_i32_e32 v16, 31, v16
	v_xor_b32_e32 v17, s5, v16
	v_xor_b32_e32 v16, s4, v16
	; wave barrier
	ds_read_b32 v39, v40 offset:16
	v_and_b32_e32 v46, v46, v65
	v_and_b32_e32 v16, v41, v16
	;; [unrolled: 1-line block ×3, first 2 shown]
	v_mbcnt_lo_u32_b32 v19, v16, 0
	v_mbcnt_hi_u32_b32 v41, v17, v19
	v_cmp_eq_u32_e64 s[4:5], 0, v41
	v_cmp_ne_u64_e64 s[44:45], 0, v[16:17]
	s_and_b64 s[44:45], s[44:45], s[4:5]
	; wave barrier
	s_and_saveexec_b64 s[4:5], s[44:45]
	s_cbranch_execz .LBB231_114
; %bb.113:
	v_bcnt_u32_b32 v16, v16, 0
	v_bcnt_u32_b32 v16, v17, v16
	s_waitcnt lgkmcnt(0)
	v_add_u32_e32 v16, v39, v16
	ds_write_b32 v40, v16 offset:16
.LBB231_114:
	s_or_b64 exec, exec, s[4:5]
	v_lshrrev_b16_e32 v16, 8, v28
	v_cmp_ne_u16_e64 s[4:5], s51, v28
	v_cndmask_b32_e64 v16, v18, v16, s[4:5]
	v_and_b32_e32 v18, s50, v16
	v_and_b32_e32 v17, 1, v18
	v_add_co_u32_e64 v19, s[4:5], -1, v17
	v_addc_co_u32_e64 v66, s[4:5], 0, -1, s[4:5]
	v_cmp_ne_u32_e64 s[4:5], 0, v17
	v_lshlrev_b32_e32 v16, 2, v18
	v_xor_b32_e32 v17, s5, v66
	v_add_lshl_u32 v65, v16, v24, 2
	v_mov_b32_e32 v16, 0
	v_and_b32_e32 v66, exec_hi, v17
	v_lshlrev_b32_e32 v17, 30, v18
	v_xor_b32_e32 v19, s4, v19
	v_cmp_gt_i64_e64 s[4:5], 0, v[16:17]
	v_not_b32_e32 v17, v17
	v_ashrrev_i32_e32 v17, 31, v17
	v_and_b32_e32 v19, exec_lo, v19
	v_xor_b32_e32 v67, s5, v17
	v_xor_b32_e32 v17, s4, v17
	v_and_b32_e32 v19, v19, v17
	v_lshlrev_b32_e32 v17, 29, v18
	v_cmp_gt_i64_e64 s[4:5], 0, v[16:17]
	v_not_b32_e32 v17, v17
	v_ashrrev_i32_e32 v17, 31, v17
	v_and_b32_e32 v66, v66, v67
	v_xor_b32_e32 v67, s5, v17
	v_xor_b32_e32 v17, s4, v17
	v_and_b32_e32 v19, v19, v17
	v_lshlrev_b32_e32 v17, 28, v18
	v_cmp_gt_i64_e64 s[4:5], 0, v[16:17]
	v_not_b32_e32 v17, v17
	v_ashrrev_i32_e32 v17, 31, v17
	v_and_b32_e32 v66, v66, v67
	;; [unrolled: 8-line block ×5, first 2 shown]
	v_xor_b32_e32 v67, s5, v17
	v_xor_b32_e32 v17, s4, v17
	v_and_b32_e32 v66, v66, v67
	v_and_b32_e32 v67, v19, v17
	v_lshlrev_b32_e32 v17, 24, v18
	v_cmp_gt_i64_e64 s[4:5], 0, v[16:17]
	v_not_b32_e32 v17, v17
	v_ashrrev_i32_e32 v17, 31, v17
	v_xor_b32_e32 v18, s5, v17
	v_xor_b32_e32 v17, s4, v17
	; wave barrier
	ds_read_b32 v46, v65 offset:16
	v_and_b32_e32 v19, v66, v18
	v_and_b32_e32 v18, v67, v17
	v_mbcnt_lo_u32_b32 v17, v18, 0
	v_mbcnt_hi_u32_b32 v66, v19, v17
	v_cmp_eq_u32_e64 s[4:5], 0, v66
	v_cmp_ne_u64_e64 s[44:45], 0, v[18:19]
	s_and_b64 s[44:45], s[44:45], s[4:5]
	; wave barrier
	s_and_saveexec_b64 s[4:5], s[44:45]
	s_cbranch_execz .LBB231_116
; %bb.115:
	v_bcnt_u32_b32 v17, v18, 0
	v_bcnt_u32_b32 v17, v19, v17
	s_waitcnt lgkmcnt(0)
	v_add_u32_e32 v17, v46, v17
	ds_write_b32 v65, v17 offset:16
.LBB231_116:
	s_or_b64 exec, exec, s[4:5]
	v_lshrrev_b16_e32 v17, 8, v27
	v_mov_b32_e32 v18, 0x7f
	v_cmp_ne_u16_e64 s[4:5], s51, v27
	v_cndmask_b32_e64 v17, v18, v17, s[4:5]
	v_and_b32_e32 v19, s50, v17
	v_lshlrev_b32_e32 v17, 2, v19
	v_add_lshl_u32 v68, v17, v24, 2
	v_and_b32_e32 v17, 1, v19
	v_add_co_u32_e64 v69, s[4:5], -1, v17
	v_addc_co_u32_e64 v70, s[4:5], 0, -1, s[4:5]
	v_cmp_ne_u32_e64 s[4:5], 0, v17
	v_xor_b32_e32 v17, s5, v70
	v_and_b32_e32 v70, exec_hi, v17
	v_lshlrev_b32_e32 v17, 30, v19
	v_xor_b32_e32 v69, s4, v69
	v_cmp_gt_i64_e64 s[4:5], 0, v[16:17]
	v_not_b32_e32 v17, v17
	v_ashrrev_i32_e32 v17, 31, v17
	v_and_b32_e32 v69, exec_lo, v69
	v_xor_b32_e32 v71, s5, v17
	v_xor_b32_e32 v17, s4, v17
	v_and_b32_e32 v69, v69, v17
	v_lshlrev_b32_e32 v17, 29, v19
	v_cmp_gt_i64_e64 s[4:5], 0, v[16:17]
	v_not_b32_e32 v17, v17
	v_ashrrev_i32_e32 v17, 31, v17
	v_and_b32_e32 v70, v70, v71
	v_xor_b32_e32 v71, s5, v17
	v_xor_b32_e32 v17, s4, v17
	v_and_b32_e32 v69, v69, v17
	v_lshlrev_b32_e32 v17, 28, v19
	v_cmp_gt_i64_e64 s[4:5], 0, v[16:17]
	v_not_b32_e32 v17, v17
	v_ashrrev_i32_e32 v17, 31, v17
	v_and_b32_e32 v70, v70, v71
	;; [unrolled: 8-line block ×5, first 2 shown]
	v_xor_b32_e32 v71, s5, v17
	v_xor_b32_e32 v17, s4, v17
	v_and_b32_e32 v69, v69, v17
	v_lshlrev_b32_e32 v17, 24, v19
	v_cmp_gt_i64_e64 s[4:5], 0, v[16:17]
	v_not_b32_e32 v16, v17
	v_ashrrev_i32_e32 v16, 31, v16
	v_xor_b32_e32 v17, s5, v16
	v_xor_b32_e32 v16, s4, v16
	; wave barrier
	ds_read_b32 v67, v68 offset:16
	v_and_b32_e32 v70, v70, v71
	v_and_b32_e32 v16, v69, v16
	;; [unrolled: 1-line block ×3, first 2 shown]
	v_mbcnt_lo_u32_b32 v19, v16, 0
	v_mbcnt_hi_u32_b32 v69, v17, v19
	v_cmp_eq_u32_e64 s[4:5], 0, v69
	v_cmp_ne_u64_e64 s[44:45], 0, v[16:17]
	s_and_b64 s[44:45], s[44:45], s[4:5]
	; wave barrier
	s_and_saveexec_b64 s[4:5], s[44:45]
	s_cbranch_execz .LBB231_118
; %bb.117:
	v_bcnt_u32_b32 v16, v16, 0
	v_bcnt_u32_b32 v16, v17, v16
	s_waitcnt lgkmcnt(0)
	v_add_u32_e32 v16, v67, v16
	ds_write_b32 v68, v16 offset:16
.LBB231_118:
	s_or_b64 exec, exec, s[4:5]
	v_lshrrev_b16_e32 v16, 8, v26
	v_cmp_ne_u16_e64 s[4:5], s51, v26
	v_cndmask_b32_e64 v16, v18, v16, s[4:5]
	v_and_b32_e32 v18, s50, v16
	v_and_b32_e32 v17, 1, v18
	v_add_co_u32_e64 v19, s[4:5], -1, v17
	v_addc_co_u32_e64 v72, s[4:5], 0, -1, s[4:5]
	v_cmp_ne_u32_e64 s[4:5], 0, v17
	v_lshlrev_b32_e32 v16, 2, v18
	v_xor_b32_e32 v17, s5, v72
	v_add_lshl_u32 v71, v16, v24, 2
	v_mov_b32_e32 v16, 0
	v_and_b32_e32 v72, exec_hi, v17
	v_lshlrev_b32_e32 v17, 30, v18
	v_xor_b32_e32 v19, s4, v19
	v_cmp_gt_i64_e64 s[4:5], 0, v[16:17]
	v_not_b32_e32 v17, v17
	v_ashrrev_i32_e32 v17, 31, v17
	v_and_b32_e32 v19, exec_lo, v19
	v_xor_b32_e32 v73, s5, v17
	v_xor_b32_e32 v17, s4, v17
	v_and_b32_e32 v19, v19, v17
	v_lshlrev_b32_e32 v17, 29, v18
	v_cmp_gt_i64_e64 s[4:5], 0, v[16:17]
	v_not_b32_e32 v17, v17
	v_ashrrev_i32_e32 v17, 31, v17
	v_and_b32_e32 v72, v72, v73
	v_xor_b32_e32 v73, s5, v17
	v_xor_b32_e32 v17, s4, v17
	v_and_b32_e32 v19, v19, v17
	v_lshlrev_b32_e32 v17, 28, v18
	v_cmp_gt_i64_e64 s[4:5], 0, v[16:17]
	v_not_b32_e32 v17, v17
	v_ashrrev_i32_e32 v17, 31, v17
	v_and_b32_e32 v72, v72, v73
	;; [unrolled: 8-line block ×5, first 2 shown]
	v_xor_b32_e32 v73, s5, v17
	v_xor_b32_e32 v17, s4, v17
	v_and_b32_e32 v72, v72, v73
	v_and_b32_e32 v73, v19, v17
	v_lshlrev_b32_e32 v17, 24, v18
	v_cmp_gt_i64_e64 s[4:5], 0, v[16:17]
	v_not_b32_e32 v17, v17
	v_ashrrev_i32_e32 v17, 31, v17
	v_xor_b32_e32 v18, s5, v17
	v_xor_b32_e32 v17, s4, v17
	; wave barrier
	ds_read_b32 v70, v71 offset:16
	v_and_b32_e32 v19, v72, v18
	v_and_b32_e32 v18, v73, v17
	v_mbcnt_lo_u32_b32 v17, v18, 0
	v_mbcnt_hi_u32_b32 v72, v19, v17
	v_cmp_eq_u32_e64 s[4:5], 0, v72
	v_cmp_ne_u64_e64 s[44:45], 0, v[18:19]
	s_and_b64 s[44:45], s[44:45], s[4:5]
	; wave barrier
	s_and_saveexec_b64 s[4:5], s[44:45]
	s_cbranch_execz .LBB231_120
; %bb.119:
	v_bcnt_u32_b32 v17, v18, 0
	v_bcnt_u32_b32 v17, v19, v17
	s_waitcnt lgkmcnt(0)
	v_add_u32_e32 v17, v70, v17
	ds_write_b32 v71, v17 offset:16
.LBB231_120:
	s_or_b64 exec, exec, s[4:5]
	v_lshrrev_b16_e32 v17, 8, v25
	v_mov_b32_e32 v18, 0x7f
	v_cmp_ne_u16_e64 s[4:5], s51, v25
	v_cndmask_b32_e64 v17, v18, v17, s[4:5]
	v_and_b32_e32 v19, s50, v17
	v_lshlrev_b32_e32 v17, 2, v19
	v_add_lshl_u32 v74, v17, v24, 2
	v_and_b32_e32 v17, 1, v19
	v_add_co_u32_e64 v75, s[4:5], -1, v17
	v_addc_co_u32_e64 v76, s[4:5], 0, -1, s[4:5]
	v_cmp_ne_u32_e64 s[4:5], 0, v17
	v_xor_b32_e32 v17, s5, v76
	v_and_b32_e32 v76, exec_hi, v17
	v_lshlrev_b32_e32 v17, 30, v19
	v_xor_b32_e32 v75, s4, v75
	v_cmp_gt_i64_e64 s[4:5], 0, v[16:17]
	v_not_b32_e32 v17, v17
	v_ashrrev_i32_e32 v17, 31, v17
	v_and_b32_e32 v75, exec_lo, v75
	v_xor_b32_e32 v77, s5, v17
	v_xor_b32_e32 v17, s4, v17
	v_and_b32_e32 v75, v75, v17
	v_lshlrev_b32_e32 v17, 29, v19
	v_cmp_gt_i64_e64 s[4:5], 0, v[16:17]
	v_not_b32_e32 v17, v17
	v_ashrrev_i32_e32 v17, 31, v17
	v_and_b32_e32 v76, v76, v77
	v_xor_b32_e32 v77, s5, v17
	v_xor_b32_e32 v17, s4, v17
	v_and_b32_e32 v75, v75, v17
	v_lshlrev_b32_e32 v17, 28, v19
	v_cmp_gt_i64_e64 s[4:5], 0, v[16:17]
	v_not_b32_e32 v17, v17
	v_ashrrev_i32_e32 v17, 31, v17
	v_and_b32_e32 v76, v76, v77
	;; [unrolled: 8-line block ×5, first 2 shown]
	v_xor_b32_e32 v77, s5, v17
	v_xor_b32_e32 v17, s4, v17
	v_and_b32_e32 v75, v75, v17
	v_lshlrev_b32_e32 v17, 24, v19
	v_cmp_gt_i64_e64 s[4:5], 0, v[16:17]
	v_not_b32_e32 v16, v17
	v_ashrrev_i32_e32 v16, 31, v16
	v_xor_b32_e32 v17, s5, v16
	v_xor_b32_e32 v16, s4, v16
	; wave barrier
	ds_read_b32 v73, v74 offset:16
	v_and_b32_e32 v76, v76, v77
	v_and_b32_e32 v16, v75, v16
	;; [unrolled: 1-line block ×3, first 2 shown]
	v_mbcnt_lo_u32_b32 v19, v16, 0
	v_mbcnt_hi_u32_b32 v75, v17, v19
	v_cmp_eq_u32_e64 s[4:5], 0, v75
	v_cmp_ne_u64_e64 s[44:45], 0, v[16:17]
	s_and_b64 s[44:45], s[44:45], s[4:5]
	; wave barrier
	s_and_saveexec_b64 s[4:5], s[44:45]
	s_cbranch_execz .LBB231_122
; %bb.121:
	v_bcnt_u32_b32 v16, v16, 0
	v_bcnt_u32_b32 v16, v17, v16
	s_waitcnt lgkmcnt(0)
	v_add_u32_e32 v16, v73, v16
	ds_write_b32 v74, v16 offset:16
.LBB231_122:
	s_or_b64 exec, exec, s[4:5]
	v_lshrrev_b16_e32 v16, 8, v20
	v_cmp_ne_u16_e64 s[4:5], s51, v20
	v_cndmask_b32_e64 v16, v18, v16, s[4:5]
	v_and_b32_e32 v18, s50, v16
	v_and_b32_e32 v17, 1, v18
	v_add_co_u32_e64 v19, s[4:5], -1, v17
	v_addc_co_u32_e64 v77, s[4:5], 0, -1, s[4:5]
	v_cmp_ne_u32_e64 s[4:5], 0, v17
	v_lshlrev_b32_e32 v16, 2, v18
	v_xor_b32_e32 v17, s5, v77
	v_add_lshl_u32 v76, v16, v24, 2
	v_mov_b32_e32 v16, 0
	v_and_b32_e32 v77, exec_hi, v17
	v_lshlrev_b32_e32 v17, 30, v18
	v_xor_b32_e32 v19, s4, v19
	v_cmp_gt_i64_e64 s[4:5], 0, v[16:17]
	v_not_b32_e32 v17, v17
	v_ashrrev_i32_e32 v17, 31, v17
	v_and_b32_e32 v19, exec_lo, v19
	v_xor_b32_e32 v78, s5, v17
	v_xor_b32_e32 v17, s4, v17
	v_and_b32_e32 v19, v19, v17
	v_lshlrev_b32_e32 v17, 29, v18
	v_cmp_gt_i64_e64 s[4:5], 0, v[16:17]
	v_not_b32_e32 v17, v17
	v_ashrrev_i32_e32 v17, 31, v17
	v_and_b32_e32 v77, v77, v78
	v_xor_b32_e32 v78, s5, v17
	v_xor_b32_e32 v17, s4, v17
	v_and_b32_e32 v19, v19, v17
	v_lshlrev_b32_e32 v17, 28, v18
	v_cmp_gt_i64_e64 s[4:5], 0, v[16:17]
	v_not_b32_e32 v17, v17
	v_ashrrev_i32_e32 v17, 31, v17
	v_and_b32_e32 v77, v77, v78
	;; [unrolled: 8-line block ×5, first 2 shown]
	v_xor_b32_e32 v78, s5, v17
	v_xor_b32_e32 v17, s4, v17
	v_and_b32_e32 v19, v19, v17
	v_lshlrev_b32_e32 v17, 24, v18
	v_cmp_gt_i64_e64 s[4:5], 0, v[16:17]
	v_not_b32_e32 v16, v17
	v_ashrrev_i32_e32 v16, 31, v16
	v_xor_b32_e32 v17, s5, v16
	v_xor_b32_e32 v16, s4, v16
	; wave barrier
	ds_read_b32 v24, v76 offset:16
	v_and_b32_e32 v77, v77, v78
	v_and_b32_e32 v16, v19, v16
	;; [unrolled: 1-line block ×3, first 2 shown]
	v_mbcnt_lo_u32_b32 v18, v16, 0
	v_mbcnt_hi_u32_b32 v77, v17, v18
	v_cmp_eq_u32_e64 s[4:5], 0, v77
	v_cmp_ne_u64_e64 s[44:45], 0, v[16:17]
	s_and_b64 s[44:45], s[44:45], s[4:5]
	; wave barrier
	s_and_saveexec_b64 s[4:5], s[44:45]
	s_cbranch_execz .LBB231_124
; %bb.123:
	v_bcnt_u32_b32 v16, v16, 0
	v_bcnt_u32_b32 v16, v17, v16
	s_waitcnt lgkmcnt(0)
	v_add_u32_e32 v16, v24, v16
	ds_write_b32 v76, v16 offset:16
.LBB231_124:
	s_or_b64 exec, exec, s[4:5]
	; wave barrier
	s_waitcnt lgkmcnt(0)
	s_barrier
	ds_read2_b32 v[18:19], v64 offset0:4 offset1:5
	ds_read2_b32 v[16:17], v22 offset0:2 offset1:3
	s_waitcnt lgkmcnt(1)
	v_add_u32_e32 v78, v19, v18
	s_waitcnt lgkmcnt(0)
	v_add3_u32 v17, v78, v16, v17
	s_nop 1
	v_mov_b32_dpp v78, v17 row_shr:1 row_mask:0xf bank_mask:0xf
	v_cndmask_b32_e64 v78, v78, 0, s[22:23]
	v_add_u32_e32 v17, v78, v17
	s_nop 1
	v_mov_b32_dpp v78, v17 row_shr:2 row_mask:0xf bank_mask:0xf
	v_cndmask_b32_e64 v78, 0, v78, s[24:25]
	v_add_u32_e32 v17, v17, v78
	;; [unrolled: 4-line block ×4, first 2 shown]
	s_nop 1
	v_mov_b32_dpp v78, v17 row_bcast:15 row_mask:0xf bank_mask:0xf
	v_cndmask_b32_e64 v78, v78, 0, vcc
	v_add_u32_e32 v17, v17, v78
	s_nop 1
	v_mov_b32_dpp v78, v17 row_bcast:31 row_mask:0xf bank_mask:0xf
	v_cndmask_b32_e64 v78, 0, v78, s[34:35]
	v_add_u32_e32 v78, v17, v78
	s_and_saveexec_b64 s[4:5], s[16:17]
	s_cbranch_execz .LBB231_126
; %bb.125:
	ds_write_b32 v23, v78
.LBB231_126:
	s_or_b64 exec, exec, s[4:5]
	s_waitcnt lgkmcnt(0)
	s_barrier
	s_and_saveexec_b64 s[4:5], s[26:27]
	s_cbranch_execz .LBB231_128
; %bb.127:
	ds_read_b32 v17, v21
	s_waitcnt lgkmcnt(0)
	s_nop 0
	v_mov_b32_dpp v23, v17 row_shr:1 row_mask:0xf bank_mask:0xf
	v_cndmask_b32_e64 v23, v23, 0, s[20:21]
	v_add_u32_e32 v17, v23, v17
	s_nop 1
	v_mov_b32_dpp v23, v17 row_shr:2 row_mask:0xf bank_mask:0xf
	v_cndmask_b32_e64 v23, 0, v23, s[18:19]
	v_add_u32_e32 v17, v17, v23
	ds_write_b32 v21, v17
.LBB231_128:
	s_or_b64 exec, exec, s[4:5]
	v_mov_b32_e32 v17, 0
	v_mov_b32_e32 v21, 0
	s_waitcnt lgkmcnt(0)
	s_barrier
	s_and_saveexec_b64 s[4:5], s[36:37]
	s_cbranch_execz .LBB231_130
; %bb.129:
	ds_read_b32 v21, v34
.LBB231_130:
	s_or_b64 exec, exec, s[4:5]
	s_waitcnt lgkmcnt(0)
	v_add_u32_e32 v23, v21, v78
	ds_bpermute_b32 v23, v35, v23
	v_lshlrev_b32_e32 v34, 3, v63
	s_mov_b32 s16, 0x5040100
	s_waitcnt lgkmcnt(0)
	v_cndmask_b32_e64 v21, v23, v21, s[38:39]
	v_cndmask_b32_e64 v21, v21, 0, s[40:41]
	v_add_u32_e32 v18, v21, v18
	v_add_u32_e32 v19, v18, v19
	;; [unrolled: 1-line block ×3, first 2 shown]
	ds_write2_b32 v64, v21, v18 offset0:4 offset1:5
	ds_write2_b32 v22, v19, v16 offset0:2 offset1:3
	s_waitcnt lgkmcnt(0)
	s_barrier
	ds_read_b32 v16, v76 offset:16
	ds_read_b32 v18, v74 offset:16
	;; [unrolled: 1-line block ×4, first 2 shown]
	s_waitcnt lgkmcnt(3)
	v_add3_u32 v16, v77, v24, v16
	ds_read_b32 v22, v65 offset:16
	ds_read_b32 v23, v40 offset:16
	;; [unrolled: 1-line block ×4, first 2 shown]
	s_waitcnt lgkmcnt(0)
	s_barrier
	v_add3_u32 v23, v41, v39, v23
	v_add3_u32 v24, v38, v36, v24
	v_add_u32_e32 v32, v32, v33
	v_lshlrev_b32_e32 v33, 1, v32
	ds_write_b16 v33, v31
	v_lshlrev_b32_e32 v31, 1, v24
	v_add3_u32 v22, v66, v46, v22
	ds_write_b16 v31, v30
	v_lshlrev_b32_e32 v30, 1, v23
	v_add3_u32 v21, v69, v67, v21
	;; [unrolled: 3-line block ×4, first 2 shown]
	ds_write_b16 v28, v27
	v_lshlrev_b32_e32 v27, 1, v19
	ds_write_b16 v27, v26
	v_lshlrev_b32_e32 v26, 1, v18
	;; [unrolled: 2-line block ×4, first 2 shown]
	s_waitcnt lgkmcnt(0)
	s_barrier
	v_lshlrev_b32_e32 v26, 3, v21
	v_lshlrev_b32_e32 v27, 3, v19
	v_lshlrev_b32_e32 v28, 3, v18
	ds_read_b128 v[18:21], v20
	v_mov_b32_e32 v40, -1
	v_mov_b32_e32 v41, 0x7fff
	v_lshlrev_b32_e32 v25, 3, v32
	v_lshlrev_b32_e32 v24, 3, v24
	s_waitcnt lgkmcnt(0)
	v_cmp_gt_i16_sdwa vcc, v18, v40 src0_sel:WORD_1 src1_sel:DWORD
	v_cndmask_b32_e32 v29, 0, v41, vcc
	v_cmp_lt_i16_e32 vcc, -1, v18
	v_cndmask_b32_e32 v30, 0, v41, vcc
	v_cmp_lt_i16_sdwa s[4:5], v19, v17 src0_sel:WORD_1 src1_sel:DWORD
	v_cmp_gt_i16_e32 vcc, 0, v19
	v_cndmask_b32_e64 v31, v41, 0, s[4:5]
	v_cndmask_b32_e64 v32, v41, 0, vcc
	v_lshlrev_b32_e32 v23, 3, v23
	v_lshlrev_b32_e32 v22, 3, v22
	v_xor_b32_e32 v32, v32, v19
	v_xor_b32_sdwa v19, v31, v19 dst_sel:DWORD dst_unused:UNUSED_PAD src0_sel:DWORD src1_sel:WORD_1
	v_lshlrev_b32_e32 v16, 3, v16
	v_perm_b32 v39, v19, v32, s16
	v_xor_b32_e32 v19, v30, v18
	v_xor_b32_sdwa v18, v29, v18 dst_sel:DWORD dst_unused:UNUSED_PAD src0_sel:DWORD src1_sel:WORD_1
	s_barrier
	ds_write_b64 v25, v[12:13]
	ds_write_b64 v24, v[14:15]
	ds_write_b64 v23, v[8:9]
	ds_write_b64 v22, v[10:11]
	ds_write_b64 v26, v[4:5]
	ds_write_b64 v27, v[6:7]
	ds_write_b64 v28, v[0:1]
	ds_write_b64 v16, v[2:3]
	s_waitcnt lgkmcnt(0)
	s_barrier
	ds_read2_b64 v[22:25], v34 offset1:1
	ds_read2_b64 v[26:29], v34 offset0:2 offset1:3
	ds_read2_b64 v[30:33], v34 offset0:4 offset1:5
	;; [unrolled: 1-line block ×3, first 2 shown]
	v_cmp_gt_i16_sdwa vcc, v20, v40 src0_sel:WORD_1 src1_sel:DWORD
	v_cndmask_b32_e32 v0, 0, v41, vcc
	v_cmp_lt_i16_e32 vcc, -1, v20
	v_cndmask_b32_e32 v1, 0, v41, vcc
	v_cmp_lt_i16_sdwa s[4:5], v21, v17 src0_sel:WORD_1 src1_sel:DWORD
	v_cmp_gt_i16_e32 vcc, 0, v21
	v_cndmask_b32_e64 v2, v41, 0, s[4:5]
	v_cndmask_b32_e64 v3, v41, 0, vcc
	v_xor_b32_e32 v3, v3, v21
	v_xor_b32_sdwa v2, v2, v21 dst_sel:DWORD dst_unused:UNUSED_PAD src0_sel:DWORD src1_sel:WORD_1
	v_xor_b32_e32 v1, v1, v20
	v_xor_b32_sdwa v0, v0, v20 dst_sel:DWORD dst_unused:UNUSED_PAD src0_sel:DWORD src1_sel:WORD_1
	v_perm_b32 v38, v18, v19, s16
	v_perm_b32 v41, v2, v3, s16
	;; [unrolled: 1-line block ×3, first 2 shown]
.LBB231_131:
	s_waitcnt lgkmcnt(0)
	s_barrier
	ds_write_b128 v54, v[38:41]
	s_waitcnt lgkmcnt(0)
	s_barrier
	ds_read_u16 v8, v43 offset:512
	ds_read_u16 v7, v48 offset:1024
	;; [unrolled: 1-line block ×7, first 2 shown]
	v_mov_b32_e32 v43, 0
	v_lshlrev_b64 v[0:1], 1, v[42:43]
	v_mov_b32_e32 v9, s47
	v_add_co_u32_e32 v0, vcc, s33, v0
	v_addc_co_u32_e32 v1, vcc, v9, v1, vcc
	s_and_saveexec_b64 s[4:5], s[0:1]
	s_cbranch_execnz .LBB231_150
; %bb.132:
	s_or_b64 exec, exec, s[4:5]
	s_and_saveexec_b64 s[4:5], s[2:3]
	s_cbranch_execnz .LBB231_151
.LBB231_133:
	s_or_b64 exec, exec, s[4:5]
	s_and_saveexec_b64 s[4:5], s[42:43]
	s_cbranch_execnz .LBB231_152
.LBB231_134:
	s_or_b64 exec, exec, s[4:5]
	s_and_saveexec_b64 s[4:5], s[6:7]
	s_cbranch_execnz .LBB231_153
.LBB231_135:
	s_or_b64 exec, exec, s[4:5]
	s_and_saveexec_b64 s[4:5], s[8:9]
	s_cbranch_execnz .LBB231_154
.LBB231_136:
	s_or_b64 exec, exec, s[4:5]
	s_and_saveexec_b64 s[4:5], s[10:11]
	s_cbranch_execnz .LBB231_155
.LBB231_137:
	s_or_b64 exec, exec, s[4:5]
	s_and_saveexec_b64 s[4:5], s[12:13]
	s_cbranch_execnz .LBB231_156
.LBB231_138:
	s_or_b64 exec, exec, s[4:5]
	s_and_saveexec_b64 s[4:5], s[14:15]
	s_cbranch_execz .LBB231_140
.LBB231_139:
	s_mul_i32 s16, s46, 0x700
	s_mov_b32 s17, 0
	s_lshl_b64 s[16:17], s[16:17], 1
	s_waitcnt lgkmcnt(1)
	v_mov_b32_e32 v3, s17
	v_add_co_u32_e32 v0, vcc, s16, v0
	v_addc_co_u32_e32 v1, vcc, v1, v3, vcc
	s_waitcnt lgkmcnt(0)
	global_store_short v[0:1], v2, off
.LBB231_140:
	s_or_b64 exec, exec, s[4:5]
	s_waitcnt lgkmcnt(0)
	s_barrier
	ds_write2_b64 v62, v[22:23], v[24:25] offset1:1
	ds_write2_b64 v62, v[26:27], v[28:29] offset0:2 offset1:3
	ds_write2_b64 v62, v[30:31], v[32:33] offset0:4 offset1:5
	;; [unrolled: 1-line block ×3, first 2 shown]
	s_waitcnt lgkmcnt(0)
	s_barrier
	ds_read_b64 v[14:15], v45 offset:2048
	ds_read_b64 v[12:13], v56 offset:4096
	;; [unrolled: 1-line block ×7, first 2 shown]
	v_mov_b32_e32 v45, 0
	v_lshlrev_b64 v[2:3], 3, v[44:45]
	v_mov_b32_e32 v16, s52
	v_add_co_u32_e32 v2, vcc, s49, v2
	v_addc_co_u32_e32 v3, vcc, v16, v3, vcc
	s_and_saveexec_b64 s[4:5], s[0:1]
	s_cbranch_execnz .LBB231_157
; %bb.141:
	s_or_b64 exec, exec, s[4:5]
	s_and_saveexec_b64 s[0:1], s[2:3]
	s_cbranch_execnz .LBB231_158
.LBB231_142:
	s_or_b64 exec, exec, s[0:1]
	s_and_saveexec_b64 s[0:1], s[42:43]
	s_cbranch_execnz .LBB231_159
.LBB231_143:
	s_or_b64 exec, exec, s[0:1]
	s_and_saveexec_b64 s[0:1], s[6:7]
	s_cbranch_execnz .LBB231_160
.LBB231_144:
	s_or_b64 exec, exec, s[0:1]
	s_and_saveexec_b64 s[0:1], s[8:9]
	s_cbranch_execnz .LBB231_161
.LBB231_145:
	s_or_b64 exec, exec, s[0:1]
	s_and_saveexec_b64 s[0:1], s[10:11]
	s_cbranch_execnz .LBB231_162
.LBB231_146:
	s_or_b64 exec, exec, s[0:1]
	s_and_saveexec_b64 s[0:1], s[12:13]
	s_cbranch_execnz .LBB231_163
.LBB231_147:
	s_or_b64 exec, exec, s[0:1]
	s_and_saveexec_b64 s[0:1], s[14:15]
	s_cbranch_execz .LBB231_149
.LBB231_148:
	s_mul_i32 s0, s48, 0x700
	s_mov_b32 s1, 0
	s_lshl_b64 s[0:1], s[0:1], 3
	s_waitcnt lgkmcnt(1)
	v_mov_b32_e32 v4, s1
	v_add_co_u32_e32 v2, vcc, s0, v2
	v_addc_co_u32_e32 v3, vcc, v3, v4, vcc
	s_waitcnt lgkmcnt(0)
	global_store_dwordx2 v[2:3], v[0:1], off
.LBB231_149:
	s_endpgm
.LBB231_150:
	ds_read_u16 v9, v47
	s_waitcnt lgkmcnt(0)
	global_store_short v[0:1], v9, off
	s_or_b64 exec, exec, s[4:5]
	s_and_saveexec_b64 s[4:5], s[2:3]
	s_cbranch_execz .LBB231_133
.LBB231_151:
	s_lshl_b32 s16, s46, 8
	s_mov_b32 s17, 0
	s_lshl_b64 s[16:17], s[16:17], 1
	v_mov_b32_e32 v9, s17
	v_add_co_u32_e32 v10, vcc, s16, v0
	v_addc_co_u32_e32 v11, vcc, v1, v9, vcc
	s_waitcnt lgkmcnt(6)
	global_store_short v[10:11], v8, off
	s_or_b64 exec, exec, s[4:5]
	s_and_saveexec_b64 s[4:5], s[42:43]
	s_cbranch_execz .LBB231_134
.LBB231_152:
	s_lshl_b32 s16, s46, 9
	s_mov_b32 s17, 0
	s_lshl_b64 s[16:17], s[16:17], 1
	v_mov_b32_e32 v9, s17
	s_waitcnt lgkmcnt(6)
	v_add_co_u32_e32 v8, vcc, s16, v0
	v_addc_co_u32_e32 v9, vcc, v1, v9, vcc
	s_waitcnt lgkmcnt(5)
	global_store_short v[8:9], v7, off
	s_or_b64 exec, exec, s[4:5]
	s_and_saveexec_b64 s[4:5], s[6:7]
	s_cbranch_execz .LBB231_135
.LBB231_153:
	s_mul_i32 s16, s46, 0x300
	s_mov_b32 s17, 0
	s_lshl_b64 s[16:17], s[16:17], 1
	s_waitcnt lgkmcnt(5)
	v_mov_b32_e32 v7, s17
	v_add_co_u32_e32 v8, vcc, s16, v0
	v_addc_co_u32_e32 v9, vcc, v1, v7, vcc
	s_waitcnt lgkmcnt(4)
	global_store_short v[8:9], v6, off
	s_or_b64 exec, exec, s[4:5]
	s_and_saveexec_b64 s[4:5], s[8:9]
	s_cbranch_execz .LBB231_136
.LBB231_154:
	s_lshl_b32 s16, s46, 10
	s_mov_b32 s17, 0
	s_lshl_b64 s[16:17], s[16:17], 1
	s_waitcnt lgkmcnt(5)
	v_mov_b32_e32 v7, s17
	s_waitcnt lgkmcnt(4)
	v_add_co_u32_e32 v6, vcc, s16, v0
	v_addc_co_u32_e32 v7, vcc, v1, v7, vcc
	s_waitcnt lgkmcnt(3)
	global_store_short v[6:7], v5, off
	s_or_b64 exec, exec, s[4:5]
	s_and_saveexec_b64 s[4:5], s[10:11]
	s_cbranch_execz .LBB231_137
.LBB231_155:
	s_mul_i32 s16, s46, 0x500
	s_mov_b32 s17, 0
	s_lshl_b64 s[16:17], s[16:17], 1
	s_waitcnt lgkmcnt(3)
	v_mov_b32_e32 v5, s17
	v_add_co_u32_e32 v6, vcc, s16, v0
	v_addc_co_u32_e32 v7, vcc, v1, v5, vcc
	s_waitcnt lgkmcnt(2)
	global_store_short v[6:7], v4, off
	s_or_b64 exec, exec, s[4:5]
	s_and_saveexec_b64 s[4:5], s[12:13]
	s_cbranch_execz .LBB231_138
.LBB231_156:
	s_mul_i32 s16, s46, 0x600
	s_mov_b32 s17, 0
	s_lshl_b64 s[16:17], s[16:17], 1
	s_waitcnt lgkmcnt(3)
	v_mov_b32_e32 v5, s17
	s_waitcnt lgkmcnt(2)
	v_add_co_u32_e32 v4, vcc, s16, v0
	v_addc_co_u32_e32 v5, vcc, v1, v5, vcc
	s_waitcnt lgkmcnt(1)
	global_store_short v[4:5], v3, off
	s_or_b64 exec, exec, s[4:5]
	s_and_saveexec_b64 s[4:5], s[14:15]
	s_cbranch_execnz .LBB231_139
	s_branch .LBB231_140
.LBB231_157:
	ds_read_b64 v[16:17], v55
	s_waitcnt lgkmcnt(0)
	global_store_dwordx2 v[2:3], v[16:17], off
	s_or_b64 exec, exec, s[4:5]
	s_and_saveexec_b64 s[0:1], s[2:3]
	s_cbranch_execz .LBB231_142
.LBB231_158:
	s_lshl_b32 s2, s48, 8
	s_mov_b32 s3, 0
	s_lshl_b64 s[2:3], s[2:3], 3
	v_mov_b32_e32 v17, s3
	v_add_co_u32_e32 v16, vcc, s2, v2
	v_addc_co_u32_e32 v17, vcc, v3, v17, vcc
	s_waitcnt lgkmcnt(6)
	global_store_dwordx2 v[16:17], v[14:15], off
	s_or_b64 exec, exec, s[0:1]
	s_and_saveexec_b64 s[0:1], s[42:43]
	s_cbranch_execz .LBB231_143
.LBB231_159:
	s_lshl_b32 s2, s48, 9
	s_mov_b32 s3, 0
	s_lshl_b64 s[2:3], s[2:3], 3
	s_waitcnt lgkmcnt(6)
	v_mov_b32_e32 v15, s3
	v_add_co_u32_e32 v14, vcc, s2, v2
	v_addc_co_u32_e32 v15, vcc, v3, v15, vcc
	s_waitcnt lgkmcnt(5)
	global_store_dwordx2 v[14:15], v[12:13], off
	s_or_b64 exec, exec, s[0:1]
	s_and_saveexec_b64 s[0:1], s[6:7]
	s_cbranch_execz .LBB231_144
.LBB231_160:
	s_mul_i32 s2, s48, 0x300
	s_mov_b32 s3, 0
	s_lshl_b64 s[2:3], s[2:3], 3
	s_waitcnt lgkmcnt(5)
	v_mov_b32_e32 v13, s3
	v_add_co_u32_e32 v12, vcc, s2, v2
	v_addc_co_u32_e32 v13, vcc, v3, v13, vcc
	s_waitcnt lgkmcnt(4)
	global_store_dwordx2 v[12:13], v[10:11], off
	s_or_b64 exec, exec, s[0:1]
	s_and_saveexec_b64 s[0:1], s[8:9]
	s_cbranch_execz .LBB231_145
.LBB231_161:
	s_lshl_b32 s2, s48, 10
	s_mov_b32 s3, 0
	s_lshl_b64 s[2:3], s[2:3], 3
	s_waitcnt lgkmcnt(4)
	v_mov_b32_e32 v11, s3
	v_add_co_u32_e32 v10, vcc, s2, v2
	v_addc_co_u32_e32 v11, vcc, v3, v11, vcc
	s_waitcnt lgkmcnt(3)
	global_store_dwordx2 v[10:11], v[8:9], off
	s_or_b64 exec, exec, s[0:1]
	s_and_saveexec_b64 s[0:1], s[10:11]
	s_cbranch_execz .LBB231_146
.LBB231_162:
	s_mul_i32 s2, s48, 0x500
	s_mov_b32 s3, 0
	s_lshl_b64 s[2:3], s[2:3], 3
	s_waitcnt lgkmcnt(3)
	v_mov_b32_e32 v9, s3
	v_add_co_u32_e32 v8, vcc, s2, v2
	v_addc_co_u32_e32 v9, vcc, v3, v9, vcc
	s_waitcnt lgkmcnt(2)
	global_store_dwordx2 v[8:9], v[6:7], off
	s_or_b64 exec, exec, s[0:1]
	s_and_saveexec_b64 s[0:1], s[12:13]
	s_cbranch_execz .LBB231_147
.LBB231_163:
	s_mul_i32 s2, s48, 0x600
	s_mov_b32 s3, 0
	s_lshl_b64 s[2:3], s[2:3], 3
	s_waitcnt lgkmcnt(2)
	v_mov_b32_e32 v7, s3
	v_add_co_u32_e32 v6, vcc, s2, v2
	v_addc_co_u32_e32 v7, vcc, v3, v7, vcc
	s_waitcnt lgkmcnt(1)
	global_store_dwordx2 v[6:7], v[4:5], off
	s_or_b64 exec, exec, s[0:1]
	s_and_saveexec_b64 s[0:1], s[14:15]
	s_cbranch_execnz .LBB231_148
	s_branch .LBB231_149
	.section	.rodata,"a",@progbits
	.p2align	6, 0x0
	.amdhsa_kernel _ZN2at6native18radixSortKVInPlaceILin1ELin1ELi256ELi8EN3c104HalfEljEEvNS_4cuda6detail10TensorInfoIT3_T5_EES8_S8_S8_NS6_IT4_S8_EES8_b
		.amdhsa_group_segment_fixed_size 16896
		.amdhsa_private_segment_fixed_size 0
		.amdhsa_kernarg_size 712
		.amdhsa_user_sgpr_count 6
		.amdhsa_user_sgpr_private_segment_buffer 1
		.amdhsa_user_sgpr_dispatch_ptr 0
		.amdhsa_user_sgpr_queue_ptr 0
		.amdhsa_user_sgpr_kernarg_segment_ptr 1
		.amdhsa_user_sgpr_dispatch_id 0
		.amdhsa_user_sgpr_flat_scratch_init 0
		.amdhsa_user_sgpr_kernarg_preload_length 0
		.amdhsa_user_sgpr_kernarg_preload_offset 0
		.amdhsa_user_sgpr_private_segment_size 0
		.amdhsa_uses_dynamic_stack 0
		.amdhsa_system_sgpr_private_segment_wavefront_offset 0
		.amdhsa_system_sgpr_workgroup_id_x 1
		.amdhsa_system_sgpr_workgroup_id_y 1
		.amdhsa_system_sgpr_workgroup_id_z 1
		.amdhsa_system_sgpr_workgroup_info 0
		.amdhsa_system_vgpr_workitem_id 2
		.amdhsa_next_free_vgpr 108
		.amdhsa_next_free_sgpr 55
		.amdhsa_accum_offset 108
		.amdhsa_reserve_vcc 1
		.amdhsa_reserve_flat_scratch 0
		.amdhsa_float_round_mode_32 0
		.amdhsa_float_round_mode_16_64 0
		.amdhsa_float_denorm_mode_32 3
		.amdhsa_float_denorm_mode_16_64 3
		.amdhsa_dx10_clamp 1
		.amdhsa_ieee_mode 1
		.amdhsa_fp16_overflow 0
		.amdhsa_tg_split 0
		.amdhsa_exception_fp_ieee_invalid_op 0
		.amdhsa_exception_fp_denorm_src 0
		.amdhsa_exception_fp_ieee_div_zero 0
		.amdhsa_exception_fp_ieee_overflow 0
		.amdhsa_exception_fp_ieee_underflow 0
		.amdhsa_exception_fp_ieee_inexact 0
		.amdhsa_exception_int_div_zero 0
	.end_amdhsa_kernel
	.section	.text._ZN2at6native18radixSortKVInPlaceILin1ELin1ELi256ELi8EN3c104HalfEljEEvNS_4cuda6detail10TensorInfoIT3_T5_EES8_S8_S8_NS6_IT4_S8_EES8_b,"axG",@progbits,_ZN2at6native18radixSortKVInPlaceILin1ELin1ELi256ELi8EN3c104HalfEljEEvNS_4cuda6detail10TensorInfoIT3_T5_EES8_S8_S8_NS6_IT4_S8_EES8_b,comdat
.Lfunc_end231:
	.size	_ZN2at6native18radixSortKVInPlaceILin1ELin1ELi256ELi8EN3c104HalfEljEEvNS_4cuda6detail10TensorInfoIT3_T5_EES8_S8_S8_NS6_IT4_S8_EES8_b, .Lfunc_end231-_ZN2at6native18radixSortKVInPlaceILin1ELin1ELi256ELi8EN3c104HalfEljEEvNS_4cuda6detail10TensorInfoIT3_T5_EES8_S8_S8_NS6_IT4_S8_EES8_b
                                        ; -- End function
	.section	.AMDGPU.csdata,"",@progbits
; Kernel info:
; codeLenInByte = 21604
; NumSgprs: 59
; NumVgprs: 108
; NumAgprs: 0
; TotalNumVgprs: 108
; ScratchSize: 0
; MemoryBound: 0
; FloatMode: 240
; IeeeMode: 1
; LDSByteSize: 16896 bytes/workgroup (compile time only)
; SGPRBlocks: 7
; VGPRBlocks: 13
; NumSGPRsForWavesPerEU: 59
; NumVGPRsForWavesPerEU: 108
; AccumOffset: 108
; Occupancy: 3
; WaveLimiterHint : 1
; COMPUTE_PGM_RSRC2:SCRATCH_EN: 0
; COMPUTE_PGM_RSRC2:USER_SGPR: 6
; COMPUTE_PGM_RSRC2:TRAP_HANDLER: 0
; COMPUTE_PGM_RSRC2:TGID_X_EN: 1
; COMPUTE_PGM_RSRC2:TGID_Y_EN: 1
; COMPUTE_PGM_RSRC2:TGID_Z_EN: 1
; COMPUTE_PGM_RSRC2:TIDIG_COMP_CNT: 2
; COMPUTE_PGM_RSRC3_GFX90A:ACCUM_OFFSET: 26
; COMPUTE_PGM_RSRC3_GFX90A:TG_SPLIT: 0
	.section	.text._ZN2at6native18radixSortKVInPlaceILin1ELin1ELi128ELi8EN3c104HalfEljEEvNS_4cuda6detail10TensorInfoIT3_T5_EES8_S8_S8_NS6_IT4_S8_EES8_b,"axG",@progbits,_ZN2at6native18radixSortKVInPlaceILin1ELin1ELi128ELi8EN3c104HalfEljEEvNS_4cuda6detail10TensorInfoIT3_T5_EES8_S8_S8_NS6_IT4_S8_EES8_b,comdat
	.protected	_ZN2at6native18radixSortKVInPlaceILin1ELin1ELi128ELi8EN3c104HalfEljEEvNS_4cuda6detail10TensorInfoIT3_T5_EES8_S8_S8_NS6_IT4_S8_EES8_b ; -- Begin function _ZN2at6native18radixSortKVInPlaceILin1ELin1ELi128ELi8EN3c104HalfEljEEvNS_4cuda6detail10TensorInfoIT3_T5_EES8_S8_S8_NS6_IT4_S8_EES8_b
	.globl	_ZN2at6native18radixSortKVInPlaceILin1ELin1ELi128ELi8EN3c104HalfEljEEvNS_4cuda6detail10TensorInfoIT3_T5_EES8_S8_S8_NS6_IT4_S8_EES8_b
	.p2align	8
	.type	_ZN2at6native18radixSortKVInPlaceILin1ELin1ELi128ELi8EN3c104HalfEljEEvNS_4cuda6detail10TensorInfoIT3_T5_EES8_S8_S8_NS6_IT4_S8_EES8_b,@function
_ZN2at6native18radixSortKVInPlaceILin1ELin1ELi128ELi8EN3c104HalfEljEEvNS_4cuda6detail10TensorInfoIT3_T5_EES8_S8_S8_NS6_IT4_S8_EES8_b: ; @_ZN2at6native18radixSortKVInPlaceILin1ELin1ELi128ELi8EN3c104HalfEljEEvNS_4cuda6detail10TensorInfoIT3_T5_EES8_S8_S8_NS6_IT4_S8_EES8_b
; %bb.0:
	s_load_dwordx2 s[0:1], s[4:5], 0x1c8
	s_load_dwordx4 s[44:47], s[4:5], 0xd8
	s_add_u32 s50, s4, 0x1c8
	s_addc_u32 s51, s5, 0
	s_waitcnt lgkmcnt(0)
	s_mul_i32 s1, s1, s8
	s_add_i32 s1, s1, s7
	s_mul_i32 s0, s1, s0
	s_add_i32 s20, s0, s6
	s_cmp_ge_u32 s20, s44
	s_cbranch_scc1 .LBB232_149
; %bb.1:
	s_load_dword s2, s[4:5], 0xd0
	s_mov_b32 s1, 0
	s_mov_b32 s0, s20
	s_waitcnt lgkmcnt(0)
	s_cmp_lt_i32 s2, 2
	s_cbranch_scc1 .LBB232_4
; %bb.2:
	s_add_i32 s0, s2, -1
	s_add_i32 s6, s2, 1
	s_lshl_b64 s[2:3], s[0:1], 2
	s_add_u32 s0, s2, s4
	s_addc_u32 s3, s3, s5
	s_add_u32 s2, s0, 8
	s_addc_u32 s3, s3, 0
	s_mov_b32 s0, s20
.LBB232_3:                              ; =>This Inner Loop Header: Depth=1
	s_load_dword s7, s[2:3], 0x0
	s_load_dword s9, s[2:3], 0x64
	s_mov_b32 s8, s0
	s_waitcnt lgkmcnt(0)
	v_cvt_f32_u32_e32 v1, s7
	s_sub_i32 s0, 0, s7
	v_rcp_iflag_f32_e32 v1, v1
	v_mul_f32_e32 v1, 0x4f7ffffe, v1
	v_cvt_u32_f32_e32 v1, v1
	v_readfirstlane_b32 s10, v1
	s_mul_i32 s0, s0, s10
	s_mul_hi_u32 s0, s10, s0
	s_add_i32 s10, s10, s0
	s_mul_hi_u32 s0, s8, s10
	s_mul_i32 s10, s0, s7
	s_sub_i32 s10, s8, s10
	s_add_i32 s11, s0, 1
	s_sub_i32 s12, s10, s7
	s_cmp_ge_u32 s10, s7
	s_cselect_b32 s0, s11, s0
	s_cselect_b32 s10, s12, s10
	s_add_i32 s11, s0, 1
	s_cmp_ge_u32 s10, s7
	s_cselect_b32 s0, s11, s0
	s_mul_i32 s7, s0, s7
	s_sub_i32 s7, s8, s7
	s_mul_i32 s7, s9, s7
	s_add_i32 s6, s6, -1
	s_add_i32 s1, s7, s1
	s_add_u32 s2, s2, -4
	s_addc_u32 s3, s3, -1
	s_cmp_gt_u32 s6, 2
	s_cbranch_scc1 .LBB232_3
.LBB232_4:
	s_load_dword s2, s[4:5], 0x1b8
	s_mov_b32 s17, 0
	s_waitcnt lgkmcnt(0)
	s_cmp_lt_i32 s2, 2
	s_cbranch_scc1 .LBB232_7
; %bb.5:
	s_add_i32 s16, s2, -1
	s_add_i32 s6, s2, 1
	s_lshl_b64 s[2:3], s[16:17], 2
	s_add_u32 s2, s2, s4
	s_addc_u32 s3, s3, s5
	s_add_u32 s2, s2, 0xf0
	s_addc_u32 s3, s3, 0
.LBB232_6:                              ; =>This Inner Loop Header: Depth=1
	s_load_dword s7, s[2:3], 0x0
	s_load_dword s9, s[2:3], 0x64
	s_mov_b32 s8, s20
	s_waitcnt lgkmcnt(0)
	v_cvt_f32_u32_e32 v1, s7
	s_sub_i32 s10, 0, s7
	v_rcp_iflag_f32_e32 v1, v1
	v_mul_f32_e32 v1, 0x4f7ffffe, v1
	v_cvt_u32_f32_e32 v1, v1
	v_readfirstlane_b32 s11, v1
	s_mul_i32 s10, s10, s11
	s_mul_hi_u32 s10, s11, s10
	s_add_i32 s11, s11, s10
	s_mul_hi_u32 s10, s20, s11
	s_mul_i32 s11, s10, s7
	s_sub_i32 s11, s20, s11
	s_add_i32 s12, s10, 1
	s_sub_i32 s13, s11, s7
	s_cmp_ge_u32 s11, s7
	s_cselect_b32 s10, s12, s10
	s_cselect_b32 s11, s13, s11
	s_add_i32 s12, s10, 1
	s_cmp_ge_u32 s11, s7
	s_cselect_b32 s20, s12, s10
	s_mul_i32 s7, s20, s7
	s_sub_i32 s7, s8, s7
	s_mul_i32 s7, s9, s7
	s_add_i32 s6, s6, -1
	s_add_i32 s17, s7, s17
	s_add_u32 s2, s2, -4
	s_addc_u32 s3, s3, -1
	s_cmp_gt_u32 s6, 2
	s_cbranch_scc1 .LBB232_6
.LBB232_7:
	s_load_dword s2, s[4:5], 0x6c
	s_load_dwordx2 s[48:49], s[4:5], 0x1c0
	s_mov_b32 s8, 0xffff
	v_and_b32_e32 v46, 0x3ff, v0
	v_mul_lo_u32 v42, v46, s46
	s_waitcnt lgkmcnt(0)
	s_mul_i32 s0, s2, s0
	s_load_dwordx2 s[2:3], s[4:5], 0x0
	s_add_i32 s0, s0, s1
	s_bitcmp1_b32 s49, 0
	s_cselect_b64 s[34:35], -1, 0
	s_and_b64 s[6:7], s[34:35], exec
	s_mov_b32 s1, 0
	s_cselect_b32 s16, s8, 0x7fff
	s_lshl_b64 s[0:1], s[0:1], 1
	s_waitcnt lgkmcnt(0)
	s_add_u32 s33, s2, s0
	s_addc_u32 s44, s3, s1
	v_cmp_gt_u32_e64 s[0:1], s45, v46
	v_mov_b32_e32 v1, s16
	s_and_saveexec_b64 s[2:3], s[0:1]
	s_cbranch_execz .LBB232_9
; %bb.8:
	v_mov_b32_e32 v43, 0
	v_lshlrev_b64 v[2:3], 1, v[42:43]
	v_mov_b32_e32 v1, s44
	v_add_co_u32_e32 v2, vcc, s33, v2
	v_addc_co_u32_e32 v3, vcc, v1, v3, vcc
	global_load_ushort v1, v[2:3], off
.LBB232_9:
	s_or_b64 exec, exec, s[2:3]
	v_add_u32_e32 v36, 0x80, v46
	v_cmp_gt_u32_e64 s[2:3], s45, v36
	v_mov_b32_e32 v2, s16
	s_and_saveexec_b64 s[6:7], s[2:3]
	s_cbranch_execz .LBB232_11
; %bb.10:
	v_mul_lo_u32 v2, v36, s46
	v_mov_b32_e32 v3, 0
	v_lshlrev_b64 v[2:3], 1, v[2:3]
	v_mov_b32_e32 v4, s44
	v_add_co_u32_e32 v2, vcc, s33, v2
	v_addc_co_u32_e32 v3, vcc, v4, v3, vcc
	global_load_ushort v2, v[2:3], off
.LBB232_11:
	s_or_b64 exec, exec, s[6:7]
	v_add_u32_e32 v35, 0x100, v46
	v_cmp_gt_u32_e64 s[40:41], s45, v35
	v_mov_b32_e32 v3, s16
	s_and_saveexec_b64 s[6:7], s[40:41]
	s_cbranch_execz .LBB232_13
; %bb.12:
	v_mul_lo_u32 v4, v35, s46
	v_mov_b32_e32 v5, 0
	v_lshlrev_b64 v[4:5], 1, v[4:5]
	v_mov_b32_e32 v3, s44
	v_add_co_u32_e32 v4, vcc, s33, v4
	v_addc_co_u32_e32 v5, vcc, v3, v5, vcc
	global_load_ushort v3, v[4:5], off
.LBB232_13:
	;; [unrolled: 15-line block ×5, first 2 shown]
	s_or_b64 exec, exec, s[12:13]
	s_load_dwordx2 s[18:19], s[4:5], 0xe8
	v_add_u32_e32 v26, 0x300, v46
	v_cmp_gt_u32_e64 s[12:13], s45, v26
	v_mov_b32_e32 v7, s16
	s_and_saveexec_b64 s[14:15], s[12:13]
	s_cbranch_execz .LBB232_21
; %bb.20:
	v_mul_lo_u32 v8, v26, s46
	v_mov_b32_e32 v9, 0
	v_lshlrev_b64 v[8:9], 1, v[8:9]
	v_mov_b32_e32 v7, s44
	v_add_co_u32_e32 v8, vcc, s33, v8
	v_addc_co_u32_e32 v9, vcc, v7, v9, vcc
	global_load_ushort v7, v[8:9], off
.LBB232_21:
	s_or_b64 exec, exec, s[14:15]
	s_load_dword s21, s[4:5], 0x154
	v_add_u32_e32 v22, 0x380, v46
	v_cmp_gt_u32_e64 s[14:15], s45, v22
	v_mov_b32_e32 v8, s16
	s_and_saveexec_b64 s[4:5], s[14:15]
	s_cbranch_execz .LBB232_23
; %bb.22:
	v_mul_lo_u32 v8, v22, s46
	v_mov_b32_e32 v9, 0
	v_lshlrev_b64 v[8:9], 1, v[8:9]
	v_mov_b32_e32 v10, s44
	v_add_co_u32_e32 v8, vcc, s33, v8
	v_addc_co_u32_e32 v9, vcc, v10, v9, vcc
	global_load_ushort v8, v[8:9], off
.LBB232_23:
	s_or_b64 exec, exec, s[4:5]
	v_lshrrev_b32_e32 v34, 5, v46
	v_and_b32_e32 v9, 30, v34
	v_add_lshl_u32 v47, v9, v46, 1
	v_lshrrev_b32_e32 v32, 5, v36
	s_waitcnt vmcnt(0)
	ds_write_b16 v47, v1
	v_and_b32_e32 v1, 62, v32
	v_lshrrev_b32_e32 v31, 5, v35
	v_add_lshl_u32 v43, v1, v46, 1
	v_and_b32_e32 v1, 62, v31
	v_lshrrev_b32_e32 v29, 5, v33
	v_add_lshl_u32 v48, v1, v46, 1
	v_and_b32_e32 v1, 62, v29
	v_lshrrev_b32_e32 v27, 5, v30
	v_add_lshl_u32 v49, v1, v46, 1
	v_and_b32_e32 v1, 62, v27
	v_lshrrev_b32_e32 v25, 5, v28
	v_add_lshl_u32 v50, v1, v46, 1
	v_and_b32_e32 v1, 62, v25
	v_lshrrev_b32_e32 v23, 5, v26
	v_add_lshl_u32 v51, v1, v46, 1
	v_and_b32_e32 v1, 62, v23
	v_add_lshl_u32 v52, v1, v46, 1
	v_lshrrev_b32_e32 v1, 5, v22
	ds_write_b16 v43, v2 offset:256
	v_and_b32_e32 v2, 62, v1
	v_lshrrev_b32_e32 v24, 2, v46
	v_add_lshl_u32 v53, v2, v46, 1
	v_lshlrev_b32_e32 v63, 3, v46
	v_and_b32_e32 v2, 0xfe, v24
	s_waitcnt lgkmcnt(0)
	s_mul_i32 s4, s21, s20
	v_add_lshl_u32 v54, v2, v63, 1
	s_add_i32 s16, s4, s17
	s_mov_b32 s17, 0
	ds_write_b16 v48, v3 offset:512
	ds_write_b16 v49, v4 offset:768
	;; [unrolled: 1-line block ×6, first 2 shown]
	s_waitcnt lgkmcnt(0)
	s_barrier
	ds_read_b128 v[18:21], v54
	s_lshl_b64 s[4:5], s[16:17], 3
	s_add_u32 s45, s18, s4
	s_mov_b32 s16, s17
	s_addc_u32 s47, s19, s5
	s_mov_b32 s18, s17
	s_mov_b32 s19, s17
	;; [unrolled: 1-line block ×14, first 2 shown]
	v_pk_mov_b32 v[2:3], s[16:17], s[16:17] op_sel:[0,1]
	v_pk_mov_b32 v[4:5], s[18:19], s[18:19] op_sel:[0,1]
	;; [unrolled: 1-line block ×8, first 2 shown]
	v_pk_mov_b32 v[2:3], 0, 0
	v_mul_lo_u32 v44, v46, s48
	s_waitcnt lgkmcnt(0)
	s_barrier
	s_and_saveexec_b64 s[4:5], s[0:1]
	s_cbranch_execnz .LBB232_78
; %bb.24:
	s_or_b64 exec, exec, s[4:5]
	s_and_saveexec_b64 s[4:5], s[2:3]
	s_cbranch_execnz .LBB232_79
.LBB232_25:
	s_or_b64 exec, exec, s[4:5]
	s_and_saveexec_b64 s[4:5], s[40:41]
	s_cbranch_execnz .LBB232_80
.LBB232_26:
	s_or_b64 exec, exec, s[4:5]
	s_and_saveexec_b64 s[4:5], s[6:7]
	s_cbranch_execnz .LBB232_81
.LBB232_27:
	s_or_b64 exec, exec, s[4:5]
	s_and_saveexec_b64 s[4:5], s[8:9]
	s_cbranch_execnz .LBB232_82
.LBB232_28:
	s_or_b64 exec, exec, s[4:5]
	s_and_saveexec_b64 s[4:5], s[10:11]
	s_cbranch_execnz .LBB232_83
.LBB232_29:
	s_or_b64 exec, exec, s[4:5]
	s_and_saveexec_b64 s[4:5], s[12:13]
	s_cbranch_execnz .LBB232_84
.LBB232_30:
	s_or_b64 exec, exec, s[4:5]
	s_xor_b64 s[4:5], s[34:35], -1
	s_and_saveexec_b64 s[16:17], s[14:15]
	s_cbranch_execz .LBB232_32
.LBB232_31:
	v_mul_lo_u32 v16, v22, s48
	v_mov_b32_e32 v17, 0
	v_lshlrev_b64 v[16:17], 3, v[16:17]
	v_mov_b32_e32 v22, s47
	v_add_co_u32_e32 v16, vcc, s45, v16
	v_addc_co_u32_e32 v17, vcc, v22, v17, vcc
	global_load_dwordx2 v[16:17], v[16:17], off
.LBB232_32:
	s_or_b64 exec, exec, s[16:17]
	v_add_lshl_u32 v55, v34, v46, 3
	v_add_lshl_u32 v45, v32, v46, 3
	;; [unrolled: 1-line block ×9, first 2 shown]
	s_waitcnt vmcnt(0)
	ds_write_b64 v55, v[2:3]
	ds_write_b64 v45, v[4:5] offset:1024
	ds_write_b64 v56, v[6:7] offset:2048
	;; [unrolled: 1-line block ×7, first 2 shown]
	s_waitcnt lgkmcnt(0)
	s_barrier
	ds_read2_b64 v[14:17], v62 offset1:1
	ds_read2_b64 v[10:13], v62 offset0:2 offset1:3
	ds_read2_b64 v[6:9], v62 offset0:4 offset1:5
	ds_read2_b64 v[2:5], v62 offset0:6 offset1:7
	s_and_b64 vcc, exec, s[4:5]
	v_bfe_u32 v65, v0, 10, 10
	v_bfe_u32 v66, v0, 20, 10
	v_mbcnt_lo_u32_b32 v67, -1, 0
	v_lshlrev_b32_e32 v64, 4, v46
	s_waitcnt lgkmcnt(0)
	s_barrier
	s_cbranch_vccz .LBB232_85
; %bb.33:
	s_movk_i32 s4, 0x8000
	v_pk_ashrrev_i16 v24, 15, v18 op_sel_hi:[0,1]
	v_or_b32_e32 v25, 0xffff8000, v24
	v_or_b32_sdwa v24, v24, s4 dst_sel:DWORD dst_unused:UNUSED_PAD src0_sel:WORD_1 src1_sel:DWORD
	v_pk_ashrrev_i16 v22, 15, v19 op_sel_hi:[0,1]
	v_xor_b32_sdwa v26, v24, v18 dst_sel:DWORD dst_unused:UNUSED_PAD src0_sel:DWORD src1_sel:WORD_1
	v_pk_ashrrev_i16 v24, 15, v21 op_sel_hi:[0,1]
	v_pk_ashrrev_i16 v28, 15, v20 op_sel_hi:[0,1]
	v_mbcnt_hi_u32_b32 v76, -1, v67
	v_and_b32_e32 v40, 0x3c0, v46
	v_or_b32_e32 v23, 0xffff8000, v22
	v_or_b32_sdwa v22, v22, s4 dst_sel:DWORD dst_unused:UNUSED_PAD src0_sel:WORD_1 src1_sel:DWORD
	v_xor_b32_e32 v27, v25, v18
	v_or_b32_e32 v25, 0xffff8000, v24
	v_or_b32_e32 v29, 0xffff8000, v28
	v_or_b32_sdwa v24, v24, s4 dst_sel:DWORD dst_unused:UNUSED_PAD src0_sel:WORD_1 src1_sel:DWORD
	v_or_b32_sdwa v28, v28, s4 dst_sel:DWORD dst_unused:UNUSED_PAD src0_sel:WORD_1 src1_sel:DWORD
	v_add_u32_e32 v0, v76, v40
	v_xor_b32_sdwa v22, v22, v19 dst_sel:DWORD dst_unused:UNUSED_PAD src0_sel:DWORD src1_sel:WORD_1
	v_xor_b32_e32 v23, v23, v19
	v_xor_b32_sdwa v28, v28, v20 dst_sel:DWORD dst_unused:UNUSED_PAD src0_sel:DWORD src1_sel:WORD_1
	v_xor_b32_sdwa v24, v24, v21 dst_sel:DWORD dst_unused:UNUSED_PAD src0_sel:DWORD src1_sel:WORD_1
	v_xor_b32_e32 v29, v29, v20
	v_xor_b32_e32 v25, v25, v21
	s_mov_b32 s4, 0x5040100
	v_lshlrev_b32_e32 v1, 4, v0
	v_perm_b32 v25, v24, v25, s4
	v_perm_b32 v24, v28, v29, s4
	;; [unrolled: 1-line block ×4, first 2 shown]
	v_and_b32_e32 v82, 0x1e00, v63
	ds_write_b128 v1, v[22:25]
	v_or_b32_e32 v1, v76, v82
	v_lshlrev_b32_e32 v22, 1, v1
	v_lshlrev_b32_e32 v0, 6, v0
	; wave barrier
	ds_read_u16 v79, v22
	ds_read_u16 v78, v22 offset:128
	ds_read_u16 v77, v22 offset:256
	;; [unrolled: 1-line block ×7, first 2 shown]
	s_waitcnt lgkmcnt(0)
	s_barrier
	ds_write2_b64 v0, v[14:15], v[16:17] offset1:1
	ds_write2_b64 v0, v[10:11], v[12:13] offset0:2 offset1:3
	ds_write2_b64 v0, v[6:7], v[8:9] offset0:4 offset1:5
	;; [unrolled: 1-line block ×3, first 2 shown]
	v_lshlrev_b32_e32 v0, 3, v1
	; wave barrier
	ds_read2st64_b64 v[34:37], v0 offset1:1
	ds_read2st64_b64 v[30:33], v0 offset0:2 offset1:3
	ds_read2st64_b64 v[26:29], v0 offset0:4 offset1:5
	;; [unrolled: 1-line block ×3, first 2 shown]
	s_waitcnt lgkmcnt(0)
	s_barrier
	s_load_dword s16, s[50:51], 0xc
	s_getpc_b64 s[4:5]
	s_add_u32 s4, s4, _ZN7rocprim17ROCPRIM_400000_NS16block_radix_sortI6__halfLj128ELj8ElLj1ELj1ELj0ELNS0_26block_radix_rank_algorithmE1ELNS0_18block_padding_hintE2ELNS0_4arch9wavefront6targetE1EE19radix_bits_per_passE@rel32@lo+4
	s_addc_u32 s5, s5, _ZN7rocprim17ROCPRIM_400000_NS16block_radix_sortI6__halfLj128ELj8ElLj1ELj1ELj0ELNS0_26block_radix_rank_algorithmE1ELNS0_18block_padding_hintE2ELNS0_4arch9wavefront6targetE1EE19radix_bits_per_passE@rel32@hi+12
	s_load_dword s42, s[4:5], 0x0
	s_movk_i32 s17, 0x7fff
	v_mov_b32_e32 v41, 0xffff8000
	s_waitcnt lgkmcnt(0)
	s_lshr_b32 s4, s16, 16
	s_and_b32 s5, s16, 0xffff
	v_mad_u32_u24 v1, v66, s4, v65
	v_mad_u64_u32 v[38:39], s[4:5], v1, s5, v[46:47]
	s_min_u32 s4, s42, 16
	s_lshl_b32 s4, -1, s4
	v_cmp_ne_u16_e32 vcc, s17, v79
	s_not_b32 s16, s4
	v_cndmask_b32_e32 v1, v41, v79, vcc
	v_lshrrev_b32_e32 v68, 6, v38
	v_and_b32_sdwa v38, s16, v1 dst_sel:DWORD dst_unused:UNUSED_PAD src0_sel:DWORD src1_sel:WORD_0
	v_lshlrev_b32_e32 v1, 1, v38
	v_add_lshl_u32 v83, v68, v1, 2
	v_and_b32_e32 v1, 1, v38
	v_add_co_u32_e32 v39, vcc, -1, v1
	v_addc_co_u32_e64 v69, s[4:5], 0, -1, vcc
	v_cmp_ne_u32_e32 vcc, 0, v1
	v_xor_b32_e32 v1, vcc_hi, v69
	v_mov_b32_e32 v0, 0
	v_and_b32_e32 v69, exec_hi, v1
	v_lshlrev_b32_e32 v1, 30, v38
	v_xor_b32_e32 v39, vcc_lo, v39
	v_cmp_gt_i64_e32 vcc, 0, v[0:1]
	v_not_b32_e32 v1, v1
	v_ashrrev_i32_e32 v1, 31, v1
	v_and_b32_e32 v39, exec_lo, v39
	v_xor_b32_e32 v70, vcc_hi, v1
	v_xor_b32_e32 v1, vcc_lo, v1
	v_and_b32_e32 v39, v39, v1
	v_lshlrev_b32_e32 v1, 29, v38
	v_cmp_gt_i64_e32 vcc, 0, v[0:1]
	v_not_b32_e32 v1, v1
	v_ashrrev_i32_e32 v1, 31, v1
	v_and_b32_e32 v69, v69, v70
	v_xor_b32_e32 v70, vcc_hi, v1
	v_xor_b32_e32 v1, vcc_lo, v1
	v_and_b32_e32 v39, v39, v1
	v_lshlrev_b32_e32 v1, 28, v38
	v_cmp_gt_i64_e32 vcc, 0, v[0:1]
	v_not_b32_e32 v1, v1
	v_ashrrev_i32_e32 v1, 31, v1
	v_and_b32_e32 v69, v69, v70
	;; [unrolled: 8-line block ×5, first 2 shown]
	v_xor_b32_e32 v70, vcc_hi, v1
	v_xor_b32_e32 v1, vcc_lo, v1
	v_and_b32_e32 v69, v69, v70
	v_and_b32_e32 v70, v39, v1
	v_lshlrev_b32_e32 v1, 24, v38
	v_cmp_gt_i64_e32 vcc, 0, v[0:1]
	v_not_b32_e32 v1, v1
	v_ashrrev_i32_e32 v1, 31, v1
	v_xor_b32_e32 v38, vcc_hi, v1
	v_xor_b32_e32 v1, vcc_lo, v1
	v_and_b32_e32 v39, v69, v38
	v_and_b32_e32 v38, v70, v1
	v_mbcnt_lo_u32_b32 v1, v38, 0
	v_mbcnt_hi_u32_b32 v84, v39, v1
	v_cmp_eq_u32_e32 vcc, 0, v84
	v_cmp_ne_u64_e64 s[4:5], 0, v[38:39]
	s_and_b64 s[18:19], s[4:5], vcc
	ds_write2_b32 v64, v0, v0 offset0:2 offset1:3
	ds_write2_b32 v64, v0, v0 offset0:4 offset1:5
	s_waitcnt lgkmcnt(0)
	s_barrier
	s_waitcnt lgkmcnt(0)
	; wave barrier
	s_and_saveexec_b64 s[4:5], s[18:19]
	s_cbranch_execz .LBB232_35
; %bb.34:
	v_bcnt_u32_b32 v1, v38, 0
	v_bcnt_u32_b32 v1, v39, v1
	ds_write_b32 v83, v1 offset:8
.LBB232_35:
	s_or_b64 exec, exec, s[4:5]
	v_cmp_ne_u16_e32 vcc, s17, v78
	v_cndmask_b32_e32 v1, v41, v78, vcc
	v_and_b32_sdwa v38, s16, v1 dst_sel:DWORD dst_unused:UNUSED_PAD src0_sel:DWORD src1_sel:WORD_0
	v_lshlrev_b32_e32 v1, 1, v38
	v_add_lshl_u32 v86, v68, v1, 2
	v_and_b32_e32 v1, 1, v38
	v_add_co_u32_e32 v39, vcc, -1, v1
	v_addc_co_u32_e64 v41, s[4:5], 0, -1, vcc
	v_cmp_ne_u32_e32 vcc, 0, v1
	v_xor_b32_e32 v1, vcc_hi, v41
	v_and_b32_e32 v41, exec_hi, v1
	v_lshlrev_b32_e32 v1, 30, v38
	v_xor_b32_e32 v39, vcc_lo, v39
	v_cmp_gt_i64_e32 vcc, 0, v[0:1]
	v_not_b32_e32 v1, v1
	v_ashrrev_i32_e32 v1, 31, v1
	v_and_b32_e32 v39, exec_lo, v39
	v_xor_b32_e32 v69, vcc_hi, v1
	v_xor_b32_e32 v1, vcc_lo, v1
	v_and_b32_e32 v39, v39, v1
	v_lshlrev_b32_e32 v1, 29, v38
	v_cmp_gt_i64_e32 vcc, 0, v[0:1]
	v_not_b32_e32 v1, v1
	v_ashrrev_i32_e32 v1, 31, v1
	v_and_b32_e32 v41, v41, v69
	v_xor_b32_e32 v69, vcc_hi, v1
	v_xor_b32_e32 v1, vcc_lo, v1
	v_and_b32_e32 v39, v39, v1
	v_lshlrev_b32_e32 v1, 28, v38
	v_cmp_gt_i64_e32 vcc, 0, v[0:1]
	v_not_b32_e32 v1, v1
	v_ashrrev_i32_e32 v1, 31, v1
	v_and_b32_e32 v41, v41, v69
	;; [unrolled: 8-line block ×5, first 2 shown]
	v_xor_b32_e32 v69, vcc_hi, v1
	v_xor_b32_e32 v1, vcc_lo, v1
	v_and_b32_e32 v39, v39, v1
	v_lshlrev_b32_e32 v1, 24, v38
	v_cmp_gt_i64_e32 vcc, 0, v[0:1]
	v_not_b32_e32 v0, v1
	v_ashrrev_i32_e32 v0, 31, v0
	v_xor_b32_e32 v1, vcc_hi, v0
	v_xor_b32_e32 v0, vcc_lo, v0
	; wave barrier
	ds_read_b32 v85, v86 offset:8
	v_and_b32_e32 v41, v41, v69
	v_and_b32_e32 v0, v39, v0
	;; [unrolled: 1-line block ×3, first 2 shown]
	v_mbcnt_lo_u32_b32 v38, v0, 0
	v_mbcnt_hi_u32_b32 v87, v1, v38
	v_cmp_eq_u32_e32 vcc, 0, v87
	v_cmp_ne_u64_e64 s[4:5], 0, v[0:1]
	s_and_b64 s[18:19], s[4:5], vcc
	; wave barrier
	s_and_saveexec_b64 s[4:5], s[18:19]
	s_cbranch_execz .LBB232_37
; %bb.36:
	v_bcnt_u32_b32 v0, v0, 0
	v_bcnt_u32_b32 v0, v1, v0
	s_waitcnt lgkmcnt(0)
	v_add_u32_e32 v0, v85, v0
	ds_write_b32 v86, v0 offset:8
.LBB232_37:
	s_or_b64 exec, exec, s[4:5]
	v_mov_b32_e32 v41, 0xffff8000
	v_cmp_ne_u16_e32 vcc, s17, v77
	v_cndmask_b32_e32 v0, v41, v77, vcc
	v_and_b32_sdwa v38, s16, v0 dst_sel:DWORD dst_unused:UNUSED_PAD src0_sel:DWORD src1_sel:WORD_0
	v_and_b32_e32 v1, 1, v38
	v_add_co_u32_e32 v39, vcc, -1, v1
	v_addc_co_u32_e64 v69, s[4:5], 0, -1, vcc
	v_cmp_ne_u32_e32 vcc, 0, v1
	v_lshlrev_b32_e32 v0, 1, v38
	v_xor_b32_e32 v1, vcc_hi, v69
	v_add_lshl_u32 v89, v68, v0, 2
	v_mov_b32_e32 v0, 0
	v_and_b32_e32 v69, exec_hi, v1
	v_lshlrev_b32_e32 v1, 30, v38
	v_xor_b32_e32 v39, vcc_lo, v39
	v_cmp_gt_i64_e32 vcc, 0, v[0:1]
	v_not_b32_e32 v1, v1
	v_ashrrev_i32_e32 v1, 31, v1
	v_and_b32_e32 v39, exec_lo, v39
	v_xor_b32_e32 v70, vcc_hi, v1
	v_xor_b32_e32 v1, vcc_lo, v1
	v_and_b32_e32 v39, v39, v1
	v_lshlrev_b32_e32 v1, 29, v38
	v_cmp_gt_i64_e32 vcc, 0, v[0:1]
	v_not_b32_e32 v1, v1
	v_ashrrev_i32_e32 v1, 31, v1
	v_and_b32_e32 v69, v69, v70
	v_xor_b32_e32 v70, vcc_hi, v1
	v_xor_b32_e32 v1, vcc_lo, v1
	v_and_b32_e32 v39, v39, v1
	v_lshlrev_b32_e32 v1, 28, v38
	v_cmp_gt_i64_e32 vcc, 0, v[0:1]
	v_not_b32_e32 v1, v1
	v_ashrrev_i32_e32 v1, 31, v1
	v_and_b32_e32 v69, v69, v70
	;; [unrolled: 8-line block ×5, first 2 shown]
	v_xor_b32_e32 v70, vcc_hi, v1
	v_xor_b32_e32 v1, vcc_lo, v1
	v_and_b32_e32 v69, v69, v70
	v_and_b32_e32 v70, v39, v1
	v_lshlrev_b32_e32 v1, 24, v38
	v_cmp_gt_i64_e32 vcc, 0, v[0:1]
	v_not_b32_e32 v1, v1
	v_ashrrev_i32_e32 v1, 31, v1
	v_xor_b32_e32 v38, vcc_hi, v1
	v_xor_b32_e32 v1, vcc_lo, v1
	; wave barrier
	ds_read_b32 v88, v89 offset:8
	v_and_b32_e32 v39, v69, v38
	v_and_b32_e32 v38, v70, v1
	v_mbcnt_lo_u32_b32 v1, v38, 0
	v_mbcnt_hi_u32_b32 v90, v39, v1
	v_cmp_eq_u32_e32 vcc, 0, v90
	v_cmp_ne_u64_e64 s[4:5], 0, v[38:39]
	s_and_b64 s[18:19], s[4:5], vcc
	; wave barrier
	s_and_saveexec_b64 s[4:5], s[18:19]
	s_cbranch_execz .LBB232_39
; %bb.38:
	v_bcnt_u32_b32 v1, v38, 0
	v_bcnt_u32_b32 v1, v39, v1
	s_waitcnt lgkmcnt(0)
	v_add_u32_e32 v1, v88, v1
	ds_write_b32 v89, v1 offset:8
.LBB232_39:
	s_or_b64 exec, exec, s[4:5]
	v_cmp_ne_u16_e32 vcc, s17, v75
	v_cndmask_b32_e32 v1, v41, v75, vcc
	v_and_b32_sdwa v38, s16, v1 dst_sel:DWORD dst_unused:UNUSED_PAD src0_sel:DWORD src1_sel:WORD_0
	v_lshlrev_b32_e32 v1, 1, v38
	v_add_lshl_u32 v92, v68, v1, 2
	v_and_b32_e32 v1, 1, v38
	v_add_co_u32_e32 v39, vcc, -1, v1
	v_addc_co_u32_e64 v41, s[4:5], 0, -1, vcc
	v_cmp_ne_u32_e32 vcc, 0, v1
	v_xor_b32_e32 v1, vcc_hi, v41
	v_and_b32_e32 v41, exec_hi, v1
	v_lshlrev_b32_e32 v1, 30, v38
	v_xor_b32_e32 v39, vcc_lo, v39
	v_cmp_gt_i64_e32 vcc, 0, v[0:1]
	v_not_b32_e32 v1, v1
	v_ashrrev_i32_e32 v1, 31, v1
	v_and_b32_e32 v39, exec_lo, v39
	v_xor_b32_e32 v69, vcc_hi, v1
	v_xor_b32_e32 v1, vcc_lo, v1
	v_and_b32_e32 v39, v39, v1
	v_lshlrev_b32_e32 v1, 29, v38
	v_cmp_gt_i64_e32 vcc, 0, v[0:1]
	v_not_b32_e32 v1, v1
	v_ashrrev_i32_e32 v1, 31, v1
	v_and_b32_e32 v41, v41, v69
	v_xor_b32_e32 v69, vcc_hi, v1
	v_xor_b32_e32 v1, vcc_lo, v1
	v_and_b32_e32 v39, v39, v1
	v_lshlrev_b32_e32 v1, 28, v38
	v_cmp_gt_i64_e32 vcc, 0, v[0:1]
	v_not_b32_e32 v1, v1
	v_ashrrev_i32_e32 v1, 31, v1
	v_and_b32_e32 v41, v41, v69
	;; [unrolled: 8-line block ×5, first 2 shown]
	v_xor_b32_e32 v69, vcc_hi, v1
	v_xor_b32_e32 v1, vcc_lo, v1
	v_and_b32_e32 v39, v39, v1
	v_lshlrev_b32_e32 v1, 24, v38
	v_cmp_gt_i64_e32 vcc, 0, v[0:1]
	v_not_b32_e32 v0, v1
	v_ashrrev_i32_e32 v0, 31, v0
	v_xor_b32_e32 v1, vcc_hi, v0
	v_xor_b32_e32 v0, vcc_lo, v0
	; wave barrier
	ds_read_b32 v91, v92 offset:8
	v_and_b32_e32 v41, v41, v69
	v_and_b32_e32 v0, v39, v0
	;; [unrolled: 1-line block ×3, first 2 shown]
	v_mbcnt_lo_u32_b32 v38, v0, 0
	v_mbcnt_hi_u32_b32 v93, v1, v38
	v_cmp_eq_u32_e32 vcc, 0, v93
	v_cmp_ne_u64_e64 s[4:5], 0, v[0:1]
	s_and_b64 s[18:19], s[4:5], vcc
	; wave barrier
	s_and_saveexec_b64 s[4:5], s[18:19]
	s_cbranch_execz .LBB232_41
; %bb.40:
	v_bcnt_u32_b32 v0, v0, 0
	v_bcnt_u32_b32 v0, v1, v0
	s_waitcnt lgkmcnt(0)
	v_add_u32_e32 v0, v91, v0
	ds_write_b32 v92, v0 offset:8
.LBB232_41:
	s_or_b64 exec, exec, s[4:5]
	v_mov_b32_e32 v41, 0xffff8000
	v_cmp_ne_u16_e32 vcc, s17, v74
	v_cndmask_b32_e32 v0, v41, v74, vcc
	v_and_b32_sdwa v38, s16, v0 dst_sel:DWORD dst_unused:UNUSED_PAD src0_sel:DWORD src1_sel:WORD_0
	v_and_b32_e32 v1, 1, v38
	v_add_co_u32_e32 v39, vcc, -1, v1
	v_addc_co_u32_e64 v69, s[4:5], 0, -1, vcc
	v_cmp_ne_u32_e32 vcc, 0, v1
	v_lshlrev_b32_e32 v0, 1, v38
	v_xor_b32_e32 v1, vcc_hi, v69
	v_add_lshl_u32 v95, v68, v0, 2
	v_mov_b32_e32 v0, 0
	v_and_b32_e32 v69, exec_hi, v1
	v_lshlrev_b32_e32 v1, 30, v38
	v_xor_b32_e32 v39, vcc_lo, v39
	v_cmp_gt_i64_e32 vcc, 0, v[0:1]
	v_not_b32_e32 v1, v1
	v_ashrrev_i32_e32 v1, 31, v1
	v_and_b32_e32 v39, exec_lo, v39
	v_xor_b32_e32 v70, vcc_hi, v1
	v_xor_b32_e32 v1, vcc_lo, v1
	v_and_b32_e32 v39, v39, v1
	v_lshlrev_b32_e32 v1, 29, v38
	v_cmp_gt_i64_e32 vcc, 0, v[0:1]
	v_not_b32_e32 v1, v1
	v_ashrrev_i32_e32 v1, 31, v1
	v_and_b32_e32 v69, v69, v70
	v_xor_b32_e32 v70, vcc_hi, v1
	v_xor_b32_e32 v1, vcc_lo, v1
	v_and_b32_e32 v39, v39, v1
	v_lshlrev_b32_e32 v1, 28, v38
	v_cmp_gt_i64_e32 vcc, 0, v[0:1]
	v_not_b32_e32 v1, v1
	v_ashrrev_i32_e32 v1, 31, v1
	v_and_b32_e32 v69, v69, v70
	;; [unrolled: 8-line block ×5, first 2 shown]
	v_xor_b32_e32 v70, vcc_hi, v1
	v_xor_b32_e32 v1, vcc_lo, v1
	v_and_b32_e32 v69, v69, v70
	v_and_b32_e32 v70, v39, v1
	v_lshlrev_b32_e32 v1, 24, v38
	v_cmp_gt_i64_e32 vcc, 0, v[0:1]
	v_not_b32_e32 v1, v1
	v_ashrrev_i32_e32 v1, 31, v1
	v_xor_b32_e32 v38, vcc_hi, v1
	v_xor_b32_e32 v1, vcc_lo, v1
	; wave barrier
	ds_read_b32 v94, v95 offset:8
	v_and_b32_e32 v39, v69, v38
	v_and_b32_e32 v38, v70, v1
	v_mbcnt_lo_u32_b32 v1, v38, 0
	v_mbcnt_hi_u32_b32 v96, v39, v1
	v_cmp_eq_u32_e32 vcc, 0, v96
	v_cmp_ne_u64_e64 s[4:5], 0, v[38:39]
	s_and_b64 s[18:19], s[4:5], vcc
	; wave barrier
	s_and_saveexec_b64 s[4:5], s[18:19]
	s_cbranch_execz .LBB232_43
; %bb.42:
	v_bcnt_u32_b32 v1, v38, 0
	v_bcnt_u32_b32 v1, v39, v1
	s_waitcnt lgkmcnt(0)
	v_add_u32_e32 v1, v94, v1
	ds_write_b32 v95, v1 offset:8
.LBB232_43:
	s_or_b64 exec, exec, s[4:5]
	v_cmp_ne_u16_e32 vcc, s17, v73
	v_cndmask_b32_e32 v1, v41, v73, vcc
	v_and_b32_sdwa v38, s16, v1 dst_sel:DWORD dst_unused:UNUSED_PAD src0_sel:DWORD src1_sel:WORD_0
	v_lshlrev_b32_e32 v1, 1, v38
	v_add_lshl_u32 v98, v68, v1, 2
	v_and_b32_e32 v1, 1, v38
	v_add_co_u32_e32 v39, vcc, -1, v1
	v_addc_co_u32_e64 v41, s[4:5], 0, -1, vcc
	v_cmp_ne_u32_e32 vcc, 0, v1
	v_xor_b32_e32 v1, vcc_hi, v41
	v_and_b32_e32 v41, exec_hi, v1
	v_lshlrev_b32_e32 v1, 30, v38
	v_xor_b32_e32 v39, vcc_lo, v39
	v_cmp_gt_i64_e32 vcc, 0, v[0:1]
	v_not_b32_e32 v1, v1
	v_ashrrev_i32_e32 v1, 31, v1
	v_and_b32_e32 v39, exec_lo, v39
	v_xor_b32_e32 v69, vcc_hi, v1
	v_xor_b32_e32 v1, vcc_lo, v1
	v_and_b32_e32 v39, v39, v1
	v_lshlrev_b32_e32 v1, 29, v38
	v_cmp_gt_i64_e32 vcc, 0, v[0:1]
	v_not_b32_e32 v1, v1
	v_ashrrev_i32_e32 v1, 31, v1
	v_and_b32_e32 v41, v41, v69
	v_xor_b32_e32 v69, vcc_hi, v1
	v_xor_b32_e32 v1, vcc_lo, v1
	v_and_b32_e32 v39, v39, v1
	v_lshlrev_b32_e32 v1, 28, v38
	v_cmp_gt_i64_e32 vcc, 0, v[0:1]
	v_not_b32_e32 v1, v1
	v_ashrrev_i32_e32 v1, 31, v1
	v_and_b32_e32 v41, v41, v69
	;; [unrolled: 8-line block ×5, first 2 shown]
	v_xor_b32_e32 v69, vcc_hi, v1
	v_xor_b32_e32 v1, vcc_lo, v1
	v_and_b32_e32 v39, v39, v1
	v_lshlrev_b32_e32 v1, 24, v38
	v_cmp_gt_i64_e32 vcc, 0, v[0:1]
	v_not_b32_e32 v0, v1
	v_ashrrev_i32_e32 v0, 31, v0
	v_xor_b32_e32 v1, vcc_hi, v0
	v_xor_b32_e32 v0, vcc_lo, v0
	; wave barrier
	ds_read_b32 v97, v98 offset:8
	v_and_b32_e32 v41, v41, v69
	v_and_b32_e32 v0, v39, v0
	;; [unrolled: 1-line block ×3, first 2 shown]
	v_mbcnt_lo_u32_b32 v38, v0, 0
	v_mbcnt_hi_u32_b32 v99, v1, v38
	v_cmp_eq_u32_e32 vcc, 0, v99
	v_cmp_ne_u64_e64 s[4:5], 0, v[0:1]
	s_and_b64 s[18:19], s[4:5], vcc
	; wave barrier
	s_and_saveexec_b64 s[4:5], s[18:19]
	s_cbranch_execz .LBB232_45
; %bb.44:
	v_bcnt_u32_b32 v0, v0, 0
	v_bcnt_u32_b32 v0, v1, v0
	s_waitcnt lgkmcnt(0)
	v_add_u32_e32 v0, v97, v0
	ds_write_b32 v98, v0 offset:8
.LBB232_45:
	s_or_b64 exec, exec, s[4:5]
	v_mov_b32_e32 v41, 0xffff8000
	v_cmp_ne_u16_e32 vcc, s17, v72
	v_cndmask_b32_e32 v0, v41, v72, vcc
	v_and_b32_sdwa v38, s16, v0 dst_sel:DWORD dst_unused:UNUSED_PAD src0_sel:DWORD src1_sel:WORD_0
	v_and_b32_e32 v1, 1, v38
	v_add_co_u32_e32 v39, vcc, -1, v1
	v_addc_co_u32_e64 v69, s[4:5], 0, -1, vcc
	v_cmp_ne_u32_e32 vcc, 0, v1
	v_lshlrev_b32_e32 v0, 1, v38
	v_xor_b32_e32 v1, vcc_hi, v69
	v_add_lshl_u32 v101, v68, v0, 2
	v_mov_b32_e32 v0, 0
	v_and_b32_e32 v69, exec_hi, v1
	v_lshlrev_b32_e32 v1, 30, v38
	v_xor_b32_e32 v39, vcc_lo, v39
	v_cmp_gt_i64_e32 vcc, 0, v[0:1]
	v_not_b32_e32 v1, v1
	v_ashrrev_i32_e32 v1, 31, v1
	v_and_b32_e32 v39, exec_lo, v39
	v_xor_b32_e32 v70, vcc_hi, v1
	v_xor_b32_e32 v1, vcc_lo, v1
	v_and_b32_e32 v39, v39, v1
	v_lshlrev_b32_e32 v1, 29, v38
	v_cmp_gt_i64_e32 vcc, 0, v[0:1]
	v_not_b32_e32 v1, v1
	v_ashrrev_i32_e32 v1, 31, v1
	v_and_b32_e32 v69, v69, v70
	v_xor_b32_e32 v70, vcc_hi, v1
	v_xor_b32_e32 v1, vcc_lo, v1
	v_and_b32_e32 v39, v39, v1
	v_lshlrev_b32_e32 v1, 28, v38
	v_cmp_gt_i64_e32 vcc, 0, v[0:1]
	v_not_b32_e32 v1, v1
	v_ashrrev_i32_e32 v1, 31, v1
	v_and_b32_e32 v69, v69, v70
	v_xor_b32_e32 v70, vcc_hi, v1
	v_xor_b32_e32 v1, vcc_lo, v1
	v_and_b32_e32 v39, v39, v1
	v_lshlrev_b32_e32 v1, 27, v38
	v_cmp_gt_i64_e32 vcc, 0, v[0:1]
	v_not_b32_e32 v1, v1
	v_ashrrev_i32_e32 v1, 31, v1
	v_and_b32_e32 v69, v69, v70
	v_xor_b32_e32 v70, vcc_hi, v1
	v_xor_b32_e32 v1, vcc_lo, v1
	v_and_b32_e32 v39, v39, v1
	v_lshlrev_b32_e32 v1, 26, v38
	v_cmp_gt_i64_e32 vcc, 0, v[0:1]
	v_not_b32_e32 v1, v1
	v_ashrrev_i32_e32 v1, 31, v1
	v_and_b32_e32 v69, v69, v70
	v_xor_b32_e32 v70, vcc_hi, v1
	v_xor_b32_e32 v1, vcc_lo, v1
	v_and_b32_e32 v39, v39, v1
	v_lshlrev_b32_e32 v1, 25, v38
	v_cmp_gt_i64_e32 vcc, 0, v[0:1]
	v_not_b32_e32 v1, v1
	v_ashrrev_i32_e32 v1, 31, v1
	v_and_b32_e32 v69, v69, v70
	v_xor_b32_e32 v70, vcc_hi, v1
	v_xor_b32_e32 v1, vcc_lo, v1
	v_and_b32_e32 v69, v69, v70
	v_and_b32_e32 v70, v39, v1
	v_lshlrev_b32_e32 v1, 24, v38
	v_cmp_gt_i64_e32 vcc, 0, v[0:1]
	v_not_b32_e32 v1, v1
	v_ashrrev_i32_e32 v1, 31, v1
	v_xor_b32_e32 v38, vcc_hi, v1
	v_xor_b32_e32 v1, vcc_lo, v1
	; wave barrier
	ds_read_b32 v100, v101 offset:8
	v_and_b32_e32 v39, v69, v38
	v_and_b32_e32 v38, v70, v1
	v_mbcnt_lo_u32_b32 v1, v38, 0
	v_mbcnt_hi_u32_b32 v102, v39, v1
	v_cmp_eq_u32_e32 vcc, 0, v102
	v_cmp_ne_u64_e64 s[4:5], 0, v[38:39]
	s_and_b64 s[18:19], s[4:5], vcc
	; wave barrier
	s_and_saveexec_b64 s[4:5], s[18:19]
	s_cbranch_execz .LBB232_47
; %bb.46:
	v_bcnt_u32_b32 v1, v38, 0
	v_bcnt_u32_b32 v1, v39, v1
	s_waitcnt lgkmcnt(0)
	v_add_u32_e32 v1, v100, v1
	ds_write_b32 v101, v1 offset:8
.LBB232_47:
	s_or_b64 exec, exec, s[4:5]
	v_cmp_ne_u16_e32 vcc, s17, v71
	v_cndmask_b32_e32 v1, v41, v71, vcc
	v_and_b32_sdwa v38, s16, v1 dst_sel:DWORD dst_unused:UNUSED_PAD src0_sel:DWORD src1_sel:WORD_0
	v_lshlrev_b32_e32 v1, 1, v38
	v_add_lshl_u32 v104, v68, v1, 2
	v_and_b32_e32 v1, 1, v38
	v_add_co_u32_e32 v39, vcc, -1, v1
	v_min_u32_e32 v80, 64, v40
	v_addc_co_u32_e64 v40, s[4:5], 0, -1, vcc
	v_cmp_ne_u32_e32 vcc, 0, v1
	v_xor_b32_e32 v1, vcc_hi, v40
	v_and_b32_e32 v40, exec_hi, v1
	v_lshlrev_b32_e32 v1, 30, v38
	v_xor_b32_e32 v39, vcc_lo, v39
	v_cmp_gt_i64_e32 vcc, 0, v[0:1]
	v_not_b32_e32 v1, v1
	v_ashrrev_i32_e32 v1, 31, v1
	v_and_b32_e32 v39, exec_lo, v39
	v_xor_b32_e32 v41, vcc_hi, v1
	v_xor_b32_e32 v1, vcc_lo, v1
	v_and_b32_e32 v39, v39, v1
	v_lshlrev_b32_e32 v1, 29, v38
	v_cmp_gt_i64_e32 vcc, 0, v[0:1]
	v_not_b32_e32 v1, v1
	v_ashrrev_i32_e32 v1, 31, v1
	v_and_b32_e32 v40, v40, v41
	v_xor_b32_e32 v41, vcc_hi, v1
	v_xor_b32_e32 v1, vcc_lo, v1
	v_and_b32_e32 v39, v39, v1
	v_lshlrev_b32_e32 v1, 28, v38
	v_cmp_gt_i64_e32 vcc, 0, v[0:1]
	v_not_b32_e32 v1, v1
	v_ashrrev_i32_e32 v1, 31, v1
	v_and_b32_e32 v40, v40, v41
	;; [unrolled: 8-line block ×5, first 2 shown]
	v_xor_b32_e32 v41, vcc_hi, v1
	v_xor_b32_e32 v1, vcc_lo, v1
	v_and_b32_e32 v39, v39, v1
	v_lshlrev_b32_e32 v1, 24, v38
	v_cmp_gt_i64_e32 vcc, 0, v[0:1]
	v_not_b32_e32 v0, v1
	v_ashrrev_i32_e32 v0, 31, v0
	v_xor_b32_e32 v1, vcc_hi, v0
	v_xor_b32_e32 v0, vcc_lo, v0
	; wave barrier
	ds_read_b32 v103, v104 offset:8
	v_and_b32_e32 v40, v40, v41
	v_and_b32_e32 v0, v39, v0
	;; [unrolled: 1-line block ×3, first 2 shown]
	v_mbcnt_lo_u32_b32 v38, v0, 0
	v_mbcnt_hi_u32_b32 v105, v1, v38
	v_cmp_eq_u32_e32 vcc, 0, v105
	v_cmp_ne_u64_e64 s[4:5], 0, v[0:1]
	v_or_b32_e32 v69, 8, v64
	v_lshrrev_b32_e32 v70, 6, v46
	s_and_b64 s[16:17], s[4:5], vcc
	; wave barrier
	s_and_saveexec_b64 s[4:5], s[16:17]
	s_cbranch_execz .LBB232_49
; %bb.48:
	v_bcnt_u32_b32 v0, v0, 0
	v_bcnt_u32_b32 v0, v1, v0
	s_waitcnt lgkmcnt(0)
	v_add_u32_e32 v0, v103, v0
	ds_write_b32 v104, v0 offset:8
.LBB232_49:
	s_or_b64 exec, exec, s[4:5]
	; wave barrier
	s_waitcnt lgkmcnt(0)
	s_barrier
	ds_read2_b32 v[38:39], v64 offset0:2 offset1:3
	ds_read2_b32 v[40:41], v69 offset0:2 offset1:3
	v_and_b32_e32 v1, 16, v76
	v_cmp_eq_u32_e32 vcc, 0, v1
	v_or_b32_e32 v1, 63, v80
	v_cmp_eq_u32_e64 s[16:17], v1, v46
	s_waitcnt lgkmcnt(1)
	v_add_u32_e32 v1, v39, v38
	v_and_b32_e32 v0, 15, v76
	s_waitcnt lgkmcnt(0)
	v_add3_u32 v1, v1, v40, v41
	v_cmp_eq_u32_e64 s[20:21], 0, v0
	v_cmp_lt_u32_e64 s[22:23], 1, v0
	v_mov_b32_dpp v41, v1 row_shr:1 row_mask:0xf bank_mask:0xf
	v_cndmask_b32_e64 v41, v41, 0, s[20:21]
	v_add_u32_e32 v1, v41, v1
	v_cmp_lt_u32_e64 s[26:27], 3, v0
	v_cmp_lt_u32_e64 s[28:29], 7, v0
	v_mov_b32_dpp v41, v1 row_shr:2 row_mask:0xf bank_mask:0xf
	v_cndmask_b32_e64 v41, 0, v41, s[22:23]
	v_add_u32_e32 v1, v1, v41
	v_bfe_i32 v81, v76, 4, 1
	v_cmp_lt_u32_e64 s[34:35], 31, v76
	v_mov_b32_dpp v41, v1 row_shr:4 row_mask:0xf bank_mask:0xf
	v_cndmask_b32_e64 v41, 0, v41, s[26:27]
	v_add_u32_e32 v1, v1, v41
	v_lshlrev_b32_e32 v70, 2, v70
	s_nop 0
	v_mov_b32_dpp v41, v1 row_shr:8 row_mask:0xf bank_mask:0xf
	v_cndmask_b32_e64 v0, 0, v41, s[28:29]
	v_add_u32_e32 v0, v1, v0
	s_nop 1
	v_mov_b32_dpp v1, v0 row_bcast:15 row_mask:0xf bank_mask:0xf
	v_and_b32_e32 v1, v81, v1
	v_add_u32_e32 v0, v0, v1
	s_nop 1
	v_mov_b32_dpp v1, v0 row_bcast:31 row_mask:0xf bank_mask:0xf
	v_cndmask_b32_e64 v1, 0, v1, s[34:35]
	v_add_u32_e32 v1, v0, v1
	s_and_saveexec_b64 s[4:5], s[16:17]
	s_cbranch_execz .LBB232_51
; %bb.50:
	ds_write_b32 v70, v1
.LBB232_51:
	s_or_b64 exec, exec, s[4:5]
	v_and_b32_e32 v0, 1, v76
	v_cmp_gt_u32_e64 s[24:25], 2, v46
	v_lshlrev_b32_e32 v41, 2, v46
	v_cmp_eq_u32_e64 s[18:19], 0, v0
	s_waitcnt lgkmcnt(0)
	s_barrier
	s_and_saveexec_b64 s[4:5], s[24:25]
	s_cbranch_execz .LBB232_53
; %bb.52:
	ds_read_b32 v0, v41
	s_waitcnt lgkmcnt(0)
	s_nop 0
	v_mov_b32_dpp v80, v0 row_shr:1 row_mask:0xf bank_mask:0xf
	v_cndmask_b32_e64 v80, v80, 0, s[18:19]
	v_add_u32_e32 v0, v80, v0
	ds_write_b32 v41, v0
.LBB232_53:
	s_or_b64 exec, exec, s[4:5]
	v_cmp_lt_u32_e64 s[30:31], 63, v46
	v_add_u32_e32 v80, -4, v70
	v_mov_b32_e32 v0, 0
	v_mov_b32_e32 v106, 0
	s_waitcnt lgkmcnt(0)
	s_barrier
	s_and_saveexec_b64 s[4:5], s[30:31]
	s_cbranch_execz .LBB232_55
; %bb.54:
	ds_read_b32 v106, v80
.LBB232_55:
	s_or_b64 exec, exec, s[4:5]
	v_add_u32_e32 v81, -1, v76
	v_and_b32_e32 v107, 64, v76
	v_cmp_lt_i32_e64 s[4:5], v81, v107
	v_cndmask_b32_e64 v81, v81, v76, s[4:5]
	v_lshlrev_b32_e32 v81, 2, v81
	s_waitcnt lgkmcnt(0)
	v_add_u32_e32 v1, v106, v1
	ds_bpermute_b32 v1, v81, v1
	v_cmp_eq_u32_e64 s[36:37], 0, v76
	v_cmp_eq_u32_e64 s[38:39], 0, v46
	v_and_or_b32 v82, v76, 63, v82
	v_lshlrev_b32_e32 v107, 1, v82
	s_waitcnt lgkmcnt(0)
	v_cndmask_b32_e64 v1, v1, v106, s[36:37]
	v_cndmask_b32_e64 v1, v1, 0, s[38:39]
	v_add_u32_e32 v38, v1, v38
	v_add_u32_e32 v39, v38, v39
	;; [unrolled: 1-line block ×3, first 2 shown]
	ds_write2_b32 v64, v1, v38 offset0:2 offset1:3
	ds_write2_b32 v69, v39, v40 offset0:2 offset1:3
	s_waitcnt lgkmcnt(0)
	s_barrier
	ds_read_b32 v1, v83 offset:8
	ds_read_b32 v38, v86 offset:8
	;; [unrolled: 1-line block ×8, first 2 shown]
	s_waitcnt lgkmcnt(7)
	v_add_u32_e32 v1, v1, v84
	s_waitcnt lgkmcnt(6)
	v_add3_u32 v38, v87, v85, v38
	s_waitcnt lgkmcnt(4)
	v_add3_u32 v84, v93, v91, v40
	v_lshlrev_b32_e32 v40, 1, v1
	v_add3_u32 v39, v90, v88, v39
	s_waitcnt lgkmcnt(0)
	s_barrier
	ds_write_b16 v40, v79
	v_lshlrev_b32_e32 v40, 1, v38
	ds_write_b16 v40, v78
	v_lshlrev_b32_e32 v40, 1, v39
	v_add3_u32 v85, v96, v94, v76
	ds_write_b16 v40, v77
	v_lshlrev_b32_e32 v40, 1, v84
	v_add3_u32 v83, v99, v97, v83
	;; [unrolled: 3-line block ×4, first 2 shown]
	ds_write_b16 v40, v73
	v_lshlrev_b32_e32 v40, 1, v86
	ds_write_b16 v40, v72
	v_lshlrev_b32_e32 v40, 1, v87
	v_lshlrev_b32_e32 v1, 3, v1
	ds_write_b16 v40, v71
	s_waitcnt lgkmcnt(0)
	s_barrier
	ds_read_u16 v77, v107
	ds_read_u16 v76, v107 offset:128
	ds_read_u16 v75, v107 offset:256
	;; [unrolled: 1-line block ×7, first 2 shown]
	s_waitcnt lgkmcnt(0)
	s_barrier
	ds_write_b64 v1, v[34:35]
	v_lshlrev_b32_e32 v1, 3, v38
	ds_write_b64 v1, v[36:37]
	v_lshlrev_b32_e32 v1, 3, v39
	ds_write_b64 v1, v[30:31]
	v_lshlrev_b32_e32 v1, 3, v84
	ds_write_b64 v1, v[32:33]
	v_lshlrev_b32_e32 v1, 3, v85
	ds_write_b64 v1, v[26:27]
	v_lshlrev_b32_e32 v1, 3, v83
	ds_write_b64 v1, v[28:29]
	v_lshlrev_b32_e32 v1, 3, v86
	s_min_u32 s4, s42, 8
	ds_write_b64 v1, v[22:23]
	v_lshlrev_b32_e32 v1, 3, v87
	s_lshl_b32 s4, -1, s4
	s_movk_i32 s52, 0x7fff
	ds_write_b64 v1, v[24:25]
	s_not_b32 s49, s4
	v_lshrrev_b16_e32 v1, 8, v77
	v_mov_b32_e32 v38, 0x80
	v_cmp_ne_u16_e64 s[4:5], s52, v77
	v_cndmask_b32_e64 v1, v38, v1, s[4:5]
	v_and_b32_sdwa v39, v1, s49 dst_sel:DWORD dst_unused:UNUSED_PAD src0_sel:WORD_0 src1_sel:DWORD
	v_lshlrev_b32_e32 v1, 1, v39
	v_add_lshl_u32 v78, v1, v68, 2
	v_and_b32_e32 v1, 1, v39
	v_lshlrev_b32_e32 v82, 3, v82
	v_add_co_u32_e64 v79, s[4:5], -1, v1
	s_waitcnt lgkmcnt(0)
	s_barrier
	ds_read2st64_b64 v[34:37], v82 offset1:1
	ds_read2st64_b64 v[30:33], v82 offset0:2 offset1:3
	ds_read2st64_b64 v[26:29], v82 offset0:4 offset1:5
	;; [unrolled: 1-line block ×3, first 2 shown]
	v_addc_co_u32_e64 v82, s[4:5], 0, -1, s[4:5]
	v_cmp_ne_u32_e64 s[4:5], 0, v1
	v_xor_b32_e32 v1, s5, v82
	v_and_b32_e32 v82, exec_hi, v1
	v_lshlrev_b32_e32 v1, 30, v39
	v_xor_b32_e32 v79, s4, v79
	v_cmp_gt_i64_e64 s[4:5], 0, v[0:1]
	v_not_b32_e32 v1, v1
	v_ashrrev_i32_e32 v1, 31, v1
	v_and_b32_e32 v79, exec_lo, v79
	v_xor_b32_e32 v83, s5, v1
	v_xor_b32_e32 v1, s4, v1
	v_and_b32_e32 v79, v79, v1
	v_lshlrev_b32_e32 v1, 29, v39
	v_cmp_gt_i64_e64 s[4:5], 0, v[0:1]
	v_not_b32_e32 v1, v1
	v_ashrrev_i32_e32 v1, 31, v1
	v_and_b32_e32 v82, v82, v83
	v_xor_b32_e32 v83, s5, v1
	v_xor_b32_e32 v1, s4, v1
	v_and_b32_e32 v79, v79, v1
	v_lshlrev_b32_e32 v1, 28, v39
	v_cmp_gt_i64_e64 s[4:5], 0, v[0:1]
	v_not_b32_e32 v1, v1
	v_ashrrev_i32_e32 v1, 31, v1
	v_and_b32_e32 v82, v82, v83
	;; [unrolled: 8-line block ×5, first 2 shown]
	v_xor_b32_e32 v83, s5, v1
	v_xor_b32_e32 v1, s4, v1
	v_and_b32_e32 v79, v79, v1
	v_lshlrev_b32_e32 v1, 24, v39
	s_waitcnt lgkmcnt(0)
	s_barrier
	ds_write2_b32 v64, v0, v0 offset0:2 offset1:3
	ds_write2_b32 v69, v0, v0 offset0:2 offset1:3
	v_cmp_gt_i64_e64 s[4:5], 0, v[0:1]
	v_not_b32_e32 v0, v1
	v_ashrrev_i32_e32 v0, 31, v0
	v_xor_b32_e32 v1, s5, v0
	v_xor_b32_e32 v0, s4, v0
	v_and_b32_e32 v82, v82, v83
	v_and_b32_e32 v0, v79, v0
	;; [unrolled: 1-line block ×3, first 2 shown]
	v_mbcnt_lo_u32_b32 v39, v0, 0
	v_mbcnt_hi_u32_b32 v79, v1, v39
	v_cmp_eq_u32_e64 s[4:5], 0, v79
	v_cmp_ne_u64_e64 s[42:43], 0, v[0:1]
	s_and_b64 s[42:43], s[42:43], s[4:5]
	s_waitcnt lgkmcnt(0)
	s_barrier
	s_waitcnt lgkmcnt(0)
	; wave barrier
	s_and_saveexec_b64 s[4:5], s[42:43]
	s_cbranch_execz .LBB232_57
; %bb.56:
	v_bcnt_u32_b32 v0, v0, 0
	v_bcnt_u32_b32 v0, v1, v0
	ds_write_b32 v78, v0 offset:8
.LBB232_57:
	s_or_b64 exec, exec, s[4:5]
	v_lshrrev_b16_e32 v0, 8, v76
	v_cmp_ne_u16_e64 s[4:5], s52, v76
	v_cndmask_b32_e64 v0, v38, v0, s[4:5]
	v_and_b32_e32 v38, s49, v0
	v_and_b32_e32 v1, 1, v38
	v_add_co_u32_e64 v39, s[4:5], -1, v1
	v_addc_co_u32_e64 v84, s[4:5], 0, -1, s[4:5]
	v_cmp_ne_u32_e64 s[4:5], 0, v1
	v_lshlrev_b32_e32 v0, 1, v38
	v_xor_b32_e32 v1, s5, v84
	v_add_lshl_u32 v83, v0, v68, 2
	v_mov_b32_e32 v0, 0
	v_and_b32_e32 v84, exec_hi, v1
	v_lshlrev_b32_e32 v1, 30, v38
	v_xor_b32_e32 v39, s4, v39
	v_cmp_gt_i64_e64 s[4:5], 0, v[0:1]
	v_not_b32_e32 v1, v1
	v_ashrrev_i32_e32 v1, 31, v1
	v_and_b32_e32 v39, exec_lo, v39
	v_xor_b32_e32 v85, s5, v1
	v_xor_b32_e32 v1, s4, v1
	v_and_b32_e32 v39, v39, v1
	v_lshlrev_b32_e32 v1, 29, v38
	v_cmp_gt_i64_e64 s[4:5], 0, v[0:1]
	v_not_b32_e32 v1, v1
	v_ashrrev_i32_e32 v1, 31, v1
	v_and_b32_e32 v84, v84, v85
	v_xor_b32_e32 v85, s5, v1
	v_xor_b32_e32 v1, s4, v1
	v_and_b32_e32 v39, v39, v1
	v_lshlrev_b32_e32 v1, 28, v38
	v_cmp_gt_i64_e64 s[4:5], 0, v[0:1]
	v_not_b32_e32 v1, v1
	v_ashrrev_i32_e32 v1, 31, v1
	v_and_b32_e32 v84, v84, v85
	;; [unrolled: 8-line block ×5, first 2 shown]
	v_xor_b32_e32 v85, s5, v1
	v_xor_b32_e32 v1, s4, v1
	v_and_b32_e32 v84, v84, v85
	v_and_b32_e32 v85, v39, v1
	v_lshlrev_b32_e32 v1, 24, v38
	v_cmp_gt_i64_e64 s[4:5], 0, v[0:1]
	v_not_b32_e32 v1, v1
	v_ashrrev_i32_e32 v1, 31, v1
	v_xor_b32_e32 v38, s5, v1
	v_xor_b32_e32 v1, s4, v1
	; wave barrier
	ds_read_b32 v82, v83 offset:8
	v_and_b32_e32 v39, v84, v38
	v_and_b32_e32 v38, v85, v1
	v_mbcnt_lo_u32_b32 v1, v38, 0
	v_mbcnt_hi_u32_b32 v84, v39, v1
	v_cmp_eq_u32_e64 s[4:5], 0, v84
	v_cmp_ne_u64_e64 s[42:43], 0, v[38:39]
	s_and_b64 s[42:43], s[42:43], s[4:5]
	; wave barrier
	s_and_saveexec_b64 s[4:5], s[42:43]
	s_cbranch_execz .LBB232_59
; %bb.58:
	v_bcnt_u32_b32 v1, v38, 0
	v_bcnt_u32_b32 v1, v39, v1
	s_waitcnt lgkmcnt(0)
	v_add_u32_e32 v1, v82, v1
	ds_write_b32 v83, v1 offset:8
.LBB232_59:
	s_or_b64 exec, exec, s[4:5]
	v_lshrrev_b16_e32 v1, 8, v75
	v_mov_b32_e32 v38, 0x80
	v_cmp_ne_u16_e64 s[4:5], s52, v75
	v_cndmask_b32_e64 v1, v38, v1, s[4:5]
	v_and_b32_e32 v39, s49, v1
	v_lshlrev_b32_e32 v1, 1, v39
	v_add_lshl_u32 v86, v1, v68, 2
	v_and_b32_e32 v1, 1, v39
	v_add_co_u32_e64 v87, s[4:5], -1, v1
	v_addc_co_u32_e64 v88, s[4:5], 0, -1, s[4:5]
	v_cmp_ne_u32_e64 s[4:5], 0, v1
	v_xor_b32_e32 v1, s5, v88
	v_and_b32_e32 v88, exec_hi, v1
	v_lshlrev_b32_e32 v1, 30, v39
	v_xor_b32_e32 v87, s4, v87
	v_cmp_gt_i64_e64 s[4:5], 0, v[0:1]
	v_not_b32_e32 v1, v1
	v_ashrrev_i32_e32 v1, 31, v1
	v_and_b32_e32 v87, exec_lo, v87
	v_xor_b32_e32 v89, s5, v1
	v_xor_b32_e32 v1, s4, v1
	v_and_b32_e32 v87, v87, v1
	v_lshlrev_b32_e32 v1, 29, v39
	v_cmp_gt_i64_e64 s[4:5], 0, v[0:1]
	v_not_b32_e32 v1, v1
	v_ashrrev_i32_e32 v1, 31, v1
	v_and_b32_e32 v88, v88, v89
	v_xor_b32_e32 v89, s5, v1
	v_xor_b32_e32 v1, s4, v1
	v_and_b32_e32 v87, v87, v1
	v_lshlrev_b32_e32 v1, 28, v39
	v_cmp_gt_i64_e64 s[4:5], 0, v[0:1]
	v_not_b32_e32 v1, v1
	v_ashrrev_i32_e32 v1, 31, v1
	v_and_b32_e32 v88, v88, v89
	;; [unrolled: 8-line block ×5, first 2 shown]
	v_xor_b32_e32 v89, s5, v1
	v_xor_b32_e32 v1, s4, v1
	v_and_b32_e32 v87, v87, v1
	v_lshlrev_b32_e32 v1, 24, v39
	v_cmp_gt_i64_e64 s[4:5], 0, v[0:1]
	v_not_b32_e32 v0, v1
	v_ashrrev_i32_e32 v0, 31, v0
	v_xor_b32_e32 v1, s5, v0
	v_xor_b32_e32 v0, s4, v0
	; wave barrier
	ds_read_b32 v85, v86 offset:8
	v_and_b32_e32 v88, v88, v89
	v_and_b32_e32 v0, v87, v0
	;; [unrolled: 1-line block ×3, first 2 shown]
	v_mbcnt_lo_u32_b32 v39, v0, 0
	v_mbcnt_hi_u32_b32 v87, v1, v39
	v_cmp_eq_u32_e64 s[4:5], 0, v87
	v_cmp_ne_u64_e64 s[42:43], 0, v[0:1]
	s_and_b64 s[42:43], s[42:43], s[4:5]
	; wave barrier
	s_and_saveexec_b64 s[4:5], s[42:43]
	s_cbranch_execz .LBB232_61
; %bb.60:
	v_bcnt_u32_b32 v0, v0, 0
	v_bcnt_u32_b32 v0, v1, v0
	s_waitcnt lgkmcnt(0)
	v_add_u32_e32 v0, v85, v0
	ds_write_b32 v86, v0 offset:8
.LBB232_61:
	s_or_b64 exec, exec, s[4:5]
	v_lshrrev_b16_e32 v0, 8, v74
	v_cmp_ne_u16_e64 s[4:5], s52, v74
	v_cndmask_b32_e64 v0, v38, v0, s[4:5]
	v_and_b32_e32 v38, s49, v0
	v_and_b32_e32 v1, 1, v38
	v_add_co_u32_e64 v39, s[4:5], -1, v1
	v_addc_co_u32_e64 v90, s[4:5], 0, -1, s[4:5]
	v_cmp_ne_u32_e64 s[4:5], 0, v1
	v_lshlrev_b32_e32 v0, 1, v38
	v_xor_b32_e32 v1, s5, v90
	v_add_lshl_u32 v89, v0, v68, 2
	v_mov_b32_e32 v0, 0
	v_and_b32_e32 v90, exec_hi, v1
	v_lshlrev_b32_e32 v1, 30, v38
	v_xor_b32_e32 v39, s4, v39
	v_cmp_gt_i64_e64 s[4:5], 0, v[0:1]
	v_not_b32_e32 v1, v1
	v_ashrrev_i32_e32 v1, 31, v1
	v_and_b32_e32 v39, exec_lo, v39
	v_xor_b32_e32 v91, s5, v1
	v_xor_b32_e32 v1, s4, v1
	v_and_b32_e32 v39, v39, v1
	v_lshlrev_b32_e32 v1, 29, v38
	v_cmp_gt_i64_e64 s[4:5], 0, v[0:1]
	v_not_b32_e32 v1, v1
	v_ashrrev_i32_e32 v1, 31, v1
	v_and_b32_e32 v90, v90, v91
	v_xor_b32_e32 v91, s5, v1
	v_xor_b32_e32 v1, s4, v1
	v_and_b32_e32 v39, v39, v1
	v_lshlrev_b32_e32 v1, 28, v38
	v_cmp_gt_i64_e64 s[4:5], 0, v[0:1]
	v_not_b32_e32 v1, v1
	v_ashrrev_i32_e32 v1, 31, v1
	v_and_b32_e32 v90, v90, v91
	;; [unrolled: 8-line block ×5, first 2 shown]
	v_xor_b32_e32 v91, s5, v1
	v_xor_b32_e32 v1, s4, v1
	v_and_b32_e32 v90, v90, v91
	v_and_b32_e32 v91, v39, v1
	v_lshlrev_b32_e32 v1, 24, v38
	v_cmp_gt_i64_e64 s[4:5], 0, v[0:1]
	v_not_b32_e32 v1, v1
	v_ashrrev_i32_e32 v1, 31, v1
	v_xor_b32_e32 v38, s5, v1
	v_xor_b32_e32 v1, s4, v1
	; wave barrier
	ds_read_b32 v88, v89 offset:8
	v_and_b32_e32 v39, v90, v38
	v_and_b32_e32 v38, v91, v1
	v_mbcnt_lo_u32_b32 v1, v38, 0
	v_mbcnt_hi_u32_b32 v90, v39, v1
	v_cmp_eq_u32_e64 s[4:5], 0, v90
	v_cmp_ne_u64_e64 s[42:43], 0, v[38:39]
	s_and_b64 s[42:43], s[42:43], s[4:5]
	; wave barrier
	s_and_saveexec_b64 s[4:5], s[42:43]
	s_cbranch_execz .LBB232_63
; %bb.62:
	v_bcnt_u32_b32 v1, v38, 0
	v_bcnt_u32_b32 v1, v39, v1
	s_waitcnt lgkmcnt(0)
	v_add_u32_e32 v1, v88, v1
	ds_write_b32 v89, v1 offset:8
.LBB232_63:
	s_or_b64 exec, exec, s[4:5]
	v_lshrrev_b16_e32 v1, 8, v73
	v_mov_b32_e32 v38, 0x80
	v_cmp_ne_u16_e64 s[4:5], s52, v73
	v_cndmask_b32_e64 v1, v38, v1, s[4:5]
	v_and_b32_e32 v39, s49, v1
	v_lshlrev_b32_e32 v1, 1, v39
	v_add_lshl_u32 v92, v1, v68, 2
	v_and_b32_e32 v1, 1, v39
	v_add_co_u32_e64 v93, s[4:5], -1, v1
	v_addc_co_u32_e64 v94, s[4:5], 0, -1, s[4:5]
	v_cmp_ne_u32_e64 s[4:5], 0, v1
	v_xor_b32_e32 v1, s5, v94
	v_and_b32_e32 v94, exec_hi, v1
	v_lshlrev_b32_e32 v1, 30, v39
	v_xor_b32_e32 v93, s4, v93
	v_cmp_gt_i64_e64 s[4:5], 0, v[0:1]
	v_not_b32_e32 v1, v1
	v_ashrrev_i32_e32 v1, 31, v1
	v_and_b32_e32 v93, exec_lo, v93
	v_xor_b32_e32 v95, s5, v1
	v_xor_b32_e32 v1, s4, v1
	v_and_b32_e32 v93, v93, v1
	v_lshlrev_b32_e32 v1, 29, v39
	v_cmp_gt_i64_e64 s[4:5], 0, v[0:1]
	v_not_b32_e32 v1, v1
	v_ashrrev_i32_e32 v1, 31, v1
	v_and_b32_e32 v94, v94, v95
	v_xor_b32_e32 v95, s5, v1
	v_xor_b32_e32 v1, s4, v1
	v_and_b32_e32 v93, v93, v1
	v_lshlrev_b32_e32 v1, 28, v39
	v_cmp_gt_i64_e64 s[4:5], 0, v[0:1]
	v_not_b32_e32 v1, v1
	v_ashrrev_i32_e32 v1, 31, v1
	v_and_b32_e32 v94, v94, v95
	;; [unrolled: 8-line block ×5, first 2 shown]
	v_xor_b32_e32 v95, s5, v1
	v_xor_b32_e32 v1, s4, v1
	v_and_b32_e32 v93, v93, v1
	v_lshlrev_b32_e32 v1, 24, v39
	v_cmp_gt_i64_e64 s[4:5], 0, v[0:1]
	v_not_b32_e32 v0, v1
	v_ashrrev_i32_e32 v0, 31, v0
	v_xor_b32_e32 v1, s5, v0
	v_xor_b32_e32 v0, s4, v0
	; wave barrier
	ds_read_b32 v91, v92 offset:8
	v_and_b32_e32 v94, v94, v95
	v_and_b32_e32 v0, v93, v0
	;; [unrolled: 1-line block ×3, first 2 shown]
	v_mbcnt_lo_u32_b32 v39, v0, 0
	v_mbcnt_hi_u32_b32 v93, v1, v39
	v_cmp_eq_u32_e64 s[4:5], 0, v93
	v_cmp_ne_u64_e64 s[42:43], 0, v[0:1]
	s_and_b64 s[42:43], s[42:43], s[4:5]
	; wave barrier
	s_and_saveexec_b64 s[4:5], s[42:43]
	s_cbranch_execz .LBB232_65
; %bb.64:
	v_bcnt_u32_b32 v0, v0, 0
	v_bcnt_u32_b32 v0, v1, v0
	s_waitcnt lgkmcnt(0)
	v_add_u32_e32 v0, v91, v0
	ds_write_b32 v92, v0 offset:8
.LBB232_65:
	s_or_b64 exec, exec, s[4:5]
	v_lshrrev_b16_e32 v0, 8, v72
	v_cmp_ne_u16_e64 s[4:5], s52, v72
	v_cndmask_b32_e64 v0, v38, v0, s[4:5]
	v_and_b32_e32 v38, s49, v0
	v_and_b32_e32 v1, 1, v38
	v_add_co_u32_e64 v39, s[4:5], -1, v1
	v_addc_co_u32_e64 v96, s[4:5], 0, -1, s[4:5]
	v_cmp_ne_u32_e64 s[4:5], 0, v1
	v_lshlrev_b32_e32 v0, 1, v38
	v_xor_b32_e32 v1, s5, v96
	v_add_lshl_u32 v95, v0, v68, 2
	v_mov_b32_e32 v0, 0
	v_and_b32_e32 v96, exec_hi, v1
	v_lshlrev_b32_e32 v1, 30, v38
	v_xor_b32_e32 v39, s4, v39
	v_cmp_gt_i64_e64 s[4:5], 0, v[0:1]
	v_not_b32_e32 v1, v1
	v_ashrrev_i32_e32 v1, 31, v1
	v_and_b32_e32 v39, exec_lo, v39
	v_xor_b32_e32 v97, s5, v1
	v_xor_b32_e32 v1, s4, v1
	v_and_b32_e32 v39, v39, v1
	v_lshlrev_b32_e32 v1, 29, v38
	v_cmp_gt_i64_e64 s[4:5], 0, v[0:1]
	v_not_b32_e32 v1, v1
	v_ashrrev_i32_e32 v1, 31, v1
	v_and_b32_e32 v96, v96, v97
	v_xor_b32_e32 v97, s5, v1
	v_xor_b32_e32 v1, s4, v1
	v_and_b32_e32 v39, v39, v1
	v_lshlrev_b32_e32 v1, 28, v38
	v_cmp_gt_i64_e64 s[4:5], 0, v[0:1]
	v_not_b32_e32 v1, v1
	v_ashrrev_i32_e32 v1, 31, v1
	v_and_b32_e32 v96, v96, v97
	v_xor_b32_e32 v97, s5, v1
	v_xor_b32_e32 v1, s4, v1
	v_and_b32_e32 v39, v39, v1
	v_lshlrev_b32_e32 v1, 27, v38
	v_cmp_gt_i64_e64 s[4:5], 0, v[0:1]
	v_not_b32_e32 v1, v1
	v_ashrrev_i32_e32 v1, 31, v1
	v_and_b32_e32 v96, v96, v97
	v_xor_b32_e32 v97, s5, v1
	v_xor_b32_e32 v1, s4, v1
	v_and_b32_e32 v39, v39, v1
	v_lshlrev_b32_e32 v1, 26, v38
	v_cmp_gt_i64_e64 s[4:5], 0, v[0:1]
	v_not_b32_e32 v1, v1
	v_ashrrev_i32_e32 v1, 31, v1
	v_and_b32_e32 v96, v96, v97
	v_xor_b32_e32 v97, s5, v1
	v_xor_b32_e32 v1, s4, v1
	v_and_b32_e32 v39, v39, v1
	v_lshlrev_b32_e32 v1, 25, v38
	v_cmp_gt_i64_e64 s[4:5], 0, v[0:1]
	v_not_b32_e32 v1, v1
	v_ashrrev_i32_e32 v1, 31, v1
	v_and_b32_e32 v96, v96, v97
	v_xor_b32_e32 v97, s5, v1
	v_xor_b32_e32 v1, s4, v1
	v_and_b32_e32 v96, v96, v97
	v_and_b32_e32 v97, v39, v1
	v_lshlrev_b32_e32 v1, 24, v38
	v_cmp_gt_i64_e64 s[4:5], 0, v[0:1]
	v_not_b32_e32 v1, v1
	v_ashrrev_i32_e32 v1, 31, v1
	v_xor_b32_e32 v38, s5, v1
	v_xor_b32_e32 v1, s4, v1
	; wave barrier
	ds_read_b32 v94, v95 offset:8
	v_and_b32_e32 v39, v96, v38
	v_and_b32_e32 v38, v97, v1
	v_mbcnt_lo_u32_b32 v1, v38, 0
	v_mbcnt_hi_u32_b32 v96, v39, v1
	v_cmp_eq_u32_e64 s[4:5], 0, v96
	v_cmp_ne_u64_e64 s[42:43], 0, v[38:39]
	s_and_b64 s[42:43], s[42:43], s[4:5]
	; wave barrier
	s_and_saveexec_b64 s[4:5], s[42:43]
	s_cbranch_execz .LBB232_67
; %bb.66:
	v_bcnt_u32_b32 v1, v38, 0
	v_bcnt_u32_b32 v1, v39, v1
	s_waitcnt lgkmcnt(0)
	v_add_u32_e32 v1, v94, v1
	ds_write_b32 v95, v1 offset:8
.LBB232_67:
	s_or_b64 exec, exec, s[4:5]
	v_lshrrev_b16_e32 v1, 8, v71
	v_mov_b32_e32 v38, 0x80
	v_cmp_ne_u16_e64 s[4:5], s52, v71
	v_cndmask_b32_e64 v1, v38, v1, s[4:5]
	v_and_b32_e32 v39, s49, v1
	v_lshlrev_b32_e32 v1, 1, v39
	v_add_lshl_u32 v98, v1, v68, 2
	v_and_b32_e32 v1, 1, v39
	v_add_co_u32_e64 v99, s[4:5], -1, v1
	v_addc_co_u32_e64 v100, s[4:5], 0, -1, s[4:5]
	v_cmp_ne_u32_e64 s[4:5], 0, v1
	v_xor_b32_e32 v1, s5, v100
	v_and_b32_e32 v100, exec_hi, v1
	v_lshlrev_b32_e32 v1, 30, v39
	v_xor_b32_e32 v99, s4, v99
	v_cmp_gt_i64_e64 s[4:5], 0, v[0:1]
	v_not_b32_e32 v1, v1
	v_ashrrev_i32_e32 v1, 31, v1
	v_and_b32_e32 v99, exec_lo, v99
	v_xor_b32_e32 v101, s5, v1
	v_xor_b32_e32 v1, s4, v1
	v_and_b32_e32 v99, v99, v1
	v_lshlrev_b32_e32 v1, 29, v39
	v_cmp_gt_i64_e64 s[4:5], 0, v[0:1]
	v_not_b32_e32 v1, v1
	v_ashrrev_i32_e32 v1, 31, v1
	v_and_b32_e32 v100, v100, v101
	v_xor_b32_e32 v101, s5, v1
	v_xor_b32_e32 v1, s4, v1
	v_and_b32_e32 v99, v99, v1
	v_lshlrev_b32_e32 v1, 28, v39
	v_cmp_gt_i64_e64 s[4:5], 0, v[0:1]
	v_not_b32_e32 v1, v1
	v_ashrrev_i32_e32 v1, 31, v1
	v_and_b32_e32 v100, v100, v101
	;; [unrolled: 8-line block ×5, first 2 shown]
	v_xor_b32_e32 v101, s5, v1
	v_xor_b32_e32 v1, s4, v1
	v_and_b32_e32 v99, v99, v1
	v_lshlrev_b32_e32 v1, 24, v39
	v_cmp_gt_i64_e64 s[4:5], 0, v[0:1]
	v_not_b32_e32 v0, v1
	v_ashrrev_i32_e32 v0, 31, v0
	v_xor_b32_e32 v1, s5, v0
	v_xor_b32_e32 v0, s4, v0
	; wave barrier
	ds_read_b32 v97, v98 offset:8
	v_and_b32_e32 v100, v100, v101
	v_and_b32_e32 v0, v99, v0
	;; [unrolled: 1-line block ×3, first 2 shown]
	v_mbcnt_lo_u32_b32 v39, v0, 0
	v_mbcnt_hi_u32_b32 v99, v1, v39
	v_cmp_eq_u32_e64 s[4:5], 0, v99
	v_cmp_ne_u64_e64 s[42:43], 0, v[0:1]
	s_and_b64 s[42:43], s[42:43], s[4:5]
	; wave barrier
	s_and_saveexec_b64 s[4:5], s[42:43]
	s_cbranch_execz .LBB232_69
; %bb.68:
	v_bcnt_u32_b32 v0, v0, 0
	v_bcnt_u32_b32 v0, v1, v0
	s_waitcnt lgkmcnt(0)
	v_add_u32_e32 v0, v97, v0
	ds_write_b32 v98, v0 offset:8
.LBB232_69:
	s_or_b64 exec, exec, s[4:5]
	v_lshrrev_b16_e32 v0, 8, v40
	v_cmp_ne_u16_e64 s[4:5], s52, v40
	v_cndmask_b32_e64 v0, v38, v0, s[4:5]
	v_and_b32_e32 v38, s49, v0
	v_and_b32_e32 v1, 1, v38
	v_add_co_u32_e64 v39, s[4:5], -1, v1
	v_addc_co_u32_e64 v101, s[4:5], 0, -1, s[4:5]
	v_cmp_ne_u32_e64 s[4:5], 0, v1
	v_lshlrev_b32_e32 v0, 1, v38
	v_xor_b32_e32 v1, s5, v101
	v_add_lshl_u32 v100, v0, v68, 2
	v_mov_b32_e32 v0, 0
	v_and_b32_e32 v101, exec_hi, v1
	v_lshlrev_b32_e32 v1, 30, v38
	v_xor_b32_e32 v39, s4, v39
	v_cmp_gt_i64_e64 s[4:5], 0, v[0:1]
	v_not_b32_e32 v1, v1
	v_ashrrev_i32_e32 v1, 31, v1
	v_and_b32_e32 v39, exec_lo, v39
	v_xor_b32_e32 v102, s5, v1
	v_xor_b32_e32 v1, s4, v1
	v_and_b32_e32 v39, v39, v1
	v_lshlrev_b32_e32 v1, 29, v38
	v_cmp_gt_i64_e64 s[4:5], 0, v[0:1]
	v_not_b32_e32 v1, v1
	v_ashrrev_i32_e32 v1, 31, v1
	v_and_b32_e32 v101, v101, v102
	v_xor_b32_e32 v102, s5, v1
	v_xor_b32_e32 v1, s4, v1
	v_and_b32_e32 v39, v39, v1
	v_lshlrev_b32_e32 v1, 28, v38
	v_cmp_gt_i64_e64 s[4:5], 0, v[0:1]
	v_not_b32_e32 v1, v1
	v_ashrrev_i32_e32 v1, 31, v1
	v_and_b32_e32 v101, v101, v102
	;; [unrolled: 8-line block ×5, first 2 shown]
	v_xor_b32_e32 v102, s5, v1
	v_xor_b32_e32 v1, s4, v1
	v_and_b32_e32 v39, v39, v1
	v_lshlrev_b32_e32 v1, 24, v38
	v_cmp_gt_i64_e64 s[4:5], 0, v[0:1]
	v_not_b32_e32 v0, v1
	v_ashrrev_i32_e32 v0, 31, v0
	v_xor_b32_e32 v1, s5, v0
	v_xor_b32_e32 v0, s4, v0
	; wave barrier
	ds_read_b32 v68, v100 offset:8
	v_and_b32_e32 v101, v101, v102
	v_and_b32_e32 v0, v39, v0
	;; [unrolled: 1-line block ×3, first 2 shown]
	v_mbcnt_lo_u32_b32 v38, v0, 0
	v_mbcnt_hi_u32_b32 v101, v1, v38
	v_cmp_eq_u32_e64 s[4:5], 0, v101
	v_cmp_ne_u64_e64 s[42:43], 0, v[0:1]
	s_and_b64 s[42:43], s[42:43], s[4:5]
	; wave barrier
	s_and_saveexec_b64 s[4:5], s[42:43]
	s_cbranch_execz .LBB232_71
; %bb.70:
	v_bcnt_u32_b32 v0, v0, 0
	v_bcnt_u32_b32 v0, v1, v0
	s_waitcnt lgkmcnt(0)
	v_add_u32_e32 v0, v68, v0
	ds_write_b32 v100, v0 offset:8
.LBB232_71:
	s_or_b64 exec, exec, s[4:5]
	; wave barrier
	s_waitcnt lgkmcnt(0)
	s_barrier
	ds_read2_b32 v[38:39], v64 offset0:2 offset1:3
	ds_read2_b32 v[0:1], v69 offset0:2 offset1:3
	s_waitcnt lgkmcnt(1)
	v_add_u32_e32 v102, v39, v38
	s_waitcnt lgkmcnt(0)
	v_add3_u32 v1, v102, v0, v1
	s_nop 1
	v_mov_b32_dpp v102, v1 row_shr:1 row_mask:0xf bank_mask:0xf
	v_cndmask_b32_e64 v102, v102, 0, s[20:21]
	v_add_u32_e32 v1, v102, v1
	s_nop 1
	v_mov_b32_dpp v102, v1 row_shr:2 row_mask:0xf bank_mask:0xf
	v_cndmask_b32_e64 v102, 0, v102, s[22:23]
	v_add_u32_e32 v1, v1, v102
	;; [unrolled: 4-line block ×4, first 2 shown]
	s_nop 1
	v_mov_b32_dpp v102, v1 row_bcast:15 row_mask:0xf bank_mask:0xf
	v_cndmask_b32_e64 v102, v102, 0, vcc
	v_add_u32_e32 v1, v1, v102
	s_nop 1
	v_mov_b32_dpp v102, v1 row_bcast:31 row_mask:0xf bank_mask:0xf
	v_cndmask_b32_e64 v102, 0, v102, s[34:35]
	v_add_u32_e32 v102, v1, v102
	s_and_saveexec_b64 s[4:5], s[16:17]
	s_cbranch_execz .LBB232_73
; %bb.72:
	ds_write_b32 v70, v102
.LBB232_73:
	s_or_b64 exec, exec, s[4:5]
	s_waitcnt lgkmcnt(0)
	s_barrier
	s_and_saveexec_b64 s[4:5], s[24:25]
	s_cbranch_execz .LBB232_75
; %bb.74:
	ds_read_b32 v1, v41
	s_waitcnt lgkmcnt(0)
	s_nop 0
	v_mov_b32_dpp v70, v1 row_shr:1 row_mask:0xf bank_mask:0xf
	v_cndmask_b32_e64 v70, v70, 0, s[18:19]
	v_add_u32_e32 v1, v70, v1
	ds_write_b32 v41, v1
.LBB232_75:
	s_or_b64 exec, exec, s[4:5]
	v_mov_b32_e32 v1, 0
	v_mov_b32_e32 v41, 0
	s_waitcnt lgkmcnt(0)
	s_barrier
	s_and_saveexec_b64 s[4:5], s[30:31]
	s_cbranch_execz .LBB232_77
; %bb.76:
	ds_read_b32 v41, v80
.LBB232_77:
	s_or_b64 exec, exec, s[4:5]
	s_waitcnt lgkmcnt(0)
	v_add_u32_e32 v70, v41, v102
	ds_bpermute_b32 v70, v81, v70
	s_mov_b32 s16, 0x5040100
	s_waitcnt lgkmcnt(0)
	v_cndmask_b32_e64 v41, v70, v41, s[36:37]
	v_cndmask_b32_e64 v41, v41, 0, s[38:39]
	v_add_u32_e32 v38, v41, v38
	v_add_u32_e32 v39, v38, v39
	;; [unrolled: 1-line block ×3, first 2 shown]
	ds_write2_b32 v64, v41, v38 offset0:2 offset1:3
	ds_write2_b32 v69, v39, v0 offset0:2 offset1:3
	s_waitcnt lgkmcnt(0)
	s_barrier
	ds_read_b32 v0, v100 offset:8
	ds_read_b32 v38, v98 offset:8
	;; [unrolled: 1-line block ×4, first 2 shown]
	s_waitcnt lgkmcnt(3)
	v_add3_u32 v0, v101, v68, v0
	ds_read_b32 v68, v89 offset:8
	ds_read_b32 v69, v86 offset:8
	;; [unrolled: 1-line block ×4, first 2 shown]
	s_waitcnt lgkmcnt(0)
	s_barrier
	v_add3_u32 v69, v87, v85, v69
	v_add3_u32 v70, v84, v82, v70
	v_add_u32_e32 v78, v78, v79
	v_lshlrev_b32_e32 v79, 1, v78
	ds_write_b16 v79, v77
	v_lshlrev_b32_e32 v77, 1, v70
	v_add3_u32 v68, v90, v88, v68
	ds_write_b16 v77, v76
	v_lshlrev_b32_e32 v76, 1, v69
	v_add3_u32 v41, v93, v91, v41
	;; [unrolled: 3-line block ×4, first 2 shown]
	ds_write_b16 v74, v73
	v_lshlrev_b32_e32 v73, 1, v39
	ds_write_b16 v73, v72
	v_lshlrev_b32_e32 v72, 1, v38
	;; [unrolled: 2-line block ×4, first 2 shown]
	s_waitcnt lgkmcnt(0)
	s_barrier
	v_lshlrev_b32_e32 v72, 3, v41
	v_lshlrev_b32_e32 v73, 3, v39
	;; [unrolled: 1-line block ×3, first 2 shown]
	ds_read_b128 v[38:41], v40
	v_mov_b32_e32 v77, 0xffff8000
	v_lshlrev_b32_e32 v71, 3, v78
	v_lshlrev_b32_e32 v75, 3, v63
	;; [unrolled: 1-line block ×3, first 2 shown]
	s_waitcnt lgkmcnt(0)
	v_cmp_lt_i16_sdwa vcc, v38, v1 src0_sel:WORD_1 src1_sel:DWORD
	v_cndmask_b32_e32 v78, -1, v77, vcc
	v_cmp_gt_i16_e32 vcc, 0, v38
	v_lshlrev_b32_e32 v69, 3, v69
	v_lshlrev_b32_e32 v68, 3, v68
	;; [unrolled: 1-line block ×3, first 2 shown]
	v_cndmask_b32_e32 v79, -1, v77, vcc
	v_cmp_lt_i16_e32 vcc, -1, v39
	s_barrier
	ds_write_b64 v71, v[34:35]
	ds_write_b64 v70, v[36:37]
	;; [unrolled: 1-line block ×8, first 2 shown]
	s_waitcnt lgkmcnt(0)
	s_barrier
	ds_read2_b64 v[22:25], v75 offset1:1
	ds_read2_b64 v[26:29], v75 offset0:2 offset1:3
	ds_read2_b64 v[30:33], v75 offset0:4 offset1:5
	;; [unrolled: 1-line block ×3, first 2 shown]
	v_mov_b32_e32 v76, -1
	v_cndmask_b32_e64 v81, v77, -1, vcc
	v_cmp_lt_i16_sdwa vcc, v40, v1 src0_sel:WORD_1 src1_sel:DWORD
	v_cmp_gt_i16_sdwa s[4:5], v39, v76 src0_sel:WORD_1 src1_sel:DWORD
	v_cndmask_b32_e32 v0, -1, v77, vcc
	v_cmp_gt_i16_e32 vcc, 0, v40
	v_cndmask_b32_e64 v80, v77, -1, s[4:5]
	v_cndmask_b32_e32 v1, -1, v77, vcc
	v_cmp_gt_i16_sdwa s[4:5], v41, v76 src0_sel:WORD_1 src1_sel:DWORD
	v_cmp_lt_i16_e32 vcc, -1, v41
	v_cndmask_b32_e64 v68, v77, -1, s[4:5]
	v_cndmask_b32_e64 v69, v77, -1, vcc
	v_xor_b32_e32 v81, v81, v39
	v_xor_b32_sdwa v39, v80, v39 dst_sel:DWORD dst_unused:UNUSED_PAD src0_sel:DWORD src1_sel:WORD_1
	v_xor_b32_e32 v79, v79, v38
	v_xor_b32_sdwa v38, v78, v38 dst_sel:DWORD dst_unused:UNUSED_PAD src0_sel:DWORD src1_sel:WORD_1
	;; [unrolled: 2-line block ×4, first 2 shown]
	v_perm_b32 v39, v39, v81, s16
	v_perm_b32 v38, v38, v79, s16
	;; [unrolled: 1-line block ×4, first 2 shown]
	s_branch .LBB232_131
.LBB232_78:
	v_mov_b32_e32 v45, 0
	v_lshlrev_b64 v[2:3], 3, v[44:45]
	v_mov_b32_e32 v4, s47
	v_add_co_u32_e32 v2, vcc, s45, v2
	v_addc_co_u32_e32 v3, vcc, v4, v3, vcc
	global_load_dwordx2 v[2:3], v[2:3], off
	v_mov_b32_e32 v4, v45
	v_mov_b32_e32 v5, v45
	;; [unrolled: 1-line block ×14, first 2 shown]
	s_or_b64 exec, exec, s[4:5]
	s_and_saveexec_b64 s[4:5], s[2:3]
	s_cbranch_execz .LBB232_25
.LBB232_79:
	v_mul_lo_u32 v4, v36, s48
	v_mov_b32_e32 v5, 0
	v_lshlrev_b64 v[4:5], 3, v[4:5]
	v_mov_b32_e32 v36, s47
	v_add_co_u32_e32 v4, vcc, s45, v4
	v_addc_co_u32_e32 v5, vcc, v36, v5, vcc
	global_load_dwordx2 v[4:5], v[4:5], off
	s_or_b64 exec, exec, s[4:5]
	s_and_saveexec_b64 s[4:5], s[40:41]
	s_cbranch_execz .LBB232_26
.LBB232_80:
	v_mul_lo_u32 v6, v35, s48
	v_mov_b32_e32 v7, 0
	v_lshlrev_b64 v[6:7], 3, v[6:7]
	v_mov_b32_e32 v35, s47
	v_add_co_u32_e32 v6, vcc, s45, v6
	v_addc_co_u32_e32 v7, vcc, v35, v7, vcc
	global_load_dwordx2 v[6:7], v[6:7], off
	s_or_b64 exec, exec, s[4:5]
	s_and_saveexec_b64 s[4:5], s[6:7]
	s_cbranch_execz .LBB232_27
.LBB232_81:
	v_mul_lo_u32 v8, v33, s48
	v_mov_b32_e32 v9, 0
	v_lshlrev_b64 v[8:9], 3, v[8:9]
	v_mov_b32_e32 v33, s47
	v_add_co_u32_e32 v8, vcc, s45, v8
	v_addc_co_u32_e32 v9, vcc, v33, v9, vcc
	global_load_dwordx2 v[8:9], v[8:9], off
	s_or_b64 exec, exec, s[4:5]
	s_and_saveexec_b64 s[4:5], s[8:9]
	s_cbranch_execz .LBB232_28
.LBB232_82:
	v_mul_lo_u32 v10, v30, s48
	v_mov_b32_e32 v11, 0
	v_lshlrev_b64 v[10:11], 3, v[10:11]
	v_mov_b32_e32 v30, s47
	v_add_co_u32_e32 v10, vcc, s45, v10
	v_addc_co_u32_e32 v11, vcc, v30, v11, vcc
	global_load_dwordx2 v[10:11], v[10:11], off
	s_or_b64 exec, exec, s[4:5]
	s_and_saveexec_b64 s[4:5], s[10:11]
	s_cbranch_execz .LBB232_29
.LBB232_83:
	v_mul_lo_u32 v12, v28, s48
	v_mov_b32_e32 v13, 0
	v_lshlrev_b64 v[12:13], 3, v[12:13]
	v_mov_b32_e32 v28, s47
	v_add_co_u32_e32 v12, vcc, s45, v12
	v_addc_co_u32_e32 v13, vcc, v28, v13, vcc
	global_load_dwordx2 v[12:13], v[12:13], off
	s_or_b64 exec, exec, s[4:5]
	s_and_saveexec_b64 s[4:5], s[12:13]
	s_cbranch_execz .LBB232_30
.LBB232_84:
	v_mul_lo_u32 v14, v26, s48
	v_mov_b32_e32 v15, 0
	v_lshlrev_b64 v[14:15], 3, v[14:15]
	v_mov_b32_e32 v26, s47
	v_add_co_u32_e32 v14, vcc, s45, v14
	v_addc_co_u32_e32 v15, vcc, v26, v15, vcc
	global_load_dwordx2 v[14:15], v[14:15], off
	s_or_b64 exec, exec, s[4:5]
	s_xor_b64 s[4:5], s[34:35], -1
	s_and_saveexec_b64 s[16:17], s[14:15]
	s_cbranch_execnz .LBB232_31
	s_branch .LBB232_32
.LBB232_85:
                                        ; implicit-def: $vgpr36_vgpr37
                                        ; implicit-def: $vgpr32_vgpr33
                                        ; implicit-def: $vgpr28_vgpr29
                                        ; implicit-def: $vgpr24_vgpr25
                                        ; implicit-def: $vgpr40_vgpr41
	s_cbranch_execz .LBB232_131
; %bb.86:
	s_waitcnt lgkmcnt(3)
	v_mov_b32_e32 v22, 0
	s_waitcnt lgkmcnt(0)
	v_mov_b32_e32 v35, 0x7fff
	v_cmp_gt_i16_e32 vcc, 0, v19
	v_cmp_lt_i16_sdwa s[4:5], v19, v22 src0_sel:WORD_1 src1_sel:DWORD
	v_cndmask_b32_e64 v23, v35, 0, vcc
	v_cmp_gt_i16_e32 vcc, 0, v18
	v_cndmask_b32_e64 v25, v35, 0, s[4:5]
	v_cmp_lt_i16_sdwa s[4:5], v18, v22 src0_sel:WORD_1 src1_sel:DWORD
	v_cndmask_b32_e64 v24, v35, 0, vcc
	v_cndmask_b32_e64 v27, v35, 0, s[4:5]
	v_cmp_gt_i16_e32 vcc, 0, v21
	v_cmp_lt_i16_sdwa s[4:5], v21, v22 src0_sel:WORD_1 src1_sel:DWORD
	v_xor_b32_sdwa v25, v25, v19 dst_sel:DWORD dst_unused:UNUSED_PAD src0_sel:DWORD src1_sel:WORD_1
	v_xor_b32_e32 v19, v23, v19
	v_cndmask_b32_e64 v23, v35, 0, vcc
	v_cmp_gt_i16_e32 vcc, 0, v20
	v_cndmask_b32_e64 v28, v35, 0, s[4:5]
	v_cmp_lt_i16_sdwa s[4:5], v20, v22 src0_sel:WORD_1 src1_sel:DWORD
	v_mbcnt_hi_u32_b32 v26, -1, v67
	v_and_b32_e32 v34, 0x3c0, v46
	v_xor_b32_sdwa v27, v27, v18 dst_sel:DWORD dst_unused:UNUSED_PAD src0_sel:DWORD src1_sel:WORD_1
	v_xor_b32_e32 v18, v24, v18
	v_cndmask_b32_e64 v24, v35, 0, vcc
	v_cndmask_b32_e64 v29, v35, 0, s[4:5]
	v_add_u32_e32 v0, v26, v34
	v_xor_b32_sdwa v29, v29, v20 dst_sel:DWORD dst_unused:UNUSED_PAD src0_sel:DWORD src1_sel:WORD_1
	v_xor_b32_sdwa v28, v28, v21 dst_sel:DWORD dst_unused:UNUSED_PAD src0_sel:DWORD src1_sel:WORD_1
	v_xor_b32_e32 v20, v24, v20
	v_xor_b32_e32 v21, v23, v21
	s_mov_b32 s4, 0x5040100
	v_lshlrev_b32_e32 v1, 4, v0
	v_perm_b32 v21, v28, v21, s4
	v_perm_b32 v20, v29, v20, s4
	;; [unrolled: 1-line block ×4, first 2 shown]
	v_and_b32_e32 v36, 0x1e00, v63
	ds_write_b128 v1, v[18:21]
	v_or_b32_e32 v1, v26, v36
	v_lshlrev_b32_e32 v18, 1, v1
	v_lshlrev_b32_e32 v0, 6, v0
	; wave barrier
	ds_read_u16 v33, v18
	ds_read_u16 v32, v18 offset:128
	ds_read_u16 v31, v18 offset:256
	;; [unrolled: 1-line block ×7, first 2 shown]
	s_waitcnt lgkmcnt(0)
	s_barrier
	ds_write2_b64 v0, v[14:15], v[16:17] offset1:1
	ds_write2_b64 v0, v[10:11], v[12:13] offset0:2 offset1:3
	ds_write2_b64 v0, v[6:7], v[8:9] offset0:4 offset1:5
	;; [unrolled: 1-line block ×3, first 2 shown]
	v_lshlrev_b32_e32 v0, 3, v1
	; wave barrier
	ds_read2st64_b64 v[12:15], v0 offset1:1
	ds_read2st64_b64 v[8:11], v0 offset0:2 offset1:3
	ds_read2st64_b64 v[4:7], v0 offset0:4 offset1:5
	;; [unrolled: 1-line block ×3, first 2 shown]
	s_waitcnt lgkmcnt(0)
	s_barrier
	s_load_dword s16, s[50:51], 0xc
	s_getpc_b64 s[4:5]
	s_add_u32 s4, s4, _ZN7rocprim17ROCPRIM_400000_NS16block_radix_sortI6__halfLj128ELj8ElLj1ELj1ELj0ELNS0_26block_radix_rank_algorithmE1ELNS0_18block_padding_hintE2ELNS0_4arch9wavefront6targetE1EE19radix_bits_per_passE@rel32@lo+4
	s_addc_u32 s5, s5, _ZN7rocprim17ROCPRIM_400000_NS16block_radix_sortI6__halfLj128ELj8ElLj1ELj1ELj0ELNS0_26block_radix_rank_algorithmE1ELNS0_18block_padding_hintE2ELNS0_4arch9wavefront6targetE1EE19radix_bits_per_passE@rel32@hi+12
	s_load_dword s42, s[4:5], 0x0
	s_movk_i32 s17, 0x8000
	v_cmp_ne_u16_e32 vcc, s17, v33
	s_waitcnt lgkmcnt(0)
	s_lshr_b32 s4, s16, 16
	s_and_b32 s5, s16, 0xffff
	v_mad_u32_u24 v16, v66, s4, v65
	v_mad_u64_u32 v[16:17], s[4:5], v16, s5, v[46:47]
	s_min_u32 s4, s42, 16
	s_lshl_b32 s4, -1, s4
	v_lshrrev_b32_e32 v24, 6, v16
	s_not_b32 s16, s4
	v_cndmask_b32_e32 v16, v35, v33, vcc
	v_and_b32_sdwa v16, s16, v16 dst_sel:DWORD dst_unused:UNUSED_PAD src0_sel:DWORD src1_sel:WORD_0
	v_lshlrev_b32_e32 v17, 1, v16
	v_add_lshl_u32 v37, v24, v17, 2
	v_and_b32_e32 v17, 1, v16
	v_add_co_u32_e32 v18, vcc, -1, v17
	v_addc_co_u32_e64 v19, s[4:5], 0, -1, vcc
	v_cmp_ne_u32_e32 vcc, 0, v17
	v_lshlrev_b32_e32 v23, 30, v16
	v_xor_b32_e32 v17, vcc_hi, v19
	v_not_b32_e32 v19, v23
	v_xor_b32_e32 v18, vcc_lo, v18
	v_cmp_gt_i64_e32 vcc, 0, v[22:23]
	v_ashrrev_i32_e32 v19, 31, v19
	v_and_b32_e32 v18, exec_lo, v18
	v_xor_b32_e32 v20, vcc_hi, v19
	v_xor_b32_e32 v19, vcc_lo, v19
	v_lshlrev_b32_e32 v23, 29, v16
	v_and_b32_e32 v18, v18, v19
	v_not_b32_e32 v19, v23
	v_and_b32_e32 v17, exec_hi, v17
	v_cmp_gt_i64_e32 vcc, 0, v[22:23]
	v_ashrrev_i32_e32 v19, 31, v19
	v_and_b32_e32 v17, v17, v20
	v_xor_b32_e32 v20, vcc_hi, v19
	v_xor_b32_e32 v19, vcc_lo, v19
	v_lshlrev_b32_e32 v23, 28, v16
	v_and_b32_e32 v18, v18, v19
	v_not_b32_e32 v19, v23
	v_cmp_gt_i64_e32 vcc, 0, v[22:23]
	v_ashrrev_i32_e32 v19, 31, v19
	v_and_b32_e32 v17, v17, v20
	v_xor_b32_e32 v20, vcc_hi, v19
	v_xor_b32_e32 v19, vcc_lo, v19
	v_lshlrev_b32_e32 v23, 27, v16
	v_and_b32_e32 v18, v18, v19
	v_not_b32_e32 v19, v23
	;; [unrolled: 8-line block ×3, first 2 shown]
	v_cmp_gt_i64_e32 vcc, 0, v[22:23]
	v_ashrrev_i32_e32 v19, 31, v19
	v_and_b32_e32 v17, v17, v20
	v_xor_b32_e32 v20, vcc_hi, v19
	v_xor_b32_e32 v19, vcc_lo, v19
	v_lshlrev_b32_e32 v23, 25, v16
	v_and_b32_e32 v18, v18, v19
	v_cmp_gt_i64_e32 vcc, 0, v[22:23]
	v_not_b32_e32 v19, v23
	v_lshlrev_b32_e32 v23, 24, v16
	v_ashrrev_i32_e32 v19, 31, v19
	v_not_b32_e32 v16, v23
	v_and_b32_e32 v17, v17, v20
	v_xor_b32_e32 v20, vcc_hi, v19
	v_xor_b32_e32 v19, vcc_lo, v19
	v_cmp_gt_i64_e32 vcc, 0, v[22:23]
	v_ashrrev_i32_e32 v16, 31, v16
	v_and_b32_e32 v18, v18, v19
	v_xor_b32_e32 v19, vcc_hi, v16
	v_xor_b32_e32 v16, vcc_lo, v16
	v_and_b32_e32 v17, v17, v20
	v_and_b32_e32 v16, v18, v16
	;; [unrolled: 1-line block ×3, first 2 shown]
	v_mbcnt_lo_u32_b32 v18, v16, 0
	v_mbcnt_hi_u32_b32 v38, v17, v18
	v_cmp_eq_u32_e32 vcc, 0, v38
	v_cmp_ne_u64_e64 s[4:5], 0, v[16:17]
	s_and_b64 s[18:19], s[4:5], vcc
	ds_write2_b32 v64, v22, v22 offset0:2 offset1:3
	ds_write2_b32 v64, v22, v22 offset0:4 offset1:5
	s_waitcnt lgkmcnt(0)
	s_barrier
	s_waitcnt lgkmcnt(0)
	; wave barrier
	s_and_saveexec_b64 s[4:5], s[18:19]
	s_cbranch_execz .LBB232_88
; %bb.87:
	v_bcnt_u32_b32 v16, v16, 0
	v_bcnt_u32_b32 v16, v17, v16
	ds_write_b32 v37, v16 offset:8
.LBB232_88:
	s_or_b64 exec, exec, s[4:5]
	v_cmp_ne_u16_e32 vcc, s17, v32
	v_cndmask_b32_e32 v16, v35, v32, vcc
	v_and_b32_sdwa v16, s16, v16 dst_sel:DWORD dst_unused:UNUSED_PAD src0_sel:DWORD src1_sel:WORD_0
	v_lshlrev_b32_e32 v17, 1, v16
	v_add_lshl_u32 v40, v24, v17, 2
	v_and_b32_e32 v17, 1, v16
	v_add_co_u32_e32 v18, vcc, -1, v17
	v_addc_co_u32_e64 v19, s[4:5], 0, -1, vcc
	v_cmp_ne_u32_e32 vcc, 0, v17
	v_lshlrev_b32_e32 v23, 30, v16
	v_xor_b32_e32 v17, vcc_hi, v19
	v_not_b32_e32 v19, v23
	v_xor_b32_e32 v18, vcc_lo, v18
	v_cmp_gt_i64_e32 vcc, 0, v[22:23]
	v_ashrrev_i32_e32 v19, 31, v19
	v_and_b32_e32 v18, exec_lo, v18
	v_xor_b32_e32 v20, vcc_hi, v19
	v_xor_b32_e32 v19, vcc_lo, v19
	v_lshlrev_b32_e32 v23, 29, v16
	v_and_b32_e32 v18, v18, v19
	v_not_b32_e32 v19, v23
	v_and_b32_e32 v17, exec_hi, v17
	v_cmp_gt_i64_e32 vcc, 0, v[22:23]
	v_ashrrev_i32_e32 v19, 31, v19
	v_and_b32_e32 v17, v17, v20
	v_xor_b32_e32 v20, vcc_hi, v19
	v_xor_b32_e32 v19, vcc_lo, v19
	v_lshlrev_b32_e32 v23, 28, v16
	v_and_b32_e32 v18, v18, v19
	v_not_b32_e32 v19, v23
	v_cmp_gt_i64_e32 vcc, 0, v[22:23]
	v_ashrrev_i32_e32 v19, 31, v19
	v_and_b32_e32 v17, v17, v20
	v_xor_b32_e32 v20, vcc_hi, v19
	v_xor_b32_e32 v19, vcc_lo, v19
	v_lshlrev_b32_e32 v23, 27, v16
	v_and_b32_e32 v18, v18, v19
	v_not_b32_e32 v19, v23
	;; [unrolled: 8-line block ×3, first 2 shown]
	v_cmp_gt_i64_e32 vcc, 0, v[22:23]
	v_ashrrev_i32_e32 v19, 31, v19
	v_and_b32_e32 v17, v17, v20
	v_xor_b32_e32 v20, vcc_hi, v19
	v_xor_b32_e32 v19, vcc_lo, v19
	v_lshlrev_b32_e32 v23, 25, v16
	v_and_b32_e32 v18, v18, v19
	v_cmp_gt_i64_e32 vcc, 0, v[22:23]
	v_not_b32_e32 v19, v23
	v_lshlrev_b32_e32 v23, 24, v16
	v_ashrrev_i32_e32 v19, 31, v19
	v_not_b32_e32 v16, v23
	v_and_b32_e32 v17, v17, v20
	v_xor_b32_e32 v20, vcc_hi, v19
	v_xor_b32_e32 v19, vcc_lo, v19
	v_cmp_gt_i64_e32 vcc, 0, v[22:23]
	v_ashrrev_i32_e32 v16, 31, v16
	v_and_b32_e32 v18, v18, v19
	v_xor_b32_e32 v19, vcc_hi, v16
	v_xor_b32_e32 v16, vcc_lo, v16
	; wave barrier
	ds_read_b32 v39, v40 offset:8
	v_and_b32_e32 v17, v17, v20
	v_and_b32_e32 v16, v18, v16
	;; [unrolled: 1-line block ×3, first 2 shown]
	v_mbcnt_lo_u32_b32 v18, v16, 0
	v_mbcnt_hi_u32_b32 v41, v17, v18
	v_cmp_eq_u32_e32 vcc, 0, v41
	v_cmp_ne_u64_e64 s[4:5], 0, v[16:17]
	s_and_b64 s[18:19], s[4:5], vcc
	; wave barrier
	s_and_saveexec_b64 s[4:5], s[18:19]
	s_cbranch_execz .LBB232_90
; %bb.89:
	v_bcnt_u32_b32 v16, v16, 0
	v_bcnt_u32_b32 v16, v17, v16
	s_waitcnt lgkmcnt(0)
	v_add_u32_e32 v16, v39, v16
	ds_write_b32 v40, v16 offset:8
.LBB232_90:
	s_or_b64 exec, exec, s[4:5]
	v_mov_b32_e32 v20, 0x7fff
	v_cmp_ne_u16_e32 vcc, s17, v31
	v_cndmask_b32_e32 v16, v20, v31, vcc
	v_and_b32_sdwa v18, s16, v16 dst_sel:DWORD dst_unused:UNUSED_PAD src0_sel:DWORD src1_sel:WORD_0
	v_and_b32_e32 v17, 1, v18
	v_add_co_u32_e32 v19, vcc, -1, v17
	v_addc_co_u32_e64 v21, s[4:5], 0, -1, vcc
	v_cmp_ne_u32_e32 vcc, 0, v17
	v_lshlrev_b32_e32 v16, 1, v18
	v_xor_b32_e32 v17, vcc_hi, v21
	v_add_lshl_u32 v66, v24, v16, 2
	v_mov_b32_e32 v16, 0
	v_and_b32_e32 v21, exec_hi, v17
	v_lshlrev_b32_e32 v17, 30, v18
	v_xor_b32_e32 v19, vcc_lo, v19
	v_cmp_gt_i64_e32 vcc, 0, v[16:17]
	v_not_b32_e32 v17, v17
	v_ashrrev_i32_e32 v17, 31, v17
	v_and_b32_e32 v19, exec_lo, v19
	v_xor_b32_e32 v22, vcc_hi, v17
	v_xor_b32_e32 v17, vcc_lo, v17
	v_and_b32_e32 v19, v19, v17
	v_lshlrev_b32_e32 v17, 29, v18
	v_cmp_gt_i64_e32 vcc, 0, v[16:17]
	v_not_b32_e32 v17, v17
	v_ashrrev_i32_e32 v17, 31, v17
	v_and_b32_e32 v21, v21, v22
	v_xor_b32_e32 v22, vcc_hi, v17
	v_xor_b32_e32 v17, vcc_lo, v17
	v_and_b32_e32 v19, v19, v17
	v_lshlrev_b32_e32 v17, 28, v18
	v_cmp_gt_i64_e32 vcc, 0, v[16:17]
	v_not_b32_e32 v17, v17
	v_ashrrev_i32_e32 v17, 31, v17
	v_and_b32_e32 v21, v21, v22
	;; [unrolled: 8-line block ×5, first 2 shown]
	v_xor_b32_e32 v22, vcc_hi, v17
	v_xor_b32_e32 v17, vcc_lo, v17
	v_and_b32_e32 v21, v21, v22
	v_and_b32_e32 v22, v19, v17
	v_lshlrev_b32_e32 v17, 24, v18
	v_cmp_gt_i64_e32 vcc, 0, v[16:17]
	v_not_b32_e32 v17, v17
	v_ashrrev_i32_e32 v17, 31, v17
	v_xor_b32_e32 v18, vcc_hi, v17
	v_xor_b32_e32 v17, vcc_lo, v17
	; wave barrier
	ds_read_b32 v65, v66 offset:8
	v_and_b32_e32 v19, v21, v18
	v_and_b32_e32 v18, v22, v17
	v_mbcnt_lo_u32_b32 v17, v18, 0
	v_mbcnt_hi_u32_b32 v67, v19, v17
	v_cmp_eq_u32_e32 vcc, 0, v67
	v_cmp_ne_u64_e64 s[4:5], 0, v[18:19]
	s_and_b64 s[18:19], s[4:5], vcc
	; wave barrier
	s_and_saveexec_b64 s[4:5], s[18:19]
	s_cbranch_execz .LBB232_92
; %bb.91:
	v_bcnt_u32_b32 v17, v18, 0
	v_bcnt_u32_b32 v17, v19, v17
	s_waitcnt lgkmcnt(0)
	v_add_u32_e32 v17, v65, v17
	ds_write_b32 v66, v17 offset:8
.LBB232_92:
	s_or_b64 exec, exec, s[4:5]
	v_cmp_ne_u16_e32 vcc, s17, v30
	v_cndmask_b32_e32 v17, v20, v30, vcc
	v_and_b32_sdwa v18, s16, v17 dst_sel:DWORD dst_unused:UNUSED_PAD src0_sel:DWORD src1_sel:WORD_0
	v_lshlrev_b32_e32 v17, 1, v18
	v_add_lshl_u32 v69, v24, v17, 2
	v_and_b32_e32 v17, 1, v18
	v_add_co_u32_e32 v19, vcc, -1, v17
	v_addc_co_u32_e64 v20, s[4:5], 0, -1, vcc
	v_cmp_ne_u32_e32 vcc, 0, v17
	v_xor_b32_e32 v17, vcc_hi, v20
	v_and_b32_e32 v20, exec_hi, v17
	v_lshlrev_b32_e32 v17, 30, v18
	v_xor_b32_e32 v19, vcc_lo, v19
	v_cmp_gt_i64_e32 vcc, 0, v[16:17]
	v_not_b32_e32 v17, v17
	v_ashrrev_i32_e32 v17, 31, v17
	v_and_b32_e32 v19, exec_lo, v19
	v_xor_b32_e32 v21, vcc_hi, v17
	v_xor_b32_e32 v17, vcc_lo, v17
	v_and_b32_e32 v19, v19, v17
	v_lshlrev_b32_e32 v17, 29, v18
	v_cmp_gt_i64_e32 vcc, 0, v[16:17]
	v_not_b32_e32 v17, v17
	v_ashrrev_i32_e32 v17, 31, v17
	v_and_b32_e32 v20, v20, v21
	v_xor_b32_e32 v21, vcc_hi, v17
	v_xor_b32_e32 v17, vcc_lo, v17
	v_and_b32_e32 v19, v19, v17
	v_lshlrev_b32_e32 v17, 28, v18
	v_cmp_gt_i64_e32 vcc, 0, v[16:17]
	v_not_b32_e32 v17, v17
	v_ashrrev_i32_e32 v17, 31, v17
	v_and_b32_e32 v20, v20, v21
	;; [unrolled: 8-line block ×5, first 2 shown]
	v_xor_b32_e32 v21, vcc_hi, v17
	v_xor_b32_e32 v17, vcc_lo, v17
	v_and_b32_e32 v19, v19, v17
	v_lshlrev_b32_e32 v17, 24, v18
	v_cmp_gt_i64_e32 vcc, 0, v[16:17]
	v_not_b32_e32 v16, v17
	v_ashrrev_i32_e32 v16, 31, v16
	v_xor_b32_e32 v17, vcc_hi, v16
	v_xor_b32_e32 v16, vcc_lo, v16
	; wave barrier
	ds_read_b32 v68, v69 offset:8
	v_and_b32_e32 v20, v20, v21
	v_and_b32_e32 v16, v19, v16
	;; [unrolled: 1-line block ×3, first 2 shown]
	v_mbcnt_lo_u32_b32 v18, v16, 0
	v_mbcnt_hi_u32_b32 v70, v17, v18
	v_cmp_eq_u32_e32 vcc, 0, v70
	v_cmp_ne_u64_e64 s[4:5], 0, v[16:17]
	s_and_b64 s[18:19], s[4:5], vcc
	; wave barrier
	s_and_saveexec_b64 s[4:5], s[18:19]
	s_cbranch_execz .LBB232_94
; %bb.93:
	v_bcnt_u32_b32 v16, v16, 0
	v_bcnt_u32_b32 v16, v17, v16
	s_waitcnt lgkmcnt(0)
	v_add_u32_e32 v16, v68, v16
	ds_write_b32 v69, v16 offset:8
.LBB232_94:
	s_or_b64 exec, exec, s[4:5]
	v_mov_b32_e32 v20, 0x7fff
	v_cmp_ne_u16_e32 vcc, s17, v29
	v_cndmask_b32_e32 v16, v20, v29, vcc
	v_and_b32_sdwa v18, s16, v16 dst_sel:DWORD dst_unused:UNUSED_PAD src0_sel:DWORD src1_sel:WORD_0
	v_and_b32_e32 v17, 1, v18
	v_add_co_u32_e32 v19, vcc, -1, v17
	v_addc_co_u32_e64 v21, s[4:5], 0, -1, vcc
	v_cmp_ne_u32_e32 vcc, 0, v17
	v_lshlrev_b32_e32 v16, 1, v18
	v_xor_b32_e32 v17, vcc_hi, v21
	v_add_lshl_u32 v72, v24, v16, 2
	v_mov_b32_e32 v16, 0
	v_and_b32_e32 v21, exec_hi, v17
	v_lshlrev_b32_e32 v17, 30, v18
	v_xor_b32_e32 v19, vcc_lo, v19
	v_cmp_gt_i64_e32 vcc, 0, v[16:17]
	v_not_b32_e32 v17, v17
	v_ashrrev_i32_e32 v17, 31, v17
	v_and_b32_e32 v19, exec_lo, v19
	v_xor_b32_e32 v22, vcc_hi, v17
	v_xor_b32_e32 v17, vcc_lo, v17
	v_and_b32_e32 v19, v19, v17
	v_lshlrev_b32_e32 v17, 29, v18
	v_cmp_gt_i64_e32 vcc, 0, v[16:17]
	v_not_b32_e32 v17, v17
	v_ashrrev_i32_e32 v17, 31, v17
	v_and_b32_e32 v21, v21, v22
	v_xor_b32_e32 v22, vcc_hi, v17
	v_xor_b32_e32 v17, vcc_lo, v17
	v_and_b32_e32 v19, v19, v17
	v_lshlrev_b32_e32 v17, 28, v18
	v_cmp_gt_i64_e32 vcc, 0, v[16:17]
	v_not_b32_e32 v17, v17
	v_ashrrev_i32_e32 v17, 31, v17
	v_and_b32_e32 v21, v21, v22
	v_xor_b32_e32 v22, vcc_hi, v17
	v_xor_b32_e32 v17, vcc_lo, v17
	v_and_b32_e32 v19, v19, v17
	v_lshlrev_b32_e32 v17, 27, v18
	v_cmp_gt_i64_e32 vcc, 0, v[16:17]
	v_not_b32_e32 v17, v17
	v_ashrrev_i32_e32 v17, 31, v17
	v_and_b32_e32 v21, v21, v22
	v_xor_b32_e32 v22, vcc_hi, v17
	v_xor_b32_e32 v17, vcc_lo, v17
	v_and_b32_e32 v19, v19, v17
	v_lshlrev_b32_e32 v17, 26, v18
	v_cmp_gt_i64_e32 vcc, 0, v[16:17]
	v_not_b32_e32 v17, v17
	v_ashrrev_i32_e32 v17, 31, v17
	v_and_b32_e32 v21, v21, v22
	v_xor_b32_e32 v22, vcc_hi, v17
	v_xor_b32_e32 v17, vcc_lo, v17
	v_and_b32_e32 v19, v19, v17
	v_lshlrev_b32_e32 v17, 25, v18
	v_cmp_gt_i64_e32 vcc, 0, v[16:17]
	v_not_b32_e32 v17, v17
	v_ashrrev_i32_e32 v17, 31, v17
	v_and_b32_e32 v21, v21, v22
	v_xor_b32_e32 v22, vcc_hi, v17
	v_xor_b32_e32 v17, vcc_lo, v17
	v_and_b32_e32 v21, v21, v22
	v_and_b32_e32 v22, v19, v17
	v_lshlrev_b32_e32 v17, 24, v18
	v_cmp_gt_i64_e32 vcc, 0, v[16:17]
	v_not_b32_e32 v17, v17
	v_ashrrev_i32_e32 v17, 31, v17
	v_xor_b32_e32 v18, vcc_hi, v17
	v_xor_b32_e32 v17, vcc_lo, v17
	; wave barrier
	ds_read_b32 v71, v72 offset:8
	v_and_b32_e32 v19, v21, v18
	v_and_b32_e32 v18, v22, v17
	v_mbcnt_lo_u32_b32 v17, v18, 0
	v_mbcnt_hi_u32_b32 v73, v19, v17
	v_cmp_eq_u32_e32 vcc, 0, v73
	v_cmp_ne_u64_e64 s[4:5], 0, v[18:19]
	s_and_b64 s[18:19], s[4:5], vcc
	; wave barrier
	s_and_saveexec_b64 s[4:5], s[18:19]
	s_cbranch_execz .LBB232_96
; %bb.95:
	v_bcnt_u32_b32 v17, v18, 0
	v_bcnt_u32_b32 v17, v19, v17
	s_waitcnt lgkmcnt(0)
	v_add_u32_e32 v17, v71, v17
	ds_write_b32 v72, v17 offset:8
.LBB232_96:
	s_or_b64 exec, exec, s[4:5]
	v_cmp_ne_u16_e32 vcc, s17, v28
	v_cndmask_b32_e32 v17, v20, v28, vcc
	v_and_b32_sdwa v18, s16, v17 dst_sel:DWORD dst_unused:UNUSED_PAD src0_sel:DWORD src1_sel:WORD_0
	v_lshlrev_b32_e32 v17, 1, v18
	v_add_lshl_u32 v75, v24, v17, 2
	v_and_b32_e32 v17, 1, v18
	v_add_co_u32_e32 v19, vcc, -1, v17
	v_addc_co_u32_e64 v20, s[4:5], 0, -1, vcc
	v_cmp_ne_u32_e32 vcc, 0, v17
	v_xor_b32_e32 v17, vcc_hi, v20
	v_and_b32_e32 v20, exec_hi, v17
	v_lshlrev_b32_e32 v17, 30, v18
	v_xor_b32_e32 v19, vcc_lo, v19
	v_cmp_gt_i64_e32 vcc, 0, v[16:17]
	v_not_b32_e32 v17, v17
	v_ashrrev_i32_e32 v17, 31, v17
	v_and_b32_e32 v19, exec_lo, v19
	v_xor_b32_e32 v21, vcc_hi, v17
	v_xor_b32_e32 v17, vcc_lo, v17
	v_and_b32_e32 v19, v19, v17
	v_lshlrev_b32_e32 v17, 29, v18
	v_cmp_gt_i64_e32 vcc, 0, v[16:17]
	v_not_b32_e32 v17, v17
	v_ashrrev_i32_e32 v17, 31, v17
	v_and_b32_e32 v20, v20, v21
	v_xor_b32_e32 v21, vcc_hi, v17
	v_xor_b32_e32 v17, vcc_lo, v17
	v_and_b32_e32 v19, v19, v17
	v_lshlrev_b32_e32 v17, 28, v18
	v_cmp_gt_i64_e32 vcc, 0, v[16:17]
	v_not_b32_e32 v17, v17
	v_ashrrev_i32_e32 v17, 31, v17
	v_and_b32_e32 v20, v20, v21
	;; [unrolled: 8-line block ×5, first 2 shown]
	v_xor_b32_e32 v21, vcc_hi, v17
	v_xor_b32_e32 v17, vcc_lo, v17
	v_and_b32_e32 v19, v19, v17
	v_lshlrev_b32_e32 v17, 24, v18
	v_cmp_gt_i64_e32 vcc, 0, v[16:17]
	v_not_b32_e32 v16, v17
	v_ashrrev_i32_e32 v16, 31, v16
	v_xor_b32_e32 v17, vcc_hi, v16
	v_xor_b32_e32 v16, vcc_lo, v16
	; wave barrier
	ds_read_b32 v74, v75 offset:8
	v_and_b32_e32 v20, v20, v21
	v_and_b32_e32 v16, v19, v16
	;; [unrolled: 1-line block ×3, first 2 shown]
	v_mbcnt_lo_u32_b32 v18, v16, 0
	v_mbcnt_hi_u32_b32 v76, v17, v18
	v_cmp_eq_u32_e32 vcc, 0, v76
	v_cmp_ne_u64_e64 s[4:5], 0, v[16:17]
	s_and_b64 s[18:19], s[4:5], vcc
	; wave barrier
	s_and_saveexec_b64 s[4:5], s[18:19]
	s_cbranch_execz .LBB232_98
; %bb.97:
	v_bcnt_u32_b32 v16, v16, 0
	v_bcnt_u32_b32 v16, v17, v16
	s_waitcnt lgkmcnt(0)
	v_add_u32_e32 v16, v74, v16
	ds_write_b32 v75, v16 offset:8
.LBB232_98:
	s_or_b64 exec, exec, s[4:5]
	v_mov_b32_e32 v20, 0x7fff
	v_cmp_ne_u16_e32 vcc, s17, v27
	v_cndmask_b32_e32 v16, v20, v27, vcc
	v_and_b32_sdwa v18, s16, v16 dst_sel:DWORD dst_unused:UNUSED_PAD src0_sel:DWORD src1_sel:WORD_0
	v_and_b32_e32 v17, 1, v18
	v_add_co_u32_e32 v19, vcc, -1, v17
	v_addc_co_u32_e64 v21, s[4:5], 0, -1, vcc
	v_cmp_ne_u32_e32 vcc, 0, v17
	v_lshlrev_b32_e32 v16, 1, v18
	v_xor_b32_e32 v17, vcc_hi, v21
	v_add_lshl_u32 v78, v24, v16, 2
	v_mov_b32_e32 v16, 0
	v_and_b32_e32 v21, exec_hi, v17
	v_lshlrev_b32_e32 v17, 30, v18
	v_xor_b32_e32 v19, vcc_lo, v19
	v_cmp_gt_i64_e32 vcc, 0, v[16:17]
	v_not_b32_e32 v17, v17
	v_ashrrev_i32_e32 v17, 31, v17
	v_and_b32_e32 v19, exec_lo, v19
	v_xor_b32_e32 v22, vcc_hi, v17
	v_xor_b32_e32 v17, vcc_lo, v17
	v_and_b32_e32 v19, v19, v17
	v_lshlrev_b32_e32 v17, 29, v18
	v_cmp_gt_i64_e32 vcc, 0, v[16:17]
	v_not_b32_e32 v17, v17
	v_ashrrev_i32_e32 v17, 31, v17
	v_and_b32_e32 v21, v21, v22
	v_xor_b32_e32 v22, vcc_hi, v17
	v_xor_b32_e32 v17, vcc_lo, v17
	v_and_b32_e32 v19, v19, v17
	v_lshlrev_b32_e32 v17, 28, v18
	v_cmp_gt_i64_e32 vcc, 0, v[16:17]
	v_not_b32_e32 v17, v17
	v_ashrrev_i32_e32 v17, 31, v17
	v_and_b32_e32 v21, v21, v22
	;; [unrolled: 8-line block ×5, first 2 shown]
	v_xor_b32_e32 v22, vcc_hi, v17
	v_xor_b32_e32 v17, vcc_lo, v17
	v_and_b32_e32 v21, v21, v22
	v_and_b32_e32 v22, v19, v17
	v_lshlrev_b32_e32 v17, 24, v18
	v_cmp_gt_i64_e32 vcc, 0, v[16:17]
	v_not_b32_e32 v17, v17
	v_ashrrev_i32_e32 v17, 31, v17
	v_xor_b32_e32 v18, vcc_hi, v17
	v_xor_b32_e32 v17, vcc_lo, v17
	; wave barrier
	ds_read_b32 v77, v78 offset:8
	v_and_b32_e32 v19, v21, v18
	v_and_b32_e32 v18, v22, v17
	v_mbcnt_lo_u32_b32 v17, v18, 0
	v_mbcnt_hi_u32_b32 v79, v19, v17
	v_cmp_eq_u32_e32 vcc, 0, v79
	v_cmp_ne_u64_e64 s[4:5], 0, v[18:19]
	s_and_b64 s[18:19], s[4:5], vcc
	; wave barrier
	s_and_saveexec_b64 s[4:5], s[18:19]
	s_cbranch_execz .LBB232_100
; %bb.99:
	v_bcnt_u32_b32 v17, v18, 0
	v_bcnt_u32_b32 v17, v19, v17
	s_waitcnt lgkmcnt(0)
	v_add_u32_e32 v17, v77, v17
	ds_write_b32 v78, v17 offset:8
.LBB232_100:
	s_or_b64 exec, exec, s[4:5]
	v_cmp_ne_u16_e32 vcc, s17, v25
	v_cndmask_b32_e32 v17, v20, v25, vcc
	v_and_b32_sdwa v18, s16, v17 dst_sel:DWORD dst_unused:UNUSED_PAD src0_sel:DWORD src1_sel:WORD_0
	v_lshlrev_b32_e32 v17, 1, v18
	v_add_lshl_u32 v81, v24, v17, 2
	v_and_b32_e32 v17, 1, v18
	v_add_co_u32_e32 v19, vcc, -1, v17
	v_addc_co_u32_e64 v20, s[4:5], 0, -1, vcc
	v_cmp_ne_u32_e32 vcc, 0, v17
	v_xor_b32_e32 v17, vcc_hi, v20
	v_and_b32_e32 v20, exec_hi, v17
	v_lshlrev_b32_e32 v17, 30, v18
	v_xor_b32_e32 v19, vcc_lo, v19
	v_cmp_gt_i64_e32 vcc, 0, v[16:17]
	v_not_b32_e32 v17, v17
	v_ashrrev_i32_e32 v17, 31, v17
	v_and_b32_e32 v19, exec_lo, v19
	v_xor_b32_e32 v21, vcc_hi, v17
	v_xor_b32_e32 v17, vcc_lo, v17
	v_and_b32_e32 v19, v19, v17
	v_lshlrev_b32_e32 v17, 29, v18
	v_cmp_gt_i64_e32 vcc, 0, v[16:17]
	v_not_b32_e32 v17, v17
	v_ashrrev_i32_e32 v17, 31, v17
	v_and_b32_e32 v20, v20, v21
	v_xor_b32_e32 v21, vcc_hi, v17
	v_xor_b32_e32 v17, vcc_lo, v17
	v_and_b32_e32 v19, v19, v17
	v_lshlrev_b32_e32 v17, 28, v18
	v_cmp_gt_i64_e32 vcc, 0, v[16:17]
	v_not_b32_e32 v17, v17
	v_ashrrev_i32_e32 v17, 31, v17
	v_and_b32_e32 v20, v20, v21
	;; [unrolled: 8-line block ×5, first 2 shown]
	v_xor_b32_e32 v21, vcc_hi, v17
	v_xor_b32_e32 v17, vcc_lo, v17
	v_and_b32_e32 v19, v19, v17
	v_lshlrev_b32_e32 v17, 24, v18
	v_cmp_gt_i64_e32 vcc, 0, v[16:17]
	v_not_b32_e32 v16, v17
	v_ashrrev_i32_e32 v16, 31, v16
	v_xor_b32_e32 v17, vcc_hi, v16
	v_xor_b32_e32 v16, vcc_lo, v16
	; wave barrier
	ds_read_b32 v80, v81 offset:8
	v_and_b32_e32 v20, v20, v21
	v_and_b32_e32 v16, v19, v16
	;; [unrolled: 1-line block ×3, first 2 shown]
	v_mbcnt_lo_u32_b32 v18, v16, 0
	v_mbcnt_hi_u32_b32 v82, v17, v18
	v_cmp_eq_u32_e32 vcc, 0, v82
	v_cmp_ne_u64_e64 s[4:5], 0, v[16:17]
	v_or_b32_e32 v22, 8, v64
	v_lshrrev_b32_e32 v23, 6, v46
	v_min_u32_e32 v34, 64, v34
	s_and_b64 s[16:17], s[4:5], vcc
	; wave barrier
	s_and_saveexec_b64 s[4:5], s[16:17]
	s_cbranch_execz .LBB232_102
; %bb.101:
	v_bcnt_u32_b32 v16, v16, 0
	v_bcnt_u32_b32 v16, v17, v16
	s_waitcnt lgkmcnt(0)
	v_add_u32_e32 v16, v80, v16
	ds_write_b32 v81, v16 offset:8
.LBB232_102:
	s_or_b64 exec, exec, s[4:5]
	; wave barrier
	s_waitcnt lgkmcnt(0)
	s_barrier
	ds_read2_b32 v[18:19], v64 offset0:2 offset1:3
	ds_read2_b32 v[20:21], v22 offset0:2 offset1:3
	v_and_b32_e32 v17, 16, v26
	v_cmp_eq_u32_e32 vcc, 0, v17
	v_or_b32_e32 v17, 63, v34
	v_cmp_eq_u32_e64 s[16:17], v17, v46
	s_waitcnt lgkmcnt(1)
	v_add_u32_e32 v17, v19, v18
	v_and_b32_e32 v16, 15, v26
	s_waitcnt lgkmcnt(0)
	v_add3_u32 v17, v17, v20, v21
	v_cmp_eq_u32_e64 s[20:21], 0, v16
	v_cmp_lt_u32_e64 s[22:23], 1, v16
	v_mov_b32_dpp v21, v17 row_shr:1 row_mask:0xf bank_mask:0xf
	v_cndmask_b32_e64 v21, v21, 0, s[20:21]
	v_add_u32_e32 v17, v21, v17
	v_cmp_lt_u32_e64 s[26:27], 3, v16
	v_cmp_lt_u32_e64 s[28:29], 7, v16
	v_mov_b32_dpp v21, v17 row_shr:2 row_mask:0xf bank_mask:0xf
	v_cndmask_b32_e64 v21, 0, v21, s[22:23]
	v_add_u32_e32 v17, v17, v21
	v_bfe_i32 v35, v26, 4, 1
	v_cmp_lt_u32_e64 s[34:35], 31, v26
	v_mov_b32_dpp v21, v17 row_shr:4 row_mask:0xf bank_mask:0xf
	v_cndmask_b32_e64 v21, 0, v21, s[26:27]
	v_add_u32_e32 v17, v17, v21
	v_lshlrev_b32_e32 v23, 2, v23
	s_nop 0
	v_mov_b32_dpp v21, v17 row_shr:8 row_mask:0xf bank_mask:0xf
	v_cndmask_b32_e64 v16, 0, v21, s[28:29]
	v_add_u32_e32 v16, v17, v16
	s_nop 1
	v_mov_b32_dpp v17, v16 row_bcast:15 row_mask:0xf bank_mask:0xf
	v_and_b32_e32 v17, v35, v17
	v_add_u32_e32 v16, v16, v17
	s_nop 1
	v_mov_b32_dpp v17, v16 row_bcast:31 row_mask:0xf bank_mask:0xf
	v_cndmask_b32_e64 v17, 0, v17, s[34:35]
	v_add_u32_e32 v17, v16, v17
	s_and_saveexec_b64 s[4:5], s[16:17]
	s_cbranch_execz .LBB232_104
; %bb.103:
	ds_write_b32 v23, v17
.LBB232_104:
	s_or_b64 exec, exec, s[4:5]
	v_and_b32_e32 v16, 1, v26
	v_cmp_gt_u32_e64 s[24:25], 2, v46
	v_lshlrev_b32_e32 v21, 2, v46
	v_cmp_eq_u32_e64 s[18:19], 0, v16
	s_waitcnt lgkmcnt(0)
	s_barrier
	s_and_saveexec_b64 s[4:5], s[24:25]
	s_cbranch_execz .LBB232_106
; %bb.105:
	ds_read_b32 v16, v21
	s_waitcnt lgkmcnt(0)
	s_nop 0
	v_mov_b32_dpp v34, v16 row_shr:1 row_mask:0xf bank_mask:0xf
	v_cndmask_b32_e64 v34, v34, 0, s[18:19]
	v_add_u32_e32 v16, v34, v16
	ds_write_b32 v21, v16
.LBB232_106:
	s_or_b64 exec, exec, s[4:5]
	v_cmp_lt_u32_e64 s[30:31], 63, v46
	v_add_u32_e32 v34, -4, v23
	v_mov_b32_e32 v16, 0
	v_mov_b32_e32 v83, 0
	s_waitcnt lgkmcnt(0)
	s_barrier
	s_and_saveexec_b64 s[4:5], s[30:31]
	s_cbranch_execz .LBB232_108
; %bb.107:
	ds_read_b32 v83, v34
.LBB232_108:
	s_or_b64 exec, exec, s[4:5]
	v_add_u32_e32 v35, -1, v26
	v_and_b32_e32 v84, 64, v26
	v_cmp_lt_i32_e64 s[4:5], v35, v84
	v_cndmask_b32_e64 v35, v35, v26, s[4:5]
	v_lshlrev_b32_e32 v35, 2, v35
	s_waitcnt lgkmcnt(0)
	v_add_u32_e32 v17, v83, v17
	ds_bpermute_b32 v17, v35, v17
	v_cmp_eq_u32_e64 s[36:37], 0, v26
	v_cmp_eq_u32_e64 s[38:39], 0, v46
	v_and_or_b32 v36, v26, 63, v36
	v_lshlrev_b32_e32 v84, 1, v36
	s_waitcnt lgkmcnt(0)
	v_cndmask_b32_e64 v17, v17, v83, s[36:37]
	v_cndmask_b32_e64 v17, v17, 0, s[38:39]
	v_add_u32_e32 v18, v17, v18
	v_add_u32_e32 v19, v18, v19
	;; [unrolled: 1-line block ×3, first 2 shown]
	ds_write2_b32 v64, v17, v18 offset0:2 offset1:3
	ds_write2_b32 v22, v19, v20 offset0:2 offset1:3
	s_waitcnt lgkmcnt(0)
	s_barrier
	ds_read_b32 v17, v37 offset:8
	ds_read_b32 v18, v40 offset:8
	;; [unrolled: 1-line block ×8, first 2 shown]
	s_waitcnt lgkmcnt(7)
	v_add_u32_e32 v17, v17, v38
	s_waitcnt lgkmcnt(6)
	v_add3_u32 v18, v41, v39, v18
	s_waitcnt lgkmcnt(4)
	v_add3_u32 v38, v70, v68, v20
	v_lshlrev_b32_e32 v20, 1, v17
	v_add3_u32 v19, v67, v65, v19
	s_waitcnt lgkmcnt(0)
	s_barrier
	ds_write_b16 v20, v33
	v_lshlrev_b32_e32 v20, 1, v18
	ds_write_b16 v20, v32
	v_lshlrev_b32_e32 v20, 1, v19
	v_add3_u32 v39, v73, v71, v26
	ds_write_b16 v20, v31
	v_lshlrev_b32_e32 v20, 1, v38
	v_add3_u32 v37, v76, v74, v37
	;; [unrolled: 3-line block ×4, first 2 shown]
	ds_write_b16 v20, v28
	v_lshlrev_b32_e32 v20, 1, v40
	ds_write_b16 v20, v27
	v_lshlrev_b32_e32 v20, 1, v41
	v_lshlrev_b32_e32 v17, 3, v17
	s_min_u32 s4, s42, 8
	ds_write_b16 v20, v25
	s_waitcnt lgkmcnt(0)
	s_barrier
	ds_read_u16 v31, v84
	ds_read_u16 v30, v84 offset:128
	ds_read_u16 v29, v84 offset:256
	;; [unrolled: 1-line block ×7, first 2 shown]
	s_waitcnt lgkmcnt(0)
	s_barrier
	ds_write_b64 v17, v[12:13]
	v_lshlrev_b32_e32 v12, 3, v18
	s_lshl_b32 s4, -1, s4
	s_movk_i32 s50, 0x8000
	ds_write_b64 v12, v[14:15]
	v_lshlrev_b32_e32 v12, 3, v19
	s_not_b32 s49, s4
	v_lshrrev_b16_e32 v17, 8, v31
	v_mov_b32_e32 v18, 0x7f
	v_cmp_ne_u16_e64 s[4:5], s50, v31
	ds_write_b64 v12, v[8:9]
	v_lshlrev_b32_e32 v8, 3, v38
	v_cndmask_b32_e64 v17, v18, v17, s[4:5]
	ds_write_b64 v8, v[10:11]
	v_lshlrev_b32_e32 v8, 3, v39
	v_and_b32_sdwa v19, v17, s49 dst_sel:DWORD dst_unused:UNUSED_PAD src0_sel:WORD_0 src1_sel:DWORD
	ds_write_b64 v8, v[4:5]
	v_lshlrev_b32_e32 v4, 3, v37
	v_lshlrev_b32_e32 v17, 1, v19
	ds_write_b64 v4, v[6:7]
	v_lshlrev_b32_e32 v4, 3, v40
	v_add_lshl_u32 v32, v17, v24, 2
	v_and_b32_e32 v17, 1, v19
	v_lshlrev_b32_e32 v36, 3, v36
	ds_write_b64 v4, v[0:1]
	v_lshlrev_b32_e32 v0, 3, v41
	v_add_co_u32_e64 v33, s[4:5], -1, v17
	ds_write_b64 v0, v[2:3]
	s_waitcnt lgkmcnt(0)
	s_barrier
	ds_read2st64_b64 v[12:15], v36 offset1:1
	ds_read2st64_b64 v[8:11], v36 offset0:2 offset1:3
	ds_read2st64_b64 v[4:7], v36 offset0:4 offset1:5
	;; [unrolled: 1-line block ×3, first 2 shown]
	v_addc_co_u32_e64 v36, s[4:5], 0, -1, s[4:5]
	v_cmp_ne_u32_e64 s[4:5], 0, v17
	v_xor_b32_e32 v17, s5, v36
	v_and_b32_e32 v36, exec_hi, v17
	v_lshlrev_b32_e32 v17, 30, v19
	v_xor_b32_e32 v33, s4, v33
	v_cmp_gt_i64_e64 s[4:5], 0, v[16:17]
	v_not_b32_e32 v17, v17
	v_ashrrev_i32_e32 v17, 31, v17
	v_and_b32_e32 v33, exec_lo, v33
	v_xor_b32_e32 v37, s5, v17
	v_xor_b32_e32 v17, s4, v17
	v_and_b32_e32 v33, v33, v17
	v_lshlrev_b32_e32 v17, 29, v19
	v_cmp_gt_i64_e64 s[4:5], 0, v[16:17]
	v_not_b32_e32 v17, v17
	v_ashrrev_i32_e32 v17, 31, v17
	v_and_b32_e32 v36, v36, v37
	v_xor_b32_e32 v37, s5, v17
	v_xor_b32_e32 v17, s4, v17
	v_and_b32_e32 v33, v33, v17
	v_lshlrev_b32_e32 v17, 28, v19
	v_cmp_gt_i64_e64 s[4:5], 0, v[16:17]
	v_not_b32_e32 v17, v17
	v_ashrrev_i32_e32 v17, 31, v17
	v_and_b32_e32 v36, v36, v37
	;; [unrolled: 8-line block ×5, first 2 shown]
	v_xor_b32_e32 v37, s5, v17
	v_xor_b32_e32 v17, s4, v17
	v_and_b32_e32 v33, v33, v17
	v_lshlrev_b32_e32 v17, 24, v19
	s_waitcnt lgkmcnt(0)
	s_barrier
	ds_write2_b32 v64, v16, v16 offset0:2 offset1:3
	ds_write2_b32 v22, v16, v16 offset0:2 offset1:3
	v_cmp_gt_i64_e64 s[4:5], 0, v[16:17]
	v_not_b32_e32 v16, v17
	v_ashrrev_i32_e32 v16, 31, v16
	v_xor_b32_e32 v17, s5, v16
	v_xor_b32_e32 v16, s4, v16
	v_and_b32_e32 v36, v36, v37
	v_and_b32_e32 v16, v33, v16
	;; [unrolled: 1-line block ×3, first 2 shown]
	v_mbcnt_lo_u32_b32 v19, v16, 0
	v_mbcnt_hi_u32_b32 v33, v17, v19
	v_cmp_eq_u32_e64 s[4:5], 0, v33
	v_cmp_ne_u64_e64 s[42:43], 0, v[16:17]
	s_and_b64 s[42:43], s[42:43], s[4:5]
	s_waitcnt lgkmcnt(0)
	s_barrier
	s_waitcnt lgkmcnt(0)
	; wave barrier
	s_and_saveexec_b64 s[4:5], s[42:43]
	s_cbranch_execz .LBB232_110
; %bb.109:
	v_bcnt_u32_b32 v16, v16, 0
	v_bcnt_u32_b32 v16, v17, v16
	ds_write_b32 v32, v16 offset:8
.LBB232_110:
	s_or_b64 exec, exec, s[4:5]
	v_lshrrev_b16_e32 v16, 8, v30
	v_cmp_ne_u16_e64 s[4:5], s50, v30
	v_cndmask_b32_e64 v16, v18, v16, s[4:5]
	v_and_b32_e32 v18, s49, v16
	v_and_b32_e32 v17, 1, v18
	v_add_co_u32_e64 v19, s[4:5], -1, v17
	v_addc_co_u32_e64 v38, s[4:5], 0, -1, s[4:5]
	v_cmp_ne_u32_e64 s[4:5], 0, v17
	v_lshlrev_b32_e32 v16, 1, v18
	v_xor_b32_e32 v17, s5, v38
	v_add_lshl_u32 v37, v16, v24, 2
	v_mov_b32_e32 v16, 0
	v_and_b32_e32 v38, exec_hi, v17
	v_lshlrev_b32_e32 v17, 30, v18
	v_xor_b32_e32 v19, s4, v19
	v_cmp_gt_i64_e64 s[4:5], 0, v[16:17]
	v_not_b32_e32 v17, v17
	v_ashrrev_i32_e32 v17, 31, v17
	v_and_b32_e32 v19, exec_lo, v19
	v_xor_b32_e32 v39, s5, v17
	v_xor_b32_e32 v17, s4, v17
	v_and_b32_e32 v19, v19, v17
	v_lshlrev_b32_e32 v17, 29, v18
	v_cmp_gt_i64_e64 s[4:5], 0, v[16:17]
	v_not_b32_e32 v17, v17
	v_ashrrev_i32_e32 v17, 31, v17
	v_and_b32_e32 v38, v38, v39
	v_xor_b32_e32 v39, s5, v17
	v_xor_b32_e32 v17, s4, v17
	v_and_b32_e32 v19, v19, v17
	v_lshlrev_b32_e32 v17, 28, v18
	v_cmp_gt_i64_e64 s[4:5], 0, v[16:17]
	v_not_b32_e32 v17, v17
	v_ashrrev_i32_e32 v17, 31, v17
	v_and_b32_e32 v38, v38, v39
	;; [unrolled: 8-line block ×5, first 2 shown]
	v_xor_b32_e32 v39, s5, v17
	v_xor_b32_e32 v17, s4, v17
	v_and_b32_e32 v38, v38, v39
	v_and_b32_e32 v39, v19, v17
	v_lshlrev_b32_e32 v17, 24, v18
	v_cmp_gt_i64_e64 s[4:5], 0, v[16:17]
	v_not_b32_e32 v17, v17
	v_ashrrev_i32_e32 v17, 31, v17
	v_xor_b32_e32 v18, s5, v17
	v_xor_b32_e32 v17, s4, v17
	; wave barrier
	ds_read_b32 v36, v37 offset:8
	v_and_b32_e32 v19, v38, v18
	v_and_b32_e32 v18, v39, v17
	v_mbcnt_lo_u32_b32 v17, v18, 0
	v_mbcnt_hi_u32_b32 v38, v19, v17
	v_cmp_eq_u32_e64 s[4:5], 0, v38
	v_cmp_ne_u64_e64 s[42:43], 0, v[18:19]
	s_and_b64 s[42:43], s[42:43], s[4:5]
	; wave barrier
	s_and_saveexec_b64 s[4:5], s[42:43]
	s_cbranch_execz .LBB232_112
; %bb.111:
	v_bcnt_u32_b32 v17, v18, 0
	v_bcnt_u32_b32 v17, v19, v17
	s_waitcnt lgkmcnt(0)
	v_add_u32_e32 v17, v36, v17
	ds_write_b32 v37, v17 offset:8
.LBB232_112:
	s_or_b64 exec, exec, s[4:5]
	v_lshrrev_b16_e32 v17, 8, v29
	v_mov_b32_e32 v18, 0x7f
	v_cmp_ne_u16_e64 s[4:5], s50, v29
	v_cndmask_b32_e64 v17, v18, v17, s[4:5]
	v_and_b32_e32 v19, s49, v17
	v_lshlrev_b32_e32 v17, 1, v19
	v_add_lshl_u32 v40, v17, v24, 2
	v_and_b32_e32 v17, 1, v19
	v_add_co_u32_e64 v41, s[4:5], -1, v17
	v_addc_co_u32_e64 v46, s[4:5], 0, -1, s[4:5]
	v_cmp_ne_u32_e64 s[4:5], 0, v17
	v_xor_b32_e32 v17, s5, v46
	v_and_b32_e32 v46, exec_hi, v17
	v_lshlrev_b32_e32 v17, 30, v19
	v_xor_b32_e32 v41, s4, v41
	v_cmp_gt_i64_e64 s[4:5], 0, v[16:17]
	v_not_b32_e32 v17, v17
	v_ashrrev_i32_e32 v17, 31, v17
	v_and_b32_e32 v41, exec_lo, v41
	v_xor_b32_e32 v65, s5, v17
	v_xor_b32_e32 v17, s4, v17
	v_and_b32_e32 v41, v41, v17
	v_lshlrev_b32_e32 v17, 29, v19
	v_cmp_gt_i64_e64 s[4:5], 0, v[16:17]
	v_not_b32_e32 v17, v17
	v_ashrrev_i32_e32 v17, 31, v17
	v_and_b32_e32 v46, v46, v65
	v_xor_b32_e32 v65, s5, v17
	v_xor_b32_e32 v17, s4, v17
	v_and_b32_e32 v41, v41, v17
	v_lshlrev_b32_e32 v17, 28, v19
	v_cmp_gt_i64_e64 s[4:5], 0, v[16:17]
	v_not_b32_e32 v17, v17
	v_ashrrev_i32_e32 v17, 31, v17
	v_and_b32_e32 v46, v46, v65
	;; [unrolled: 8-line block ×5, first 2 shown]
	v_xor_b32_e32 v65, s5, v17
	v_xor_b32_e32 v17, s4, v17
	v_and_b32_e32 v41, v41, v17
	v_lshlrev_b32_e32 v17, 24, v19
	v_cmp_gt_i64_e64 s[4:5], 0, v[16:17]
	v_not_b32_e32 v16, v17
	v_ashrrev_i32_e32 v16, 31, v16
	v_xor_b32_e32 v17, s5, v16
	v_xor_b32_e32 v16, s4, v16
	; wave barrier
	ds_read_b32 v39, v40 offset:8
	v_and_b32_e32 v46, v46, v65
	v_and_b32_e32 v16, v41, v16
	;; [unrolled: 1-line block ×3, first 2 shown]
	v_mbcnt_lo_u32_b32 v19, v16, 0
	v_mbcnt_hi_u32_b32 v41, v17, v19
	v_cmp_eq_u32_e64 s[4:5], 0, v41
	v_cmp_ne_u64_e64 s[42:43], 0, v[16:17]
	s_and_b64 s[42:43], s[42:43], s[4:5]
	; wave barrier
	s_and_saveexec_b64 s[4:5], s[42:43]
	s_cbranch_execz .LBB232_114
; %bb.113:
	v_bcnt_u32_b32 v16, v16, 0
	v_bcnt_u32_b32 v16, v17, v16
	s_waitcnt lgkmcnt(0)
	v_add_u32_e32 v16, v39, v16
	ds_write_b32 v40, v16 offset:8
.LBB232_114:
	s_or_b64 exec, exec, s[4:5]
	v_lshrrev_b16_e32 v16, 8, v28
	v_cmp_ne_u16_e64 s[4:5], s50, v28
	v_cndmask_b32_e64 v16, v18, v16, s[4:5]
	v_and_b32_e32 v18, s49, v16
	v_and_b32_e32 v17, 1, v18
	v_add_co_u32_e64 v19, s[4:5], -1, v17
	v_addc_co_u32_e64 v66, s[4:5], 0, -1, s[4:5]
	v_cmp_ne_u32_e64 s[4:5], 0, v17
	v_lshlrev_b32_e32 v16, 1, v18
	v_xor_b32_e32 v17, s5, v66
	v_add_lshl_u32 v65, v16, v24, 2
	v_mov_b32_e32 v16, 0
	v_and_b32_e32 v66, exec_hi, v17
	v_lshlrev_b32_e32 v17, 30, v18
	v_xor_b32_e32 v19, s4, v19
	v_cmp_gt_i64_e64 s[4:5], 0, v[16:17]
	v_not_b32_e32 v17, v17
	v_ashrrev_i32_e32 v17, 31, v17
	v_and_b32_e32 v19, exec_lo, v19
	v_xor_b32_e32 v67, s5, v17
	v_xor_b32_e32 v17, s4, v17
	v_and_b32_e32 v19, v19, v17
	v_lshlrev_b32_e32 v17, 29, v18
	v_cmp_gt_i64_e64 s[4:5], 0, v[16:17]
	v_not_b32_e32 v17, v17
	v_ashrrev_i32_e32 v17, 31, v17
	v_and_b32_e32 v66, v66, v67
	v_xor_b32_e32 v67, s5, v17
	v_xor_b32_e32 v17, s4, v17
	v_and_b32_e32 v19, v19, v17
	v_lshlrev_b32_e32 v17, 28, v18
	v_cmp_gt_i64_e64 s[4:5], 0, v[16:17]
	v_not_b32_e32 v17, v17
	v_ashrrev_i32_e32 v17, 31, v17
	v_and_b32_e32 v66, v66, v67
	;; [unrolled: 8-line block ×5, first 2 shown]
	v_xor_b32_e32 v67, s5, v17
	v_xor_b32_e32 v17, s4, v17
	v_and_b32_e32 v66, v66, v67
	v_and_b32_e32 v67, v19, v17
	v_lshlrev_b32_e32 v17, 24, v18
	v_cmp_gt_i64_e64 s[4:5], 0, v[16:17]
	v_not_b32_e32 v17, v17
	v_ashrrev_i32_e32 v17, 31, v17
	v_xor_b32_e32 v18, s5, v17
	v_xor_b32_e32 v17, s4, v17
	; wave barrier
	ds_read_b32 v46, v65 offset:8
	v_and_b32_e32 v19, v66, v18
	v_and_b32_e32 v18, v67, v17
	v_mbcnt_lo_u32_b32 v17, v18, 0
	v_mbcnt_hi_u32_b32 v66, v19, v17
	v_cmp_eq_u32_e64 s[4:5], 0, v66
	v_cmp_ne_u64_e64 s[42:43], 0, v[18:19]
	s_and_b64 s[42:43], s[42:43], s[4:5]
	; wave barrier
	s_and_saveexec_b64 s[4:5], s[42:43]
	s_cbranch_execz .LBB232_116
; %bb.115:
	v_bcnt_u32_b32 v17, v18, 0
	v_bcnt_u32_b32 v17, v19, v17
	s_waitcnt lgkmcnt(0)
	v_add_u32_e32 v17, v46, v17
	ds_write_b32 v65, v17 offset:8
.LBB232_116:
	s_or_b64 exec, exec, s[4:5]
	v_lshrrev_b16_e32 v17, 8, v27
	v_mov_b32_e32 v18, 0x7f
	v_cmp_ne_u16_e64 s[4:5], s50, v27
	v_cndmask_b32_e64 v17, v18, v17, s[4:5]
	v_and_b32_e32 v19, s49, v17
	v_lshlrev_b32_e32 v17, 1, v19
	v_add_lshl_u32 v68, v17, v24, 2
	v_and_b32_e32 v17, 1, v19
	v_add_co_u32_e64 v69, s[4:5], -1, v17
	v_addc_co_u32_e64 v70, s[4:5], 0, -1, s[4:5]
	v_cmp_ne_u32_e64 s[4:5], 0, v17
	v_xor_b32_e32 v17, s5, v70
	v_and_b32_e32 v70, exec_hi, v17
	v_lshlrev_b32_e32 v17, 30, v19
	v_xor_b32_e32 v69, s4, v69
	v_cmp_gt_i64_e64 s[4:5], 0, v[16:17]
	v_not_b32_e32 v17, v17
	v_ashrrev_i32_e32 v17, 31, v17
	v_and_b32_e32 v69, exec_lo, v69
	v_xor_b32_e32 v71, s5, v17
	v_xor_b32_e32 v17, s4, v17
	v_and_b32_e32 v69, v69, v17
	v_lshlrev_b32_e32 v17, 29, v19
	v_cmp_gt_i64_e64 s[4:5], 0, v[16:17]
	v_not_b32_e32 v17, v17
	v_ashrrev_i32_e32 v17, 31, v17
	v_and_b32_e32 v70, v70, v71
	v_xor_b32_e32 v71, s5, v17
	v_xor_b32_e32 v17, s4, v17
	v_and_b32_e32 v69, v69, v17
	v_lshlrev_b32_e32 v17, 28, v19
	v_cmp_gt_i64_e64 s[4:5], 0, v[16:17]
	v_not_b32_e32 v17, v17
	v_ashrrev_i32_e32 v17, 31, v17
	v_and_b32_e32 v70, v70, v71
	;; [unrolled: 8-line block ×5, first 2 shown]
	v_xor_b32_e32 v71, s5, v17
	v_xor_b32_e32 v17, s4, v17
	v_and_b32_e32 v69, v69, v17
	v_lshlrev_b32_e32 v17, 24, v19
	v_cmp_gt_i64_e64 s[4:5], 0, v[16:17]
	v_not_b32_e32 v16, v17
	v_ashrrev_i32_e32 v16, 31, v16
	v_xor_b32_e32 v17, s5, v16
	v_xor_b32_e32 v16, s4, v16
	; wave barrier
	ds_read_b32 v67, v68 offset:8
	v_and_b32_e32 v70, v70, v71
	v_and_b32_e32 v16, v69, v16
	v_and_b32_e32 v17, v70, v17
	v_mbcnt_lo_u32_b32 v19, v16, 0
	v_mbcnt_hi_u32_b32 v69, v17, v19
	v_cmp_eq_u32_e64 s[4:5], 0, v69
	v_cmp_ne_u64_e64 s[42:43], 0, v[16:17]
	s_and_b64 s[42:43], s[42:43], s[4:5]
	; wave barrier
	s_and_saveexec_b64 s[4:5], s[42:43]
	s_cbranch_execz .LBB232_118
; %bb.117:
	v_bcnt_u32_b32 v16, v16, 0
	v_bcnt_u32_b32 v16, v17, v16
	s_waitcnt lgkmcnt(0)
	v_add_u32_e32 v16, v67, v16
	ds_write_b32 v68, v16 offset:8
.LBB232_118:
	s_or_b64 exec, exec, s[4:5]
	v_lshrrev_b16_e32 v16, 8, v26
	v_cmp_ne_u16_e64 s[4:5], s50, v26
	v_cndmask_b32_e64 v16, v18, v16, s[4:5]
	v_and_b32_e32 v18, s49, v16
	v_and_b32_e32 v17, 1, v18
	v_add_co_u32_e64 v19, s[4:5], -1, v17
	v_addc_co_u32_e64 v72, s[4:5], 0, -1, s[4:5]
	v_cmp_ne_u32_e64 s[4:5], 0, v17
	v_lshlrev_b32_e32 v16, 1, v18
	v_xor_b32_e32 v17, s5, v72
	v_add_lshl_u32 v71, v16, v24, 2
	v_mov_b32_e32 v16, 0
	v_and_b32_e32 v72, exec_hi, v17
	v_lshlrev_b32_e32 v17, 30, v18
	v_xor_b32_e32 v19, s4, v19
	v_cmp_gt_i64_e64 s[4:5], 0, v[16:17]
	v_not_b32_e32 v17, v17
	v_ashrrev_i32_e32 v17, 31, v17
	v_and_b32_e32 v19, exec_lo, v19
	v_xor_b32_e32 v73, s5, v17
	v_xor_b32_e32 v17, s4, v17
	v_and_b32_e32 v19, v19, v17
	v_lshlrev_b32_e32 v17, 29, v18
	v_cmp_gt_i64_e64 s[4:5], 0, v[16:17]
	v_not_b32_e32 v17, v17
	v_ashrrev_i32_e32 v17, 31, v17
	v_and_b32_e32 v72, v72, v73
	v_xor_b32_e32 v73, s5, v17
	v_xor_b32_e32 v17, s4, v17
	v_and_b32_e32 v19, v19, v17
	v_lshlrev_b32_e32 v17, 28, v18
	v_cmp_gt_i64_e64 s[4:5], 0, v[16:17]
	v_not_b32_e32 v17, v17
	v_ashrrev_i32_e32 v17, 31, v17
	v_and_b32_e32 v72, v72, v73
	;; [unrolled: 8-line block ×5, first 2 shown]
	v_xor_b32_e32 v73, s5, v17
	v_xor_b32_e32 v17, s4, v17
	v_and_b32_e32 v72, v72, v73
	v_and_b32_e32 v73, v19, v17
	v_lshlrev_b32_e32 v17, 24, v18
	v_cmp_gt_i64_e64 s[4:5], 0, v[16:17]
	v_not_b32_e32 v17, v17
	v_ashrrev_i32_e32 v17, 31, v17
	v_xor_b32_e32 v18, s5, v17
	v_xor_b32_e32 v17, s4, v17
	; wave barrier
	ds_read_b32 v70, v71 offset:8
	v_and_b32_e32 v19, v72, v18
	v_and_b32_e32 v18, v73, v17
	v_mbcnt_lo_u32_b32 v17, v18, 0
	v_mbcnt_hi_u32_b32 v72, v19, v17
	v_cmp_eq_u32_e64 s[4:5], 0, v72
	v_cmp_ne_u64_e64 s[42:43], 0, v[18:19]
	s_and_b64 s[42:43], s[42:43], s[4:5]
	; wave barrier
	s_and_saveexec_b64 s[4:5], s[42:43]
	s_cbranch_execz .LBB232_120
; %bb.119:
	v_bcnt_u32_b32 v17, v18, 0
	v_bcnt_u32_b32 v17, v19, v17
	s_waitcnt lgkmcnt(0)
	v_add_u32_e32 v17, v70, v17
	ds_write_b32 v71, v17 offset:8
.LBB232_120:
	s_or_b64 exec, exec, s[4:5]
	v_lshrrev_b16_e32 v17, 8, v25
	v_mov_b32_e32 v18, 0x7f
	v_cmp_ne_u16_e64 s[4:5], s50, v25
	v_cndmask_b32_e64 v17, v18, v17, s[4:5]
	v_and_b32_e32 v19, s49, v17
	v_lshlrev_b32_e32 v17, 1, v19
	v_add_lshl_u32 v74, v17, v24, 2
	v_and_b32_e32 v17, 1, v19
	v_add_co_u32_e64 v75, s[4:5], -1, v17
	v_addc_co_u32_e64 v76, s[4:5], 0, -1, s[4:5]
	v_cmp_ne_u32_e64 s[4:5], 0, v17
	v_xor_b32_e32 v17, s5, v76
	v_and_b32_e32 v76, exec_hi, v17
	v_lshlrev_b32_e32 v17, 30, v19
	v_xor_b32_e32 v75, s4, v75
	v_cmp_gt_i64_e64 s[4:5], 0, v[16:17]
	v_not_b32_e32 v17, v17
	v_ashrrev_i32_e32 v17, 31, v17
	v_and_b32_e32 v75, exec_lo, v75
	v_xor_b32_e32 v77, s5, v17
	v_xor_b32_e32 v17, s4, v17
	v_and_b32_e32 v75, v75, v17
	v_lshlrev_b32_e32 v17, 29, v19
	v_cmp_gt_i64_e64 s[4:5], 0, v[16:17]
	v_not_b32_e32 v17, v17
	v_ashrrev_i32_e32 v17, 31, v17
	v_and_b32_e32 v76, v76, v77
	v_xor_b32_e32 v77, s5, v17
	v_xor_b32_e32 v17, s4, v17
	v_and_b32_e32 v75, v75, v17
	v_lshlrev_b32_e32 v17, 28, v19
	v_cmp_gt_i64_e64 s[4:5], 0, v[16:17]
	v_not_b32_e32 v17, v17
	v_ashrrev_i32_e32 v17, 31, v17
	v_and_b32_e32 v76, v76, v77
	;; [unrolled: 8-line block ×5, first 2 shown]
	v_xor_b32_e32 v77, s5, v17
	v_xor_b32_e32 v17, s4, v17
	v_and_b32_e32 v75, v75, v17
	v_lshlrev_b32_e32 v17, 24, v19
	v_cmp_gt_i64_e64 s[4:5], 0, v[16:17]
	v_not_b32_e32 v16, v17
	v_ashrrev_i32_e32 v16, 31, v16
	v_xor_b32_e32 v17, s5, v16
	v_xor_b32_e32 v16, s4, v16
	; wave barrier
	ds_read_b32 v73, v74 offset:8
	v_and_b32_e32 v76, v76, v77
	v_and_b32_e32 v16, v75, v16
	;; [unrolled: 1-line block ×3, first 2 shown]
	v_mbcnt_lo_u32_b32 v19, v16, 0
	v_mbcnt_hi_u32_b32 v75, v17, v19
	v_cmp_eq_u32_e64 s[4:5], 0, v75
	v_cmp_ne_u64_e64 s[42:43], 0, v[16:17]
	s_and_b64 s[42:43], s[42:43], s[4:5]
	; wave barrier
	s_and_saveexec_b64 s[4:5], s[42:43]
	s_cbranch_execz .LBB232_122
; %bb.121:
	v_bcnt_u32_b32 v16, v16, 0
	v_bcnt_u32_b32 v16, v17, v16
	s_waitcnt lgkmcnt(0)
	v_add_u32_e32 v16, v73, v16
	ds_write_b32 v74, v16 offset:8
.LBB232_122:
	s_or_b64 exec, exec, s[4:5]
	v_lshrrev_b16_e32 v16, 8, v20
	v_cmp_ne_u16_e64 s[4:5], s50, v20
	v_cndmask_b32_e64 v16, v18, v16, s[4:5]
	v_and_b32_e32 v18, s49, v16
	v_and_b32_e32 v17, 1, v18
	v_add_co_u32_e64 v19, s[4:5], -1, v17
	v_addc_co_u32_e64 v77, s[4:5], 0, -1, s[4:5]
	v_cmp_ne_u32_e64 s[4:5], 0, v17
	v_lshlrev_b32_e32 v16, 1, v18
	v_xor_b32_e32 v17, s5, v77
	v_add_lshl_u32 v76, v16, v24, 2
	v_mov_b32_e32 v16, 0
	v_and_b32_e32 v77, exec_hi, v17
	v_lshlrev_b32_e32 v17, 30, v18
	v_xor_b32_e32 v19, s4, v19
	v_cmp_gt_i64_e64 s[4:5], 0, v[16:17]
	v_not_b32_e32 v17, v17
	v_ashrrev_i32_e32 v17, 31, v17
	v_and_b32_e32 v19, exec_lo, v19
	v_xor_b32_e32 v78, s5, v17
	v_xor_b32_e32 v17, s4, v17
	v_and_b32_e32 v19, v19, v17
	v_lshlrev_b32_e32 v17, 29, v18
	v_cmp_gt_i64_e64 s[4:5], 0, v[16:17]
	v_not_b32_e32 v17, v17
	v_ashrrev_i32_e32 v17, 31, v17
	v_and_b32_e32 v77, v77, v78
	v_xor_b32_e32 v78, s5, v17
	v_xor_b32_e32 v17, s4, v17
	v_and_b32_e32 v19, v19, v17
	v_lshlrev_b32_e32 v17, 28, v18
	v_cmp_gt_i64_e64 s[4:5], 0, v[16:17]
	v_not_b32_e32 v17, v17
	v_ashrrev_i32_e32 v17, 31, v17
	v_and_b32_e32 v77, v77, v78
	;; [unrolled: 8-line block ×5, first 2 shown]
	v_xor_b32_e32 v78, s5, v17
	v_xor_b32_e32 v17, s4, v17
	v_and_b32_e32 v19, v19, v17
	v_lshlrev_b32_e32 v17, 24, v18
	v_cmp_gt_i64_e64 s[4:5], 0, v[16:17]
	v_not_b32_e32 v16, v17
	v_ashrrev_i32_e32 v16, 31, v16
	v_xor_b32_e32 v17, s5, v16
	v_xor_b32_e32 v16, s4, v16
	; wave barrier
	ds_read_b32 v24, v76 offset:8
	v_and_b32_e32 v77, v77, v78
	v_and_b32_e32 v16, v19, v16
	;; [unrolled: 1-line block ×3, first 2 shown]
	v_mbcnt_lo_u32_b32 v18, v16, 0
	v_mbcnt_hi_u32_b32 v77, v17, v18
	v_cmp_eq_u32_e64 s[4:5], 0, v77
	v_cmp_ne_u64_e64 s[42:43], 0, v[16:17]
	s_and_b64 s[42:43], s[42:43], s[4:5]
	; wave barrier
	s_and_saveexec_b64 s[4:5], s[42:43]
	s_cbranch_execz .LBB232_124
; %bb.123:
	v_bcnt_u32_b32 v16, v16, 0
	v_bcnt_u32_b32 v16, v17, v16
	s_waitcnt lgkmcnt(0)
	v_add_u32_e32 v16, v24, v16
	ds_write_b32 v76, v16 offset:8
.LBB232_124:
	s_or_b64 exec, exec, s[4:5]
	; wave barrier
	s_waitcnt lgkmcnt(0)
	s_barrier
	ds_read2_b32 v[18:19], v64 offset0:2 offset1:3
	ds_read2_b32 v[16:17], v22 offset0:2 offset1:3
	s_waitcnt lgkmcnt(1)
	v_add_u32_e32 v78, v19, v18
	s_waitcnt lgkmcnt(0)
	v_add3_u32 v17, v78, v16, v17
	s_nop 1
	v_mov_b32_dpp v78, v17 row_shr:1 row_mask:0xf bank_mask:0xf
	v_cndmask_b32_e64 v78, v78, 0, s[20:21]
	v_add_u32_e32 v17, v78, v17
	s_nop 1
	v_mov_b32_dpp v78, v17 row_shr:2 row_mask:0xf bank_mask:0xf
	v_cndmask_b32_e64 v78, 0, v78, s[22:23]
	v_add_u32_e32 v17, v17, v78
	s_nop 1
	v_mov_b32_dpp v78, v17 row_shr:4 row_mask:0xf bank_mask:0xf
	v_cndmask_b32_e64 v78, 0, v78, s[26:27]
	v_add_u32_e32 v17, v17, v78
	s_nop 1
	v_mov_b32_dpp v78, v17 row_shr:8 row_mask:0xf bank_mask:0xf
	v_cndmask_b32_e64 v78, 0, v78, s[28:29]
	v_add_u32_e32 v17, v17, v78
	s_nop 1
	v_mov_b32_dpp v78, v17 row_bcast:15 row_mask:0xf bank_mask:0xf
	v_cndmask_b32_e64 v78, v78, 0, vcc
	v_add_u32_e32 v17, v17, v78
	s_nop 1
	v_mov_b32_dpp v78, v17 row_bcast:31 row_mask:0xf bank_mask:0xf
	v_cndmask_b32_e64 v78, 0, v78, s[34:35]
	v_add_u32_e32 v78, v17, v78
	s_and_saveexec_b64 s[4:5], s[16:17]
	s_cbranch_execz .LBB232_126
; %bb.125:
	ds_write_b32 v23, v78
.LBB232_126:
	s_or_b64 exec, exec, s[4:5]
	s_waitcnt lgkmcnt(0)
	s_barrier
	s_and_saveexec_b64 s[4:5], s[24:25]
	s_cbranch_execz .LBB232_128
; %bb.127:
	ds_read_b32 v17, v21
	s_waitcnt lgkmcnt(0)
	s_nop 0
	v_mov_b32_dpp v23, v17 row_shr:1 row_mask:0xf bank_mask:0xf
	v_cndmask_b32_e64 v23, v23, 0, s[18:19]
	v_add_u32_e32 v17, v23, v17
	ds_write_b32 v21, v17
.LBB232_128:
	s_or_b64 exec, exec, s[4:5]
	v_mov_b32_e32 v17, 0
	v_mov_b32_e32 v21, 0
	s_waitcnt lgkmcnt(0)
	s_barrier
	s_and_saveexec_b64 s[4:5], s[30:31]
	s_cbranch_execz .LBB232_130
; %bb.129:
	ds_read_b32 v21, v34
.LBB232_130:
	s_or_b64 exec, exec, s[4:5]
	s_waitcnt lgkmcnt(0)
	v_add_u32_e32 v23, v21, v78
	ds_bpermute_b32 v23, v35, v23
	v_lshlrev_b32_e32 v34, 3, v63
	s_mov_b32 s16, 0x5040100
	s_waitcnt lgkmcnt(0)
	v_cndmask_b32_e64 v21, v23, v21, s[36:37]
	v_cndmask_b32_e64 v21, v21, 0, s[38:39]
	v_add_u32_e32 v18, v21, v18
	v_add_u32_e32 v19, v18, v19
	;; [unrolled: 1-line block ×3, first 2 shown]
	ds_write2_b32 v64, v21, v18 offset0:2 offset1:3
	ds_write2_b32 v22, v19, v16 offset0:2 offset1:3
	s_waitcnt lgkmcnt(0)
	s_barrier
	ds_read_b32 v16, v76 offset:8
	ds_read_b32 v18, v74 offset:8
	;; [unrolled: 1-line block ×4, first 2 shown]
	s_waitcnt lgkmcnt(3)
	v_add3_u32 v16, v77, v24, v16
	ds_read_b32 v22, v65 offset:8
	ds_read_b32 v23, v40 offset:8
	;; [unrolled: 1-line block ×4, first 2 shown]
	s_waitcnt lgkmcnt(0)
	s_barrier
	v_add3_u32 v23, v41, v39, v23
	v_add3_u32 v24, v38, v36, v24
	v_add_u32_e32 v32, v32, v33
	v_lshlrev_b32_e32 v33, 1, v32
	ds_write_b16 v33, v31
	v_lshlrev_b32_e32 v31, 1, v24
	v_add3_u32 v22, v66, v46, v22
	ds_write_b16 v31, v30
	v_lshlrev_b32_e32 v30, 1, v23
	v_add3_u32 v21, v69, v67, v21
	;; [unrolled: 3-line block ×4, first 2 shown]
	ds_write_b16 v28, v27
	v_lshlrev_b32_e32 v27, 1, v19
	ds_write_b16 v27, v26
	v_lshlrev_b32_e32 v26, 1, v18
	;; [unrolled: 2-line block ×4, first 2 shown]
	s_waitcnt lgkmcnt(0)
	s_barrier
	v_lshlrev_b32_e32 v26, 3, v21
	v_lshlrev_b32_e32 v27, 3, v19
	;; [unrolled: 1-line block ×3, first 2 shown]
	ds_read_b128 v[18:21], v20
	v_mov_b32_e32 v40, -1
	v_mov_b32_e32 v41, 0x7fff
	v_lshlrev_b32_e32 v25, 3, v32
	v_lshlrev_b32_e32 v24, 3, v24
	s_waitcnt lgkmcnt(0)
	v_cmp_gt_i16_sdwa vcc, v18, v40 src0_sel:WORD_1 src1_sel:DWORD
	v_cndmask_b32_e32 v29, 0, v41, vcc
	v_cmp_lt_i16_e32 vcc, -1, v18
	v_cndmask_b32_e32 v30, 0, v41, vcc
	v_cmp_lt_i16_sdwa s[4:5], v19, v17 src0_sel:WORD_1 src1_sel:DWORD
	v_cmp_gt_i16_e32 vcc, 0, v19
	v_cndmask_b32_e64 v31, v41, 0, s[4:5]
	v_cndmask_b32_e64 v32, v41, 0, vcc
	v_lshlrev_b32_e32 v23, 3, v23
	v_lshlrev_b32_e32 v22, 3, v22
	v_xor_b32_e32 v32, v32, v19
	v_xor_b32_sdwa v19, v31, v19 dst_sel:DWORD dst_unused:UNUSED_PAD src0_sel:DWORD src1_sel:WORD_1
	v_lshlrev_b32_e32 v16, 3, v16
	v_perm_b32 v39, v19, v32, s16
	v_xor_b32_e32 v19, v30, v18
	v_xor_b32_sdwa v18, v29, v18 dst_sel:DWORD dst_unused:UNUSED_PAD src0_sel:DWORD src1_sel:WORD_1
	s_barrier
	ds_write_b64 v25, v[12:13]
	ds_write_b64 v24, v[14:15]
	;; [unrolled: 1-line block ×8, first 2 shown]
	s_waitcnt lgkmcnt(0)
	s_barrier
	ds_read2_b64 v[22:25], v34 offset1:1
	ds_read2_b64 v[26:29], v34 offset0:2 offset1:3
	ds_read2_b64 v[30:33], v34 offset0:4 offset1:5
	ds_read2_b64 v[34:37], v34 offset0:6 offset1:7
	v_cmp_gt_i16_sdwa vcc, v20, v40 src0_sel:WORD_1 src1_sel:DWORD
	v_cndmask_b32_e32 v0, 0, v41, vcc
	v_cmp_lt_i16_e32 vcc, -1, v20
	v_cndmask_b32_e32 v1, 0, v41, vcc
	v_cmp_lt_i16_sdwa s[4:5], v21, v17 src0_sel:WORD_1 src1_sel:DWORD
	v_cmp_gt_i16_e32 vcc, 0, v21
	v_cndmask_b32_e64 v2, v41, 0, s[4:5]
	v_cndmask_b32_e64 v3, v41, 0, vcc
	v_xor_b32_e32 v3, v3, v21
	v_xor_b32_sdwa v2, v2, v21 dst_sel:DWORD dst_unused:UNUSED_PAD src0_sel:DWORD src1_sel:WORD_1
	v_xor_b32_e32 v1, v1, v20
	v_xor_b32_sdwa v0, v0, v20 dst_sel:DWORD dst_unused:UNUSED_PAD src0_sel:DWORD src1_sel:WORD_1
	v_perm_b32 v38, v18, v19, s16
	v_perm_b32 v41, v2, v3, s16
	;; [unrolled: 1-line block ×3, first 2 shown]
.LBB232_131:
	s_waitcnt lgkmcnt(0)
	s_barrier
	ds_write_b128 v54, v[38:41]
	s_waitcnt lgkmcnt(0)
	s_barrier
	ds_read_u16 v8, v43 offset:256
	ds_read_u16 v7, v48 offset:512
	;; [unrolled: 1-line block ×7, first 2 shown]
	v_mov_b32_e32 v43, 0
	v_lshlrev_b64 v[0:1], 1, v[42:43]
	v_mov_b32_e32 v9, s44
	v_add_co_u32_e32 v0, vcc, s33, v0
	v_addc_co_u32_e32 v1, vcc, v9, v1, vcc
	s_and_saveexec_b64 s[4:5], s[0:1]
	s_cbranch_execnz .LBB232_150
; %bb.132:
	s_or_b64 exec, exec, s[4:5]
	s_and_saveexec_b64 s[4:5], s[2:3]
	s_cbranch_execnz .LBB232_151
.LBB232_133:
	s_or_b64 exec, exec, s[4:5]
	s_and_saveexec_b64 s[4:5], s[40:41]
	s_cbranch_execnz .LBB232_152
.LBB232_134:
	s_or_b64 exec, exec, s[4:5]
	s_and_saveexec_b64 s[4:5], s[6:7]
	s_cbranch_execnz .LBB232_153
.LBB232_135:
	s_or_b64 exec, exec, s[4:5]
	s_and_saveexec_b64 s[4:5], s[8:9]
	s_cbranch_execnz .LBB232_154
.LBB232_136:
	s_or_b64 exec, exec, s[4:5]
	s_and_saveexec_b64 s[4:5], s[10:11]
	s_cbranch_execnz .LBB232_155
.LBB232_137:
	s_or_b64 exec, exec, s[4:5]
	s_and_saveexec_b64 s[4:5], s[12:13]
	s_cbranch_execnz .LBB232_156
.LBB232_138:
	s_or_b64 exec, exec, s[4:5]
	s_and_saveexec_b64 s[4:5], s[14:15]
	s_cbranch_execz .LBB232_140
.LBB232_139:
	s_mul_i32 s16, s46, 0x380
	s_mov_b32 s17, 0
	s_lshl_b64 s[16:17], s[16:17], 1
	s_waitcnt lgkmcnt(1)
	v_mov_b32_e32 v3, s17
	v_add_co_u32_e32 v0, vcc, s16, v0
	v_addc_co_u32_e32 v1, vcc, v1, v3, vcc
	s_waitcnt lgkmcnt(0)
	global_store_short v[0:1], v2, off
.LBB232_140:
	s_or_b64 exec, exec, s[4:5]
	s_waitcnt lgkmcnt(0)
	s_barrier
	ds_write2_b64 v62, v[22:23], v[24:25] offset1:1
	ds_write2_b64 v62, v[26:27], v[28:29] offset0:2 offset1:3
	ds_write2_b64 v62, v[30:31], v[32:33] offset0:4 offset1:5
	;; [unrolled: 1-line block ×3, first 2 shown]
	s_waitcnt lgkmcnt(0)
	s_barrier
	ds_read_b64 v[14:15], v45 offset:1024
	ds_read_b64 v[12:13], v56 offset:2048
	;; [unrolled: 1-line block ×7, first 2 shown]
	v_mov_b32_e32 v45, 0
	v_lshlrev_b64 v[2:3], 3, v[44:45]
	v_mov_b32_e32 v16, s47
	v_add_co_u32_e32 v2, vcc, s45, v2
	v_addc_co_u32_e32 v3, vcc, v16, v3, vcc
	s_and_saveexec_b64 s[4:5], s[0:1]
	s_cbranch_execnz .LBB232_157
; %bb.141:
	s_or_b64 exec, exec, s[4:5]
	s_and_saveexec_b64 s[0:1], s[2:3]
	s_cbranch_execnz .LBB232_158
.LBB232_142:
	s_or_b64 exec, exec, s[0:1]
	s_and_saveexec_b64 s[0:1], s[40:41]
	s_cbranch_execnz .LBB232_159
.LBB232_143:
	s_or_b64 exec, exec, s[0:1]
	s_and_saveexec_b64 s[0:1], s[6:7]
	s_cbranch_execnz .LBB232_160
.LBB232_144:
	s_or_b64 exec, exec, s[0:1]
	s_and_saveexec_b64 s[0:1], s[8:9]
	s_cbranch_execnz .LBB232_161
.LBB232_145:
	s_or_b64 exec, exec, s[0:1]
	s_and_saveexec_b64 s[0:1], s[10:11]
	s_cbranch_execnz .LBB232_162
.LBB232_146:
	s_or_b64 exec, exec, s[0:1]
	s_and_saveexec_b64 s[0:1], s[12:13]
	s_cbranch_execnz .LBB232_163
.LBB232_147:
	s_or_b64 exec, exec, s[0:1]
	s_and_saveexec_b64 s[0:1], s[14:15]
	s_cbranch_execz .LBB232_149
.LBB232_148:
	s_mul_i32 s0, s48, 0x380
	s_mov_b32 s1, 0
	s_lshl_b64 s[0:1], s[0:1], 3
	s_waitcnt lgkmcnt(1)
	v_mov_b32_e32 v4, s1
	v_add_co_u32_e32 v2, vcc, s0, v2
	v_addc_co_u32_e32 v3, vcc, v3, v4, vcc
	s_waitcnt lgkmcnt(0)
	global_store_dwordx2 v[2:3], v[0:1], off
.LBB232_149:
	s_endpgm
.LBB232_150:
	ds_read_u16 v9, v47
	s_waitcnt lgkmcnt(0)
	global_store_short v[0:1], v9, off
	s_or_b64 exec, exec, s[4:5]
	s_and_saveexec_b64 s[4:5], s[2:3]
	s_cbranch_execz .LBB232_133
.LBB232_151:
	s_lshl_b32 s16, s46, 7
	s_mov_b32 s17, 0
	s_lshl_b64 s[16:17], s[16:17], 1
	v_mov_b32_e32 v9, s17
	v_add_co_u32_e32 v10, vcc, s16, v0
	v_addc_co_u32_e32 v11, vcc, v1, v9, vcc
	s_waitcnt lgkmcnt(6)
	global_store_short v[10:11], v8, off
	s_or_b64 exec, exec, s[4:5]
	s_and_saveexec_b64 s[4:5], s[40:41]
	s_cbranch_execz .LBB232_134
.LBB232_152:
	s_lshl_b32 s16, s46, 8
	s_mov_b32 s17, 0
	s_lshl_b64 s[16:17], s[16:17], 1
	v_mov_b32_e32 v9, s17
	s_waitcnt lgkmcnt(6)
	v_add_co_u32_e32 v8, vcc, s16, v0
	v_addc_co_u32_e32 v9, vcc, v1, v9, vcc
	s_waitcnt lgkmcnt(5)
	global_store_short v[8:9], v7, off
	s_or_b64 exec, exec, s[4:5]
	s_and_saveexec_b64 s[4:5], s[6:7]
	s_cbranch_execz .LBB232_135
.LBB232_153:
	s_mul_i32 s16, s46, 0x180
	s_mov_b32 s17, 0
	s_lshl_b64 s[16:17], s[16:17], 1
	s_waitcnt lgkmcnt(5)
	v_mov_b32_e32 v7, s17
	v_add_co_u32_e32 v8, vcc, s16, v0
	v_addc_co_u32_e32 v9, vcc, v1, v7, vcc
	s_waitcnt lgkmcnt(4)
	global_store_short v[8:9], v6, off
	s_or_b64 exec, exec, s[4:5]
	s_and_saveexec_b64 s[4:5], s[8:9]
	s_cbranch_execz .LBB232_136
.LBB232_154:
	s_lshl_b32 s16, s46, 9
	s_mov_b32 s17, 0
	s_lshl_b64 s[16:17], s[16:17], 1
	s_waitcnt lgkmcnt(5)
	v_mov_b32_e32 v7, s17
	s_waitcnt lgkmcnt(4)
	v_add_co_u32_e32 v6, vcc, s16, v0
	v_addc_co_u32_e32 v7, vcc, v1, v7, vcc
	s_waitcnt lgkmcnt(3)
	global_store_short v[6:7], v5, off
	s_or_b64 exec, exec, s[4:5]
	s_and_saveexec_b64 s[4:5], s[10:11]
	s_cbranch_execz .LBB232_137
.LBB232_155:
	s_mul_i32 s16, s46, 0x280
	s_mov_b32 s17, 0
	s_lshl_b64 s[16:17], s[16:17], 1
	s_waitcnt lgkmcnt(3)
	v_mov_b32_e32 v5, s17
	v_add_co_u32_e32 v6, vcc, s16, v0
	v_addc_co_u32_e32 v7, vcc, v1, v5, vcc
	s_waitcnt lgkmcnt(2)
	global_store_short v[6:7], v4, off
	s_or_b64 exec, exec, s[4:5]
	s_and_saveexec_b64 s[4:5], s[12:13]
	s_cbranch_execz .LBB232_138
.LBB232_156:
	s_mul_i32 s16, s46, 0x300
	s_mov_b32 s17, 0
	s_lshl_b64 s[16:17], s[16:17], 1
	s_waitcnt lgkmcnt(3)
	v_mov_b32_e32 v5, s17
	s_waitcnt lgkmcnt(2)
	v_add_co_u32_e32 v4, vcc, s16, v0
	v_addc_co_u32_e32 v5, vcc, v1, v5, vcc
	s_waitcnt lgkmcnt(1)
	global_store_short v[4:5], v3, off
	s_or_b64 exec, exec, s[4:5]
	s_and_saveexec_b64 s[4:5], s[14:15]
	s_cbranch_execnz .LBB232_139
	s_branch .LBB232_140
.LBB232_157:
	ds_read_b64 v[16:17], v55
	s_waitcnt lgkmcnt(0)
	global_store_dwordx2 v[2:3], v[16:17], off
	s_or_b64 exec, exec, s[4:5]
	s_and_saveexec_b64 s[0:1], s[2:3]
	s_cbranch_execz .LBB232_142
.LBB232_158:
	s_lshl_b32 s2, s48, 7
	s_mov_b32 s3, 0
	s_lshl_b64 s[2:3], s[2:3], 3
	v_mov_b32_e32 v17, s3
	v_add_co_u32_e32 v16, vcc, s2, v2
	v_addc_co_u32_e32 v17, vcc, v3, v17, vcc
	s_waitcnt lgkmcnt(6)
	global_store_dwordx2 v[16:17], v[14:15], off
	s_or_b64 exec, exec, s[0:1]
	s_and_saveexec_b64 s[0:1], s[40:41]
	s_cbranch_execz .LBB232_143
.LBB232_159:
	s_lshl_b32 s2, s48, 8
	s_mov_b32 s3, 0
	s_lshl_b64 s[2:3], s[2:3], 3
	s_waitcnt lgkmcnt(6)
	v_mov_b32_e32 v15, s3
	v_add_co_u32_e32 v14, vcc, s2, v2
	v_addc_co_u32_e32 v15, vcc, v3, v15, vcc
	s_waitcnt lgkmcnt(5)
	global_store_dwordx2 v[14:15], v[12:13], off
	s_or_b64 exec, exec, s[0:1]
	s_and_saveexec_b64 s[0:1], s[6:7]
	s_cbranch_execz .LBB232_144
.LBB232_160:
	s_mul_i32 s2, s48, 0x180
	s_mov_b32 s3, 0
	s_lshl_b64 s[2:3], s[2:3], 3
	s_waitcnt lgkmcnt(5)
	v_mov_b32_e32 v13, s3
	v_add_co_u32_e32 v12, vcc, s2, v2
	v_addc_co_u32_e32 v13, vcc, v3, v13, vcc
	s_waitcnt lgkmcnt(4)
	global_store_dwordx2 v[12:13], v[10:11], off
	s_or_b64 exec, exec, s[0:1]
	s_and_saveexec_b64 s[0:1], s[8:9]
	s_cbranch_execz .LBB232_145
.LBB232_161:
	s_lshl_b32 s2, s48, 9
	s_mov_b32 s3, 0
	s_lshl_b64 s[2:3], s[2:3], 3
	s_waitcnt lgkmcnt(4)
	v_mov_b32_e32 v11, s3
	v_add_co_u32_e32 v10, vcc, s2, v2
	v_addc_co_u32_e32 v11, vcc, v3, v11, vcc
	s_waitcnt lgkmcnt(3)
	global_store_dwordx2 v[10:11], v[8:9], off
	s_or_b64 exec, exec, s[0:1]
	s_and_saveexec_b64 s[0:1], s[10:11]
	s_cbranch_execz .LBB232_146
.LBB232_162:
	s_mul_i32 s2, s48, 0x280
	s_mov_b32 s3, 0
	s_lshl_b64 s[2:3], s[2:3], 3
	s_waitcnt lgkmcnt(3)
	v_mov_b32_e32 v9, s3
	v_add_co_u32_e32 v8, vcc, s2, v2
	v_addc_co_u32_e32 v9, vcc, v3, v9, vcc
	s_waitcnt lgkmcnt(2)
	global_store_dwordx2 v[8:9], v[6:7], off
	s_or_b64 exec, exec, s[0:1]
	s_and_saveexec_b64 s[0:1], s[12:13]
	s_cbranch_execz .LBB232_147
.LBB232_163:
	s_mul_i32 s2, s48, 0x300
	s_mov_b32 s3, 0
	s_lshl_b64 s[2:3], s[2:3], 3
	s_waitcnt lgkmcnt(2)
	v_mov_b32_e32 v7, s3
	v_add_co_u32_e32 v6, vcc, s2, v2
	v_addc_co_u32_e32 v7, vcc, v3, v7, vcc
	s_waitcnt lgkmcnt(1)
	global_store_dwordx2 v[6:7], v[4:5], off
	s_or_b64 exec, exec, s[0:1]
	s_and_saveexec_b64 s[0:1], s[14:15]
	s_cbranch_execnz .LBB232_148
	s_branch .LBB232_149
	.section	.rodata,"a",@progbits
	.p2align	6, 0x0
	.amdhsa_kernel _ZN2at6native18radixSortKVInPlaceILin1ELin1ELi128ELi8EN3c104HalfEljEEvNS_4cuda6detail10TensorInfoIT3_T5_EES8_S8_S8_NS6_IT4_S8_EES8_b
		.amdhsa_group_segment_fixed_size 8448
		.amdhsa_private_segment_fixed_size 0
		.amdhsa_kernarg_size 712
		.amdhsa_user_sgpr_count 6
		.amdhsa_user_sgpr_private_segment_buffer 1
		.amdhsa_user_sgpr_dispatch_ptr 0
		.amdhsa_user_sgpr_queue_ptr 0
		.amdhsa_user_sgpr_kernarg_segment_ptr 1
		.amdhsa_user_sgpr_dispatch_id 0
		.amdhsa_user_sgpr_flat_scratch_init 0
		.amdhsa_user_sgpr_kernarg_preload_length 0
		.amdhsa_user_sgpr_kernarg_preload_offset 0
		.amdhsa_user_sgpr_private_segment_size 0
		.amdhsa_uses_dynamic_stack 0
		.amdhsa_system_sgpr_private_segment_wavefront_offset 0
		.amdhsa_system_sgpr_workgroup_id_x 1
		.amdhsa_system_sgpr_workgroup_id_y 1
		.amdhsa_system_sgpr_workgroup_id_z 1
		.amdhsa_system_sgpr_workgroup_info 0
		.amdhsa_system_vgpr_workitem_id 2
		.amdhsa_next_free_vgpr 108
		.amdhsa_next_free_sgpr 53
		.amdhsa_accum_offset 108
		.amdhsa_reserve_vcc 1
		.amdhsa_reserve_flat_scratch 0
		.amdhsa_float_round_mode_32 0
		.amdhsa_float_round_mode_16_64 0
		.amdhsa_float_denorm_mode_32 3
		.amdhsa_float_denorm_mode_16_64 3
		.amdhsa_dx10_clamp 1
		.amdhsa_ieee_mode 1
		.amdhsa_fp16_overflow 0
		.amdhsa_tg_split 0
		.amdhsa_exception_fp_ieee_invalid_op 0
		.amdhsa_exception_fp_denorm_src 0
		.amdhsa_exception_fp_ieee_div_zero 0
		.amdhsa_exception_fp_ieee_overflow 0
		.amdhsa_exception_fp_ieee_underflow 0
		.amdhsa_exception_fp_ieee_inexact 0
		.amdhsa_exception_int_div_zero 0
	.end_amdhsa_kernel
	.section	.text._ZN2at6native18radixSortKVInPlaceILin1ELin1ELi128ELi8EN3c104HalfEljEEvNS_4cuda6detail10TensorInfoIT3_T5_EES8_S8_S8_NS6_IT4_S8_EES8_b,"axG",@progbits,_ZN2at6native18radixSortKVInPlaceILin1ELin1ELi128ELi8EN3c104HalfEljEEvNS_4cuda6detail10TensorInfoIT3_T5_EES8_S8_S8_NS6_IT4_S8_EES8_b,comdat
.Lfunc_end232:
	.size	_ZN2at6native18radixSortKVInPlaceILin1ELin1ELi128ELi8EN3c104HalfEljEEvNS_4cuda6detail10TensorInfoIT3_T5_EES8_S8_S8_NS6_IT4_S8_EES8_b, .Lfunc_end232-_ZN2at6native18radixSortKVInPlaceILin1ELin1ELi128ELi8EN3c104HalfEljEEvNS_4cuda6detail10TensorInfoIT3_T5_EES8_S8_S8_NS6_IT4_S8_EES8_b
                                        ; -- End function
	.section	.AMDGPU.csdata,"",@progbits
; Kernel info:
; codeLenInByte = 21472
; NumSgprs: 57
; NumVgprs: 108
; NumAgprs: 0
; TotalNumVgprs: 108
; ScratchSize: 0
; MemoryBound: 0
; FloatMode: 240
; IeeeMode: 1
; LDSByteSize: 8448 bytes/workgroup (compile time only)
; SGPRBlocks: 7
; VGPRBlocks: 13
; NumSGPRsForWavesPerEU: 57
; NumVGPRsForWavesPerEU: 108
; AccumOffset: 108
; Occupancy: 4
; WaveLimiterHint : 1
; COMPUTE_PGM_RSRC2:SCRATCH_EN: 0
; COMPUTE_PGM_RSRC2:USER_SGPR: 6
; COMPUTE_PGM_RSRC2:TRAP_HANDLER: 0
; COMPUTE_PGM_RSRC2:TGID_X_EN: 1
; COMPUTE_PGM_RSRC2:TGID_Y_EN: 1
; COMPUTE_PGM_RSRC2:TGID_Z_EN: 1
; COMPUTE_PGM_RSRC2:TIDIG_COMP_CNT: 2
; COMPUTE_PGM_RSRC3_GFX90A:ACCUM_OFFSET: 26
; COMPUTE_PGM_RSRC3_GFX90A:TG_SPLIT: 0
	.section	.text._ZN2at6native18radixSortKVInPlaceILin1ELin1ELi32ELi4EN3c104HalfEljEEvNS_4cuda6detail10TensorInfoIT3_T5_EES8_S8_S8_NS6_IT4_S8_EES8_b,"axG",@progbits,_ZN2at6native18radixSortKVInPlaceILin1ELin1ELi32ELi4EN3c104HalfEljEEvNS_4cuda6detail10TensorInfoIT3_T5_EES8_S8_S8_NS6_IT4_S8_EES8_b,comdat
	.protected	_ZN2at6native18radixSortKVInPlaceILin1ELin1ELi32ELi4EN3c104HalfEljEEvNS_4cuda6detail10TensorInfoIT3_T5_EES8_S8_S8_NS6_IT4_S8_EES8_b ; -- Begin function _ZN2at6native18radixSortKVInPlaceILin1ELin1ELi32ELi4EN3c104HalfEljEEvNS_4cuda6detail10TensorInfoIT3_T5_EES8_S8_S8_NS6_IT4_S8_EES8_b
	.globl	_ZN2at6native18radixSortKVInPlaceILin1ELin1ELi32ELi4EN3c104HalfEljEEvNS_4cuda6detail10TensorInfoIT3_T5_EES8_S8_S8_NS6_IT4_S8_EES8_b
	.p2align	8
	.type	_ZN2at6native18radixSortKVInPlaceILin1ELin1ELi32ELi4EN3c104HalfEljEEvNS_4cuda6detail10TensorInfoIT3_T5_EES8_S8_S8_NS6_IT4_S8_EES8_b,@function
_ZN2at6native18radixSortKVInPlaceILin1ELin1ELi32ELi4EN3c104HalfEljEEvNS_4cuda6detail10TensorInfoIT3_T5_EES8_S8_S8_NS6_IT4_S8_EES8_b: ; @_ZN2at6native18radixSortKVInPlaceILin1ELin1ELi32ELi4EN3c104HalfEljEEvNS_4cuda6detail10TensorInfoIT3_T5_EES8_S8_S8_NS6_IT4_S8_EES8_b
; %bb.0:
	s_load_dwordx2 s[0:1], s[4:5], 0x1c8
	s_load_dwordx4 s[28:31], s[4:5], 0xd8
	s_waitcnt lgkmcnt(0)
	s_mul_i32 s1, s1, s8
	s_add_i32 s1, s1, s7
	s_mul_i32 s0, s1, s0
	s_add_i32 s14, s0, s6
	s_cmp_ge_u32 s14, s28
	s_cbranch_scc1 .LBB233_63
; %bb.1:
	s_load_dword s2, s[4:5], 0xd0
	s_mov_b32 s1, 0
	s_mov_b32 s0, s14
	s_waitcnt lgkmcnt(0)
	s_cmp_lt_i32 s2, 2
	s_cbranch_scc1 .LBB233_4
; %bb.2:
	s_add_i32 s0, s2, -1
	s_add_i32 s6, s2, 1
	s_lshl_b64 s[2:3], s[0:1], 2
	s_add_u32 s0, s2, s4
	s_addc_u32 s3, s3, s5
	s_add_u32 s2, s0, 8
	s_addc_u32 s3, s3, 0
	s_mov_b32 s0, s14
.LBB233_3:                              ; =>This Inner Loop Header: Depth=1
	s_load_dword s7, s[2:3], 0x0
	s_load_dword s9, s[2:3], 0x64
	s_mov_b32 s8, s0
	s_waitcnt lgkmcnt(0)
	v_cvt_f32_u32_e32 v1, s7
	s_sub_i32 s0, 0, s7
	v_rcp_iflag_f32_e32 v1, v1
	v_mul_f32_e32 v1, 0x4f7ffffe, v1
	v_cvt_u32_f32_e32 v1, v1
	v_readfirstlane_b32 s10, v1
	s_mul_i32 s0, s0, s10
	s_mul_hi_u32 s0, s10, s0
	s_add_i32 s10, s10, s0
	s_mul_hi_u32 s0, s8, s10
	s_mul_i32 s10, s0, s7
	s_sub_i32 s10, s8, s10
	s_add_i32 s11, s0, 1
	s_sub_i32 s12, s10, s7
	s_cmp_ge_u32 s10, s7
	s_cselect_b32 s0, s11, s0
	s_cselect_b32 s10, s12, s10
	s_add_i32 s11, s0, 1
	s_cmp_ge_u32 s10, s7
	s_cselect_b32 s0, s11, s0
	s_mul_i32 s7, s0, s7
	s_sub_i32 s7, s8, s7
	s_mul_i32 s7, s9, s7
	s_add_i32 s6, s6, -1
	s_add_i32 s1, s7, s1
	s_add_u32 s2, s2, -4
	s_addc_u32 s3, s3, -1
	s_cmp_gt_u32 s6, 2
	s_cbranch_scc1 .LBB233_3
.LBB233_4:
	s_load_dword s2, s[4:5], 0x1b8
	s_mov_b32 s11, 0
	s_waitcnt lgkmcnt(0)
	s_cmp_lt_i32 s2, 2
	s_cbranch_scc1 .LBB233_7
; %bb.5:
	s_add_i32 s10, s2, -1
	s_add_i32 s6, s2, 1
	s_lshl_b64 s[2:3], s[10:11], 2
	s_add_u32 s2, s2, s4
	s_addc_u32 s3, s3, s5
	s_add_u32 s2, s2, 0xf0
	s_addc_u32 s3, s3, 0
.LBB233_6:                              ; =>This Inner Loop Header: Depth=1
	s_load_dword s7, s[2:3], 0x0
	s_load_dword s9, s[2:3], 0x64
	s_mov_b32 s8, s14
	s_waitcnt lgkmcnt(0)
	v_cvt_f32_u32_e32 v1, s7
	s_sub_i32 s10, 0, s7
	v_rcp_iflag_f32_e32 v1, v1
	v_mul_f32_e32 v1, 0x4f7ffffe, v1
	v_cvt_u32_f32_e32 v1, v1
	v_readfirstlane_b32 s12, v1
	s_mul_i32 s10, s10, s12
	s_mul_hi_u32 s10, s12, s10
	s_add_i32 s12, s12, s10
	s_mul_hi_u32 s10, s14, s12
	s_mul_i32 s12, s10, s7
	s_sub_i32 s12, s14, s12
	s_add_i32 s13, s10, 1
	s_sub_i32 s14, s12, s7
	s_cmp_ge_u32 s12, s7
	s_cselect_b32 s10, s13, s10
	s_cselect_b32 s12, s14, s12
	s_add_i32 s13, s10, 1
	s_cmp_ge_u32 s12, s7
	s_cselect_b32 s14, s13, s10
	s_mul_i32 s7, s14, s7
	s_sub_i32 s7, s8, s7
	s_mul_i32 s7, s9, s7
	s_add_i32 s6, s6, -1
	s_add_i32 s11, s7, s11
	s_add_u32 s2, s2, -4
	s_addc_u32 s3, s3, -1
	s_cmp_gt_u32 s6, 2
	s_cbranch_scc1 .LBB233_6
.LBB233_7:
	s_load_dword s2, s[4:5], 0x6c
	s_load_dwordx2 s[26:27], s[4:5], 0x1c0
	s_mov_b32 s10, 0xffff
	v_mul_lo_u32 v18, v0, s30
	s_waitcnt lgkmcnt(0)
	s_mul_i32 s0, s2, s0
	s_load_dwordx2 s[2:3], s[4:5], 0x0
	s_add_i32 s0, s0, s1
	s_bitcmp1_b32 s27, 0
	s_cselect_b64 s[8:9], -1, 0
	s_and_b64 s[6:7], s[8:9], exec
	s_mov_b32 s1, 0
	s_cselect_b32 s10, s10, 0x7fff
	s_lshl_b64 s[0:1], s[0:1], 1
	s_waitcnt lgkmcnt(0)
	s_add_u32 s27, s2, s0
	s_addc_u32 s31, s3, s1
	v_cmp_gt_u32_e64 s[0:1], s29, v0
	v_mov_b32_e32 v2, s10
	s_and_saveexec_b64 s[2:3], s[0:1]
	s_cbranch_execz .LBB233_9
; %bb.8:
	v_mov_b32_e32 v19, 0
	v_lshlrev_b64 v[2:3], 1, v[18:19]
	v_mov_b32_e32 v1, s31
	v_add_co_u32_e32 v2, vcc, s27, v2
	v_addc_co_u32_e32 v3, vcc, v1, v3, vcc
	global_load_ushort v2, v[2:3], off
.LBB233_9:
	s_or_b64 exec, exec, s[2:3]
	v_or_b32_e32 v1, 32, v0
	v_cmp_gt_u32_e64 s[2:3], s29, v1
	v_mov_b32_e32 v3, s10
	s_and_saveexec_b64 s[6:7], s[2:3]
	s_cbranch_execz .LBB233_11
; %bb.10:
	v_mul_lo_u32 v4, v1, s30
	v_mov_b32_e32 v5, 0
	v_lshlrev_b64 v[4:5], 1, v[4:5]
	v_mov_b32_e32 v3, s31
	v_add_co_u32_e32 v4, vcc, s27, v4
	v_addc_co_u32_e32 v5, vcc, v3, v5, vcc
	global_load_ushort v3, v[4:5], off
.LBB233_11:
	s_or_b64 exec, exec, s[6:7]
	s_load_dwordx2 s[12:13], s[4:5], 0xe8
	v_or_b32_e32 v14, 64, v0
	v_cmp_gt_u32_e64 s[24:25], s29, v14
	v_mov_b32_e32 v4, s10
	s_and_saveexec_b64 s[6:7], s[24:25]
	s_cbranch_execz .LBB233_13
; %bb.12:
	v_mul_lo_u32 v4, v14, s30
	v_mov_b32_e32 v5, 0
	v_lshlrev_b64 v[4:5], 1, v[4:5]
	v_mov_b32_e32 v6, s31
	v_add_co_u32_e32 v4, vcc, s27, v4
	v_addc_co_u32_e32 v5, vcc, v6, v5, vcc
	global_load_ushort v4, v[4:5], off
.LBB233_13:
	s_or_b64 exec, exec, s[6:7]
	s_load_dword s15, s[4:5], 0x154
	v_or_b32_e32 v11, 0x60, v0
	v_cmp_gt_u32_e64 s[6:7], s29, v11
	v_mov_b32_e32 v5, s10
	s_and_saveexec_b64 s[4:5], s[6:7]
	s_cbranch_execz .LBB233_15
; %bb.14:
	v_mul_lo_u32 v6, v11, s30
	v_mov_b32_e32 v7, 0
	v_lshlrev_b64 v[6:7], 1, v[6:7]
	v_mov_b32_e32 v5, s31
	v_add_co_u32_e32 v6, vcc, s27, v6
	v_addc_co_u32_e32 v7, vcc, v5, v7, vcc
	global_load_ushort v5, v[6:7], off
.LBB233_15:
	s_or_b64 exec, exec, s[4:5]
	v_lshlrev_b32_e32 v34, 1, v0
	v_lshrrev_b32_e32 v13, 5, v14
	s_waitcnt vmcnt(0)
	ds_write_b16 v34, v2
	ds_write_b16 v34, v3 offset:64
	v_and_b32_e32 v2, 2, v13
	v_lshrrev_b32_e32 v12, 5, v11
	v_add_lshl_u32 v19, v2, v0, 1
	v_and_b32_e32 v2, 2, v12
	v_lshlrev_b32_e32 v10, 2, v0
	v_lshrrev_b32_e32 v15, 3, v0
	v_add_lshl_u32 v35, v2, v0, 1
	v_and_or_b32 v2, v15, 2, v10
	v_lshlrev_b32_e32 v36, 1, v2
	s_waitcnt lgkmcnt(0)
	s_mul_i32 s4, s15, s14
	ds_write_b16 v19, v4 offset:128
	ds_write_b16 v35, v5 offset:192
	s_waitcnt lgkmcnt(0)
	; wave barrier
	s_waitcnt lgkmcnt(0)
	ds_read_b64 v[22:23], v36
	s_add_i32 s16, s4, s11
	s_mov_b32 s17, 0
	s_lshl_b64 s[4:5], s[16:17], 3
	s_mov_b32 s16, s17
	s_add_u32 s33, s12, s4
	s_mov_b32 s18, s17
	s_mov_b32 s19, s17
	;; [unrolled: 1-line block ×6, first 2 shown]
	v_pk_mov_b32 v[2:3], s[16:17], s[16:17] op_sel:[0,1]
	s_addc_u32 s38, s13, s5
	v_pk_mov_b32 v[4:5], s[18:19], s[18:19] op_sel:[0,1]
	v_pk_mov_b32 v[6:7], s[20:21], s[20:21] op_sel:[0,1]
	;; [unrolled: 1-line block ×3, first 2 shown]
	v_pk_mov_b32 v[2:3], 0, 0
	v_mul_lo_u32 v20, v0, s26
	s_waitcnt lgkmcnt(0)
	; wave barrier
	s_waitcnt lgkmcnt(0)
	s_and_saveexec_b64 s[4:5], s[0:1]
	s_cbranch_execnz .LBB233_36
; %bb.16:
	s_or_b64 exec, exec, s[4:5]
	s_and_saveexec_b64 s[4:5], s[2:3]
	s_cbranch_execnz .LBB233_37
.LBB233_17:
	s_or_b64 exec, exec, s[4:5]
	s_and_saveexec_b64 s[4:5], s[24:25]
	s_cbranch_execz .LBB233_19
.LBB233_18:
	v_mul_lo_u32 v6, v14, s26
	v_mov_b32_e32 v7, 0
	v_lshlrev_b64 v[6:7], 3, v[6:7]
	v_mov_b32_e32 v14, s38
	v_add_co_u32_e32 v6, vcc, s33, v6
	v_addc_co_u32_e32 v7, vcc, v14, v7, vcc
	global_load_dwordx2 v[6:7], v[6:7], off
.LBB233_19:
	s_or_b64 exec, exec, s[4:5]
	s_xor_b64 s[4:5], s[8:9], -1
	v_lshrrev_b32_e32 v14, 5, v1
	s_and_saveexec_b64 s[8:9], s[6:7]
	s_cbranch_execz .LBB233_21
; %bb.20:
	v_mul_lo_u32 v8, v11, s26
	v_mov_b32_e32 v9, 0
	v_lshlrev_b64 v[8:9], 3, v[8:9]
	v_mov_b32_e32 v11, s38
	v_add_co_u32_e32 v8, vcc, s33, v8
	v_addc_co_u32_e32 v9, vcc, v11, v9, vcc
	global_load_dwordx2 v[8:9], v[8:9], off
.LBB233_21:
	s_or_b64 exec, exec, s[8:9]
	v_mbcnt_lo_u32_b32 v11, -1, 0
	v_mbcnt_hi_u32_b32 v11, -1, v11
	v_lshlrev_b32_e32 v37, 3, v0
	v_add_lshl_u32 v21, v14, v0, 3
	v_add_lshl_u32 v38, v13, v0, 3
	;; [unrolled: 1-line block ×4, first 2 shown]
	s_getpc_b64 s[8:9]
	s_add_u32 s8, s8, _ZN7rocprim17ROCPRIM_400000_NS16block_radix_sortI6__halfLj32ELj4ElLj1ELj1ELj0ELNS0_26block_radix_rank_algorithmE1ELNS0_18block_padding_hintE2ELNS0_4arch9wavefront6targetE1EE19radix_bits_per_passE@rel32@lo+4
	s_addc_u32 s9, s9, _ZN7rocprim17ROCPRIM_400000_NS16block_radix_sortI6__halfLj32ELj4ElLj1ELj1ELj0ELNS0_26block_radix_rank_algorithmE1ELNS0_18block_padding_hintE2ELNS0_4arch9wavefront6targetE1EE19radix_bits_per_passE@rel32@hi+12
	v_and_b32_e32 v12, 15, v11
	s_waitcnt vmcnt(0)
	ds_write_b64 v37, v[2:3]
	ds_write_b64 v21, v[4:5] offset:256
	ds_write_b64 v38, v[6:7] offset:512
	;; [unrolled: 1-line block ×3, first 2 shown]
	s_waitcnt lgkmcnt(0)
	; wave barrier
	s_waitcnt lgkmcnt(0)
	ds_read2_b64 v[2:5], v40 offset1:1
	ds_read2_b64 v[6:9], v40 offset0:2 offset1:3
	s_load_dword s39, s[8:9], 0x0
	v_cmp_eq_u32_e64 s[10:11], 0, v12
	v_cmp_lt_u32_e64 s[12:13], 1, v12
	v_cmp_lt_u32_e64 s[14:15], 3, v12
	;; [unrolled: 1-line block ×3, first 2 shown]
	v_and_b32_e32 v12, 16, v11
	v_cmp_eq_u32_e64 s[18:19], 0, v12
	v_add_u32_e32 v12, -1, v11
	v_and_b32_e32 v13, 0x60, v11
	v_cmp_lt_i32_e32 vcc, v12, v13
	s_movk_i32 s8, 0x100
	v_cndmask_b32_e32 v12, v12, v11, vcc
	v_cmp_gt_u32_e64 s[8:9], s8, v0
	v_lshlrev_b32_e32 v43, 5, v0
	s_mov_b32 s40, 0
	v_cmp_eq_u32_e64 s[20:21], 31, v0
	v_lshlrev_b32_e32 v44, 2, v12
	v_cmp_eq_u32_e64 s[22:23], 0, v11
	v_lshlrev_b32_e32 v42, 1, v10
	v_lshlrev_b32_e32 v41, 3, v10
	s_and_b64 vcc, exec, s[4:5]
	v_add_u32_e64 v45, 7, 2
	s_waitcnt lgkmcnt(0)
	; wave barrier
	s_waitcnt lgkmcnt(0)
	s_cbranch_vccz .LBB233_38
; %bb.22:
	v_mov_b32_e32 v46, 0xffff8000
	v_cmp_lt_i16_e32 vcc, -1, v22
	v_cndmask_b32_e32 v10, -1, v46, vcc
	v_xor_b32_e32 v32, v10, v22
	v_mov_b32_e32 v10, -1
	v_cmp_gt_i16_sdwa vcc, v22, v10 src0_sel:WORD_1 src1_sel:DWORD
	v_cndmask_b32_e32 v11, -1, v46, vcc
	v_cmp_lt_i16_e32 vcc, -1, v23
	v_xor_b32_sdwa v57, v11, v22 dst_sel:DWORD dst_unused:UNUSED_PAD src0_sel:DWORD src1_sel:WORD_1
	v_cndmask_b32_e32 v11, -1, v46, vcc
	v_cmp_gt_i16_sdwa vcc, v23, v10 src0_sel:WORD_1 src1_sel:DWORD
	v_cndmask_b32_e32 v10, -1, v46, vcc
	v_xor_b32_e32 v33, v11, v23
	v_xor_b32_sdwa v58, v10, v23 dst_sel:DWORD dst_unused:UNUSED_PAD src0_sel:DWORD src1_sel:WORD_1
	v_and_b32_e32 v47, 14, v45
	v_mov_b32_e32 v48, 0
	s_movk_i32 s41, 0x7fff
	s_movk_i32 s42, 0xe0
	v_pk_mov_b32 v[10:11], v[2:3], v[2:3] op_sel:[0,1]
	v_pk_mov_b32 v[12:13], v[4:5], v[4:5] op_sel:[0,1]
	;; [unrolled: 1-line block ×4, first 2 shown]
	s_branch .LBB233_24
.LBB233_23:                             ;   in Loop: Header=BB233_24 Depth=1
	v_lshlrev_b32_e32 v10, 1, v53
	s_waitcnt lgkmcnt(0)
	; wave barrier
	ds_write_b16 v10, v52
	v_lshlrev_b32_e32 v10, 1, v54
	ds_write_b16 v10, v51
	v_lshlrev_b32_e32 v10, 1, v55
	;; [unrolled: 2-line block ×4, first 2 shown]
	s_waitcnt lgkmcnt(0)
	; wave barrier
	s_waitcnt lgkmcnt(0)
	ds_read_b64 v[32:33], v42
	s_waitcnt lgkmcnt(0)
	; wave barrier
	s_waitcnt lgkmcnt(0)
	ds_write_b64 v10, v[30:31]
	v_lshlrev_b32_e32 v10, 3, v54
	ds_write_b64 v10, v[28:29]
	v_lshlrev_b32_e32 v10, 3, v55
	;; [unrolled: 2-line block ×3, first 2 shown]
	ds_write_b64 v10, v[24:25]
	s_waitcnt lgkmcnt(0)
	; wave barrier
	s_waitcnt lgkmcnt(0)
	ds_read2_b64 v[10:13], v41 offset1:1
	ds_read2_b64 v[14:17], v41 offset0:2 offset1:3
	s_add_i32 s40, s40, 4
	v_lshrrev_b32_e32 v57, 16, v32
	v_lshrrev_b32_e32 v58, 16, v33
	s_waitcnt lgkmcnt(0)
	; wave barrier
	s_waitcnt lgkmcnt(0)
	s_cbranch_execz .LBB233_35
.LBB233_24:                             ; =>This Loop Header: Depth=1
                                        ;     Child Loop BB233_27 Depth 2
	v_pk_mov_b32 v[24:25], v[16:17], v[16:17] op_sel:[0,1]
	v_pk_mov_b32 v[26:27], v[14:15], v[14:15] op_sel:[0,1]
	;; [unrolled: 1-line block ×4, first 2 shown]
	v_mov_b32_e32 v52, v32
	v_mov_b32_e32 v51, v57
	;; [unrolled: 1-line block ×4, first 2 shown]
	s_and_saveexec_b64 s[4:5], s[8:9]
	s_cbranch_execz .LBB233_31
; %bb.25:                               ;   in Loop: Header=BB233_24 Depth=1
	s_mov_b32 s43, 0
	s_mov_b64 s[28:29], 0
	v_pk_mov_b32 v[10:11], v[0:1], v[0:1] op_sel:[0,1]
	s_branch .LBB233_27
.LBB233_26:                             ;   in Loop: Header=BB233_27 Depth=2
	s_or_b64 exec, exec, s[36:37]
	s_add_i32 s43, s43, 2
	v_cmp_eq_u32_e32 vcc, s43, v47
	v_add_u32_e32 v11, 64, v11
	s_or_b64 s[28:29], vcc, s[28:29]
	v_add_u32_e32 v10, 64, v10
	s_andn2_b64 exec, exec, s[28:29]
	s_cbranch_execz .LBB233_31
.LBB233_27:                             ;   Parent Loop BB233_24 Depth=1
                                        ; =>  This Inner Loop Header: Depth=2
	s_or_b32 s34, s43, 1
	v_cmp_le_u32_e64 s[34:35], s34, 7
	v_cmp_le_u32_e64 s[44:45], s43, 7
	s_and_saveexec_b64 s[36:37], s[44:45]
	s_cbranch_execz .LBB233_29
; %bb.28:                               ;   in Loop: Header=BB233_27 Depth=2
	v_lshlrev_b32_e32 v12, 2, v10
	ds_write_b32 v12, v48
.LBB233_29:                             ;   in Loop: Header=BB233_27 Depth=2
	s_or_b64 exec, exec, s[36:37]
	s_and_saveexec_b64 s[36:37], s[34:35]
	s_cbranch_execz .LBB233_26
; %bb.30:                               ;   in Loop: Header=BB233_27 Depth=2
	v_lshlrev_b32_e32 v12, 2, v11
	ds_write_b32 v12, v48
	s_branch .LBB233_26
.LBB233_31:                             ;   in Loop: Header=BB233_24 Depth=1
	s_or_b64 exec, exec, s[4:5]
	s_sub_i32 s4, 16, s40
	s_min_u32 s4, s39, s4
	v_cmp_ne_u16_e32 vcc, s41, v52
	s_lshl_b32 s4, -1, s4
	v_cndmask_b32_e32 v10, v46, v52, vcc
	s_not_b32 s4, s4
	v_lshrrev_b32_sdwa v10, s40, v10 dst_sel:DWORD dst_unused:UNUSED_PAD src0_sel:DWORD src1_sel:WORD_0
	v_and_b32_e32 v10, s4, v10
	v_lshrrev_b32_e32 v11, 3, v10
	v_lshlrev_b32_e32 v10, 5, v10
	v_and_or_b32 v10, v10, s42, v0
	v_lshlrev_b32_e32 v10, 1, v10
	v_add_lshl_u32 v33, v10, v11, 1
	ds_read_u16 v32, v33
	v_cmp_ne_u16_e32 vcc, s41, v51
	s_waitcnt lgkmcnt(0)
	v_add_u16_e32 v10, 1, v32
	ds_write_b16 v33, v10
	v_cndmask_b32_e32 v10, v46, v51, vcc
	v_lshrrev_b32_sdwa v10, s40, v10 dst_sel:DWORD dst_unused:UNUSED_PAD src0_sel:DWORD src1_sel:WORD_0
	v_and_b32_e32 v10, s4, v10
	v_lshrrev_b32_e32 v11, 3, v10
	v_lshlrev_b32_e32 v10, 5, v10
	v_and_or_b32 v10, v10, s42, v0
	v_lshlrev_b32_e32 v10, 1, v10
	v_add_lshl_u32 v53, v10, v11, 1
	ds_read_u16 v54, v53
	v_cmp_ne_u16_e32 vcc, s41, v50
	s_waitcnt lgkmcnt(0)
	v_add_u16_e32 v10, 1, v54
	ds_write_b16 v53, v10
	v_cndmask_b32_e32 v10, v46, v50, vcc
	;; [unrolled: 13-line block ×3, first 2 shown]
	v_lshrrev_b32_sdwa v10, s40, v10 dst_sel:DWORD dst_unused:UNUSED_PAD src0_sel:DWORD src1_sel:WORD_0
	v_and_b32_e32 v10, s4, v10
	v_lshrrev_b32_e32 v11, 3, v10
	v_lshlrev_b32_e32 v10, 5, v10
	v_and_or_b32 v10, v10, s42, v0
	v_lshlrev_b32_e32 v10, 1, v10
	v_add_lshl_u32 v58, v10, v11, 1
	ds_read_u16 v57, v58
	s_waitcnt lgkmcnt(0)
	v_add_u16_e32 v10, 1, v57
	ds_write_b16 v58, v10
	s_waitcnt lgkmcnt(0)
	; wave barrier
	s_waitcnt lgkmcnt(0)
	ds_read2_b32 v[16:17], v43 offset1:1
	ds_read2_b32 v[14:15], v43 offset0:2 offset1:3
	ds_read2_b32 v[10:11], v43 offset0:4 offset1:5
	;; [unrolled: 1-line block ×3, first 2 shown]
	s_waitcnt lgkmcnt(3)
	v_add_u32_e32 v59, v17, v16
	s_waitcnt lgkmcnt(2)
	v_add3_u32 v59, v59, v14, v15
	s_waitcnt lgkmcnt(1)
	v_add3_u32 v59, v59, v10, v11
	;; [unrolled: 2-line block ×3, first 2 shown]
	s_nop 1
	v_mov_b32_dpp v59, v13 row_shr:1 row_mask:0xf bank_mask:0xf
	v_cndmask_b32_e64 v59, v59, 0, s[10:11]
	v_add_u32_e32 v13, v59, v13
	s_nop 1
	v_mov_b32_dpp v59, v13 row_shr:2 row_mask:0xf bank_mask:0xf
	v_cndmask_b32_e64 v59, 0, v59, s[12:13]
	v_add_u32_e32 v13, v13, v59
	;; [unrolled: 4-line block ×4, first 2 shown]
	s_nop 1
	v_mov_b32_dpp v59, v13 row_bcast:15 row_mask:0xf bank_mask:0xf
	v_cndmask_b32_e64 v59, v59, 0, s[18:19]
	v_add_u32_e32 v13, v13, v59
	s_and_saveexec_b64 s[4:5], s[20:21]
	s_cbranch_execz .LBB233_33
; %bb.32:                               ;   in Loop: Header=BB233_24 Depth=1
	ds_write_b32 v48, v13 offset:1024
.LBB233_33:                             ;   in Loop: Header=BB233_24 Depth=1
	s_or_b64 exec, exec, s[4:5]
	ds_bpermute_b32 v13, v44, v13
	s_waitcnt lgkmcnt(0)
	; wave barrier
	s_waitcnt lgkmcnt(0)
	ds_read_b32 v59, v48 offset:1024
	s_cmp_gt_u32 s40, 11
	v_cndmask_b32_e64 v13, v13, 0, s[22:23]
	s_waitcnt lgkmcnt(0)
	v_lshl_add_u32 v13, v59, 16, v13
	v_add_u32_e32 v16, v13, v16
	v_add_u32_e32 v17, v16, v17
	ds_write2_b32 v43, v13, v16 offset1:1
	v_add_u32_e32 v13, v17, v14
	v_add_u32_e32 v14, v13, v15
	;; [unrolled: 1-line block ×5, first 2 shown]
	ds_write2_b32 v43, v17, v13 offset0:2 offset1:3
	ds_write2_b32 v43, v14, v10 offset0:4 offset1:5
	;; [unrolled: 1-line block ×3, first 2 shown]
	s_waitcnt lgkmcnt(0)
	; wave barrier
	s_waitcnt lgkmcnt(0)
	ds_read_u16 v10, v33
	ds_read_u16 v11, v53
	;; [unrolled: 1-line block ×4, first 2 shown]
	s_waitcnt lgkmcnt(3)
	v_add_u32_sdwa v53, v10, v32 dst_sel:DWORD dst_unused:UNUSED_PAD src0_sel:DWORD src1_sel:WORD_0
	s_waitcnt lgkmcnt(2)
	v_add_u32_sdwa v54, v11, v54 dst_sel:DWORD dst_unused:UNUSED_PAD src0_sel:DWORD src1_sel:WORD_0
	;; [unrolled: 2-line block ×4, first 2 shown]
	s_cbranch_scc0 .LBB233_23
; %bb.34:
                                        ; implicit-def: $vgpr16_vgpr17
                                        ; implicit-def: $vgpr12_vgpr13
                                        ; implicit-def: $sgpr40
                                        ; implicit-def: $vgpr32
                                        ; implicit-def: $vgpr57
                                        ; implicit-def: $vgpr58
.LBB233_35:
	v_lshlrev_b32_e32 v10, 1, v53
	s_waitcnt lgkmcnt(0)
	; wave barrier
	ds_write_b16 v10, v52
	v_lshlrev_b32_e32 v10, 1, v54
	ds_write_b16 v10, v51
	v_lshlrev_b32_e32 v10, 1, v55
	;; [unrolled: 2-line block ×3, first 2 shown]
	ds_write_b16 v10, v49
	s_waitcnt lgkmcnt(0)
	; wave barrier
	s_waitcnt lgkmcnt(0)
	ds_read_b64 v[32:33], v42
	v_lshlrev_b32_e32 v10, 3, v53
	v_lshlrev_b32_e32 v11, 3, v54
	v_lshlrev_b32_e32 v12, 3, v55
	v_lshlrev_b32_e32 v13, 3, v56
	s_waitcnt lgkmcnt(0)
	; wave barrier
	s_waitcnt lgkmcnt(0)
	ds_write_b64 v10, v[30:31]
	ds_write_b64 v11, v[28:29]
	;; [unrolled: 1-line block ×4, first 2 shown]
	v_mov_b32_e32 v25, 0xffff8000
	v_cmp_gt_i16_e32 vcc, 0, v32
	v_mov_b32_e32 v27, 0
	s_waitcnt lgkmcnt(0)
	; wave barrier
	s_waitcnt lgkmcnt(0)
	ds_read2_b64 v[10:13], v41 offset1:1
	ds_read2_b64 v[14:17], v41 offset0:2 offset1:3
	v_mov_b32_e32 v24, -1
	v_cndmask_b32_e32 v26, -1, v25, vcc
	v_cmp_lt_i16_sdwa vcc, v32, v27 src0_sel:WORD_1 src1_sel:DWORD
	v_cndmask_b32_e32 v27, -1, v25, vcc
	v_cmp_lt_i16_e32 vcc, -1, v33
	v_cmp_gt_i16_sdwa s[4:5], v33, v24 src0_sel:WORD_1 src1_sel:DWORD
	v_cndmask_b32_e64 v28, v25, -1, vcc
	v_cndmask_b32_e64 v24, v25, -1, s[4:5]
	v_xor_b32_sdwa v24, v24, v33 dst_sel:DWORD dst_unused:UNUSED_PAD src0_sel:DWORD src1_sel:WORD_1
	v_xor_b32_e32 v25, v28, v33
	s_mov_b32 s4, 0x5040100
	v_perm_b32 v25, v24, v25, s4
	v_xor_b32_sdwa v24, v27, v32 dst_sel:DWORD dst_unused:UNUSED_PAD src0_sel:DWORD src1_sel:WORD_1
	v_xor_b32_e32 v26, v26, v32
	v_perm_b32 v24, v24, v26, s4
	s_branch .LBB233_53
.LBB233_36:
	v_mov_b32_e32 v21, 0
	v_lshlrev_b64 v[2:3], 3, v[20:21]
	v_mov_b32_e32 v4, s38
	v_add_co_u32_e32 v2, vcc, s33, v2
	v_addc_co_u32_e32 v3, vcc, v4, v3, vcc
	global_load_dwordx2 v[2:3], v[2:3], off
	v_mov_b32_e32 v4, v21
	v_mov_b32_e32 v5, v21
	;; [unrolled: 1-line block ×6, first 2 shown]
	s_or_b64 exec, exec, s[4:5]
	s_and_saveexec_b64 s[4:5], s[2:3]
	s_cbranch_execz .LBB233_17
.LBB233_37:
	v_mul_lo_u32 v4, v1, s26
	v_mov_b32_e32 v5, 0
	v_lshlrev_b64 v[4:5], 3, v[4:5]
	v_mov_b32_e32 v16, s38
	v_add_co_u32_e32 v4, vcc, s33, v4
	v_addc_co_u32_e32 v5, vcc, v16, v5, vcc
	global_load_dwordx2 v[4:5], v[4:5], off
	s_or_b64 exec, exec, s[4:5]
	s_and_saveexec_b64 s[4:5], s[24:25]
	s_cbranch_execnz .LBB233_18
	s_branch .LBB233_19
.LBB233_38:
                                        ; implicit-def: $vgpr16_vgpr17
                                        ; implicit-def: $vgpr12_vgpr13
                                        ; implicit-def: $vgpr24_vgpr25
	s_cbranch_execz .LBB233_53
; %bb.39:
	v_mov_b32_e32 v26, 0x7fff
	v_cmp_gt_i16_e32 vcc, 0, v22
	v_mov_b32_e32 v27, 0
	s_waitcnt lgkmcnt(1)
	v_cndmask_b32_e64 v10, v26, 0, vcc
	v_cmp_lt_i16_sdwa s[4:5], v22, v27 src0_sel:WORD_1 src1_sel:DWORD
	v_xor_b32_e32 v24, v10, v22
	v_cndmask_b32_e64 v10, v26, 0, s[4:5]
	v_cmp_gt_i16_e32 vcc, 0, v23
	v_cmp_lt_i16_sdwa s[4:5], v23, v27 src0_sel:WORD_1 src1_sel:DWORD
	v_xor_b32_sdwa v46, v10, v22 dst_sel:DWORD dst_unused:UNUSED_PAD src0_sel:DWORD src1_sel:WORD_1
	v_cndmask_b32_e64 v10, v26, 0, vcc
	v_cndmask_b32_e64 v11, v26, 0, s[4:5]
	s_mov_b32 s4, 0x5040100
	v_perm_b32 v10, v11, v10, s4
	s_mov_b32 s40, 0
	v_xor_b32_e32 v25, v10, v23
	v_and_b32_e32 v22, 14, v45
	s_movk_i32 s41, 0x8000
	s_movk_i32 s42, 0xe0
	s_branch .LBB233_41
.LBB233_40:                             ;   in Loop: Header=BB233_41 Depth=1
	v_lshlrev_b32_e32 v2, 1, v30
	s_waitcnt lgkmcnt(0)
	; wave barrier
	ds_write_b16 v2, v28
	v_lshlrev_b32_e32 v2, 1, v31
	ds_write_b16 v2, v23
	v_lshlrev_b32_e32 v2, 1, v32
	;; [unrolled: 2-line block ×4, first 2 shown]
	s_waitcnt lgkmcnt(0)
	; wave barrier
	s_waitcnt lgkmcnt(0)
	ds_read_b64 v[24:25], v42
	s_waitcnt lgkmcnt(0)
	; wave barrier
	s_waitcnt lgkmcnt(0)
	ds_write_b64 v2, v[16:17]
	v_lshlrev_b32_e32 v2, 3, v31
	ds_write_b64 v2, v[14:15]
	v_lshlrev_b32_e32 v2, 3, v32
	;; [unrolled: 2-line block ×3, first 2 shown]
	ds_write_b64 v2, v[10:11]
	s_waitcnt lgkmcnt(0)
	; wave barrier
	s_waitcnt lgkmcnt(0)
	ds_read2_b64 v[2:5], v41 offset1:1
	ds_read2_b64 v[6:9], v41 offset0:2 offset1:3
	s_add_i32 s40, s40, 4
	v_lshrrev_b32_e32 v46, 16, v24
	s_waitcnt lgkmcnt(0)
	; wave barrier
	s_waitcnt lgkmcnt(0)
	s_cbranch_execz .LBB233_52
.LBB233_41:                             ; =>This Loop Header: Depth=1
                                        ;     Child Loop BB233_44 Depth 2
	v_pk_mov_b32 v[10:11], v[8:9], v[8:9] op_sel:[0,1]
	v_pk_mov_b32 v[12:13], v[6:7], v[6:7] op_sel:[0,1]
	s_waitcnt lgkmcnt(0)
	v_pk_mov_b32 v[14:15], v[4:5], v[4:5] op_sel:[0,1]
	v_pk_mov_b32 v[16:17], v[2:3], v[2:3] op_sel:[0,1]
	v_mov_b32_e32 v28, v24
	v_mov_b32_e32 v23, v46
	s_and_saveexec_b64 s[4:5], s[8:9]
	s_cbranch_execz .LBB233_48
; %bb.42:                               ;   in Loop: Header=BB233_41 Depth=1
	s_mov_b32 s43, 0
	s_mov_b64 s[28:29], 0
	v_pk_mov_b32 v[2:3], v[0:1], v[0:1] op_sel:[0,1]
	s_branch .LBB233_44
.LBB233_43:                             ;   in Loop: Header=BB233_44 Depth=2
	s_or_b64 exec, exec, s[36:37]
	s_add_i32 s43, s43, 2
	v_cmp_eq_u32_e32 vcc, s43, v22
	v_add_u32_e32 v3, 64, v3
	s_or_b64 s[28:29], vcc, s[28:29]
	v_add_u32_e32 v2, 64, v2
	s_andn2_b64 exec, exec, s[28:29]
	s_cbranch_execz .LBB233_48
.LBB233_44:                             ;   Parent Loop BB233_41 Depth=1
                                        ; =>  This Inner Loop Header: Depth=2
	s_or_b32 s34, s43, 1
	v_cmp_le_u32_e64 s[34:35], s34, 7
	v_cmp_le_u32_e64 s[44:45], s43, 7
	s_and_saveexec_b64 s[36:37], s[44:45]
	s_cbranch_execz .LBB233_46
; %bb.45:                               ;   in Loop: Header=BB233_44 Depth=2
	v_lshlrev_b32_e32 v4, 2, v2
	ds_write_b32 v4, v27
.LBB233_46:                             ;   in Loop: Header=BB233_44 Depth=2
	s_or_b64 exec, exec, s[36:37]
	s_and_saveexec_b64 s[36:37], s[34:35]
	s_cbranch_execz .LBB233_43
; %bb.47:                               ;   in Loop: Header=BB233_44 Depth=2
	v_lshlrev_b32_e32 v4, 2, v3
	ds_write_b32 v4, v27
	s_branch .LBB233_43
.LBB233_48:                             ;   in Loop: Header=BB233_41 Depth=1
	s_or_b64 exec, exec, s[4:5]
	s_sub_i32 s4, 16, s40
	s_min_u32 s4, s39, s4
	v_cmp_ne_u16_e32 vcc, s41, v28
	s_lshl_b32 s4, -1, s4
	v_cndmask_b32_e32 v2, v26, v28, vcc
	s_not_b32 s4, s4
	v_lshrrev_b32_sdwa v2, s40, v2 dst_sel:DWORD dst_unused:UNUSED_PAD src0_sel:DWORD src1_sel:WORD_0
	v_and_b32_e32 v2, s4, v2
	v_lshrrev_b32_e32 v3, 3, v2
	v_lshlrev_b32_e32 v2, 5, v2
	v_and_or_b32 v2, v2, s42, v0
	v_lshlrev_b32_e32 v2, 1, v2
	v_add_lshl_u32 v30, v2, v3, 1
	ds_read_u16 v24, v30
	v_cmp_ne_u16_e32 vcc, s41, v23
	v_lshrrev_b32_e32 v29, 16, v25
	s_waitcnt lgkmcnt(0)
	v_add_u16_e32 v2, 1, v24
	ds_write_b16 v30, v2
	v_cndmask_b32_e32 v2, v26, v23, vcc
	v_lshrrev_b32_sdwa v2, s40, v2 dst_sel:DWORD dst_unused:UNUSED_PAD src0_sel:DWORD src1_sel:WORD_0
	v_and_b32_e32 v2, s4, v2
	v_lshrrev_b32_e32 v3, 3, v2
	v_lshlrev_b32_e32 v2, 5, v2
	v_and_or_b32 v2, v2, s42, v0
	v_lshlrev_b32_e32 v2, 1, v2
	v_add_lshl_u32 v32, v2, v3, 1
	ds_read_u16 v31, v32
	v_cmp_ne_u16_e32 vcc, s41, v25
	s_waitcnt lgkmcnt(0)
	v_add_u16_e32 v2, 1, v31
	ds_write_b16 v32, v2
	v_cndmask_b32_e32 v2, v26, v25, vcc
	v_lshrrev_b32_sdwa v2, s40, v2 dst_sel:DWORD dst_unused:UNUSED_PAD src0_sel:DWORD src1_sel:WORD_0
	v_and_b32_e32 v2, s4, v2
	v_lshrrev_b32_e32 v3, 3, v2
	v_lshlrev_b32_e32 v2, 5, v2
	v_and_or_b32 v2, v2, s42, v0
	v_lshlrev_b32_e32 v2, 1, v2
	v_add_lshl_u32 v45, v2, v3, 1
	ds_read_u16 v33, v45
	v_cmp_ne_u16_e32 vcc, s41, v29
	s_waitcnt lgkmcnt(0)
	v_add_u16_e32 v2, 1, v33
	ds_write_b16 v45, v2
	v_cndmask_b32_e32 v2, v26, v29, vcc
	v_lshrrev_b32_sdwa v2, s40, v2 dst_sel:DWORD dst_unused:UNUSED_PAD src0_sel:DWORD src1_sel:WORD_0
	v_and_b32_e32 v2, s4, v2
	v_lshrrev_b32_e32 v3, 3, v2
	v_lshlrev_b32_e32 v2, 5, v2
	v_and_or_b32 v2, v2, s42, v0
	v_lshlrev_b32_e32 v2, 1, v2
	v_add_lshl_u32 v47, v2, v3, 1
	ds_read_u16 v46, v47
	s_waitcnt lgkmcnt(0)
	v_add_u16_e32 v2, 1, v46
	ds_write_b16 v47, v2
	s_waitcnt lgkmcnt(0)
	; wave barrier
	s_waitcnt lgkmcnt(0)
	ds_read2_b32 v[8:9], v43 offset1:1
	ds_read2_b32 v[6:7], v43 offset0:2 offset1:3
	ds_read2_b32 v[2:3], v43 offset0:4 offset1:5
	;; [unrolled: 1-line block ×3, first 2 shown]
	s_waitcnt lgkmcnt(3)
	v_add_u32_e32 v48, v9, v8
	s_waitcnt lgkmcnt(2)
	v_add3_u32 v48, v48, v6, v7
	s_waitcnt lgkmcnt(1)
	v_add3_u32 v48, v48, v2, v3
	;; [unrolled: 2-line block ×3, first 2 shown]
	s_nop 1
	v_mov_b32_dpp v48, v5 row_shr:1 row_mask:0xf bank_mask:0xf
	v_cndmask_b32_e64 v48, v48, 0, s[10:11]
	v_add_u32_e32 v5, v48, v5
	s_nop 1
	v_mov_b32_dpp v48, v5 row_shr:2 row_mask:0xf bank_mask:0xf
	v_cndmask_b32_e64 v48, 0, v48, s[12:13]
	v_add_u32_e32 v5, v5, v48
	;; [unrolled: 4-line block ×4, first 2 shown]
	s_nop 1
	v_mov_b32_dpp v48, v5 row_bcast:15 row_mask:0xf bank_mask:0xf
	v_cndmask_b32_e64 v48, v48, 0, s[18:19]
	v_add_u32_e32 v5, v5, v48
	s_and_saveexec_b64 s[4:5], s[20:21]
	s_cbranch_execz .LBB233_50
; %bb.49:                               ;   in Loop: Header=BB233_41 Depth=1
	ds_write_b32 v27, v5 offset:1024
.LBB233_50:                             ;   in Loop: Header=BB233_41 Depth=1
	s_or_b64 exec, exec, s[4:5]
	ds_bpermute_b32 v5, v44, v5
	s_waitcnt lgkmcnt(0)
	; wave barrier
	s_waitcnt lgkmcnt(0)
	ds_read_b32 v48, v27 offset:1024
	s_cmp_gt_u32 s40, 11
	v_cndmask_b32_e64 v5, v5, 0, s[22:23]
	s_waitcnt lgkmcnt(0)
	v_lshl_add_u32 v5, v48, 16, v5
	v_add_u32_e32 v8, v5, v8
	v_add_u32_e32 v9, v8, v9
	ds_write2_b32 v43, v5, v8 offset1:1
	v_add_u32_e32 v5, v9, v6
	v_add_u32_e32 v6, v5, v7
	;; [unrolled: 1-line block ×5, first 2 shown]
	ds_write2_b32 v43, v9, v5 offset0:2 offset1:3
	ds_write2_b32 v43, v6, v2 offset0:4 offset1:5
	;; [unrolled: 1-line block ×3, first 2 shown]
	s_waitcnt lgkmcnt(0)
	; wave barrier
	s_waitcnt lgkmcnt(0)
	ds_read_u16 v2, v30
	ds_read_u16 v3, v32
	;; [unrolled: 1-line block ×4, first 2 shown]
	v_mov_b32_e32 v45, v25
	s_waitcnt lgkmcnt(3)
	v_add_u32_sdwa v30, v2, v24 dst_sel:DWORD dst_unused:UNUSED_PAD src0_sel:DWORD src1_sel:WORD_0
	s_waitcnt lgkmcnt(2)
	v_add_u32_sdwa v31, v3, v31 dst_sel:DWORD dst_unused:UNUSED_PAD src0_sel:DWORD src1_sel:WORD_0
	;; [unrolled: 2-line block ×4, first 2 shown]
	s_cbranch_scc0 .LBB233_40
; %bb.51:
                                        ; implicit-def: $vgpr8_vgpr9
                                        ; implicit-def: $vgpr4_vgpr5
                                        ; implicit-def: $vgpr25
                                        ; implicit-def: $sgpr40
                                        ; implicit-def: $vgpr46
.LBB233_52:
	v_lshlrev_b32_e32 v0, 1, v30
	s_waitcnt lgkmcnt(0)
	; wave barrier
	ds_write_b16 v0, v28
	v_lshlrev_b32_e32 v0, 1, v31
	ds_write_b16 v0, v23
	v_lshlrev_b32_e32 v0, 1, v32
	;; [unrolled: 2-line block ×3, first 2 shown]
	ds_write_b16 v0, v29
	s_waitcnt lgkmcnt(0)
	; wave barrier
	s_waitcnt lgkmcnt(0)
	ds_read_b64 v[0:1], v42
	v_lshlrev_b32_e32 v2, 3, v30
	v_lshlrev_b32_e32 v3, 3, v31
	v_lshlrev_b32_e32 v5, 3, v33
	v_lshlrev_b32_e32 v4, 3, v32
	s_waitcnt lgkmcnt(0)
	; wave barrier
	s_waitcnt lgkmcnt(0)
	ds_write_b64 v2, v[16:17]
	ds_write_b64 v3, v[14:15]
	;; [unrolled: 1-line block ×4, first 2 shown]
	v_mov_b32_e32 v3, 0x7fff
	v_cmp_lt_i16_e32 vcc, -1, v0
	v_mov_b32_e32 v5, -1
	s_waitcnt lgkmcnt(0)
	; wave barrier
	s_waitcnt lgkmcnt(0)
	ds_read2_b64 v[10:13], v41 offset1:1
	ds_read2_b64 v[14:17], v41 offset0:2 offset1:3
	v_mov_b32_e32 v2, 0
	v_cndmask_b32_e32 v4, 0, v3, vcc
	v_cmp_gt_i16_sdwa vcc, v0, v5 src0_sel:WORD_1 src1_sel:DWORD
	v_cndmask_b32_e32 v5, 0, v3, vcc
	v_cmp_gt_i16_e32 vcc, 0, v1
	v_cmp_lt_i16_sdwa s[4:5], v1, v2 src0_sel:WORD_1 src1_sel:DWORD
	v_cndmask_b32_e64 v6, v3, 0, vcc
	v_cndmask_b32_e64 v2, v3, 0, s[4:5]
	v_xor_b32_sdwa v2, v2, v1 dst_sel:DWORD dst_unused:UNUSED_PAD src0_sel:DWORD src1_sel:WORD_1
	v_xor_b32_e32 v1, v6, v1
	s_mov_b32 s4, 0x5040100
	v_perm_b32 v25, v2, v1, s4
	v_xor_b32_sdwa v1, v5, v0 dst_sel:DWORD dst_unused:UNUSED_PAD src0_sel:DWORD src1_sel:WORD_1
	v_xor_b32_e32 v0, v4, v0
	v_perm_b32 v24, v1, v0, s4
.LBB233_53:
	s_waitcnt lgkmcnt(0)
	; wave barrier
	s_waitcnt lgkmcnt(0)
	ds_write_b64 v36, v[24:25]
	s_waitcnt lgkmcnt(0)
	; wave barrier
	s_waitcnt lgkmcnt(0)
	ds_read_u16 v4, v34 offset:64
	ds_read_u16 v3, v19 offset:128
	;; [unrolled: 1-line block ×3, first 2 shown]
	v_mov_b32_e32 v19, 0
	v_lshlrev_b64 v[0:1], 1, v[18:19]
	v_mov_b32_e32 v5, s31
	v_add_co_u32_e32 v0, vcc, s27, v0
	v_addc_co_u32_e32 v1, vcc, v5, v1, vcc
	s_and_saveexec_b64 s[4:5], s[0:1]
	s_cbranch_execnz .LBB233_64
; %bb.54:
	s_or_b64 exec, exec, s[4:5]
	s_and_saveexec_b64 s[4:5], s[2:3]
	s_cbranch_execnz .LBB233_65
.LBB233_55:
	s_or_b64 exec, exec, s[4:5]
	s_and_saveexec_b64 s[4:5], s[24:25]
	s_cbranch_execnz .LBB233_66
.LBB233_56:
	s_or_b64 exec, exec, s[4:5]
	s_and_saveexec_b64 s[4:5], s[6:7]
	s_cbranch_execz .LBB233_58
.LBB233_57:
	s_mul_i32 s8, s30, 0x60
	s_mov_b32 s9, 0
	s_lshl_b64 s[8:9], s[8:9], 1
	s_waitcnt lgkmcnt(1)
	v_mov_b32_e32 v3, s9
	v_add_co_u32_e32 v0, vcc, s8, v0
	v_addc_co_u32_e32 v1, vcc, v1, v3, vcc
	s_waitcnt lgkmcnt(0)
	global_store_short v[0:1], v2, off
.LBB233_58:
	s_or_b64 exec, exec, s[4:5]
	s_waitcnt lgkmcnt(0)
	; wave barrier
	s_waitcnt lgkmcnt(0)
	ds_write2_b64 v40, v[10:11], v[12:13] offset1:1
	ds_write2_b64 v40, v[14:15], v[16:17] offset0:2 offset1:3
	s_waitcnt lgkmcnt(0)
	; wave barrier
	s_waitcnt lgkmcnt(0)
	ds_read_b64 v[6:7], v21 offset:256
	ds_read_b64 v[4:5], v38 offset:512
	;; [unrolled: 1-line block ×3, first 2 shown]
	v_mov_b32_e32 v21, 0
	v_lshlrev_b64 v[2:3], 3, v[20:21]
	v_mov_b32_e32 v8, s38
	v_add_co_u32_e32 v2, vcc, s33, v2
	v_addc_co_u32_e32 v3, vcc, v8, v3, vcc
	s_and_saveexec_b64 s[4:5], s[0:1]
	s_cbranch_execnz .LBB233_67
; %bb.59:
	s_or_b64 exec, exec, s[4:5]
	s_and_saveexec_b64 s[0:1], s[2:3]
	s_cbranch_execnz .LBB233_68
.LBB233_60:
	s_or_b64 exec, exec, s[0:1]
	s_and_saveexec_b64 s[0:1], s[24:25]
	s_cbranch_execnz .LBB233_69
.LBB233_61:
	s_or_b64 exec, exec, s[0:1]
	s_and_saveexec_b64 s[0:1], s[6:7]
	s_cbranch_execz .LBB233_63
.LBB233_62:
	s_mul_i32 s0, s26, 0x60
	s_mov_b32 s1, 0
	s_lshl_b64 s[0:1], s[0:1], 3
	s_waitcnt lgkmcnt(1)
	v_mov_b32_e32 v4, s1
	v_add_co_u32_e32 v2, vcc, s0, v2
	v_addc_co_u32_e32 v3, vcc, v3, v4, vcc
	s_waitcnt lgkmcnt(0)
	global_store_dwordx2 v[2:3], v[0:1], off
.LBB233_63:
	s_endpgm
.LBB233_64:
	ds_read_u16 v5, v34
	s_waitcnt lgkmcnt(0)
	global_store_short v[0:1], v5, off
	s_or_b64 exec, exec, s[4:5]
	s_and_saveexec_b64 s[4:5], s[2:3]
	s_cbranch_execz .LBB233_55
.LBB233_65:
	s_lshl_b32 s8, s30, 5
	s_mov_b32 s9, 0
	s_lshl_b64 s[8:9], s[8:9], 1
	v_mov_b32_e32 v5, s9
	v_add_co_u32_e32 v6, vcc, s8, v0
	v_addc_co_u32_e32 v7, vcc, v1, v5, vcc
	s_waitcnt lgkmcnt(2)
	global_store_short v[6:7], v4, off
	s_or_b64 exec, exec, s[4:5]
	s_and_saveexec_b64 s[4:5], s[24:25]
	s_cbranch_execz .LBB233_56
.LBB233_66:
	s_lshl_b32 s8, s30, 6
	s_mov_b32 s9, 0
	s_lshl_b64 s[8:9], s[8:9], 1
	v_mov_b32_e32 v5, s9
	s_waitcnt lgkmcnt(2)
	v_add_co_u32_e32 v4, vcc, s8, v0
	v_addc_co_u32_e32 v5, vcc, v1, v5, vcc
	s_waitcnt lgkmcnt(1)
	global_store_short v[4:5], v3, off
	s_or_b64 exec, exec, s[4:5]
	s_and_saveexec_b64 s[4:5], s[6:7]
	s_cbranch_execnz .LBB233_57
	s_branch .LBB233_58
.LBB233_67:
	ds_read_b64 v[8:9], v37
	s_waitcnt lgkmcnt(0)
	global_store_dwordx2 v[2:3], v[8:9], off
	s_or_b64 exec, exec, s[4:5]
	s_and_saveexec_b64 s[0:1], s[2:3]
	s_cbranch_execz .LBB233_60
.LBB233_68:
	s_lshl_b32 s2, s26, 5
	s_mov_b32 s3, 0
	s_lshl_b64 s[2:3], s[2:3], 3
	v_mov_b32_e32 v9, s3
	v_add_co_u32_e32 v8, vcc, s2, v2
	v_addc_co_u32_e32 v9, vcc, v3, v9, vcc
	s_waitcnt lgkmcnt(2)
	global_store_dwordx2 v[8:9], v[6:7], off
	s_or_b64 exec, exec, s[0:1]
	s_and_saveexec_b64 s[0:1], s[24:25]
	s_cbranch_execz .LBB233_61
.LBB233_69:
	s_lshl_b32 s2, s26, 6
	s_mov_b32 s3, 0
	s_lshl_b64 s[2:3], s[2:3], 3
	s_waitcnt lgkmcnt(2)
	v_mov_b32_e32 v7, s3
	v_add_co_u32_e32 v6, vcc, s2, v2
	v_addc_co_u32_e32 v7, vcc, v3, v7, vcc
	s_waitcnt lgkmcnt(1)
	global_store_dwordx2 v[6:7], v[4:5], off
	s_or_b64 exec, exec, s[0:1]
	s_and_saveexec_b64 s[0:1], s[6:7]
	s_cbranch_execnz .LBB233_62
	s_branch .LBB233_63
	.section	.rodata,"a",@progbits
	.p2align	6, 0x0
	.amdhsa_kernel _ZN2at6native18radixSortKVInPlaceILin1ELin1ELi32ELi4EN3c104HalfEljEEvNS_4cuda6detail10TensorInfoIT3_T5_EES8_S8_S8_NS6_IT4_S8_EES8_b
		.amdhsa_group_segment_fixed_size 1056
		.amdhsa_private_segment_fixed_size 0
		.amdhsa_kernarg_size 712
		.amdhsa_user_sgpr_count 6
		.amdhsa_user_sgpr_private_segment_buffer 1
		.amdhsa_user_sgpr_dispatch_ptr 0
		.amdhsa_user_sgpr_queue_ptr 0
		.amdhsa_user_sgpr_kernarg_segment_ptr 1
		.amdhsa_user_sgpr_dispatch_id 0
		.amdhsa_user_sgpr_flat_scratch_init 0
		.amdhsa_user_sgpr_kernarg_preload_length 0
		.amdhsa_user_sgpr_kernarg_preload_offset 0
		.amdhsa_user_sgpr_private_segment_size 0
		.amdhsa_uses_dynamic_stack 0
		.amdhsa_system_sgpr_private_segment_wavefront_offset 0
		.amdhsa_system_sgpr_workgroup_id_x 1
		.amdhsa_system_sgpr_workgroup_id_y 1
		.amdhsa_system_sgpr_workgroup_id_z 1
		.amdhsa_system_sgpr_workgroup_info 0
		.amdhsa_system_vgpr_workitem_id 0
		.amdhsa_next_free_vgpr 60
		.amdhsa_next_free_sgpr 46
		.amdhsa_accum_offset 60
		.amdhsa_reserve_vcc 1
		.amdhsa_reserve_flat_scratch 0
		.amdhsa_float_round_mode_32 0
		.amdhsa_float_round_mode_16_64 0
		.amdhsa_float_denorm_mode_32 3
		.amdhsa_float_denorm_mode_16_64 3
		.amdhsa_dx10_clamp 1
		.amdhsa_ieee_mode 1
		.amdhsa_fp16_overflow 0
		.amdhsa_tg_split 0
		.amdhsa_exception_fp_ieee_invalid_op 0
		.amdhsa_exception_fp_denorm_src 0
		.amdhsa_exception_fp_ieee_div_zero 0
		.amdhsa_exception_fp_ieee_overflow 0
		.amdhsa_exception_fp_ieee_underflow 0
		.amdhsa_exception_fp_ieee_inexact 0
		.amdhsa_exception_int_div_zero 0
	.end_amdhsa_kernel
	.section	.text._ZN2at6native18radixSortKVInPlaceILin1ELin1ELi32ELi4EN3c104HalfEljEEvNS_4cuda6detail10TensorInfoIT3_T5_EES8_S8_S8_NS6_IT4_S8_EES8_b,"axG",@progbits,_ZN2at6native18radixSortKVInPlaceILin1ELin1ELi32ELi4EN3c104HalfEljEEvNS_4cuda6detail10TensorInfoIT3_T5_EES8_S8_S8_NS6_IT4_S8_EES8_b,comdat
.Lfunc_end233:
	.size	_ZN2at6native18radixSortKVInPlaceILin1ELin1ELi32ELi4EN3c104HalfEljEEvNS_4cuda6detail10TensorInfoIT3_T5_EES8_S8_S8_NS6_IT4_S8_EES8_b, .Lfunc_end233-_ZN2at6native18radixSortKVInPlaceILin1ELin1ELi32ELi4EN3c104HalfEljEEvNS_4cuda6detail10TensorInfoIT3_T5_EES8_S8_S8_NS6_IT4_S8_EES8_b
                                        ; -- End function
	.section	.AMDGPU.csdata,"",@progbits
; Kernel info:
; codeLenInByte = 5128
; NumSgprs: 50
; NumVgprs: 60
; NumAgprs: 0
; TotalNumVgprs: 60
; ScratchSize: 0
; MemoryBound: 0
; FloatMode: 240
; IeeeMode: 1
; LDSByteSize: 1056 bytes/workgroup (compile time only)
; SGPRBlocks: 6
; VGPRBlocks: 7
; NumSGPRsForWavesPerEU: 50
; NumVGPRsForWavesPerEU: 60
; AccumOffset: 60
; Occupancy: 8
; WaveLimiterHint : 1
; COMPUTE_PGM_RSRC2:SCRATCH_EN: 0
; COMPUTE_PGM_RSRC2:USER_SGPR: 6
; COMPUTE_PGM_RSRC2:TRAP_HANDLER: 0
; COMPUTE_PGM_RSRC2:TGID_X_EN: 1
; COMPUTE_PGM_RSRC2:TGID_Y_EN: 1
; COMPUTE_PGM_RSRC2:TGID_Z_EN: 1
; COMPUTE_PGM_RSRC2:TIDIG_COMP_CNT: 0
; COMPUTE_PGM_RSRC3_GFX90A:ACCUM_OFFSET: 14
; COMPUTE_PGM_RSRC3_GFX90A:TG_SPLIT: 0
	.section	.text._ZN2at6native18radixSortKVInPlaceILin1ELin1ELi16ELi2EN3c104HalfEljEEvNS_4cuda6detail10TensorInfoIT3_T5_EES8_S8_S8_NS6_IT4_S8_EES8_b,"axG",@progbits,_ZN2at6native18radixSortKVInPlaceILin1ELin1ELi16ELi2EN3c104HalfEljEEvNS_4cuda6detail10TensorInfoIT3_T5_EES8_S8_S8_NS6_IT4_S8_EES8_b,comdat
	.protected	_ZN2at6native18radixSortKVInPlaceILin1ELin1ELi16ELi2EN3c104HalfEljEEvNS_4cuda6detail10TensorInfoIT3_T5_EES8_S8_S8_NS6_IT4_S8_EES8_b ; -- Begin function _ZN2at6native18radixSortKVInPlaceILin1ELin1ELi16ELi2EN3c104HalfEljEEvNS_4cuda6detail10TensorInfoIT3_T5_EES8_S8_S8_NS6_IT4_S8_EES8_b
	.globl	_ZN2at6native18radixSortKVInPlaceILin1ELin1ELi16ELi2EN3c104HalfEljEEvNS_4cuda6detail10TensorInfoIT3_T5_EES8_S8_S8_NS6_IT4_S8_EES8_b
	.p2align	8
	.type	_ZN2at6native18radixSortKVInPlaceILin1ELin1ELi16ELi2EN3c104HalfEljEEvNS_4cuda6detail10TensorInfoIT3_T5_EES8_S8_S8_NS6_IT4_S8_EES8_b,@function
_ZN2at6native18radixSortKVInPlaceILin1ELin1ELi16ELi2EN3c104HalfEljEEvNS_4cuda6detail10TensorInfoIT3_T5_EES8_S8_S8_NS6_IT4_S8_EES8_b: ; @_ZN2at6native18radixSortKVInPlaceILin1ELin1ELi16ELi2EN3c104HalfEljEEvNS_4cuda6detail10TensorInfoIT3_T5_EES8_S8_S8_NS6_IT4_S8_EES8_b
; %bb.0:
	s_load_dwordx2 s[0:1], s[4:5], 0x1c8
	s_load_dwordx4 s[16:19], s[4:5], 0xd8
	s_waitcnt lgkmcnt(0)
	s_mul_i32 s1, s1, s8
	s_add_i32 s1, s1, s7
	s_mul_i32 s0, s1, s0
	s_add_i32 s12, s0, s6
	s_cmp_ge_u32 s12, s16
	s_cbranch_scc1 .LBB234_53
; %bb.1:
	s_load_dword s2, s[4:5], 0xd0
	s_mov_b32 s1, 0
	s_mov_b32 s0, s12
	s_waitcnt lgkmcnt(0)
	s_cmp_lt_i32 s2, 2
	s_cbranch_scc1 .LBB234_4
; %bb.2:
	s_add_i32 s0, s2, -1
	s_add_i32 s6, s2, 1
	s_lshl_b64 s[2:3], s[0:1], 2
	s_add_u32 s0, s2, s4
	s_addc_u32 s3, s3, s5
	s_add_u32 s2, s0, 8
	s_addc_u32 s3, s3, 0
	s_mov_b32 s0, s12
.LBB234_3:                              ; =>This Inner Loop Header: Depth=1
	s_load_dword s7, s[2:3], 0x0
	s_load_dword s9, s[2:3], 0x64
	s_mov_b32 s8, s0
	s_waitcnt lgkmcnt(0)
	v_cvt_f32_u32_e32 v1, s7
	s_sub_i32 s0, 0, s7
	v_rcp_iflag_f32_e32 v1, v1
	v_mul_f32_e32 v1, 0x4f7ffffe, v1
	v_cvt_u32_f32_e32 v1, v1
	v_readfirstlane_b32 s10, v1
	s_mul_i32 s0, s0, s10
	s_mul_hi_u32 s0, s10, s0
	s_add_i32 s10, s10, s0
	s_mul_hi_u32 s0, s8, s10
	s_mul_i32 s10, s0, s7
	s_sub_i32 s10, s8, s10
	s_add_i32 s11, s0, 1
	s_sub_i32 s13, s10, s7
	s_cmp_ge_u32 s10, s7
	s_cselect_b32 s0, s11, s0
	s_cselect_b32 s10, s13, s10
	s_add_i32 s11, s0, 1
	s_cmp_ge_u32 s10, s7
	s_cselect_b32 s0, s11, s0
	s_mul_i32 s7, s0, s7
	s_sub_i32 s7, s8, s7
	s_mul_i32 s7, s9, s7
	s_add_i32 s6, s6, -1
	s_add_i32 s1, s7, s1
	s_add_u32 s2, s2, -4
	s_addc_u32 s3, s3, -1
	s_cmp_gt_u32 s6, 2
	s_cbranch_scc1 .LBB234_3
.LBB234_4:
	s_load_dword s2, s[4:5], 0x1b8
	s_mov_b32 s7, 0
	s_waitcnt lgkmcnt(0)
	s_cmp_lt_i32 s2, 2
	s_cbranch_scc1 .LBB234_7
; %bb.5:
	s_add_i32 s6, s2, -1
	s_add_i32 s8, s2, 1
	s_lshl_b64 s[2:3], s[6:7], 2
	s_add_u32 s2, s2, s4
	s_addc_u32 s3, s3, s5
	s_add_u32 s2, s2, 0xf0
	s_addc_u32 s3, s3, 0
.LBB234_6:                              ; =>This Inner Loop Header: Depth=1
	s_load_dword s6, s[2:3], 0x0
	s_load_dword s10, s[2:3], 0x64
	s_mov_b32 s9, s12
	s_waitcnt lgkmcnt(0)
	v_cvt_f32_u32_e32 v1, s6
	s_sub_i32 s11, 0, s6
	v_rcp_iflag_f32_e32 v1, v1
	v_mul_f32_e32 v1, 0x4f7ffffe, v1
	v_cvt_u32_f32_e32 v1, v1
	v_readfirstlane_b32 s12, v1
	s_mul_i32 s11, s11, s12
	s_mul_hi_u32 s11, s12, s11
	s_add_i32 s12, s12, s11
	s_mul_hi_u32 s11, s9, s12
	s_mul_i32 s12, s11, s6
	s_sub_i32 s12, s9, s12
	s_add_i32 s13, s11, 1
	s_sub_i32 s14, s12, s6
	s_cmp_ge_u32 s12, s6
	s_cselect_b32 s11, s13, s11
	s_cselect_b32 s12, s14, s12
	s_add_i32 s13, s11, 1
	s_cmp_ge_u32 s12, s6
	s_cselect_b32 s12, s13, s11
	s_mul_i32 s6, s12, s6
	s_sub_i32 s6, s9, s6
	s_mul_i32 s6, s10, s6
	s_add_i32 s8, s8, -1
	s_add_i32 s7, s6, s7
	s_add_u32 s2, s2, -4
	s_addc_u32 s3, s3, -1
	s_cmp_gt_u32 s8, 2
	s_cbranch_scc1 .LBB234_6
.LBB234_7:
	s_load_dword s2, s[4:5], 0x6c
	s_load_dwordx2 s[20:21], s[4:5], 0x1c0
	v_mul_lo_u32 v10, v0, s18
	s_waitcnt lgkmcnt(0)
	s_mul_i32 s0, s2, s0
	s_add_i32 s0, s0, s1
	s_bitcmp1_b32 s21, 0
	s_load_dwordx2 s[2:3], s[4:5], 0x0
	s_load_dwordx2 s[10:11], s[4:5], 0xe8
	s_cselect_b64 s[8:9], -1, 0
	s_mov_b32 s1, 0xffff
	s_and_b64 s[14:15], s[8:9], exec
	s_cselect_b32 s6, s1, 0x7fff
	s_mov_b32 s1, 0
	s_lshl_b64 s[0:1], s[0:1], 1
	s_waitcnt lgkmcnt(0)
	s_add_u32 s19, s2, s0
	s_addc_u32 s21, s3, s1
	v_cmp_gt_u32_e64 s[0:1], s17, v0
	v_mov_b32_e32 v2, s6
	s_and_saveexec_b64 s[2:3], s[0:1]
	s_cbranch_execz .LBB234_9
; %bb.8:
	v_mov_b32_e32 v11, 0
	v_lshlrev_b64 v[2:3], 1, v[10:11]
	v_mov_b32_e32 v1, s21
	v_add_co_u32_e32 v2, vcc, s19, v2
	v_addc_co_u32_e32 v3, vcc, v1, v3, vcc
	global_load_ushort v2, v[2:3], off
.LBB234_9:
	s_or_b64 exec, exec, s[2:3]
	s_load_dword s13, s[4:5], 0x154
	v_or_b32_e32 v1, 16, v0
	v_cmp_gt_u32_e64 s[2:3], s17, v1
	v_mov_b32_e32 v3, s6
	s_and_saveexec_b64 s[4:5], s[2:3]
	s_cbranch_execz .LBB234_11
; %bb.10:
	v_mul_lo_u32 v4, v1, s18
	v_mov_b32_e32 v5, 0
	v_lshlrev_b64 v[4:5], 1, v[4:5]
	v_mov_b32_e32 v3, s21
	v_add_co_u32_e32 v4, vcc, s19, v4
	v_addc_co_u32_e32 v5, vcc, v3, v5, vcc
	global_load_ushort v3, v[4:5], off
.LBB234_11:
	s_or_b64 exec, exec, s[4:5]
	s_waitcnt lgkmcnt(0)
	s_mul_i32 s4, s13, s12
	v_lshlrev_b32_e32 v22, 1, v0
	v_lshlrev_b32_e32 v11, 2, v0
	s_add_i32 s4, s4, s7
	s_mov_b32 s5, 0
	s_waitcnt vmcnt(0)
	ds_write_b16 v22, v2
	ds_write_b16 v22, v3 offset:32
	s_waitcnt lgkmcnt(0)
	; wave barrier
	s_waitcnt lgkmcnt(0)
	ds_read_u16 v28, v11
	ds_read_u16 v27, v11 offset:2
	s_lshl_b64 s[6:7], s[4:5], 3
	s_add_u32 s30, s10, s6
	s_mov_b32 s4, s5
	s_addc_u32 s31, s11, s7
	s_mov_b32 s6, s5
	s_mov_b32 s7, s5
	v_pk_mov_b32 v[2:3], s[4:5], s[4:5] op_sel:[0,1]
	v_pk_mov_b32 v[4:5], s[6:7], s[6:7] op_sel:[0,1]
	v_pk_mov_b32 v[2:3], 0, 0
	v_mul_lo_u32 v12, v0, s20
	s_waitcnt lgkmcnt(0)
	; wave barrier
	s_waitcnt lgkmcnt(0)
	s_and_saveexec_b64 s[4:5], s[0:1]
	s_cbranch_execz .LBB234_13
; %bb.12:
	v_mov_b32_e32 v13, 0
	v_lshlrev_b64 v[2:3], 3, v[12:13]
	v_mov_b32_e32 v4, s31
	v_add_co_u32_e32 v2, vcc, s30, v2
	v_addc_co_u32_e32 v3, vcc, v4, v3, vcc
	global_load_dwordx2 v[2:3], v[2:3], off
	v_mov_b32_e32 v4, v13
	v_mov_b32_e32 v5, v13
.LBB234_13:
	s_or_b64 exec, exec, s[4:5]
	s_xor_b64 s[22:23], s[8:9], -1
	s_and_saveexec_b64 s[4:5], s[2:3]
	s_cbranch_execz .LBB234_15
; %bb.14:
	v_mul_lo_u32 v4, v1, s20
	v_mov_b32_e32 v5, 0
	v_lshlrev_b64 v[4:5], 3, v[4:5]
	v_mov_b32_e32 v6, s31
	v_add_co_u32_e32 v4, vcc, s30, v4
	v_addc_co_u32_e32 v5, vcc, v6, v5, vcc
	global_load_dwordx2 v[4:5], v[4:5], off
.LBB234_15:
	s_or_b64 exec, exec, s[4:5]
	v_mbcnt_lo_u32_b32 v6, -1, 0
	v_lshlrev_b32_e32 v23, 3, v0
	v_lshlrev_b32_e32 v13, 3, v22
	s_getpc_b64 s[4:5]
	s_add_u32 s4, s4, _ZN7rocprim17ROCPRIM_400000_NS16block_radix_sortI6__halfLj16ELj2ElLj1ELj1ELj0ELNS0_26block_radix_rank_algorithmE1ELNS0_18block_padding_hintE2ELNS0_4arch9wavefront6targetE1EE19radix_bits_per_passE@rel32@lo+4
	s_addc_u32 s5, s5, _ZN7rocprim17ROCPRIM_400000_NS16block_radix_sortI6__halfLj16ELj2ElLj1ELj1ELj0ELNS0_26block_radix_rank_algorithmE1ELNS0_18block_padding_hintE2ELNS0_4arch9wavefront6targetE1EE19radix_bits_per_passE@rel32@hi+12
	v_mbcnt_hi_u32_b32 v6, -1, v6
	s_waitcnt vmcnt(0)
	ds_write2_b64 v23, v[2:3], v[4:5] offset1:16
	s_waitcnt lgkmcnt(0)
	; wave barrier
	s_waitcnt lgkmcnt(0)
	ds_read2_b64 v[2:5], v13 offset1:1
	s_load_dword s33, s[4:5], 0x0
	v_and_b32_e32 v7, 15, v6
	v_cmp_eq_u32_e64 s[6:7], 0, v7
	v_cmp_lt_u32_e64 s[8:9], 1, v7
	v_cmp_lt_u32_e64 s[10:11], 3, v7
	;; [unrolled: 1-line block ×3, first 2 shown]
	v_add_u32_e32 v7, -1, v6
	v_and_b32_e32 v8, 0x70, v6
	v_cmp_lt_i32_e32 vcc, v7, v8
	s_movk_i32 s4, 0x80
	v_cndmask_b32_e32 v7, v7, v6, vcc
	v_cmp_gt_u32_e64 s[4:5], s4, v0
	v_lshlrev_b32_e32 v24, 5, v0
	s_mov_b32 s34, 0
	v_cmp_eq_u32_e64 s[14:15], 15, v0
	s_movk_i32 s35, 0x70
	v_lshlrev_b32_e32 v26, 2, v7
	v_cmp_eq_u32_e64 s[16:17], 0, v6
	v_lshlrev_b32_e32 v25, 1, v22
	s_and_b64 vcc, exec, s[22:23]
	v_add_u32_e64 v29, 7, 2
	s_waitcnt lgkmcnt(0)
	; wave barrier
	s_waitcnt lgkmcnt(0)
	s_cbranch_vccz .LBB234_30
; %bb.16:
	v_mov_b32_e32 v30, 0xffff8000
	v_cmp_lt_i16_e32 vcc, -1, v28
	v_cndmask_b32_e32 v6, -1, v30, vcc
	v_cmp_lt_i16_e32 vcc, -1, v27
	v_xor_b32_e32 v20, v6, v28
	v_cndmask_b32_e32 v6, -1, v30, vcc
	v_xor_b32_e32 v21, v6, v27
	v_and_b32_e32 v31, 14, v29
	v_mov_b32_e32 v32, 0
	s_movk_i32 s36, 0x7fff
	v_pk_mov_b32 v[6:7], v[2:3], v[2:3] op_sel:[0,1]
	v_pk_mov_b32 v[8:9], v[4:5], v[4:5] op_sel:[0,1]
	s_branch .LBB234_18
.LBB234_17:                             ;   in Loop: Header=BB234_18 Depth=1
	v_lshlrev_b32_e32 v6, 1, v18
	s_waitcnt lgkmcnt(0)
	; wave barrier
	ds_write_b16 v6, v34
	v_lshlrev_b32_e32 v6, 1, v19
	ds_write_b16 v6, v33
	v_lshlrev_b32_e32 v6, 3, v18
	s_waitcnt lgkmcnt(0)
	; wave barrier
	s_waitcnt lgkmcnt(0)
	ds_read_u16 v20, v25
	ds_read_u16 v21, v25 offset:2
	s_waitcnt lgkmcnt(0)
	; wave barrier
	s_waitcnt lgkmcnt(0)
	ds_write_b64 v6, v[16:17]
	v_lshlrev_b32_e32 v6, 3, v19
	ds_write_b64 v6, v[14:15]
	s_waitcnt lgkmcnt(0)
	; wave barrier
	s_waitcnt lgkmcnt(0)
	ds_read2_b64 v[6:9], v13 offset1:1
	s_add_i32 s34, s34, 4
	s_waitcnt lgkmcnt(0)
	; wave barrier
	s_waitcnt lgkmcnt(0)
	s_cbranch_execz .LBB234_29
.LBB234_18:                             ; =>This Loop Header: Depth=1
                                        ;     Child Loop BB234_21 Depth 2
	v_pk_mov_b32 v[14:15], v[8:9], v[8:9] op_sel:[0,1]
	v_pk_mov_b32 v[16:17], v[6:7], v[6:7] op_sel:[0,1]
	v_mov_b32_e32 v34, v20
	v_mov_b32_e32 v33, v21
	s_and_saveexec_b64 s[22:23], s[4:5]
	s_cbranch_execz .LBB234_25
; %bb.19:                               ;   in Loop: Header=BB234_18 Depth=1
	s_mov_b32 s37, 0
	s_mov_b64 s[24:25], 0
	v_pk_mov_b32 v[6:7], v[0:1], v[0:1] op_sel:[0,1]
	s_branch .LBB234_21
.LBB234_20:                             ;   in Loop: Header=BB234_21 Depth=2
	s_or_b64 exec, exec, s[28:29]
	s_add_i32 s37, s37, 2
	v_cmp_eq_u32_e32 vcc, s37, v31
	v_add_u32_e32 v7, 32, v7
	s_or_b64 s[24:25], vcc, s[24:25]
	v_add_u32_e32 v6, 32, v6
	s_andn2_b64 exec, exec, s[24:25]
	s_cbranch_execz .LBB234_25
.LBB234_21:                             ;   Parent Loop BB234_18 Depth=1
                                        ; =>  This Inner Loop Header: Depth=2
	s_or_b32 s26, s37, 1
	v_cmp_le_u32_e64 s[26:27], s26, 7
	v_cmp_le_u32_e64 s[38:39], s37, 7
	s_and_saveexec_b64 s[28:29], s[38:39]
	s_cbranch_execz .LBB234_23
; %bb.22:                               ;   in Loop: Header=BB234_21 Depth=2
	v_lshlrev_b32_e32 v8, 2, v6
	ds_write_b32 v8, v32
.LBB234_23:                             ;   in Loop: Header=BB234_21 Depth=2
	s_or_b64 exec, exec, s[28:29]
	s_and_saveexec_b64 s[28:29], s[26:27]
	s_cbranch_execz .LBB234_20
; %bb.24:                               ;   in Loop: Header=BB234_21 Depth=2
	v_lshlrev_b32_e32 v8, 2, v7
	ds_write_b32 v8, v32
	s_branch .LBB234_20
.LBB234_25:                             ;   in Loop: Header=BB234_18 Depth=1
	s_or_b64 exec, exec, s[22:23]
	s_sub_i32 s22, 16, s34
	s_min_u32 s22, s33, s22
	v_cmp_ne_u16_e32 vcc, s36, v34
	s_lshl_b32 s22, -1, s22
	v_cndmask_b32_e32 v6, v30, v34, vcc
	s_not_b32 s22, s22
	v_lshrrev_b32_sdwa v6, s34, v6 dst_sel:DWORD dst_unused:UNUSED_PAD src0_sel:DWORD src1_sel:WORD_0
	v_and_b32_e32 v6, s22, v6
	v_lshrrev_b32_e32 v7, 3, v6
	v_lshlrev_b32_e32 v6, 4, v6
	v_and_or_b32 v6, v6, s35, v0
	v_lshlrev_b32_e32 v6, 1, v6
	v_add_lshl_u32 v36, v6, v7, 1
	ds_read_u16 v35, v36
	v_cmp_ne_u16_e32 vcc, s36, v33
	s_waitcnt lgkmcnt(0)
	v_add_u16_e32 v6, 1, v35
	ds_write_b16 v36, v6
	v_cndmask_b32_e32 v6, v30, v33, vcc
	v_lshrrev_b32_sdwa v6, s34, v6 dst_sel:DWORD dst_unused:UNUSED_PAD src0_sel:DWORD src1_sel:WORD_0
	v_and_b32_e32 v6, s22, v6
	v_lshrrev_b32_e32 v7, 3, v6
	v_lshlrev_b32_e32 v6, 4, v6
	v_and_or_b32 v6, v6, s35, v0
	v_lshlrev_b32_e32 v6, 1, v6
	v_add_lshl_u32 v38, v6, v7, 1
	ds_read_u16 v37, v38
	s_waitcnt lgkmcnt(0)
	v_add_u16_e32 v6, 1, v37
	ds_write_b16 v38, v6
	s_waitcnt lgkmcnt(0)
	; wave barrier
	s_waitcnt lgkmcnt(0)
	ds_read2_b32 v[20:21], v24 offset1:1
	ds_read2_b32 v[18:19], v24 offset0:2 offset1:3
	ds_read2_b32 v[6:7], v24 offset0:4 offset1:5
	;; [unrolled: 1-line block ×3, first 2 shown]
	s_waitcnt lgkmcnt(3)
	v_add_u32_e32 v39, v21, v20
	s_waitcnt lgkmcnt(2)
	v_add3_u32 v39, v39, v18, v19
	s_waitcnt lgkmcnt(1)
	v_add3_u32 v39, v39, v6, v7
	;; [unrolled: 2-line block ×3, first 2 shown]
	s_nop 1
	v_mov_b32_dpp v39, v9 row_shr:1 row_mask:0xf bank_mask:0xf
	v_cndmask_b32_e64 v39, v39, 0, s[6:7]
	v_add_u32_e32 v9, v39, v9
	s_nop 1
	v_mov_b32_dpp v39, v9 row_shr:2 row_mask:0xf bank_mask:0xf
	v_cndmask_b32_e64 v39, 0, v39, s[8:9]
	v_add_u32_e32 v9, v9, v39
	;; [unrolled: 4-line block ×4, first 2 shown]
	s_and_saveexec_b64 s[22:23], s[14:15]
	s_cbranch_execz .LBB234_27
; %bb.26:                               ;   in Loop: Header=BB234_18 Depth=1
	ds_write_b32 v32, v9 offset:512
.LBB234_27:                             ;   in Loop: Header=BB234_18 Depth=1
	s_or_b64 exec, exec, s[22:23]
	ds_bpermute_b32 v9, v26, v9
	s_waitcnt lgkmcnt(0)
	; wave barrier
	s_waitcnt lgkmcnt(0)
	ds_read_b32 v39, v32 offset:512
	s_cmp_gt_u32 s34, 11
	v_cndmask_b32_e64 v9, v9, 0, s[16:17]
	s_waitcnt lgkmcnt(0)
	v_lshl_add_u32 v9, v39, 16, v9
	v_add_u32_e32 v20, v9, v20
	v_add_u32_e32 v21, v20, v21
	ds_write2_b32 v24, v9, v20 offset1:1
	v_add_u32_e32 v9, v21, v18
	v_add_u32_e32 v18, v9, v19
	;; [unrolled: 1-line block ×5, first 2 shown]
	ds_write2_b32 v24, v21, v9 offset0:2 offset1:3
	ds_write2_b32 v24, v18, v6 offset0:4 offset1:5
	;; [unrolled: 1-line block ×3, first 2 shown]
	s_waitcnt lgkmcnt(0)
	; wave barrier
	s_waitcnt lgkmcnt(0)
	ds_read_u16 v6, v36
	ds_read_u16 v7, v38
	s_waitcnt lgkmcnt(1)
	v_add_u32_sdwa v18, v6, v35 dst_sel:DWORD dst_unused:UNUSED_PAD src0_sel:DWORD src1_sel:WORD_0
	s_waitcnt lgkmcnt(0)
	v_add_u32_sdwa v19, v7, v37 dst_sel:DWORD dst_unused:UNUSED_PAD src0_sel:DWORD src1_sel:WORD_0
	s_cbranch_scc0 .LBB234_17
; %bb.28:
                                        ; implicit-def: $vgpr8_vgpr9
                                        ; implicit-def: $sgpr34
                                        ; implicit-def: $vgpr20
                                        ; implicit-def: $vgpr21
.LBB234_29:
	v_lshlrev_b32_e32 v6, 1, v18
	s_waitcnt lgkmcnt(0)
	; wave barrier
	ds_write_b16 v6, v34
	v_lshlrev_b32_e32 v6, 1, v19
	ds_write_b16 v6, v33
	s_waitcnt lgkmcnt(0)
	; wave barrier
	s_waitcnt lgkmcnt(0)
	v_lshlrev_b32_e32 v6, 3, v18
	ds_read_b32 v18, v25
	v_lshlrev_b32_e32 v7, 3, v19
	s_waitcnt lgkmcnt(0)
	; wave barrier
	s_waitcnt lgkmcnt(0)
	ds_write_b64 v6, v[16:17]
	ds_write_b64 v7, v[14:15]
	s_waitcnt lgkmcnt(0)
	; wave barrier
	s_waitcnt lgkmcnt(0)
	ds_read2_b64 v[6:9], v13 offset1:1
	v_mov_b32_e32 v14, -1
	v_mov_b32_e32 v15, 0xffff8000
	v_cmp_lt_i16_e32 vcc, -1, v18
	v_cmp_gt_i16_sdwa s[22:23], v18, v14 src0_sel:WORD_1 src1_sel:DWORD
	v_cndmask_b32_e64 v16, v15, -1, vcc
	v_cndmask_b32_e64 v14, v15, -1, s[22:23]
	s_mov_b32 s22, 0x5040100
	v_perm_b32 v14, v14, v16, s22
	v_xor_b32_e32 v14, v14, v18
	s_branch .LBB234_45
.LBB234_30:
                                        ; implicit-def: $vgpr8_vgpr9
                                        ; implicit-def: $vgpr14
	s_cbranch_execz .LBB234_45
; %bb.31:
	v_mov_b32_e32 v18, 0x7fff
	v_cmp_gt_i16_e32 vcc, 0, v28
	s_waitcnt lgkmcnt(0)
	v_cndmask_b32_e64 v6, v18, 0, vcc
	v_cmp_gt_i16_e32 vcc, 0, v27
	v_xor_b32_e32 v16, v6, v28
	v_cndmask_b32_e64 v6, v18, 0, vcc
	s_mov_b32 s34, 0
	v_xor_b32_e32 v17, v6, v27
	v_and_b32_e32 v19, 14, v29
	v_mov_b32_e32 v20, 0
	s_movk_i32 s35, 0x8000
	s_movk_i32 s36, 0x70
	s_branch .LBB234_33
.LBB234_32:                             ;   in Loop: Header=BB234_33 Depth=1
	v_lshlrev_b32_e32 v2, 1, v14
	s_waitcnt lgkmcnt(0)
	; wave barrier
	ds_write_b16 v2, v27
	v_lshlrev_b32_e32 v2, 1, v15
	ds_write_b16 v2, v21
	v_lshlrev_b32_e32 v2, 3, v14
	s_waitcnt lgkmcnt(0)
	; wave barrier
	s_waitcnt lgkmcnt(0)
	ds_read_u16 v16, v25
	ds_read_u16 v17, v25 offset:2
	s_waitcnt lgkmcnt(0)
	; wave barrier
	s_waitcnt lgkmcnt(0)
	ds_write_b64 v2, v[8:9]
	v_lshlrev_b32_e32 v2, 3, v15
	ds_write_b64 v2, v[6:7]
	s_waitcnt lgkmcnt(0)
	; wave barrier
	s_waitcnt lgkmcnt(0)
	ds_read2_b64 v[2:5], v13 offset1:1
	s_add_i32 s34, s34, 4
	s_waitcnt lgkmcnt(0)
	; wave barrier
	s_waitcnt lgkmcnt(0)
	s_cbranch_execz .LBB234_44
.LBB234_33:                             ; =>This Loop Header: Depth=1
                                        ;     Child Loop BB234_36 Depth 2
	v_pk_mov_b32 v[6:7], v[4:5], v[4:5] op_sel:[0,1]
	v_pk_mov_b32 v[8:9], v[2:3], v[2:3] op_sel:[0,1]
	v_mov_b32_e32 v27, v16
	v_mov_b32_e32 v21, v17
	s_and_saveexec_b64 s[22:23], s[4:5]
	s_cbranch_execz .LBB234_40
; %bb.34:                               ;   in Loop: Header=BB234_33 Depth=1
	s_mov_b32 s37, 0
	s_mov_b64 s[24:25], 0
	v_pk_mov_b32 v[2:3], v[0:1], v[0:1] op_sel:[0,1]
	s_branch .LBB234_36
.LBB234_35:                             ;   in Loop: Header=BB234_36 Depth=2
	s_or_b64 exec, exec, s[28:29]
	s_add_i32 s37, s37, 2
	v_cmp_eq_u32_e32 vcc, s37, v19
	v_add_u32_e32 v3, 32, v3
	s_or_b64 s[24:25], vcc, s[24:25]
	v_add_u32_e32 v2, 32, v2
	s_andn2_b64 exec, exec, s[24:25]
	s_cbranch_execz .LBB234_40
.LBB234_36:                             ;   Parent Loop BB234_33 Depth=1
                                        ; =>  This Inner Loop Header: Depth=2
	s_or_b32 s26, s37, 1
	v_cmp_le_u32_e64 s[26:27], s26, 7
	v_cmp_le_u32_e64 s[38:39], s37, 7
	s_and_saveexec_b64 s[28:29], s[38:39]
	s_cbranch_execz .LBB234_38
; %bb.37:                               ;   in Loop: Header=BB234_36 Depth=2
	v_lshlrev_b32_e32 v4, 2, v2
	ds_write_b32 v4, v20
.LBB234_38:                             ;   in Loop: Header=BB234_36 Depth=2
	s_or_b64 exec, exec, s[28:29]
	s_and_saveexec_b64 s[28:29], s[26:27]
	s_cbranch_execz .LBB234_35
; %bb.39:                               ;   in Loop: Header=BB234_36 Depth=2
	v_lshlrev_b32_e32 v4, 2, v3
	ds_write_b32 v4, v20
	s_branch .LBB234_35
.LBB234_40:                             ;   in Loop: Header=BB234_33 Depth=1
	s_or_b64 exec, exec, s[22:23]
	s_sub_i32 s22, 16, s34
	s_min_u32 s22, s33, s22
	v_cmp_ne_u16_e32 vcc, s35, v27
	s_lshl_b32 s22, -1, s22
	v_cndmask_b32_e32 v2, v18, v27, vcc
	s_not_b32 s22, s22
	v_lshrrev_b32_sdwa v2, s34, v2 dst_sel:DWORD dst_unused:UNUSED_PAD src0_sel:DWORD src1_sel:WORD_0
	v_and_b32_e32 v2, s22, v2
	v_lshrrev_b32_e32 v3, 3, v2
	v_lshlrev_b32_e32 v2, 4, v2
	v_and_or_b32 v2, v2, s36, v0
	v_lshlrev_b32_e32 v2, 1, v2
	v_add_lshl_u32 v29, v2, v3, 1
	ds_read_u16 v28, v29
	v_cmp_ne_u16_e32 vcc, s35, v21
	s_waitcnt lgkmcnt(0)
	v_add_u16_e32 v2, 1, v28
	ds_write_b16 v29, v2
	v_cndmask_b32_e32 v2, v18, v21, vcc
	v_lshrrev_b32_sdwa v2, s34, v2 dst_sel:DWORD dst_unused:UNUSED_PAD src0_sel:DWORD src1_sel:WORD_0
	v_and_b32_e32 v2, s22, v2
	v_lshrrev_b32_e32 v3, 3, v2
	v_lshlrev_b32_e32 v2, 4, v2
	v_and_or_b32 v2, v2, s36, v0
	v_lshlrev_b32_e32 v2, 1, v2
	v_add_lshl_u32 v31, v2, v3, 1
	ds_read_u16 v30, v31
	s_waitcnt lgkmcnt(0)
	v_add_u16_e32 v2, 1, v30
	ds_write_b16 v31, v2
	s_waitcnt lgkmcnt(0)
	; wave barrier
	s_waitcnt lgkmcnt(0)
	ds_read2_b32 v[16:17], v24 offset1:1
	ds_read2_b32 v[14:15], v24 offset0:2 offset1:3
	ds_read2_b32 v[2:3], v24 offset0:4 offset1:5
	;; [unrolled: 1-line block ×3, first 2 shown]
	s_waitcnt lgkmcnt(3)
	v_add_u32_e32 v32, v17, v16
	s_waitcnt lgkmcnt(2)
	v_add3_u32 v32, v32, v14, v15
	s_waitcnt lgkmcnt(1)
	v_add3_u32 v32, v32, v2, v3
	s_waitcnt lgkmcnt(0)
	v_add3_u32 v5, v32, v4, v5
	s_nop 1
	v_mov_b32_dpp v32, v5 row_shr:1 row_mask:0xf bank_mask:0xf
	v_cndmask_b32_e64 v32, v32, 0, s[6:7]
	v_add_u32_e32 v5, v32, v5
	s_nop 1
	v_mov_b32_dpp v32, v5 row_shr:2 row_mask:0xf bank_mask:0xf
	v_cndmask_b32_e64 v32, 0, v32, s[8:9]
	v_add_u32_e32 v5, v5, v32
	;; [unrolled: 4-line block ×4, first 2 shown]
	s_and_saveexec_b64 s[22:23], s[14:15]
	s_cbranch_execz .LBB234_42
; %bb.41:                               ;   in Loop: Header=BB234_33 Depth=1
	ds_write_b32 v20, v5 offset:512
.LBB234_42:                             ;   in Loop: Header=BB234_33 Depth=1
	s_or_b64 exec, exec, s[22:23]
	ds_bpermute_b32 v5, v26, v5
	s_waitcnt lgkmcnt(0)
	; wave barrier
	s_waitcnt lgkmcnt(0)
	ds_read_b32 v32, v20 offset:512
	s_cmp_gt_u32 s34, 11
	v_cndmask_b32_e64 v5, v5, 0, s[16:17]
	s_waitcnt lgkmcnt(0)
	v_lshl_add_u32 v5, v32, 16, v5
	v_add_u32_e32 v16, v5, v16
	v_add_u32_e32 v17, v16, v17
	ds_write2_b32 v24, v5, v16 offset1:1
	v_add_u32_e32 v5, v17, v14
	v_add_u32_e32 v14, v5, v15
	;; [unrolled: 1-line block ×5, first 2 shown]
	ds_write2_b32 v24, v17, v5 offset0:2 offset1:3
	ds_write2_b32 v24, v14, v2 offset0:4 offset1:5
	;; [unrolled: 1-line block ×3, first 2 shown]
	s_waitcnt lgkmcnt(0)
	; wave barrier
	s_waitcnt lgkmcnt(0)
	ds_read_u16 v2, v29
	ds_read_u16 v3, v31
	s_waitcnt lgkmcnt(1)
	v_add_u32_sdwa v14, v2, v28 dst_sel:DWORD dst_unused:UNUSED_PAD src0_sel:DWORD src1_sel:WORD_0
	s_waitcnt lgkmcnt(0)
	v_add_u32_sdwa v15, v3, v30 dst_sel:DWORD dst_unused:UNUSED_PAD src0_sel:DWORD src1_sel:WORD_0
	s_cbranch_scc0 .LBB234_32
; %bb.43:
                                        ; implicit-def: $vgpr4_vgpr5
                                        ; implicit-def: $sgpr34
                                        ; implicit-def: $vgpr16
                                        ; implicit-def: $vgpr17
.LBB234_44:
	v_lshlrev_b32_e32 v0, 1, v14
	s_waitcnt lgkmcnt(0)
	; wave barrier
	ds_write_b16 v0, v27
	v_lshlrev_b32_e32 v0, 1, v15
	ds_write_b16 v0, v21
	s_waitcnt lgkmcnt(0)
	; wave barrier
	s_waitcnt lgkmcnt(0)
	ds_read_b32 v2, v25
	v_lshlrev_b32_e32 v0, 3, v14
	v_lshlrev_b32_e32 v1, 3, v15
	s_waitcnt lgkmcnt(0)
	; wave barrier
	s_waitcnt lgkmcnt(0)
	ds_write_b64 v0, v[8:9]
	ds_write_b64 v1, v[6:7]
	s_waitcnt lgkmcnt(0)
	; wave barrier
	s_waitcnt lgkmcnt(0)
	ds_read2_b64 v[6:9], v13 offset1:1
	v_mov_b32_e32 v0, 0
	v_mov_b32_e32 v1, 0x7fff
	v_cmp_gt_i16_e32 vcc, 0, v2
	v_cmp_lt_i16_sdwa s[4:5], v2, v0 src0_sel:WORD_1 src1_sel:DWORD
	v_cndmask_b32_e64 v3, v1, 0, vcc
	v_cndmask_b32_e64 v0, v1, 0, s[4:5]
	s_mov_b32 s4, 0x5040100
	v_perm_b32 v0, v0, v3, s4
	v_xor_b32_e32 v14, v0, v2
.LBB234_45:
	s_waitcnt lgkmcnt(0)
	; wave barrier
	s_waitcnt lgkmcnt(0)
	ds_write_b32 v11, v14
	s_waitcnt lgkmcnt(0)
	; wave barrier
	s_waitcnt lgkmcnt(0)
	ds_read_u16 v2, v22 offset:32
	v_mov_b32_e32 v11, 0
	v_lshlrev_b64 v[0:1], 1, v[10:11]
	v_mov_b32_e32 v3, s21
	v_add_co_u32_e32 v0, vcc, s19, v0
	v_addc_co_u32_e32 v1, vcc, v3, v1, vcc
	s_and_saveexec_b64 s[4:5], s[0:1]
	s_cbranch_execz .LBB234_47
; %bb.46:
	ds_read_u16 v3, v22
	s_waitcnt lgkmcnt(0)
	global_store_short v[0:1], v3, off
.LBB234_47:
	s_or_b64 exec, exec, s[4:5]
	s_and_saveexec_b64 s[4:5], s[2:3]
	s_cbranch_execz .LBB234_49
; %bb.48:
	s_lshl_b32 s6, s18, 4
	s_mov_b32 s7, 0
	s_lshl_b64 s[6:7], s[6:7], 1
	v_mov_b32_e32 v3, s7
	v_add_co_u32_e32 v0, vcc, s6, v0
	v_addc_co_u32_e32 v1, vcc, v1, v3, vcc
	s_waitcnt lgkmcnt(0)
	global_store_short v[0:1], v2, off
.LBB234_49:
	s_or_b64 exec, exec, s[4:5]
	s_waitcnt lgkmcnt(0)
	; wave barrier
	s_waitcnt lgkmcnt(0)
	ds_write2_b64 v13, v[6:7], v[8:9] offset1:1
	s_waitcnt lgkmcnt(0)
	; wave barrier
	s_waitcnt lgkmcnt(0)
	ds_read_b64 v[0:1], v23 offset:128
	v_mov_b32_e32 v13, 0
	v_lshlrev_b64 v[2:3], 3, v[12:13]
	v_mov_b32_e32 v4, s31
	v_add_co_u32_e32 v2, vcc, s30, v2
	v_addc_co_u32_e32 v3, vcc, v4, v3, vcc
	s_and_saveexec_b64 s[4:5], s[0:1]
	s_cbranch_execz .LBB234_51
; %bb.50:
	ds_read_b64 v[4:5], v23
	s_waitcnt lgkmcnt(0)
	global_store_dwordx2 v[2:3], v[4:5], off
.LBB234_51:
	s_or_b64 exec, exec, s[4:5]
	s_and_saveexec_b64 s[0:1], s[2:3]
	s_cbranch_execz .LBB234_53
; %bb.52:
	s_lshl_b32 s0, s20, 4
	s_mov_b32 s1, 0
	s_lshl_b64 s[0:1], s[0:1], 3
	v_mov_b32_e32 v4, s1
	v_add_co_u32_e32 v2, vcc, s0, v2
	v_addc_co_u32_e32 v3, vcc, v3, v4, vcc
	s_waitcnt lgkmcnt(0)
	global_store_dwordx2 v[2:3], v[0:1], off
.LBB234_53:
	s_endpgm
	.section	.rodata,"a",@progbits
	.p2align	6, 0x0
	.amdhsa_kernel _ZN2at6native18radixSortKVInPlaceILin1ELin1ELi16ELi2EN3c104HalfEljEEvNS_4cuda6detail10TensorInfoIT3_T5_EES8_S8_S8_NS6_IT4_S8_EES8_b
		.amdhsa_group_segment_fixed_size 528
		.amdhsa_private_segment_fixed_size 0
		.amdhsa_kernarg_size 712
		.amdhsa_user_sgpr_count 6
		.amdhsa_user_sgpr_private_segment_buffer 1
		.amdhsa_user_sgpr_dispatch_ptr 0
		.amdhsa_user_sgpr_queue_ptr 0
		.amdhsa_user_sgpr_kernarg_segment_ptr 1
		.amdhsa_user_sgpr_dispatch_id 0
		.amdhsa_user_sgpr_flat_scratch_init 0
		.amdhsa_user_sgpr_kernarg_preload_length 0
		.amdhsa_user_sgpr_kernarg_preload_offset 0
		.amdhsa_user_sgpr_private_segment_size 0
		.amdhsa_uses_dynamic_stack 0
		.amdhsa_system_sgpr_private_segment_wavefront_offset 0
		.amdhsa_system_sgpr_workgroup_id_x 1
		.amdhsa_system_sgpr_workgroup_id_y 1
		.amdhsa_system_sgpr_workgroup_id_z 1
		.amdhsa_system_sgpr_workgroup_info 0
		.amdhsa_system_vgpr_workitem_id 0
		.amdhsa_next_free_vgpr 40
		.amdhsa_next_free_sgpr 40
		.amdhsa_accum_offset 40
		.amdhsa_reserve_vcc 1
		.amdhsa_reserve_flat_scratch 0
		.amdhsa_float_round_mode_32 0
		.amdhsa_float_round_mode_16_64 0
		.amdhsa_float_denorm_mode_32 3
		.amdhsa_float_denorm_mode_16_64 3
		.amdhsa_dx10_clamp 1
		.amdhsa_ieee_mode 1
		.amdhsa_fp16_overflow 0
		.amdhsa_tg_split 0
		.amdhsa_exception_fp_ieee_invalid_op 0
		.amdhsa_exception_fp_denorm_src 0
		.amdhsa_exception_fp_ieee_div_zero 0
		.amdhsa_exception_fp_ieee_overflow 0
		.amdhsa_exception_fp_ieee_underflow 0
		.amdhsa_exception_fp_ieee_inexact 0
		.amdhsa_exception_int_div_zero 0
	.end_amdhsa_kernel
	.section	.text._ZN2at6native18radixSortKVInPlaceILin1ELin1ELi16ELi2EN3c104HalfEljEEvNS_4cuda6detail10TensorInfoIT3_T5_EES8_S8_S8_NS6_IT4_S8_EES8_b,"axG",@progbits,_ZN2at6native18radixSortKVInPlaceILin1ELin1ELi16ELi2EN3c104HalfEljEEvNS_4cuda6detail10TensorInfoIT3_T5_EES8_S8_S8_NS6_IT4_S8_EES8_b,comdat
.Lfunc_end234:
	.size	_ZN2at6native18radixSortKVInPlaceILin1ELin1ELi16ELi2EN3c104HalfEljEEvNS_4cuda6detail10TensorInfoIT3_T5_EES8_S8_S8_NS6_IT4_S8_EES8_b, .Lfunc_end234-_ZN2at6native18radixSortKVInPlaceILin1ELin1ELi16ELi2EN3c104HalfEljEEvNS_4cuda6detail10TensorInfoIT3_T5_EES8_S8_S8_NS6_IT4_S8_EES8_b
                                        ; -- End function
	.section	.AMDGPU.csdata,"",@progbits
; Kernel info:
; codeLenInByte = 3428
; NumSgprs: 44
; NumVgprs: 40
; NumAgprs: 0
; TotalNumVgprs: 40
; ScratchSize: 0
; MemoryBound: 0
; FloatMode: 240
; IeeeMode: 1
; LDSByteSize: 528 bytes/workgroup (compile time only)
; SGPRBlocks: 5
; VGPRBlocks: 4
; NumSGPRsForWavesPerEU: 44
; NumVGPRsForWavesPerEU: 40
; AccumOffset: 40
; Occupancy: 8
; WaveLimiterHint : 1
; COMPUTE_PGM_RSRC2:SCRATCH_EN: 0
; COMPUTE_PGM_RSRC2:USER_SGPR: 6
; COMPUTE_PGM_RSRC2:TRAP_HANDLER: 0
; COMPUTE_PGM_RSRC2:TGID_X_EN: 1
; COMPUTE_PGM_RSRC2:TGID_Y_EN: 1
; COMPUTE_PGM_RSRC2:TGID_Z_EN: 1
; COMPUTE_PGM_RSRC2:TIDIG_COMP_CNT: 0
; COMPUTE_PGM_RSRC3_GFX90A:ACCUM_OFFSET: 9
; COMPUTE_PGM_RSRC3_GFX90A:TG_SPLIT: 0
	.section	.text._ZN2at6native18radixSortKVInPlaceILin1ELin1ELi512ELi8EN3c104HalfElmEEvNS_4cuda6detail10TensorInfoIT3_T5_EES8_S8_S8_NS6_IT4_S8_EES8_b,"axG",@progbits,_ZN2at6native18radixSortKVInPlaceILin1ELin1ELi512ELi8EN3c104HalfElmEEvNS_4cuda6detail10TensorInfoIT3_T5_EES8_S8_S8_NS6_IT4_S8_EES8_b,comdat
	.protected	_ZN2at6native18radixSortKVInPlaceILin1ELin1ELi512ELi8EN3c104HalfElmEEvNS_4cuda6detail10TensorInfoIT3_T5_EES8_S8_S8_NS6_IT4_S8_EES8_b ; -- Begin function _ZN2at6native18radixSortKVInPlaceILin1ELin1ELi512ELi8EN3c104HalfElmEEvNS_4cuda6detail10TensorInfoIT3_T5_EES8_S8_S8_NS6_IT4_S8_EES8_b
	.globl	_ZN2at6native18radixSortKVInPlaceILin1ELin1ELi512ELi8EN3c104HalfElmEEvNS_4cuda6detail10TensorInfoIT3_T5_EES8_S8_S8_NS6_IT4_S8_EES8_b
	.p2align	8
	.type	_ZN2at6native18radixSortKVInPlaceILin1ELin1ELi512ELi8EN3c104HalfElmEEvNS_4cuda6detail10TensorInfoIT3_T5_EES8_S8_S8_NS6_IT4_S8_EES8_b,@function
_ZN2at6native18radixSortKVInPlaceILin1ELin1ELi512ELi8EN3c104HalfElmEEvNS_4cuda6detail10TensorInfoIT3_T5_EES8_S8_S8_NS6_IT4_S8_EES8_b: ; @_ZN2at6native18radixSortKVInPlaceILin1ELin1ELi512ELi8EN3c104HalfElmEEvNS_4cuda6detail10TensorInfoIT3_T5_EES8_S8_S8_NS6_IT4_S8_EES8_b
; %bb.0:
	s_load_dwordx4 s[12:15], s[4:5], 0x1a0
	s_load_dwordx2 s[0:1], s[4:5], 0x368
	s_add_u32 s52, s4, 0x368
	s_addc_u32 s53, s5, 0
	s_waitcnt lgkmcnt(0)
	v_mov_b32_e32 v2, s12
	s_mul_i32 s1, s1, s8
	s_add_i32 s1, s1, s7
	s_mul_i32 s0, s1, s0
	v_mov_b32_e32 v3, s13
	s_add_i32 s6, s0, s6
	s_mov_b32 s7, 0
	v_cmp_ge_u64_e32 vcc, s[6:7], v[2:3]
	s_cbranch_vccnz .LBB235_160
; %bb.1:
	s_load_dword s0, s[4:5], 0x198
	s_load_dwordx2 s[48:49], s[4:5], 0x1b0
	s_mov_b64 s[2:3], 0
	s_mov_b64 s[8:9], s[6:7]
	s_waitcnt lgkmcnt(0)
	s_cmp_lt_i32 s0, 2
	s_cbranch_scc1 .LBB235_9
; %bb.2:
	s_mov_b32 s10, 0
	s_add_i32 s15, s0, 1
	s_add_i32 s0, s0, -1
	s_mov_b32 s1, s10
	s_lshl_b64 s[0:1], s[0:1], 3
	s_add_u32 s0, s0, s4
	s_addc_u32 s1, s1, s5
	s_add_u32 s12, s0, 8
	s_addc_u32 s13, s1, 0
	s_mov_b64 s[16:17], s[6:7]
.LBB235_3:                              ; =>This Inner Loop Header: Depth=1
	s_load_dwordx2 s[18:19], s[12:13], 0x0
	s_waitcnt lgkmcnt(0)
	s_or_b64 s[0:1], s[16:17], s[18:19]
	s_mov_b32 s11, s1
	s_cmp_lg_u64 s[10:11], 0
	s_cbranch_scc0 .LBB235_8
; %bb.4:                                ;   in Loop: Header=BB235_3 Depth=1
	v_cvt_f32_u32_e32 v1, s18
	v_cvt_f32_u32_e32 v2, s19
	s_sub_u32 s0, 0, s18
	s_subb_u32 s1, 0, s19
	v_mac_f32_e32 v1, 0x4f800000, v2
	v_rcp_f32_e32 v1, v1
	v_mul_f32_e32 v1, 0x5f7ffffc, v1
	v_mul_f32_e32 v2, 0x2f800000, v1
	v_trunc_f32_e32 v2, v2
	v_mac_f32_e32 v1, 0xcf800000, v2
	v_cvt_u32_f32_e32 v2, v2
	v_cvt_u32_f32_e32 v1, v1
	v_readfirstlane_b32 s8, v2
	v_readfirstlane_b32 s9, v1
	s_mul_i32 s11, s0, s8
	s_mul_hi_u32 s21, s0, s9
	s_mul_i32 s20, s1, s9
	s_add_i32 s11, s21, s11
	s_mul_i32 s22, s0, s9
	s_add_i32 s11, s11, s20
	s_mul_hi_u32 s20, s9, s11
	s_mul_i32 s21, s9, s11
	s_mul_hi_u32 s9, s9, s22
	s_add_u32 s9, s9, s21
	s_addc_u32 s20, 0, s20
	s_mul_hi_u32 s23, s8, s22
	s_mul_i32 s22, s8, s22
	s_add_u32 s9, s9, s22
	s_mul_hi_u32 s21, s8, s11
	s_addc_u32 s9, s20, s23
	s_addc_u32 s20, s21, 0
	s_mul_i32 s11, s8, s11
	s_add_u32 s9, s9, s11
	s_addc_u32 s11, 0, s20
	v_add_co_u32_e32 v1, vcc, s9, v1
	s_cmp_lg_u64 vcc, 0
	s_addc_u32 s8, s8, s11
	v_readfirstlane_b32 s11, v1
	s_mul_i32 s9, s0, s8
	s_mul_hi_u32 s20, s0, s11
	s_add_i32 s9, s20, s9
	s_mul_i32 s1, s1, s11
	s_add_i32 s9, s9, s1
	s_mul_i32 s0, s0, s11
	s_mul_hi_u32 s20, s8, s0
	s_mul_i32 s21, s8, s0
	s_mul_i32 s23, s11, s9
	s_mul_hi_u32 s0, s11, s0
	s_mul_hi_u32 s22, s11, s9
	s_add_u32 s0, s0, s23
	s_addc_u32 s11, 0, s22
	s_add_u32 s0, s0, s21
	s_mul_hi_u32 s1, s8, s9
	s_addc_u32 s0, s11, s20
	s_addc_u32 s1, s1, 0
	s_mul_i32 s9, s8, s9
	s_add_u32 s0, s0, s9
	s_addc_u32 s1, 0, s1
	v_add_co_u32_e32 v1, vcc, s0, v1
	s_cmp_lg_u64 vcc, 0
	s_addc_u32 s0, s8, s1
	v_readfirstlane_b32 s9, v1
	s_mul_i32 s8, s16, s0
	s_mul_hi_u32 s11, s16, s9
	s_mul_hi_u32 s1, s16, s0
	s_add_u32 s8, s11, s8
	s_addc_u32 s1, 0, s1
	s_mul_hi_u32 s20, s17, s9
	s_mul_i32 s9, s17, s9
	s_add_u32 s8, s8, s9
	s_mul_hi_u32 s11, s17, s0
	s_addc_u32 s1, s1, s20
	s_addc_u32 s8, s11, 0
	s_mul_i32 s0, s17, s0
	s_add_u32 s11, s1, s0
	s_addc_u32 s8, 0, s8
	s_mul_i32 s0, s18, s8
	s_mul_hi_u32 s1, s18, s11
	s_add_i32 s0, s1, s0
	s_mul_i32 s1, s19, s11
	s_add_i32 s9, s0, s1
	s_mul_i32 s1, s18, s11
	v_mov_b32_e32 v1, s1
	s_sub_i32 s0, s17, s9
	v_sub_co_u32_e32 v1, vcc, s16, v1
	s_cmp_lg_u64 vcc, 0
	s_subb_u32 s20, s0, s19
	v_subrev_co_u32_e64 v2, s[0:1], s18, v1
	s_cmp_lg_u64 s[0:1], 0
	s_subb_u32 s0, s20, 0
	s_cmp_ge_u32 s0, s19
	v_readfirstlane_b32 s20, v2
	s_cselect_b32 s1, -1, 0
	s_cmp_ge_u32 s20, s18
	s_cselect_b32 s20, -1, 0
	s_cmp_eq_u32 s0, s19
	s_cselect_b32 s0, s20, s1
	s_add_u32 s1, s11, 1
	s_addc_u32 s20, s8, 0
	s_add_u32 s21, s11, 2
	s_addc_u32 s22, s8, 0
	s_cmp_lg_u32 s0, 0
	s_cselect_b32 s0, s21, s1
	s_cselect_b32 s1, s22, s20
	s_cmp_lg_u64 vcc, 0
	s_subb_u32 s9, s17, s9
	s_cmp_ge_u32 s9, s19
	v_readfirstlane_b32 s21, v1
	s_cselect_b32 s20, -1, 0
	s_cmp_ge_u32 s21, s18
	s_cselect_b32 s21, -1, 0
	s_cmp_eq_u32 s9, s19
	s_cselect_b32 s9, s21, s20
	s_cmp_lg_u32 s9, 0
	s_cselect_b32 s9, s1, s8
	s_cselect_b32 s8, s0, s11
	s_cbranch_execnz .LBB235_6
.LBB235_5:                              ;   in Loop: Header=BB235_3 Depth=1
	v_cvt_f32_u32_e32 v1, s18
	s_sub_i32 s0, 0, s18
	v_rcp_iflag_f32_e32 v1, v1
	v_mul_f32_e32 v1, 0x4f7ffffe, v1
	v_cvt_u32_f32_e32 v1, v1
	v_readfirstlane_b32 s1, v1
	s_mul_i32 s0, s0, s1
	s_mul_hi_u32 s0, s1, s0
	s_add_i32 s1, s1, s0
	s_mul_hi_u32 s0, s16, s1
	s_mul_i32 s8, s0, s18
	s_sub_i32 s8, s16, s8
	s_add_i32 s1, s0, 1
	s_sub_i32 s9, s8, s18
	s_cmp_ge_u32 s8, s18
	s_cselect_b32 s0, s1, s0
	s_cselect_b32 s8, s9, s8
	s_add_i32 s1, s0, 1
	s_cmp_ge_u32 s8, s18
	s_cselect_b32 s8, s1, s0
	s_mov_b32 s9, s10
.LBB235_6:                              ;   in Loop: Header=BB235_3 Depth=1
	s_mul_i32 s0, s8, s19
	s_mul_hi_u32 s1, s8, s18
	s_add_i32 s11, s1, s0
	s_load_dwordx2 s[0:1], s[12:13], 0xc8
	s_mul_i32 s19, s9, s18
	s_add_i32 s11, s11, s19
	s_mul_i32 s18, s8, s18
	s_sub_u32 s16, s16, s18
	s_subb_u32 s11, s17, s11
	s_waitcnt lgkmcnt(0)
	s_mul_i32 s11, s0, s11
	s_mul_hi_u32 s17, s0, s16
	s_add_i32 s11, s17, s11
	s_mul_i32 s1, s1, s16
	s_add_i32 s11, s11, s1
	s_mul_i32 s0, s0, s16
	s_add_u32 s2, s0, s2
	s_addc_u32 s3, s11, s3
	s_add_i32 s15, s15, -1
	s_add_u32 s12, s12, -8
	s_addc_u32 s13, s13, -1
	s_cmp_gt_u32 s15, 2
	s_cbranch_scc0 .LBB235_9
; %bb.7:                                ;   in Loop: Header=BB235_3 Depth=1
	s_mov_b64 s[16:17], s[8:9]
	s_branch .LBB235_3
.LBB235_8:                              ;   in Loop: Header=BB235_3 Depth=1
                                        ; implicit-def: $sgpr8_sgpr9
	s_branch .LBB235_5
.LBB235_9:
	s_load_dword s0, s[4:5], 0x350
	s_load_dwordx2 s[10:11], s[4:5], 0xd0
	s_mov_b64 s[16:17], 0
	s_waitcnt lgkmcnt(0)
	s_cmp_lt_i32 s0, 2
	s_cbranch_scc1 .LBB235_17
; %bb.10:
	s_mov_b32 s12, 0
	s_add_i32 s15, s0, 1
	s_add_i32 s0, s0, -1
	s_mov_b32 s1, s12
	s_lshl_b64 s[0:1], s[0:1], 3
	s_add_u32 s0, s0, s4
	s_addc_u32 s1, s1, s5
	s_add_u32 s20, s0, 0x1c0
	s_addc_u32 s21, s1, 0
.LBB235_11:                             ; =>This Inner Loop Header: Depth=1
	s_load_dwordx2 s[22:23], s[20:21], 0x0
	s_waitcnt lgkmcnt(0)
	s_or_b64 s[0:1], s[6:7], s[22:23]
	s_mov_b32 s13, s1
	s_cmp_lg_u64 s[12:13], 0
	s_cbranch_scc0 .LBB235_16
; %bb.12:                               ;   in Loop: Header=BB235_11 Depth=1
	v_cvt_f32_u32_e32 v1, s22
	v_cvt_f32_u32_e32 v2, s23
	s_sub_u32 s0, 0, s22
	s_subb_u32 s1, 0, s23
	v_mac_f32_e32 v1, 0x4f800000, v2
	v_rcp_f32_e32 v1, v1
	v_mul_f32_e32 v1, 0x5f7ffffc, v1
	v_mul_f32_e32 v2, 0x2f800000, v1
	v_trunc_f32_e32 v2, v2
	v_mac_f32_e32 v1, 0xcf800000, v2
	v_cvt_u32_f32_e32 v2, v2
	v_cvt_u32_f32_e32 v1, v1
	v_readfirstlane_b32 s13, v2
	v_readfirstlane_b32 s18, v1
	s_mul_i32 s19, s0, s13
	s_mul_hi_u32 s25, s0, s18
	s_mul_i32 s24, s1, s18
	s_add_i32 s19, s25, s19
	s_mul_i32 s26, s0, s18
	s_add_i32 s19, s19, s24
	s_mul_hi_u32 s24, s18, s19
	s_mul_i32 s25, s18, s19
	s_mul_hi_u32 s18, s18, s26
	s_add_u32 s18, s18, s25
	s_addc_u32 s24, 0, s24
	s_mul_hi_u32 s27, s13, s26
	s_mul_i32 s26, s13, s26
	s_add_u32 s18, s18, s26
	s_mul_hi_u32 s25, s13, s19
	s_addc_u32 s18, s24, s27
	s_addc_u32 s24, s25, 0
	s_mul_i32 s19, s13, s19
	s_add_u32 s18, s18, s19
	s_addc_u32 s19, 0, s24
	v_add_co_u32_e32 v1, vcc, s18, v1
	s_cmp_lg_u64 vcc, 0
	s_addc_u32 s13, s13, s19
	v_readfirstlane_b32 s19, v1
	s_mul_i32 s18, s0, s13
	s_mul_hi_u32 s24, s0, s19
	s_add_i32 s18, s24, s18
	s_mul_i32 s1, s1, s19
	s_add_i32 s18, s18, s1
	s_mul_i32 s0, s0, s19
	s_mul_hi_u32 s24, s13, s0
	s_mul_i32 s25, s13, s0
	s_mul_i32 s27, s19, s18
	s_mul_hi_u32 s0, s19, s0
	s_mul_hi_u32 s26, s19, s18
	s_add_u32 s0, s0, s27
	s_addc_u32 s19, 0, s26
	s_add_u32 s0, s0, s25
	s_mul_hi_u32 s1, s13, s18
	s_addc_u32 s0, s19, s24
	s_addc_u32 s1, s1, 0
	s_mul_i32 s18, s13, s18
	s_add_u32 s0, s0, s18
	s_addc_u32 s1, 0, s1
	v_add_co_u32_e32 v1, vcc, s0, v1
	s_cmp_lg_u64 vcc, 0
	s_addc_u32 s0, s13, s1
	v_readfirstlane_b32 s18, v1
	s_mul_i32 s13, s6, s0
	s_mul_hi_u32 s19, s6, s18
	s_mul_hi_u32 s1, s6, s0
	s_add_u32 s13, s19, s13
	s_addc_u32 s1, 0, s1
	s_mul_hi_u32 s24, s7, s18
	s_mul_i32 s18, s7, s18
	s_add_u32 s13, s13, s18
	s_mul_hi_u32 s19, s7, s0
	s_addc_u32 s1, s1, s24
	s_addc_u32 s13, s19, 0
	s_mul_i32 s0, s7, s0
	s_add_u32 s18, s1, s0
	s_addc_u32 s13, 0, s13
	s_mul_i32 s0, s22, s13
	s_mul_hi_u32 s1, s22, s18
	s_add_i32 s0, s1, s0
	s_mul_i32 s1, s23, s18
	s_add_i32 s19, s0, s1
	s_mul_i32 s1, s22, s18
	v_mov_b32_e32 v1, s1
	s_sub_i32 s0, s7, s19
	v_sub_co_u32_e32 v1, vcc, s6, v1
	s_cmp_lg_u64 vcc, 0
	s_subb_u32 s24, s0, s23
	v_subrev_co_u32_e64 v2, s[0:1], s22, v1
	s_cmp_lg_u64 s[0:1], 0
	s_subb_u32 s0, s24, 0
	s_cmp_ge_u32 s0, s23
	v_readfirstlane_b32 s24, v2
	s_cselect_b32 s1, -1, 0
	s_cmp_ge_u32 s24, s22
	s_cselect_b32 s24, -1, 0
	s_cmp_eq_u32 s0, s23
	s_cselect_b32 s0, s24, s1
	s_add_u32 s1, s18, 1
	s_addc_u32 s24, s13, 0
	s_add_u32 s25, s18, 2
	s_addc_u32 s26, s13, 0
	s_cmp_lg_u32 s0, 0
	s_cselect_b32 s0, s25, s1
	s_cselect_b32 s1, s26, s24
	s_cmp_lg_u64 vcc, 0
	s_subb_u32 s19, s7, s19
	s_cmp_ge_u32 s19, s23
	v_readfirstlane_b32 s25, v1
	s_cselect_b32 s24, -1, 0
	s_cmp_ge_u32 s25, s22
	s_cselect_b32 s25, -1, 0
	s_cmp_eq_u32 s19, s23
	s_cselect_b32 s19, s25, s24
	s_cmp_lg_u32 s19, 0
	s_cselect_b32 s19, s1, s13
	s_cselect_b32 s18, s0, s18
	s_cbranch_execnz .LBB235_14
.LBB235_13:                             ;   in Loop: Header=BB235_11 Depth=1
	v_cvt_f32_u32_e32 v1, s22
	s_sub_i32 s0, 0, s22
	s_mov_b32 s19, s12
	v_rcp_iflag_f32_e32 v1, v1
	v_mul_f32_e32 v1, 0x4f7ffffe, v1
	v_cvt_u32_f32_e32 v1, v1
	v_readfirstlane_b32 s1, v1
	s_mul_i32 s0, s0, s1
	s_mul_hi_u32 s0, s1, s0
	s_add_i32 s1, s1, s0
	s_mul_hi_u32 s0, s6, s1
	s_mul_i32 s13, s0, s22
	s_sub_i32 s13, s6, s13
	s_add_i32 s1, s0, 1
	s_sub_i32 s18, s13, s22
	s_cmp_ge_u32 s13, s22
	s_cselect_b32 s0, s1, s0
	s_cselect_b32 s13, s18, s13
	s_add_i32 s1, s0, 1
	s_cmp_ge_u32 s13, s22
	s_cselect_b32 s18, s1, s0
.LBB235_14:                             ;   in Loop: Header=BB235_11 Depth=1
	s_mul_i32 s0, s18, s23
	s_mul_hi_u32 s1, s18, s22
	s_add_i32 s13, s1, s0
	s_load_dwordx2 s[0:1], s[20:21], 0xc8
	s_mul_i32 s23, s19, s22
	s_add_i32 s13, s13, s23
	s_mul_i32 s22, s18, s22
	s_sub_u32 s6, s6, s22
	s_subb_u32 s7, s7, s13
	s_waitcnt lgkmcnt(0)
	s_mul_i32 s7, s0, s7
	s_mul_hi_u32 s13, s0, s6
	s_add_i32 s7, s13, s7
	s_mul_i32 s1, s1, s6
	s_add_i32 s7, s7, s1
	s_mul_i32 s0, s0, s6
	s_add_u32 s16, s0, s16
	s_addc_u32 s17, s7, s17
	s_add_i32 s15, s15, -1
	s_add_u32 s20, s20, -8
	s_addc_u32 s21, s21, -1
	s_cmp_gt_u32 s15, 2
	s_cbranch_scc0 .LBB235_18
; %bb.15:                               ;   in Loop: Header=BB235_11 Depth=1
	s_mov_b64 s[6:7], s[18:19]
	s_branch .LBB235_11
.LBB235_16:                             ;   in Loop: Header=BB235_11 Depth=1
                                        ; implicit-def: $sgpr18_sgpr19
	s_branch .LBB235_13
.LBB235_17:
	s_mov_b64 s[18:19], s[6:7]
.LBB235_18:
	s_mul_i32 s0, s10, s9
	s_load_dword s9, s[4:5], 0x360
	s_load_dwordx2 s[6:7], s[4:5], 0x0
	s_mul_hi_u32 s1, s10, s8
	s_add_i32 s0, s1, s0
	s_mul_i32 s1, s11, s8
	s_add_i32 s1, s0, s1
	s_waitcnt lgkmcnt(0)
	s_bitcmp1_b32 s9, 0
	s_cselect_b64 s[34:35], -1, 0
	s_mul_i32 s0, s10, s8
	s_mov_b32 s10, 0xffff
	s_and_b64 s[8:9], s[34:35], exec
	s_cselect_b32 s26, s10, 0x7fff
	s_lshl_b64 s[0:1], s[0:1], 1
	s_add_u32 s6, s6, s0
	s_addc_u32 s7, s7, s1
	s_lshl_b64 s[0:1], s[2:3], 1
	s_add_u32 s33, s6, s0
	v_and_b32_e32 v42, 0x3ff, v0
	s_addc_u32 s54, s7, s1
	v_cmp_gt_u32_e64 s[0:1], s14, v42
	v_mov_b32_e32 v2, s26
	s_and_saveexec_b64 s[2:3], s[0:1]
	s_cbranch_execz .LBB235_20
; %bb.19:
	v_mad_u64_u32 v[2:3], s[6:7], v42, s48, 0
	v_mov_b32_e32 v4, v3
	v_mad_u64_u32 v[4:5], s[6:7], v42, s49, v[4:5]
	v_mov_b32_e32 v3, v4
	v_lshlrev_b64 v[2:3], 1, v[2:3]
	v_mov_b32_e32 v1, s54
	v_add_co_u32_e32 v2, vcc, s33, v2
	v_addc_co_u32_e32 v3, vcc, v1, v3, vcc
	global_load_ushort v2, v[2:3], off
.LBB235_20:
	s_or_b64 exec, exec, s[2:3]
	v_add_u32_e32 v33, 0x200, v42
	v_cmp_gt_u32_e64 s[2:3], s14, v33
	v_mov_b32_e32 v3, s26
	s_and_saveexec_b64 s[6:7], s[2:3]
	s_cbranch_execz .LBB235_22
; %bb.21:
	v_mad_u64_u32 v[4:5], s[8:9], v33, s48, 0
	v_mov_b32_e32 v6, v5
	v_mad_u64_u32 v[6:7], s[8:9], v33, s49, v[6:7]
	v_mov_b32_e32 v5, v6
	v_lshlrev_b64 v[4:5], 1, v[4:5]
	v_mov_b32_e32 v1, s54
	v_add_co_u32_e32 v4, vcc, s33, v4
	v_addc_co_u32_e32 v5, vcc, v1, v5, vcc
	global_load_ushort v3, v[4:5], off
.LBB235_22:
	s_or_b64 exec, exec, s[6:7]
	v_or_b32_e32 v31, 0x400, v42
	v_cmp_gt_u32_e64 s[44:45], s14, v31
	v_mov_b32_e32 v4, s26
	s_and_saveexec_b64 s[6:7], s[44:45]
	s_cbranch_execz .LBB235_24
; %bb.23:
	v_mad_u64_u32 v[4:5], s[8:9], v31, s48, 0
	v_mov_b32_e32 v6, v5
	v_mad_u64_u32 v[6:7], s[8:9], v31, s49, v[6:7]
	v_mov_b32_e32 v5, v6
	v_lshlrev_b64 v[4:5], 1, v[4:5]
	v_mov_b32_e32 v1, s54
	v_add_co_u32_e32 v4, vcc, s33, v4
	v_addc_co_u32_e32 v5, vcc, v1, v5, vcc
	global_load_ushort v4, v[4:5], off
.LBB235_24:
	s_or_b64 exec, exec, s[6:7]
	v_add_u32_e32 v28, 0x600, v42
	v_cmp_gt_u32_e64 s[6:7], s14, v28
	v_mov_b32_e32 v5, s26
	s_and_saveexec_b64 s[8:9], s[6:7]
	s_cbranch_execz .LBB235_26
; %bb.25:
	v_mad_u64_u32 v[6:7], s[10:11], v28, s48, 0
	v_mov_b32_e32 v8, v7
	v_mad_u64_u32 v[8:9], s[10:11], v28, s49, v[8:9]
	v_mov_b32_e32 v7, v8
	v_lshlrev_b64 v[6:7], 1, v[6:7]
	v_mov_b32_e32 v1, s54
	v_add_co_u32_e32 v6, vcc, s33, v6
	v_addc_co_u32_e32 v7, vcc, v1, v7, vcc
	global_load_ushort v5, v[6:7], off
.LBB235_26:
	s_or_b64 exec, exec, s[8:9]
	v_or_b32_e32 v25, 0x800, v42
	v_cmp_gt_u32_e64 s[8:9], s14, v25
	v_mov_b32_e32 v6, s26
	s_and_saveexec_b64 s[10:11], s[8:9]
	s_cbranch_execz .LBB235_28
; %bb.27:
	v_mad_u64_u32 v[6:7], s[12:13], v25, s48, 0
	v_mov_b32_e32 v8, v7
	v_mad_u64_u32 v[8:9], s[12:13], v25, s49, v[8:9]
	v_mov_b32_e32 v7, v8
	v_lshlrev_b64 v[6:7], 1, v[6:7]
	v_mov_b32_e32 v1, s54
	v_add_co_u32_e32 v6, vcc, s33, v6
	v_addc_co_u32_e32 v7, vcc, v1, v7, vcc
	global_load_ushort v6, v[6:7], off
.LBB235_28:
	s_or_b64 exec, exec, s[10:11]
	v_add_u32_e32 v23, 0xa00, v42
	v_cmp_gt_u32_e64 s[10:11], s14, v23
	v_mov_b32_e32 v7, s26
	s_and_saveexec_b64 s[12:13], s[10:11]
	s_cbranch_execz .LBB235_30
; %bb.29:
	v_mad_u64_u32 v[8:9], s[20:21], v23, s48, 0
	v_mov_b32_e32 v10, v9
	v_mad_u64_u32 v[10:11], s[20:21], v23, s49, v[10:11]
	v_mov_b32_e32 v9, v10
	v_lshlrev_b64 v[8:9], 1, v[8:9]
	v_mov_b32_e32 v1, s54
	v_add_co_u32_e32 v8, vcc, s33, v8
	v_addc_co_u32_e32 v9, vcc, v1, v9, vcc
	global_load_ushort v7, v[8:9], off
.LBB235_30:
	s_or_b64 exec, exec, s[12:13]
	s_load_dwordx2 s[22:23], s[4:5], 0x288
	s_load_dwordx2 s[20:21], s[4:5], 0x1b8
	v_or_b32_e32 v22, 0xc00, v42
	v_cmp_gt_u32_e64 s[12:13], s14, v22
	v_mov_b32_e32 v8, s26
	s_and_saveexec_b64 s[24:25], s[12:13]
	s_cbranch_execz .LBB235_32
; %bb.31:
	v_mad_u64_u32 v[8:9], s[28:29], v22, s48, 0
	v_mov_b32_e32 v10, v9
	v_mad_u64_u32 v[10:11], s[28:29], v22, s49, v[10:11]
	v_mov_b32_e32 v9, v10
	v_lshlrev_b64 v[8:9], 1, v[8:9]
	v_mov_b32_e32 v1, s54
	v_add_co_u32_e32 v8, vcc, s33, v8
	v_addc_co_u32_e32 v9, vcc, v1, v9, vcc
	global_load_ushort v8, v[8:9], off
.LBB235_32:
	s_or_b64 exec, exec, s[24:25]
	v_add_u32_e32 v1, 0xe00, v42
	v_cmp_gt_u32_e64 s[14:15], s14, v1
	v_mov_b32_e32 v9, s26
	s_and_saveexec_b64 s[24:25], s[14:15]
	s_cbranch_execz .LBB235_34
; %bb.33:
	v_mad_u64_u32 v[10:11], s[26:27], v1, s48, 0
	v_mov_b32_e32 v12, v11
	v_mad_u64_u32 v[12:13], s[26:27], v1, s49, v[12:13]
	v_mov_b32_e32 v11, v12
	v_lshlrev_b64 v[10:11], 1, v[10:11]
	v_mov_b32_e32 v9, s54
	v_add_co_u32_e32 v10, vcc, s33, v10
	v_addc_co_u32_e32 v11, vcc, v9, v11, vcc
	global_load_ushort v9, v[10:11], off
.LBB235_34:
	s_or_b64 exec, exec, s[24:25]
	v_lshrrev_b32_e32 v36, 5, v42
	v_and_b32_e32 v10, 30, v36
	v_add_lshl_u32 v43, v10, v42, 1
	v_lshrrev_b32_e32 v35, 5, v33
	s_waitcnt vmcnt(0)
	ds_write_b16 v43, v2
	v_and_b32_e32 v2, 62, v35
	v_lshrrev_b32_e32 v34, 5, v31
	v_add_lshl_u32 v44, v2, v42, 1
	v_and_b32_e32 v2, 62, v34
	v_lshrrev_b32_e32 v32, 5, v28
	v_add_lshl_u32 v45, v2, v42, 1
	;; [unrolled: 3-line block ×3, first 2 shown]
	v_and_b32_e32 v2, 0x5e, v30
	v_lshrrev_b32_e32 v29, 5, v23
	s_waitcnt lgkmcnt(0)
	s_mul_i32 s19, s22, s19
	s_mul_hi_u32 s24, s22, s18
	v_add_lshl_u32 v47, v2, v42, 1
	v_and_b32_e32 v2, 0x7e, v29
	v_lshrrev_b32_e32 v26, 5, v22
	s_add_i32 s19, s24, s19
	s_mul_i32 s23, s23, s18
	v_add_lshl_u32 v48, v2, v42, 1
	v_and_b32_e32 v2, 0x7e, v26
	v_lshrrev_b32_e32 v24, 5, v1
	s_add_i32 s19, s19, s23
	s_mul_i32 s18, s22, s18
	v_add_lshl_u32 v49, v2, v42, 1
	v_and_b32_e32 v2, 0xfe, v24
	v_lshrrev_b32_e32 v27, 2, v42
	s_lshl_b64 s[18:19], s[18:19], 3
	v_add_lshl_u32 v50, v2, v42, 1
	v_lshlrev_b32_e32 v60, 3, v42
	v_and_b32_e32 v2, 0xfe, v27
	s_add_u32 s18, s20, s18
	v_add_lshl_u32 v51, v2, v60, 1
	s_addc_u32 s19, s21, s19
	s_lshl_b64 s[16:17], s[16:17], 3
	s_load_dwordx2 s[50:51], s[4:5], 0x358
	ds_write_b16 v44, v3 offset:1024
	ds_write_b16 v45, v4 offset:2048
	;; [unrolled: 1-line block ×7, first 2 shown]
	s_waitcnt lgkmcnt(0)
	s_barrier
	ds_read_b128 v[18:21], v51
	s_add_u32 s55, s18, s16
	s_mov_b32 s16, 0
	s_addc_u32 s56, s19, s17
	s_mov_b32 s17, s16
	s_mov_b32 s18, s16
	;; [unrolled: 1-line block ×15, first 2 shown]
	v_pk_mov_b32 v[2:3], s[16:17], s[16:17] op_sel:[0,1]
	v_pk_mov_b32 v[4:5], s[18:19], s[18:19] op_sel:[0,1]
	;; [unrolled: 1-line block ×8, first 2 shown]
	v_pk_mov_b32 v[2:3], 0, 0
	s_waitcnt lgkmcnt(0)
	s_barrier
	s_and_saveexec_b64 s[4:5], s[0:1]
	s_cbranch_execnz .LBB235_89
; %bb.35:
	s_or_b64 exec, exec, s[4:5]
	s_and_saveexec_b64 s[4:5], s[2:3]
	s_cbranch_execnz .LBB235_90
.LBB235_36:
	s_or_b64 exec, exec, s[4:5]
	s_and_saveexec_b64 s[4:5], s[44:45]
	s_cbranch_execnz .LBB235_91
.LBB235_37:
	s_or_b64 exec, exec, s[4:5]
	s_and_saveexec_b64 s[4:5], s[6:7]
	s_cbranch_execnz .LBB235_92
.LBB235_38:
	s_or_b64 exec, exec, s[4:5]
	s_and_saveexec_b64 s[4:5], s[8:9]
	s_cbranch_execnz .LBB235_93
.LBB235_39:
	s_or_b64 exec, exec, s[4:5]
	s_and_saveexec_b64 s[4:5], s[10:11]
	s_cbranch_execnz .LBB235_94
.LBB235_40:
	s_or_b64 exec, exec, s[4:5]
	s_and_saveexec_b64 s[4:5], s[12:13]
	s_cbranch_execnz .LBB235_95
.LBB235_41:
	s_or_b64 exec, exec, s[4:5]
	s_xor_b64 s[4:5], s[34:35], -1
	s_and_saveexec_b64 s[16:17], s[14:15]
	s_cbranch_execz .LBB235_43
.LBB235_42:
	v_mad_u64_u32 v[16:17], s[18:19], v1, s50, 0
	v_mov_b32_e32 v22, v17
	v_mad_u64_u32 v[22:23], s[18:19], v1, s51, v[22:23]
	v_mov_b32_e32 v17, v22
	v_lshlrev_b64 v[16:17], 3, v[16:17]
	v_mov_b32_e32 v1, s56
	v_add_co_u32_e32 v16, vcc, s55, v16
	v_addc_co_u32_e32 v17, vcc, v1, v17, vcc
	global_load_dwordx2 v[16:17], v[16:17], off
.LBB235_43:
	s_or_b64 exec, exec, s[16:17]
	v_add_lshl_u32 v52, v36, v42, 3
	v_add_lshl_u32 v53, v35, v42, 3
	;; [unrolled: 1-line block ×9, first 2 shown]
	s_waitcnt vmcnt(0)
	ds_write_b64 v52, v[2:3]
	ds_write_b64 v53, v[4:5] offset:4096
	ds_write_b64 v54, v[6:7] offset:8192
	;; [unrolled: 1-line block ×7, first 2 shown]
	s_waitcnt lgkmcnt(0)
	s_barrier
	ds_read2_b64 v[14:17], v61 offset1:1
	ds_read2_b64 v[10:13], v61 offset0:2 offset1:3
	ds_read2_b64 v[6:9], v61 offset0:4 offset1:5
	;; [unrolled: 1-line block ×3, first 2 shown]
	s_and_b64 vcc, exec, s[4:5]
	v_bfe_u32 v63, v0, 10, 10
	v_bfe_u32 v64, v0, 20, 10
	v_mbcnt_lo_u32_b32 v65, -1, 0
	v_lshlrev_b32_e32 v62, 4, v42
	s_waitcnt lgkmcnt(0)
	s_barrier
	s_cbranch_vccz .LBB235_96
; %bb.44:
	s_movk_i32 s4, 0x8000
	v_pk_ashrrev_i16 v24, 15, v18 op_sel_hi:[0,1]
	v_or_b32_e32 v25, 0xffff8000, v24
	v_or_b32_sdwa v24, v24, s4 dst_sel:DWORD dst_unused:UNUSED_PAD src0_sel:WORD_1 src1_sel:DWORD
	v_pk_ashrrev_i16 v22, 15, v19 op_sel_hi:[0,1]
	v_xor_b32_sdwa v26, v24, v18 dst_sel:DWORD dst_unused:UNUSED_PAD src0_sel:DWORD src1_sel:WORD_1
	v_pk_ashrrev_i16 v24, 15, v21 op_sel_hi:[0,1]
	v_pk_ashrrev_i16 v28, 15, v20 op_sel_hi:[0,1]
	v_mbcnt_hi_u32_b32 v74, -1, v65
	v_and_b32_e32 v40, 0x3c0, v42
	v_or_b32_e32 v23, 0xffff8000, v22
	v_or_b32_sdwa v22, v22, s4 dst_sel:DWORD dst_unused:UNUSED_PAD src0_sel:WORD_1 src1_sel:DWORD
	v_xor_b32_e32 v27, v25, v18
	v_or_b32_e32 v25, 0xffff8000, v24
	v_or_b32_e32 v29, 0xffff8000, v28
	v_or_b32_sdwa v24, v24, s4 dst_sel:DWORD dst_unused:UNUSED_PAD src0_sel:WORD_1 src1_sel:DWORD
	v_or_b32_sdwa v28, v28, s4 dst_sel:DWORD dst_unused:UNUSED_PAD src0_sel:WORD_1 src1_sel:DWORD
	v_add_u32_e32 v0, v74, v40
	v_xor_b32_sdwa v22, v22, v19 dst_sel:DWORD dst_unused:UNUSED_PAD src0_sel:DWORD src1_sel:WORD_1
	v_xor_b32_e32 v23, v23, v19
	v_xor_b32_sdwa v28, v28, v20 dst_sel:DWORD dst_unused:UNUSED_PAD src0_sel:DWORD src1_sel:WORD_1
	v_xor_b32_sdwa v24, v24, v21 dst_sel:DWORD dst_unused:UNUSED_PAD src0_sel:DWORD src1_sel:WORD_1
	v_xor_b32_e32 v29, v29, v20
	v_xor_b32_e32 v25, v25, v21
	s_mov_b32 s4, 0x5040100
	v_lshlrev_b32_e32 v1, 4, v0
	v_perm_b32 v25, v24, v25, s4
	v_perm_b32 v24, v28, v29, s4
	;; [unrolled: 1-line block ×4, first 2 shown]
	v_and_b32_e32 v80, 0x1e00, v60
	ds_write_b128 v1, v[22:25]
	v_or_b32_e32 v1, v74, v80
	v_lshlrev_b32_e32 v22, 1, v1
	v_lshlrev_b32_e32 v0, 6, v0
	; wave barrier
	ds_read_u16 v77, v22
	ds_read_u16 v76, v22 offset:128
	ds_read_u16 v75, v22 offset:256
	;; [unrolled: 1-line block ×7, first 2 shown]
	s_waitcnt lgkmcnt(0)
	s_barrier
	ds_write2_b64 v0, v[14:15], v[16:17] offset1:1
	ds_write2_b64 v0, v[10:11], v[12:13] offset0:2 offset1:3
	ds_write2_b64 v0, v[6:7], v[8:9] offset0:4 offset1:5
	;; [unrolled: 1-line block ×3, first 2 shown]
	v_lshlrev_b32_e32 v0, 3, v1
	; wave barrier
	ds_read2st64_b64 v[34:37], v0 offset1:1
	ds_read2st64_b64 v[30:33], v0 offset0:2 offset1:3
	ds_read2st64_b64 v[26:29], v0 offset0:4 offset1:5
	;; [unrolled: 1-line block ×3, first 2 shown]
	s_waitcnt lgkmcnt(0)
	s_barrier
	s_load_dword s16, s[52:53], 0xc
	s_getpc_b64 s[4:5]
	s_add_u32 s4, s4, _ZN7rocprim17ROCPRIM_400000_NS16block_radix_sortI6__halfLj512ELj8ElLj1ELj1ELj0ELNS0_26block_radix_rank_algorithmE1ELNS0_18block_padding_hintE2ELNS0_4arch9wavefront6targetE1EE19radix_bits_per_passE@rel32@lo+4
	s_addc_u32 s5, s5, _ZN7rocprim17ROCPRIM_400000_NS16block_radix_sortI6__halfLj512ELj8ElLj1ELj1ELj0ELNS0_26block_radix_rank_algorithmE1ELNS0_18block_padding_hintE2ELNS0_4arch9wavefront6targetE1EE19radix_bits_per_passE@rel32@hi+12
	s_load_dword s46, s[4:5], 0x0
	s_movk_i32 s17, 0x7fff
	v_mov_b32_e32 v41, 0xffff8000
	s_waitcnt lgkmcnt(0)
	s_lshr_b32 s4, s16, 16
	s_and_b32 s5, s16, 0xffff
	v_mad_u32_u24 v1, v64, s4, v63
	v_mad_u64_u32 v[38:39], s[4:5], v1, s5, v[42:43]
	s_min_u32 s4, s46, 16
	s_lshl_b32 s4, -1, s4
	v_cmp_ne_u16_e32 vcc, s17, v77
	s_not_b32 s16, s4
	v_cndmask_b32_e32 v1, v41, v77, vcc
	v_lshrrev_b32_e32 v66, 6, v38
	v_and_b32_sdwa v38, s16, v1 dst_sel:DWORD dst_unused:UNUSED_PAD src0_sel:DWORD src1_sel:WORD_0
	v_lshlrev_b32_e32 v1, 3, v38
	v_add_lshl_u32 v81, v66, v1, 2
	v_and_b32_e32 v1, 1, v38
	v_add_co_u32_e32 v39, vcc, -1, v1
	v_addc_co_u32_e64 v67, s[4:5], 0, -1, vcc
	v_cmp_ne_u32_e32 vcc, 0, v1
	v_xor_b32_e32 v1, vcc_hi, v67
	v_mov_b32_e32 v0, 0
	v_and_b32_e32 v67, exec_hi, v1
	v_lshlrev_b32_e32 v1, 30, v38
	v_xor_b32_e32 v39, vcc_lo, v39
	v_cmp_gt_i64_e32 vcc, 0, v[0:1]
	v_not_b32_e32 v1, v1
	v_ashrrev_i32_e32 v1, 31, v1
	v_and_b32_e32 v39, exec_lo, v39
	v_xor_b32_e32 v68, vcc_hi, v1
	v_xor_b32_e32 v1, vcc_lo, v1
	v_and_b32_e32 v39, v39, v1
	v_lshlrev_b32_e32 v1, 29, v38
	v_cmp_gt_i64_e32 vcc, 0, v[0:1]
	v_not_b32_e32 v1, v1
	v_ashrrev_i32_e32 v1, 31, v1
	v_and_b32_e32 v67, v67, v68
	v_xor_b32_e32 v68, vcc_hi, v1
	v_xor_b32_e32 v1, vcc_lo, v1
	v_and_b32_e32 v39, v39, v1
	v_lshlrev_b32_e32 v1, 28, v38
	v_cmp_gt_i64_e32 vcc, 0, v[0:1]
	v_not_b32_e32 v1, v1
	v_ashrrev_i32_e32 v1, 31, v1
	v_and_b32_e32 v67, v67, v68
	;; [unrolled: 8-line block ×5, first 2 shown]
	v_xor_b32_e32 v68, vcc_hi, v1
	v_xor_b32_e32 v1, vcc_lo, v1
	v_and_b32_e32 v67, v67, v68
	v_and_b32_e32 v68, v39, v1
	v_lshlrev_b32_e32 v1, 24, v38
	v_cmp_gt_i64_e32 vcc, 0, v[0:1]
	v_not_b32_e32 v1, v1
	v_ashrrev_i32_e32 v1, 31, v1
	v_xor_b32_e32 v38, vcc_hi, v1
	v_xor_b32_e32 v1, vcc_lo, v1
	v_and_b32_e32 v39, v67, v38
	v_and_b32_e32 v38, v68, v1
	v_mbcnt_lo_u32_b32 v1, v38, 0
	v_mbcnt_hi_u32_b32 v82, v39, v1
	v_cmp_eq_u32_e32 vcc, 0, v82
	v_cmp_ne_u64_e64 s[4:5], 0, v[38:39]
	s_and_b64 s[18:19], s[4:5], vcc
	ds_write2_b32 v62, v0, v0 offset0:8 offset1:9
	ds_write2_b32 v62, v0, v0 offset0:10 offset1:11
	s_waitcnt lgkmcnt(0)
	s_barrier
	s_waitcnt lgkmcnt(0)
	; wave barrier
	s_and_saveexec_b64 s[4:5], s[18:19]
	s_cbranch_execz .LBB235_46
; %bb.45:
	v_bcnt_u32_b32 v1, v38, 0
	v_bcnt_u32_b32 v1, v39, v1
	ds_write_b32 v81, v1 offset:32
.LBB235_46:
	s_or_b64 exec, exec, s[4:5]
	v_cmp_ne_u16_e32 vcc, s17, v76
	v_cndmask_b32_e32 v1, v41, v76, vcc
	v_and_b32_sdwa v38, s16, v1 dst_sel:DWORD dst_unused:UNUSED_PAD src0_sel:DWORD src1_sel:WORD_0
	v_lshlrev_b32_e32 v1, 3, v38
	v_add_lshl_u32 v84, v66, v1, 2
	v_and_b32_e32 v1, 1, v38
	v_add_co_u32_e32 v39, vcc, -1, v1
	v_addc_co_u32_e64 v41, s[4:5], 0, -1, vcc
	v_cmp_ne_u32_e32 vcc, 0, v1
	v_xor_b32_e32 v1, vcc_hi, v41
	v_and_b32_e32 v41, exec_hi, v1
	v_lshlrev_b32_e32 v1, 30, v38
	v_xor_b32_e32 v39, vcc_lo, v39
	v_cmp_gt_i64_e32 vcc, 0, v[0:1]
	v_not_b32_e32 v1, v1
	v_ashrrev_i32_e32 v1, 31, v1
	v_and_b32_e32 v39, exec_lo, v39
	v_xor_b32_e32 v67, vcc_hi, v1
	v_xor_b32_e32 v1, vcc_lo, v1
	v_and_b32_e32 v39, v39, v1
	v_lshlrev_b32_e32 v1, 29, v38
	v_cmp_gt_i64_e32 vcc, 0, v[0:1]
	v_not_b32_e32 v1, v1
	v_ashrrev_i32_e32 v1, 31, v1
	v_and_b32_e32 v41, v41, v67
	v_xor_b32_e32 v67, vcc_hi, v1
	v_xor_b32_e32 v1, vcc_lo, v1
	v_and_b32_e32 v39, v39, v1
	v_lshlrev_b32_e32 v1, 28, v38
	v_cmp_gt_i64_e32 vcc, 0, v[0:1]
	v_not_b32_e32 v1, v1
	v_ashrrev_i32_e32 v1, 31, v1
	v_and_b32_e32 v41, v41, v67
	;; [unrolled: 8-line block ×5, first 2 shown]
	v_xor_b32_e32 v67, vcc_hi, v1
	v_xor_b32_e32 v1, vcc_lo, v1
	v_and_b32_e32 v39, v39, v1
	v_lshlrev_b32_e32 v1, 24, v38
	v_cmp_gt_i64_e32 vcc, 0, v[0:1]
	v_not_b32_e32 v0, v1
	v_ashrrev_i32_e32 v0, 31, v0
	v_xor_b32_e32 v1, vcc_hi, v0
	v_xor_b32_e32 v0, vcc_lo, v0
	; wave barrier
	ds_read_b32 v83, v84 offset:32
	v_and_b32_e32 v41, v41, v67
	v_and_b32_e32 v0, v39, v0
	;; [unrolled: 1-line block ×3, first 2 shown]
	v_mbcnt_lo_u32_b32 v38, v0, 0
	v_mbcnt_hi_u32_b32 v85, v1, v38
	v_cmp_eq_u32_e32 vcc, 0, v85
	v_cmp_ne_u64_e64 s[4:5], 0, v[0:1]
	s_and_b64 s[18:19], s[4:5], vcc
	; wave barrier
	s_and_saveexec_b64 s[4:5], s[18:19]
	s_cbranch_execz .LBB235_48
; %bb.47:
	v_bcnt_u32_b32 v0, v0, 0
	v_bcnt_u32_b32 v0, v1, v0
	s_waitcnt lgkmcnt(0)
	v_add_u32_e32 v0, v83, v0
	ds_write_b32 v84, v0 offset:32
.LBB235_48:
	s_or_b64 exec, exec, s[4:5]
	v_mov_b32_e32 v41, 0xffff8000
	v_cmp_ne_u16_e32 vcc, s17, v75
	v_cndmask_b32_e32 v0, v41, v75, vcc
	v_and_b32_sdwa v38, s16, v0 dst_sel:DWORD dst_unused:UNUSED_PAD src0_sel:DWORD src1_sel:WORD_0
	v_and_b32_e32 v1, 1, v38
	v_add_co_u32_e32 v39, vcc, -1, v1
	v_addc_co_u32_e64 v67, s[4:5], 0, -1, vcc
	v_cmp_ne_u32_e32 vcc, 0, v1
	v_lshlrev_b32_e32 v0, 3, v38
	v_xor_b32_e32 v1, vcc_hi, v67
	v_add_lshl_u32 v87, v66, v0, 2
	v_mov_b32_e32 v0, 0
	v_and_b32_e32 v67, exec_hi, v1
	v_lshlrev_b32_e32 v1, 30, v38
	v_xor_b32_e32 v39, vcc_lo, v39
	v_cmp_gt_i64_e32 vcc, 0, v[0:1]
	v_not_b32_e32 v1, v1
	v_ashrrev_i32_e32 v1, 31, v1
	v_and_b32_e32 v39, exec_lo, v39
	v_xor_b32_e32 v68, vcc_hi, v1
	v_xor_b32_e32 v1, vcc_lo, v1
	v_and_b32_e32 v39, v39, v1
	v_lshlrev_b32_e32 v1, 29, v38
	v_cmp_gt_i64_e32 vcc, 0, v[0:1]
	v_not_b32_e32 v1, v1
	v_ashrrev_i32_e32 v1, 31, v1
	v_and_b32_e32 v67, v67, v68
	v_xor_b32_e32 v68, vcc_hi, v1
	v_xor_b32_e32 v1, vcc_lo, v1
	v_and_b32_e32 v39, v39, v1
	v_lshlrev_b32_e32 v1, 28, v38
	v_cmp_gt_i64_e32 vcc, 0, v[0:1]
	v_not_b32_e32 v1, v1
	v_ashrrev_i32_e32 v1, 31, v1
	v_and_b32_e32 v67, v67, v68
	;; [unrolled: 8-line block ×5, first 2 shown]
	v_xor_b32_e32 v68, vcc_hi, v1
	v_xor_b32_e32 v1, vcc_lo, v1
	v_and_b32_e32 v67, v67, v68
	v_and_b32_e32 v68, v39, v1
	v_lshlrev_b32_e32 v1, 24, v38
	v_cmp_gt_i64_e32 vcc, 0, v[0:1]
	v_not_b32_e32 v1, v1
	v_ashrrev_i32_e32 v1, 31, v1
	v_xor_b32_e32 v38, vcc_hi, v1
	v_xor_b32_e32 v1, vcc_lo, v1
	; wave barrier
	ds_read_b32 v86, v87 offset:32
	v_and_b32_e32 v39, v67, v38
	v_and_b32_e32 v38, v68, v1
	v_mbcnt_lo_u32_b32 v1, v38, 0
	v_mbcnt_hi_u32_b32 v88, v39, v1
	v_cmp_eq_u32_e32 vcc, 0, v88
	v_cmp_ne_u64_e64 s[4:5], 0, v[38:39]
	s_and_b64 s[18:19], s[4:5], vcc
	; wave barrier
	s_and_saveexec_b64 s[4:5], s[18:19]
	s_cbranch_execz .LBB235_50
; %bb.49:
	v_bcnt_u32_b32 v1, v38, 0
	v_bcnt_u32_b32 v1, v39, v1
	s_waitcnt lgkmcnt(0)
	v_add_u32_e32 v1, v86, v1
	ds_write_b32 v87, v1 offset:32
.LBB235_50:
	s_or_b64 exec, exec, s[4:5]
	v_cmp_ne_u16_e32 vcc, s17, v73
	v_cndmask_b32_e32 v1, v41, v73, vcc
	v_and_b32_sdwa v38, s16, v1 dst_sel:DWORD dst_unused:UNUSED_PAD src0_sel:DWORD src1_sel:WORD_0
	v_lshlrev_b32_e32 v1, 3, v38
	v_add_lshl_u32 v90, v66, v1, 2
	v_and_b32_e32 v1, 1, v38
	v_add_co_u32_e32 v39, vcc, -1, v1
	v_addc_co_u32_e64 v41, s[4:5], 0, -1, vcc
	v_cmp_ne_u32_e32 vcc, 0, v1
	v_xor_b32_e32 v1, vcc_hi, v41
	v_and_b32_e32 v41, exec_hi, v1
	v_lshlrev_b32_e32 v1, 30, v38
	v_xor_b32_e32 v39, vcc_lo, v39
	v_cmp_gt_i64_e32 vcc, 0, v[0:1]
	v_not_b32_e32 v1, v1
	v_ashrrev_i32_e32 v1, 31, v1
	v_and_b32_e32 v39, exec_lo, v39
	v_xor_b32_e32 v67, vcc_hi, v1
	v_xor_b32_e32 v1, vcc_lo, v1
	v_and_b32_e32 v39, v39, v1
	v_lshlrev_b32_e32 v1, 29, v38
	v_cmp_gt_i64_e32 vcc, 0, v[0:1]
	v_not_b32_e32 v1, v1
	v_ashrrev_i32_e32 v1, 31, v1
	v_and_b32_e32 v41, v41, v67
	v_xor_b32_e32 v67, vcc_hi, v1
	v_xor_b32_e32 v1, vcc_lo, v1
	v_and_b32_e32 v39, v39, v1
	v_lshlrev_b32_e32 v1, 28, v38
	v_cmp_gt_i64_e32 vcc, 0, v[0:1]
	v_not_b32_e32 v1, v1
	v_ashrrev_i32_e32 v1, 31, v1
	v_and_b32_e32 v41, v41, v67
	;; [unrolled: 8-line block ×5, first 2 shown]
	v_xor_b32_e32 v67, vcc_hi, v1
	v_xor_b32_e32 v1, vcc_lo, v1
	v_and_b32_e32 v39, v39, v1
	v_lshlrev_b32_e32 v1, 24, v38
	v_cmp_gt_i64_e32 vcc, 0, v[0:1]
	v_not_b32_e32 v0, v1
	v_ashrrev_i32_e32 v0, 31, v0
	v_xor_b32_e32 v1, vcc_hi, v0
	v_xor_b32_e32 v0, vcc_lo, v0
	; wave barrier
	ds_read_b32 v89, v90 offset:32
	v_and_b32_e32 v41, v41, v67
	v_and_b32_e32 v0, v39, v0
	;; [unrolled: 1-line block ×3, first 2 shown]
	v_mbcnt_lo_u32_b32 v38, v0, 0
	v_mbcnt_hi_u32_b32 v91, v1, v38
	v_cmp_eq_u32_e32 vcc, 0, v91
	v_cmp_ne_u64_e64 s[4:5], 0, v[0:1]
	s_and_b64 s[18:19], s[4:5], vcc
	; wave barrier
	s_and_saveexec_b64 s[4:5], s[18:19]
	s_cbranch_execz .LBB235_52
; %bb.51:
	v_bcnt_u32_b32 v0, v0, 0
	v_bcnt_u32_b32 v0, v1, v0
	s_waitcnt lgkmcnt(0)
	v_add_u32_e32 v0, v89, v0
	ds_write_b32 v90, v0 offset:32
.LBB235_52:
	s_or_b64 exec, exec, s[4:5]
	v_mov_b32_e32 v41, 0xffff8000
	v_cmp_ne_u16_e32 vcc, s17, v72
	v_cndmask_b32_e32 v0, v41, v72, vcc
	v_and_b32_sdwa v38, s16, v0 dst_sel:DWORD dst_unused:UNUSED_PAD src0_sel:DWORD src1_sel:WORD_0
	v_and_b32_e32 v1, 1, v38
	v_add_co_u32_e32 v39, vcc, -1, v1
	v_addc_co_u32_e64 v67, s[4:5], 0, -1, vcc
	v_cmp_ne_u32_e32 vcc, 0, v1
	v_lshlrev_b32_e32 v0, 3, v38
	v_xor_b32_e32 v1, vcc_hi, v67
	v_add_lshl_u32 v93, v66, v0, 2
	v_mov_b32_e32 v0, 0
	v_and_b32_e32 v67, exec_hi, v1
	v_lshlrev_b32_e32 v1, 30, v38
	v_xor_b32_e32 v39, vcc_lo, v39
	v_cmp_gt_i64_e32 vcc, 0, v[0:1]
	v_not_b32_e32 v1, v1
	v_ashrrev_i32_e32 v1, 31, v1
	v_and_b32_e32 v39, exec_lo, v39
	v_xor_b32_e32 v68, vcc_hi, v1
	v_xor_b32_e32 v1, vcc_lo, v1
	v_and_b32_e32 v39, v39, v1
	v_lshlrev_b32_e32 v1, 29, v38
	v_cmp_gt_i64_e32 vcc, 0, v[0:1]
	v_not_b32_e32 v1, v1
	v_ashrrev_i32_e32 v1, 31, v1
	v_and_b32_e32 v67, v67, v68
	v_xor_b32_e32 v68, vcc_hi, v1
	v_xor_b32_e32 v1, vcc_lo, v1
	v_and_b32_e32 v39, v39, v1
	v_lshlrev_b32_e32 v1, 28, v38
	v_cmp_gt_i64_e32 vcc, 0, v[0:1]
	v_not_b32_e32 v1, v1
	v_ashrrev_i32_e32 v1, 31, v1
	v_and_b32_e32 v67, v67, v68
	;; [unrolled: 8-line block ×5, first 2 shown]
	v_xor_b32_e32 v68, vcc_hi, v1
	v_xor_b32_e32 v1, vcc_lo, v1
	v_and_b32_e32 v67, v67, v68
	v_and_b32_e32 v68, v39, v1
	v_lshlrev_b32_e32 v1, 24, v38
	v_cmp_gt_i64_e32 vcc, 0, v[0:1]
	v_not_b32_e32 v1, v1
	v_ashrrev_i32_e32 v1, 31, v1
	v_xor_b32_e32 v38, vcc_hi, v1
	v_xor_b32_e32 v1, vcc_lo, v1
	; wave barrier
	ds_read_b32 v92, v93 offset:32
	v_and_b32_e32 v39, v67, v38
	v_and_b32_e32 v38, v68, v1
	v_mbcnt_lo_u32_b32 v1, v38, 0
	v_mbcnt_hi_u32_b32 v94, v39, v1
	v_cmp_eq_u32_e32 vcc, 0, v94
	v_cmp_ne_u64_e64 s[4:5], 0, v[38:39]
	s_and_b64 s[18:19], s[4:5], vcc
	; wave barrier
	s_and_saveexec_b64 s[4:5], s[18:19]
	s_cbranch_execz .LBB235_54
; %bb.53:
	v_bcnt_u32_b32 v1, v38, 0
	v_bcnt_u32_b32 v1, v39, v1
	s_waitcnt lgkmcnt(0)
	v_add_u32_e32 v1, v92, v1
	ds_write_b32 v93, v1 offset:32
.LBB235_54:
	s_or_b64 exec, exec, s[4:5]
	v_cmp_ne_u16_e32 vcc, s17, v71
	v_cndmask_b32_e32 v1, v41, v71, vcc
	v_and_b32_sdwa v38, s16, v1 dst_sel:DWORD dst_unused:UNUSED_PAD src0_sel:DWORD src1_sel:WORD_0
	v_lshlrev_b32_e32 v1, 3, v38
	v_add_lshl_u32 v96, v66, v1, 2
	v_and_b32_e32 v1, 1, v38
	v_add_co_u32_e32 v39, vcc, -1, v1
	v_addc_co_u32_e64 v41, s[4:5], 0, -1, vcc
	v_cmp_ne_u32_e32 vcc, 0, v1
	v_xor_b32_e32 v1, vcc_hi, v41
	v_and_b32_e32 v41, exec_hi, v1
	v_lshlrev_b32_e32 v1, 30, v38
	v_xor_b32_e32 v39, vcc_lo, v39
	v_cmp_gt_i64_e32 vcc, 0, v[0:1]
	v_not_b32_e32 v1, v1
	v_ashrrev_i32_e32 v1, 31, v1
	v_and_b32_e32 v39, exec_lo, v39
	v_xor_b32_e32 v67, vcc_hi, v1
	v_xor_b32_e32 v1, vcc_lo, v1
	v_and_b32_e32 v39, v39, v1
	v_lshlrev_b32_e32 v1, 29, v38
	v_cmp_gt_i64_e32 vcc, 0, v[0:1]
	v_not_b32_e32 v1, v1
	v_ashrrev_i32_e32 v1, 31, v1
	v_and_b32_e32 v41, v41, v67
	v_xor_b32_e32 v67, vcc_hi, v1
	v_xor_b32_e32 v1, vcc_lo, v1
	v_and_b32_e32 v39, v39, v1
	v_lshlrev_b32_e32 v1, 28, v38
	v_cmp_gt_i64_e32 vcc, 0, v[0:1]
	v_not_b32_e32 v1, v1
	v_ashrrev_i32_e32 v1, 31, v1
	v_and_b32_e32 v41, v41, v67
	v_xor_b32_e32 v67, vcc_hi, v1
	v_xor_b32_e32 v1, vcc_lo, v1
	v_and_b32_e32 v39, v39, v1
	v_lshlrev_b32_e32 v1, 27, v38
	v_cmp_gt_i64_e32 vcc, 0, v[0:1]
	v_not_b32_e32 v1, v1
	v_ashrrev_i32_e32 v1, 31, v1
	v_and_b32_e32 v41, v41, v67
	v_xor_b32_e32 v67, vcc_hi, v1
	v_xor_b32_e32 v1, vcc_lo, v1
	v_and_b32_e32 v39, v39, v1
	v_lshlrev_b32_e32 v1, 26, v38
	v_cmp_gt_i64_e32 vcc, 0, v[0:1]
	v_not_b32_e32 v1, v1
	v_ashrrev_i32_e32 v1, 31, v1
	v_and_b32_e32 v41, v41, v67
	v_xor_b32_e32 v67, vcc_hi, v1
	v_xor_b32_e32 v1, vcc_lo, v1
	v_and_b32_e32 v39, v39, v1
	v_lshlrev_b32_e32 v1, 25, v38
	v_cmp_gt_i64_e32 vcc, 0, v[0:1]
	v_not_b32_e32 v1, v1
	v_ashrrev_i32_e32 v1, 31, v1
	v_and_b32_e32 v41, v41, v67
	v_xor_b32_e32 v67, vcc_hi, v1
	v_xor_b32_e32 v1, vcc_lo, v1
	v_and_b32_e32 v39, v39, v1
	v_lshlrev_b32_e32 v1, 24, v38
	v_cmp_gt_i64_e32 vcc, 0, v[0:1]
	v_not_b32_e32 v0, v1
	v_ashrrev_i32_e32 v0, 31, v0
	v_xor_b32_e32 v1, vcc_hi, v0
	v_xor_b32_e32 v0, vcc_lo, v0
	; wave barrier
	ds_read_b32 v95, v96 offset:32
	v_and_b32_e32 v41, v41, v67
	v_and_b32_e32 v0, v39, v0
	;; [unrolled: 1-line block ×3, first 2 shown]
	v_mbcnt_lo_u32_b32 v38, v0, 0
	v_mbcnt_hi_u32_b32 v97, v1, v38
	v_cmp_eq_u32_e32 vcc, 0, v97
	v_cmp_ne_u64_e64 s[4:5], 0, v[0:1]
	s_and_b64 s[18:19], s[4:5], vcc
	; wave barrier
	s_and_saveexec_b64 s[4:5], s[18:19]
	s_cbranch_execz .LBB235_56
; %bb.55:
	v_bcnt_u32_b32 v0, v0, 0
	v_bcnt_u32_b32 v0, v1, v0
	s_waitcnt lgkmcnt(0)
	v_add_u32_e32 v0, v95, v0
	ds_write_b32 v96, v0 offset:32
.LBB235_56:
	s_or_b64 exec, exec, s[4:5]
	v_mov_b32_e32 v41, 0xffff8000
	v_cmp_ne_u16_e32 vcc, s17, v70
	v_cndmask_b32_e32 v0, v41, v70, vcc
	v_and_b32_sdwa v38, s16, v0 dst_sel:DWORD dst_unused:UNUSED_PAD src0_sel:DWORD src1_sel:WORD_0
	v_and_b32_e32 v1, 1, v38
	v_add_co_u32_e32 v39, vcc, -1, v1
	v_addc_co_u32_e64 v67, s[4:5], 0, -1, vcc
	v_cmp_ne_u32_e32 vcc, 0, v1
	v_lshlrev_b32_e32 v0, 3, v38
	v_xor_b32_e32 v1, vcc_hi, v67
	v_add_lshl_u32 v99, v66, v0, 2
	v_mov_b32_e32 v0, 0
	v_and_b32_e32 v67, exec_hi, v1
	v_lshlrev_b32_e32 v1, 30, v38
	v_xor_b32_e32 v39, vcc_lo, v39
	v_cmp_gt_i64_e32 vcc, 0, v[0:1]
	v_not_b32_e32 v1, v1
	v_ashrrev_i32_e32 v1, 31, v1
	v_and_b32_e32 v39, exec_lo, v39
	v_xor_b32_e32 v68, vcc_hi, v1
	v_xor_b32_e32 v1, vcc_lo, v1
	v_and_b32_e32 v39, v39, v1
	v_lshlrev_b32_e32 v1, 29, v38
	v_cmp_gt_i64_e32 vcc, 0, v[0:1]
	v_not_b32_e32 v1, v1
	v_ashrrev_i32_e32 v1, 31, v1
	v_and_b32_e32 v67, v67, v68
	v_xor_b32_e32 v68, vcc_hi, v1
	v_xor_b32_e32 v1, vcc_lo, v1
	v_and_b32_e32 v39, v39, v1
	v_lshlrev_b32_e32 v1, 28, v38
	v_cmp_gt_i64_e32 vcc, 0, v[0:1]
	v_not_b32_e32 v1, v1
	v_ashrrev_i32_e32 v1, 31, v1
	v_and_b32_e32 v67, v67, v68
	v_xor_b32_e32 v68, vcc_hi, v1
	v_xor_b32_e32 v1, vcc_lo, v1
	v_and_b32_e32 v39, v39, v1
	v_lshlrev_b32_e32 v1, 27, v38
	v_cmp_gt_i64_e32 vcc, 0, v[0:1]
	v_not_b32_e32 v1, v1
	v_ashrrev_i32_e32 v1, 31, v1
	v_and_b32_e32 v67, v67, v68
	v_xor_b32_e32 v68, vcc_hi, v1
	v_xor_b32_e32 v1, vcc_lo, v1
	v_and_b32_e32 v39, v39, v1
	v_lshlrev_b32_e32 v1, 26, v38
	v_cmp_gt_i64_e32 vcc, 0, v[0:1]
	v_not_b32_e32 v1, v1
	v_ashrrev_i32_e32 v1, 31, v1
	v_and_b32_e32 v67, v67, v68
	v_xor_b32_e32 v68, vcc_hi, v1
	v_xor_b32_e32 v1, vcc_lo, v1
	v_and_b32_e32 v39, v39, v1
	v_lshlrev_b32_e32 v1, 25, v38
	v_cmp_gt_i64_e32 vcc, 0, v[0:1]
	v_not_b32_e32 v1, v1
	v_ashrrev_i32_e32 v1, 31, v1
	v_and_b32_e32 v67, v67, v68
	v_xor_b32_e32 v68, vcc_hi, v1
	v_xor_b32_e32 v1, vcc_lo, v1
	v_and_b32_e32 v67, v67, v68
	v_and_b32_e32 v68, v39, v1
	v_lshlrev_b32_e32 v1, 24, v38
	v_cmp_gt_i64_e32 vcc, 0, v[0:1]
	v_not_b32_e32 v1, v1
	v_ashrrev_i32_e32 v1, 31, v1
	v_xor_b32_e32 v38, vcc_hi, v1
	v_xor_b32_e32 v1, vcc_lo, v1
	; wave barrier
	ds_read_b32 v98, v99 offset:32
	v_and_b32_e32 v39, v67, v38
	v_and_b32_e32 v38, v68, v1
	v_mbcnt_lo_u32_b32 v1, v38, 0
	v_mbcnt_hi_u32_b32 v100, v39, v1
	v_cmp_eq_u32_e32 vcc, 0, v100
	v_cmp_ne_u64_e64 s[4:5], 0, v[38:39]
	s_and_b64 s[18:19], s[4:5], vcc
	; wave barrier
	s_and_saveexec_b64 s[4:5], s[18:19]
	s_cbranch_execz .LBB235_58
; %bb.57:
	v_bcnt_u32_b32 v1, v38, 0
	v_bcnt_u32_b32 v1, v39, v1
	s_waitcnt lgkmcnt(0)
	v_add_u32_e32 v1, v98, v1
	ds_write_b32 v99, v1 offset:32
.LBB235_58:
	s_or_b64 exec, exec, s[4:5]
	v_cmp_ne_u16_e32 vcc, s17, v69
	v_cndmask_b32_e32 v1, v41, v69, vcc
	v_and_b32_sdwa v38, s16, v1 dst_sel:DWORD dst_unused:UNUSED_PAD src0_sel:DWORD src1_sel:WORD_0
	v_lshlrev_b32_e32 v1, 3, v38
	v_add_lshl_u32 v102, v66, v1, 2
	v_and_b32_e32 v1, 1, v38
	v_add_co_u32_e32 v39, vcc, -1, v1
	v_min_u32_e32 v78, 0x1c0, v40
	v_addc_co_u32_e64 v40, s[4:5], 0, -1, vcc
	v_cmp_ne_u32_e32 vcc, 0, v1
	v_xor_b32_e32 v1, vcc_hi, v40
	v_and_b32_e32 v40, exec_hi, v1
	v_lshlrev_b32_e32 v1, 30, v38
	v_xor_b32_e32 v39, vcc_lo, v39
	v_cmp_gt_i64_e32 vcc, 0, v[0:1]
	v_not_b32_e32 v1, v1
	v_ashrrev_i32_e32 v1, 31, v1
	v_and_b32_e32 v39, exec_lo, v39
	v_xor_b32_e32 v41, vcc_hi, v1
	v_xor_b32_e32 v1, vcc_lo, v1
	v_and_b32_e32 v39, v39, v1
	v_lshlrev_b32_e32 v1, 29, v38
	v_cmp_gt_i64_e32 vcc, 0, v[0:1]
	v_not_b32_e32 v1, v1
	v_ashrrev_i32_e32 v1, 31, v1
	v_and_b32_e32 v40, v40, v41
	v_xor_b32_e32 v41, vcc_hi, v1
	v_xor_b32_e32 v1, vcc_lo, v1
	v_and_b32_e32 v39, v39, v1
	v_lshlrev_b32_e32 v1, 28, v38
	v_cmp_gt_i64_e32 vcc, 0, v[0:1]
	v_not_b32_e32 v1, v1
	v_ashrrev_i32_e32 v1, 31, v1
	v_and_b32_e32 v40, v40, v41
	;; [unrolled: 8-line block ×5, first 2 shown]
	v_xor_b32_e32 v41, vcc_hi, v1
	v_xor_b32_e32 v1, vcc_lo, v1
	v_and_b32_e32 v39, v39, v1
	v_lshlrev_b32_e32 v1, 24, v38
	v_cmp_gt_i64_e32 vcc, 0, v[0:1]
	v_not_b32_e32 v0, v1
	v_ashrrev_i32_e32 v0, 31, v0
	v_xor_b32_e32 v1, vcc_hi, v0
	v_xor_b32_e32 v0, vcc_lo, v0
	; wave barrier
	ds_read_b32 v101, v102 offset:32
	v_and_b32_e32 v40, v40, v41
	v_and_b32_e32 v0, v39, v0
	;; [unrolled: 1-line block ×3, first 2 shown]
	v_mbcnt_lo_u32_b32 v38, v0, 0
	v_mbcnt_hi_u32_b32 v103, v1, v38
	v_cmp_eq_u32_e32 vcc, 0, v103
	v_cmp_ne_u64_e64 s[4:5], 0, v[0:1]
	v_add_u32_e32 v67, 32, v62
	v_lshrrev_b32_e32 v68, 6, v42
	s_and_b64 s[16:17], s[4:5], vcc
	; wave barrier
	s_and_saveexec_b64 s[4:5], s[16:17]
	s_cbranch_execz .LBB235_60
; %bb.59:
	v_bcnt_u32_b32 v0, v0, 0
	v_bcnt_u32_b32 v0, v1, v0
	s_waitcnt lgkmcnt(0)
	v_add_u32_e32 v0, v101, v0
	ds_write_b32 v102, v0 offset:32
.LBB235_60:
	s_or_b64 exec, exec, s[4:5]
	; wave barrier
	s_waitcnt lgkmcnt(0)
	s_barrier
	ds_read2_b32 v[38:39], v62 offset0:8 offset1:9
	ds_read2_b32 v[40:41], v67 offset0:2 offset1:3
	v_and_b32_e32 v1, 16, v74
	v_cmp_eq_u32_e32 vcc, 0, v1
	v_or_b32_e32 v1, 63, v78
	v_cmp_eq_u32_e64 s[16:17], v1, v42
	s_waitcnt lgkmcnt(1)
	v_add_u32_e32 v1, v39, v38
	v_and_b32_e32 v0, 15, v74
	s_waitcnt lgkmcnt(0)
	v_add3_u32 v1, v1, v40, v41
	v_cmp_eq_u32_e64 s[24:25], 0, v0
	v_cmp_lt_u32_e64 s[26:27], 1, v0
	v_mov_b32_dpp v41, v1 row_shr:1 row_mask:0xf bank_mask:0xf
	v_cndmask_b32_e64 v41, v41, 0, s[24:25]
	v_add_u32_e32 v1, v41, v1
	v_cmp_lt_u32_e64 s[30:31], 3, v0
	v_cmp_lt_u32_e64 s[34:35], 7, v0
	v_mov_b32_dpp v41, v1 row_shr:2 row_mask:0xf bank_mask:0xf
	v_cndmask_b32_e64 v41, 0, v41, s[26:27]
	v_add_u32_e32 v1, v1, v41
	v_bfe_i32 v79, v74, 4, 1
	v_cmp_lt_u32_e64 s[36:37], 31, v74
	v_mov_b32_dpp v41, v1 row_shr:4 row_mask:0xf bank_mask:0xf
	v_cndmask_b32_e64 v41, 0, v41, s[30:31]
	v_add_u32_e32 v1, v1, v41
	v_lshlrev_b32_e32 v68, 2, v68
	s_nop 0
	v_mov_b32_dpp v41, v1 row_shr:8 row_mask:0xf bank_mask:0xf
	v_cndmask_b32_e64 v0, 0, v41, s[34:35]
	v_add_u32_e32 v0, v1, v0
	s_nop 1
	v_mov_b32_dpp v1, v0 row_bcast:15 row_mask:0xf bank_mask:0xf
	v_and_b32_e32 v1, v79, v1
	v_add_u32_e32 v0, v0, v1
	s_nop 1
	v_mov_b32_dpp v1, v0 row_bcast:31 row_mask:0xf bank_mask:0xf
	v_cndmask_b32_e64 v1, 0, v1, s[36:37]
	v_add_u32_e32 v1, v0, v1
	s_and_saveexec_b64 s[4:5], s[16:17]
	s_cbranch_execz .LBB235_62
; %bb.61:
	ds_write_b32 v68, v1
.LBB235_62:
	s_or_b64 exec, exec, s[4:5]
	v_and_b32_e32 v0, 7, v74
	v_cmp_gt_u32_e64 s[28:29], 8, v42
	v_lshlrev_b32_e32 v41, 2, v42
	v_cmp_eq_u32_e64 s[22:23], 0, v0
	v_cmp_lt_u32_e64 s[20:21], 1, v0
	v_cmp_lt_u32_e64 s[18:19], 3, v0
	s_waitcnt lgkmcnt(0)
	s_barrier
	s_and_saveexec_b64 s[4:5], s[28:29]
	s_cbranch_execz .LBB235_64
; %bb.63:
	ds_read_b32 v0, v41
	s_waitcnt lgkmcnt(0)
	s_nop 0
	v_mov_b32_dpp v78, v0 row_shr:1 row_mask:0xf bank_mask:0xf
	v_cndmask_b32_e64 v78, v78, 0, s[22:23]
	v_add_u32_e32 v0, v78, v0
	s_nop 1
	v_mov_b32_dpp v78, v0 row_shr:2 row_mask:0xf bank_mask:0xf
	v_cndmask_b32_e64 v78, 0, v78, s[20:21]
	v_add_u32_e32 v0, v0, v78
	;; [unrolled: 4-line block ×3, first 2 shown]
	ds_write_b32 v41, v0
.LBB235_64:
	s_or_b64 exec, exec, s[4:5]
	v_cmp_lt_u32_e64 s[38:39], 63, v42
	v_add_u32_e32 v78, -4, v68
	v_mov_b32_e32 v0, 0
	v_mov_b32_e32 v104, 0
	s_waitcnt lgkmcnt(0)
	s_barrier
	s_and_saveexec_b64 s[4:5], s[38:39]
	s_cbranch_execz .LBB235_66
; %bb.65:
	ds_read_b32 v104, v78
.LBB235_66:
	s_or_b64 exec, exec, s[4:5]
	v_add_u32_e32 v79, -1, v74
	v_and_b32_e32 v105, 64, v74
	v_cmp_lt_i32_e64 s[4:5], v79, v105
	v_cndmask_b32_e64 v79, v79, v74, s[4:5]
	v_lshlrev_b32_e32 v79, 2, v79
	s_waitcnt lgkmcnt(0)
	v_add_u32_e32 v1, v104, v1
	ds_bpermute_b32 v1, v79, v1
	v_cmp_eq_u32_e64 s[40:41], 0, v74
	v_cmp_eq_u32_e64 s[42:43], 0, v42
	v_and_or_b32 v80, v74, 63, v80
	v_lshlrev_b32_e32 v105, 1, v80
	s_waitcnt lgkmcnt(0)
	v_cndmask_b32_e64 v1, v1, v104, s[40:41]
	v_cndmask_b32_e64 v1, v1, 0, s[42:43]
	v_add_u32_e32 v38, v1, v38
	v_add_u32_e32 v39, v38, v39
	;; [unrolled: 1-line block ×3, first 2 shown]
	ds_write2_b32 v62, v1, v38 offset0:8 offset1:9
	ds_write2_b32 v67, v39, v40 offset0:2 offset1:3
	s_waitcnt lgkmcnt(0)
	s_barrier
	ds_read_b32 v1, v81 offset:32
	ds_read_b32 v38, v84 offset:32
	;; [unrolled: 1-line block ×8, first 2 shown]
	s_waitcnt lgkmcnt(7)
	v_add_u32_e32 v1, v1, v82
	s_waitcnt lgkmcnt(6)
	v_add3_u32 v38, v85, v83, v38
	s_waitcnt lgkmcnt(4)
	v_add3_u32 v82, v91, v89, v40
	v_lshlrev_b32_e32 v40, 1, v1
	v_add3_u32 v39, v88, v86, v39
	s_waitcnt lgkmcnt(0)
	s_barrier
	ds_write_b16 v40, v77
	v_lshlrev_b32_e32 v40, 1, v38
	ds_write_b16 v40, v76
	v_lshlrev_b32_e32 v40, 1, v39
	v_add3_u32 v83, v94, v92, v74
	ds_write_b16 v40, v75
	v_lshlrev_b32_e32 v40, 1, v82
	v_add3_u32 v81, v97, v95, v81
	;; [unrolled: 3-line block ×4, first 2 shown]
	ds_write_b16 v40, v71
	v_lshlrev_b32_e32 v40, 1, v84
	ds_write_b16 v40, v70
	v_lshlrev_b32_e32 v40, 1, v85
	v_lshlrev_b32_e32 v1, 3, v1
	ds_write_b16 v40, v69
	s_waitcnt lgkmcnt(0)
	s_barrier
	ds_read_u16 v75, v105
	ds_read_u16 v74, v105 offset:128
	ds_read_u16 v73, v105 offset:256
	;; [unrolled: 1-line block ×7, first 2 shown]
	s_waitcnt lgkmcnt(0)
	s_barrier
	ds_write_b64 v1, v[34:35]
	v_lshlrev_b32_e32 v1, 3, v38
	ds_write_b64 v1, v[36:37]
	v_lshlrev_b32_e32 v1, 3, v39
	;; [unrolled: 2-line block ×6, first 2 shown]
	s_min_u32 s4, s46, 8
	ds_write_b64 v1, v[22:23]
	v_lshlrev_b32_e32 v1, 3, v85
	s_lshl_b32 s4, -1, s4
	s_movk_i32 s58, 0x7fff
	ds_write_b64 v1, v[24:25]
	s_not_b32 s57, s4
	v_lshrrev_b16_e32 v1, 8, v75
	v_mov_b32_e32 v38, 0x80
	v_cmp_ne_u16_e64 s[4:5], s58, v75
	v_cndmask_b32_e64 v1, v38, v1, s[4:5]
	v_and_b32_sdwa v39, v1, s57 dst_sel:DWORD dst_unused:UNUSED_PAD src0_sel:WORD_0 src1_sel:DWORD
	v_lshlrev_b32_e32 v1, 3, v39
	v_add_lshl_u32 v76, v1, v66, 2
	v_and_b32_e32 v1, 1, v39
	v_lshlrev_b32_e32 v80, 3, v80
	v_add_co_u32_e64 v77, s[4:5], -1, v1
	s_waitcnt lgkmcnt(0)
	s_barrier
	ds_read2st64_b64 v[34:37], v80 offset1:1
	ds_read2st64_b64 v[30:33], v80 offset0:2 offset1:3
	ds_read2st64_b64 v[26:29], v80 offset0:4 offset1:5
	;; [unrolled: 1-line block ×3, first 2 shown]
	v_addc_co_u32_e64 v80, s[4:5], 0, -1, s[4:5]
	v_cmp_ne_u32_e64 s[4:5], 0, v1
	v_xor_b32_e32 v1, s5, v80
	v_and_b32_e32 v80, exec_hi, v1
	v_lshlrev_b32_e32 v1, 30, v39
	v_xor_b32_e32 v77, s4, v77
	v_cmp_gt_i64_e64 s[4:5], 0, v[0:1]
	v_not_b32_e32 v1, v1
	v_ashrrev_i32_e32 v1, 31, v1
	v_and_b32_e32 v77, exec_lo, v77
	v_xor_b32_e32 v81, s5, v1
	v_xor_b32_e32 v1, s4, v1
	v_and_b32_e32 v77, v77, v1
	v_lshlrev_b32_e32 v1, 29, v39
	v_cmp_gt_i64_e64 s[4:5], 0, v[0:1]
	v_not_b32_e32 v1, v1
	v_ashrrev_i32_e32 v1, 31, v1
	v_and_b32_e32 v80, v80, v81
	v_xor_b32_e32 v81, s5, v1
	v_xor_b32_e32 v1, s4, v1
	v_and_b32_e32 v77, v77, v1
	v_lshlrev_b32_e32 v1, 28, v39
	v_cmp_gt_i64_e64 s[4:5], 0, v[0:1]
	v_not_b32_e32 v1, v1
	v_ashrrev_i32_e32 v1, 31, v1
	v_and_b32_e32 v80, v80, v81
	;; [unrolled: 8-line block ×5, first 2 shown]
	v_xor_b32_e32 v81, s5, v1
	v_xor_b32_e32 v1, s4, v1
	v_and_b32_e32 v77, v77, v1
	v_lshlrev_b32_e32 v1, 24, v39
	s_waitcnt lgkmcnt(0)
	s_barrier
	ds_write2_b32 v62, v0, v0 offset0:8 offset1:9
	ds_write2_b32 v67, v0, v0 offset0:2 offset1:3
	v_cmp_gt_i64_e64 s[4:5], 0, v[0:1]
	v_not_b32_e32 v0, v1
	v_ashrrev_i32_e32 v0, 31, v0
	v_xor_b32_e32 v1, s5, v0
	v_xor_b32_e32 v0, s4, v0
	v_and_b32_e32 v80, v80, v81
	v_and_b32_e32 v0, v77, v0
	;; [unrolled: 1-line block ×3, first 2 shown]
	v_mbcnt_lo_u32_b32 v39, v0, 0
	v_mbcnt_hi_u32_b32 v77, v1, v39
	v_cmp_eq_u32_e64 s[4:5], 0, v77
	v_cmp_ne_u64_e64 s[46:47], 0, v[0:1]
	s_and_b64 s[46:47], s[46:47], s[4:5]
	s_waitcnt lgkmcnt(0)
	s_barrier
	s_waitcnt lgkmcnt(0)
	; wave barrier
	s_and_saveexec_b64 s[4:5], s[46:47]
	s_cbranch_execz .LBB235_68
; %bb.67:
	v_bcnt_u32_b32 v0, v0, 0
	v_bcnt_u32_b32 v0, v1, v0
	ds_write_b32 v76, v0 offset:32
.LBB235_68:
	s_or_b64 exec, exec, s[4:5]
	v_lshrrev_b16_e32 v0, 8, v74
	v_cmp_ne_u16_e64 s[4:5], s58, v74
	v_cndmask_b32_e64 v0, v38, v0, s[4:5]
	v_and_b32_e32 v38, s57, v0
	v_and_b32_e32 v1, 1, v38
	v_add_co_u32_e64 v39, s[4:5], -1, v1
	v_addc_co_u32_e64 v82, s[4:5], 0, -1, s[4:5]
	v_cmp_ne_u32_e64 s[4:5], 0, v1
	v_lshlrev_b32_e32 v0, 3, v38
	v_xor_b32_e32 v1, s5, v82
	v_add_lshl_u32 v81, v0, v66, 2
	v_mov_b32_e32 v0, 0
	v_and_b32_e32 v82, exec_hi, v1
	v_lshlrev_b32_e32 v1, 30, v38
	v_xor_b32_e32 v39, s4, v39
	v_cmp_gt_i64_e64 s[4:5], 0, v[0:1]
	v_not_b32_e32 v1, v1
	v_ashrrev_i32_e32 v1, 31, v1
	v_and_b32_e32 v39, exec_lo, v39
	v_xor_b32_e32 v83, s5, v1
	v_xor_b32_e32 v1, s4, v1
	v_and_b32_e32 v39, v39, v1
	v_lshlrev_b32_e32 v1, 29, v38
	v_cmp_gt_i64_e64 s[4:5], 0, v[0:1]
	v_not_b32_e32 v1, v1
	v_ashrrev_i32_e32 v1, 31, v1
	v_and_b32_e32 v82, v82, v83
	v_xor_b32_e32 v83, s5, v1
	v_xor_b32_e32 v1, s4, v1
	v_and_b32_e32 v39, v39, v1
	v_lshlrev_b32_e32 v1, 28, v38
	v_cmp_gt_i64_e64 s[4:5], 0, v[0:1]
	v_not_b32_e32 v1, v1
	v_ashrrev_i32_e32 v1, 31, v1
	v_and_b32_e32 v82, v82, v83
	;; [unrolled: 8-line block ×5, first 2 shown]
	v_xor_b32_e32 v83, s5, v1
	v_xor_b32_e32 v1, s4, v1
	v_and_b32_e32 v82, v82, v83
	v_and_b32_e32 v83, v39, v1
	v_lshlrev_b32_e32 v1, 24, v38
	v_cmp_gt_i64_e64 s[4:5], 0, v[0:1]
	v_not_b32_e32 v1, v1
	v_ashrrev_i32_e32 v1, 31, v1
	v_xor_b32_e32 v38, s5, v1
	v_xor_b32_e32 v1, s4, v1
	; wave barrier
	ds_read_b32 v80, v81 offset:32
	v_and_b32_e32 v39, v82, v38
	v_and_b32_e32 v38, v83, v1
	v_mbcnt_lo_u32_b32 v1, v38, 0
	v_mbcnt_hi_u32_b32 v82, v39, v1
	v_cmp_eq_u32_e64 s[4:5], 0, v82
	v_cmp_ne_u64_e64 s[46:47], 0, v[38:39]
	s_and_b64 s[46:47], s[46:47], s[4:5]
	; wave barrier
	s_and_saveexec_b64 s[4:5], s[46:47]
	s_cbranch_execz .LBB235_70
; %bb.69:
	v_bcnt_u32_b32 v1, v38, 0
	v_bcnt_u32_b32 v1, v39, v1
	s_waitcnt lgkmcnt(0)
	v_add_u32_e32 v1, v80, v1
	ds_write_b32 v81, v1 offset:32
.LBB235_70:
	s_or_b64 exec, exec, s[4:5]
	v_lshrrev_b16_e32 v1, 8, v73
	v_mov_b32_e32 v38, 0x80
	v_cmp_ne_u16_e64 s[4:5], s58, v73
	v_cndmask_b32_e64 v1, v38, v1, s[4:5]
	v_and_b32_e32 v39, s57, v1
	v_lshlrev_b32_e32 v1, 3, v39
	v_add_lshl_u32 v84, v1, v66, 2
	v_and_b32_e32 v1, 1, v39
	v_add_co_u32_e64 v85, s[4:5], -1, v1
	v_addc_co_u32_e64 v86, s[4:5], 0, -1, s[4:5]
	v_cmp_ne_u32_e64 s[4:5], 0, v1
	v_xor_b32_e32 v1, s5, v86
	v_and_b32_e32 v86, exec_hi, v1
	v_lshlrev_b32_e32 v1, 30, v39
	v_xor_b32_e32 v85, s4, v85
	v_cmp_gt_i64_e64 s[4:5], 0, v[0:1]
	v_not_b32_e32 v1, v1
	v_ashrrev_i32_e32 v1, 31, v1
	v_and_b32_e32 v85, exec_lo, v85
	v_xor_b32_e32 v87, s5, v1
	v_xor_b32_e32 v1, s4, v1
	v_and_b32_e32 v85, v85, v1
	v_lshlrev_b32_e32 v1, 29, v39
	v_cmp_gt_i64_e64 s[4:5], 0, v[0:1]
	v_not_b32_e32 v1, v1
	v_ashrrev_i32_e32 v1, 31, v1
	v_and_b32_e32 v86, v86, v87
	v_xor_b32_e32 v87, s5, v1
	v_xor_b32_e32 v1, s4, v1
	v_and_b32_e32 v85, v85, v1
	v_lshlrev_b32_e32 v1, 28, v39
	v_cmp_gt_i64_e64 s[4:5], 0, v[0:1]
	v_not_b32_e32 v1, v1
	v_ashrrev_i32_e32 v1, 31, v1
	v_and_b32_e32 v86, v86, v87
	;; [unrolled: 8-line block ×5, first 2 shown]
	v_xor_b32_e32 v87, s5, v1
	v_xor_b32_e32 v1, s4, v1
	v_and_b32_e32 v85, v85, v1
	v_lshlrev_b32_e32 v1, 24, v39
	v_cmp_gt_i64_e64 s[4:5], 0, v[0:1]
	v_not_b32_e32 v0, v1
	v_ashrrev_i32_e32 v0, 31, v0
	v_xor_b32_e32 v1, s5, v0
	v_xor_b32_e32 v0, s4, v0
	; wave barrier
	ds_read_b32 v83, v84 offset:32
	v_and_b32_e32 v86, v86, v87
	v_and_b32_e32 v0, v85, v0
	;; [unrolled: 1-line block ×3, first 2 shown]
	v_mbcnt_lo_u32_b32 v39, v0, 0
	v_mbcnt_hi_u32_b32 v85, v1, v39
	v_cmp_eq_u32_e64 s[4:5], 0, v85
	v_cmp_ne_u64_e64 s[46:47], 0, v[0:1]
	s_and_b64 s[46:47], s[46:47], s[4:5]
	; wave barrier
	s_and_saveexec_b64 s[4:5], s[46:47]
	s_cbranch_execz .LBB235_72
; %bb.71:
	v_bcnt_u32_b32 v0, v0, 0
	v_bcnt_u32_b32 v0, v1, v0
	s_waitcnt lgkmcnt(0)
	v_add_u32_e32 v0, v83, v0
	ds_write_b32 v84, v0 offset:32
.LBB235_72:
	s_or_b64 exec, exec, s[4:5]
	v_lshrrev_b16_e32 v0, 8, v72
	v_cmp_ne_u16_e64 s[4:5], s58, v72
	v_cndmask_b32_e64 v0, v38, v0, s[4:5]
	v_and_b32_e32 v38, s57, v0
	v_and_b32_e32 v1, 1, v38
	v_add_co_u32_e64 v39, s[4:5], -1, v1
	v_addc_co_u32_e64 v88, s[4:5], 0, -1, s[4:5]
	v_cmp_ne_u32_e64 s[4:5], 0, v1
	v_lshlrev_b32_e32 v0, 3, v38
	v_xor_b32_e32 v1, s5, v88
	v_add_lshl_u32 v87, v0, v66, 2
	v_mov_b32_e32 v0, 0
	v_and_b32_e32 v88, exec_hi, v1
	v_lshlrev_b32_e32 v1, 30, v38
	v_xor_b32_e32 v39, s4, v39
	v_cmp_gt_i64_e64 s[4:5], 0, v[0:1]
	v_not_b32_e32 v1, v1
	v_ashrrev_i32_e32 v1, 31, v1
	v_and_b32_e32 v39, exec_lo, v39
	v_xor_b32_e32 v89, s5, v1
	v_xor_b32_e32 v1, s4, v1
	v_and_b32_e32 v39, v39, v1
	v_lshlrev_b32_e32 v1, 29, v38
	v_cmp_gt_i64_e64 s[4:5], 0, v[0:1]
	v_not_b32_e32 v1, v1
	v_ashrrev_i32_e32 v1, 31, v1
	v_and_b32_e32 v88, v88, v89
	v_xor_b32_e32 v89, s5, v1
	v_xor_b32_e32 v1, s4, v1
	v_and_b32_e32 v39, v39, v1
	v_lshlrev_b32_e32 v1, 28, v38
	v_cmp_gt_i64_e64 s[4:5], 0, v[0:1]
	v_not_b32_e32 v1, v1
	v_ashrrev_i32_e32 v1, 31, v1
	v_and_b32_e32 v88, v88, v89
	;; [unrolled: 8-line block ×5, first 2 shown]
	v_xor_b32_e32 v89, s5, v1
	v_xor_b32_e32 v1, s4, v1
	v_and_b32_e32 v88, v88, v89
	v_and_b32_e32 v89, v39, v1
	v_lshlrev_b32_e32 v1, 24, v38
	v_cmp_gt_i64_e64 s[4:5], 0, v[0:1]
	v_not_b32_e32 v1, v1
	v_ashrrev_i32_e32 v1, 31, v1
	v_xor_b32_e32 v38, s5, v1
	v_xor_b32_e32 v1, s4, v1
	; wave barrier
	ds_read_b32 v86, v87 offset:32
	v_and_b32_e32 v39, v88, v38
	v_and_b32_e32 v38, v89, v1
	v_mbcnt_lo_u32_b32 v1, v38, 0
	v_mbcnt_hi_u32_b32 v88, v39, v1
	v_cmp_eq_u32_e64 s[4:5], 0, v88
	v_cmp_ne_u64_e64 s[46:47], 0, v[38:39]
	s_and_b64 s[46:47], s[46:47], s[4:5]
	; wave barrier
	s_and_saveexec_b64 s[4:5], s[46:47]
	s_cbranch_execz .LBB235_74
; %bb.73:
	v_bcnt_u32_b32 v1, v38, 0
	v_bcnt_u32_b32 v1, v39, v1
	s_waitcnt lgkmcnt(0)
	v_add_u32_e32 v1, v86, v1
	ds_write_b32 v87, v1 offset:32
.LBB235_74:
	s_or_b64 exec, exec, s[4:5]
	v_lshrrev_b16_e32 v1, 8, v71
	v_mov_b32_e32 v38, 0x80
	v_cmp_ne_u16_e64 s[4:5], s58, v71
	v_cndmask_b32_e64 v1, v38, v1, s[4:5]
	v_and_b32_e32 v39, s57, v1
	v_lshlrev_b32_e32 v1, 3, v39
	v_add_lshl_u32 v90, v1, v66, 2
	v_and_b32_e32 v1, 1, v39
	v_add_co_u32_e64 v91, s[4:5], -1, v1
	v_addc_co_u32_e64 v92, s[4:5], 0, -1, s[4:5]
	v_cmp_ne_u32_e64 s[4:5], 0, v1
	v_xor_b32_e32 v1, s5, v92
	v_and_b32_e32 v92, exec_hi, v1
	v_lshlrev_b32_e32 v1, 30, v39
	v_xor_b32_e32 v91, s4, v91
	v_cmp_gt_i64_e64 s[4:5], 0, v[0:1]
	v_not_b32_e32 v1, v1
	v_ashrrev_i32_e32 v1, 31, v1
	v_and_b32_e32 v91, exec_lo, v91
	v_xor_b32_e32 v93, s5, v1
	v_xor_b32_e32 v1, s4, v1
	v_and_b32_e32 v91, v91, v1
	v_lshlrev_b32_e32 v1, 29, v39
	v_cmp_gt_i64_e64 s[4:5], 0, v[0:1]
	v_not_b32_e32 v1, v1
	v_ashrrev_i32_e32 v1, 31, v1
	v_and_b32_e32 v92, v92, v93
	v_xor_b32_e32 v93, s5, v1
	v_xor_b32_e32 v1, s4, v1
	v_and_b32_e32 v91, v91, v1
	v_lshlrev_b32_e32 v1, 28, v39
	v_cmp_gt_i64_e64 s[4:5], 0, v[0:1]
	v_not_b32_e32 v1, v1
	v_ashrrev_i32_e32 v1, 31, v1
	v_and_b32_e32 v92, v92, v93
	v_xor_b32_e32 v93, s5, v1
	v_xor_b32_e32 v1, s4, v1
	v_and_b32_e32 v91, v91, v1
	v_lshlrev_b32_e32 v1, 27, v39
	v_cmp_gt_i64_e64 s[4:5], 0, v[0:1]
	v_not_b32_e32 v1, v1
	v_ashrrev_i32_e32 v1, 31, v1
	v_and_b32_e32 v92, v92, v93
	v_xor_b32_e32 v93, s5, v1
	v_xor_b32_e32 v1, s4, v1
	v_and_b32_e32 v91, v91, v1
	v_lshlrev_b32_e32 v1, 26, v39
	v_cmp_gt_i64_e64 s[4:5], 0, v[0:1]
	v_not_b32_e32 v1, v1
	v_ashrrev_i32_e32 v1, 31, v1
	v_and_b32_e32 v92, v92, v93
	v_xor_b32_e32 v93, s5, v1
	v_xor_b32_e32 v1, s4, v1
	v_and_b32_e32 v91, v91, v1
	v_lshlrev_b32_e32 v1, 25, v39
	v_cmp_gt_i64_e64 s[4:5], 0, v[0:1]
	v_not_b32_e32 v1, v1
	v_ashrrev_i32_e32 v1, 31, v1
	v_and_b32_e32 v92, v92, v93
	v_xor_b32_e32 v93, s5, v1
	v_xor_b32_e32 v1, s4, v1
	v_and_b32_e32 v91, v91, v1
	v_lshlrev_b32_e32 v1, 24, v39
	v_cmp_gt_i64_e64 s[4:5], 0, v[0:1]
	v_not_b32_e32 v0, v1
	v_ashrrev_i32_e32 v0, 31, v0
	v_xor_b32_e32 v1, s5, v0
	v_xor_b32_e32 v0, s4, v0
	; wave barrier
	ds_read_b32 v89, v90 offset:32
	v_and_b32_e32 v92, v92, v93
	v_and_b32_e32 v0, v91, v0
	;; [unrolled: 1-line block ×3, first 2 shown]
	v_mbcnt_lo_u32_b32 v39, v0, 0
	v_mbcnt_hi_u32_b32 v91, v1, v39
	v_cmp_eq_u32_e64 s[4:5], 0, v91
	v_cmp_ne_u64_e64 s[46:47], 0, v[0:1]
	s_and_b64 s[46:47], s[46:47], s[4:5]
	; wave barrier
	s_and_saveexec_b64 s[4:5], s[46:47]
	s_cbranch_execz .LBB235_76
; %bb.75:
	v_bcnt_u32_b32 v0, v0, 0
	v_bcnt_u32_b32 v0, v1, v0
	s_waitcnt lgkmcnt(0)
	v_add_u32_e32 v0, v89, v0
	ds_write_b32 v90, v0 offset:32
.LBB235_76:
	s_or_b64 exec, exec, s[4:5]
	v_lshrrev_b16_e32 v0, 8, v70
	v_cmp_ne_u16_e64 s[4:5], s58, v70
	v_cndmask_b32_e64 v0, v38, v0, s[4:5]
	v_and_b32_e32 v38, s57, v0
	v_and_b32_e32 v1, 1, v38
	v_add_co_u32_e64 v39, s[4:5], -1, v1
	v_addc_co_u32_e64 v94, s[4:5], 0, -1, s[4:5]
	v_cmp_ne_u32_e64 s[4:5], 0, v1
	v_lshlrev_b32_e32 v0, 3, v38
	v_xor_b32_e32 v1, s5, v94
	v_add_lshl_u32 v93, v0, v66, 2
	v_mov_b32_e32 v0, 0
	v_and_b32_e32 v94, exec_hi, v1
	v_lshlrev_b32_e32 v1, 30, v38
	v_xor_b32_e32 v39, s4, v39
	v_cmp_gt_i64_e64 s[4:5], 0, v[0:1]
	v_not_b32_e32 v1, v1
	v_ashrrev_i32_e32 v1, 31, v1
	v_and_b32_e32 v39, exec_lo, v39
	v_xor_b32_e32 v95, s5, v1
	v_xor_b32_e32 v1, s4, v1
	v_and_b32_e32 v39, v39, v1
	v_lshlrev_b32_e32 v1, 29, v38
	v_cmp_gt_i64_e64 s[4:5], 0, v[0:1]
	v_not_b32_e32 v1, v1
	v_ashrrev_i32_e32 v1, 31, v1
	v_and_b32_e32 v94, v94, v95
	v_xor_b32_e32 v95, s5, v1
	v_xor_b32_e32 v1, s4, v1
	v_and_b32_e32 v39, v39, v1
	v_lshlrev_b32_e32 v1, 28, v38
	v_cmp_gt_i64_e64 s[4:5], 0, v[0:1]
	v_not_b32_e32 v1, v1
	v_ashrrev_i32_e32 v1, 31, v1
	v_and_b32_e32 v94, v94, v95
	;; [unrolled: 8-line block ×5, first 2 shown]
	v_xor_b32_e32 v95, s5, v1
	v_xor_b32_e32 v1, s4, v1
	v_and_b32_e32 v94, v94, v95
	v_and_b32_e32 v95, v39, v1
	v_lshlrev_b32_e32 v1, 24, v38
	v_cmp_gt_i64_e64 s[4:5], 0, v[0:1]
	v_not_b32_e32 v1, v1
	v_ashrrev_i32_e32 v1, 31, v1
	v_xor_b32_e32 v38, s5, v1
	v_xor_b32_e32 v1, s4, v1
	; wave barrier
	ds_read_b32 v92, v93 offset:32
	v_and_b32_e32 v39, v94, v38
	v_and_b32_e32 v38, v95, v1
	v_mbcnt_lo_u32_b32 v1, v38, 0
	v_mbcnt_hi_u32_b32 v94, v39, v1
	v_cmp_eq_u32_e64 s[4:5], 0, v94
	v_cmp_ne_u64_e64 s[46:47], 0, v[38:39]
	s_and_b64 s[46:47], s[46:47], s[4:5]
	; wave barrier
	s_and_saveexec_b64 s[4:5], s[46:47]
	s_cbranch_execz .LBB235_78
; %bb.77:
	v_bcnt_u32_b32 v1, v38, 0
	v_bcnt_u32_b32 v1, v39, v1
	s_waitcnt lgkmcnt(0)
	v_add_u32_e32 v1, v92, v1
	ds_write_b32 v93, v1 offset:32
.LBB235_78:
	s_or_b64 exec, exec, s[4:5]
	v_lshrrev_b16_e32 v1, 8, v69
	v_mov_b32_e32 v38, 0x80
	v_cmp_ne_u16_e64 s[4:5], s58, v69
	v_cndmask_b32_e64 v1, v38, v1, s[4:5]
	v_and_b32_e32 v39, s57, v1
	v_lshlrev_b32_e32 v1, 3, v39
	v_add_lshl_u32 v96, v1, v66, 2
	v_and_b32_e32 v1, 1, v39
	v_add_co_u32_e64 v97, s[4:5], -1, v1
	v_addc_co_u32_e64 v98, s[4:5], 0, -1, s[4:5]
	v_cmp_ne_u32_e64 s[4:5], 0, v1
	v_xor_b32_e32 v1, s5, v98
	v_and_b32_e32 v98, exec_hi, v1
	v_lshlrev_b32_e32 v1, 30, v39
	v_xor_b32_e32 v97, s4, v97
	v_cmp_gt_i64_e64 s[4:5], 0, v[0:1]
	v_not_b32_e32 v1, v1
	v_ashrrev_i32_e32 v1, 31, v1
	v_and_b32_e32 v97, exec_lo, v97
	v_xor_b32_e32 v99, s5, v1
	v_xor_b32_e32 v1, s4, v1
	v_and_b32_e32 v97, v97, v1
	v_lshlrev_b32_e32 v1, 29, v39
	v_cmp_gt_i64_e64 s[4:5], 0, v[0:1]
	v_not_b32_e32 v1, v1
	v_ashrrev_i32_e32 v1, 31, v1
	v_and_b32_e32 v98, v98, v99
	v_xor_b32_e32 v99, s5, v1
	v_xor_b32_e32 v1, s4, v1
	v_and_b32_e32 v97, v97, v1
	v_lshlrev_b32_e32 v1, 28, v39
	v_cmp_gt_i64_e64 s[4:5], 0, v[0:1]
	v_not_b32_e32 v1, v1
	v_ashrrev_i32_e32 v1, 31, v1
	v_and_b32_e32 v98, v98, v99
	;; [unrolled: 8-line block ×5, first 2 shown]
	v_xor_b32_e32 v99, s5, v1
	v_xor_b32_e32 v1, s4, v1
	v_and_b32_e32 v97, v97, v1
	v_lshlrev_b32_e32 v1, 24, v39
	v_cmp_gt_i64_e64 s[4:5], 0, v[0:1]
	v_not_b32_e32 v0, v1
	v_ashrrev_i32_e32 v0, 31, v0
	v_xor_b32_e32 v1, s5, v0
	v_xor_b32_e32 v0, s4, v0
	; wave barrier
	ds_read_b32 v95, v96 offset:32
	v_and_b32_e32 v98, v98, v99
	v_and_b32_e32 v0, v97, v0
	;; [unrolled: 1-line block ×3, first 2 shown]
	v_mbcnt_lo_u32_b32 v39, v0, 0
	v_mbcnt_hi_u32_b32 v97, v1, v39
	v_cmp_eq_u32_e64 s[4:5], 0, v97
	v_cmp_ne_u64_e64 s[46:47], 0, v[0:1]
	s_and_b64 s[46:47], s[46:47], s[4:5]
	; wave barrier
	s_and_saveexec_b64 s[4:5], s[46:47]
	s_cbranch_execz .LBB235_80
; %bb.79:
	v_bcnt_u32_b32 v0, v0, 0
	v_bcnt_u32_b32 v0, v1, v0
	s_waitcnt lgkmcnt(0)
	v_add_u32_e32 v0, v95, v0
	ds_write_b32 v96, v0 offset:32
.LBB235_80:
	s_or_b64 exec, exec, s[4:5]
	v_lshrrev_b16_e32 v0, 8, v40
	v_cmp_ne_u16_e64 s[4:5], s58, v40
	v_cndmask_b32_e64 v0, v38, v0, s[4:5]
	v_and_b32_e32 v38, s57, v0
	v_and_b32_e32 v1, 1, v38
	v_add_co_u32_e64 v39, s[4:5], -1, v1
	v_addc_co_u32_e64 v99, s[4:5], 0, -1, s[4:5]
	v_cmp_ne_u32_e64 s[4:5], 0, v1
	v_lshlrev_b32_e32 v0, 3, v38
	v_xor_b32_e32 v1, s5, v99
	v_add_lshl_u32 v98, v0, v66, 2
	v_mov_b32_e32 v0, 0
	v_and_b32_e32 v99, exec_hi, v1
	v_lshlrev_b32_e32 v1, 30, v38
	v_xor_b32_e32 v39, s4, v39
	v_cmp_gt_i64_e64 s[4:5], 0, v[0:1]
	v_not_b32_e32 v1, v1
	v_ashrrev_i32_e32 v1, 31, v1
	v_and_b32_e32 v39, exec_lo, v39
	v_xor_b32_e32 v100, s5, v1
	v_xor_b32_e32 v1, s4, v1
	v_and_b32_e32 v39, v39, v1
	v_lshlrev_b32_e32 v1, 29, v38
	v_cmp_gt_i64_e64 s[4:5], 0, v[0:1]
	v_not_b32_e32 v1, v1
	v_ashrrev_i32_e32 v1, 31, v1
	v_and_b32_e32 v99, v99, v100
	v_xor_b32_e32 v100, s5, v1
	v_xor_b32_e32 v1, s4, v1
	v_and_b32_e32 v39, v39, v1
	v_lshlrev_b32_e32 v1, 28, v38
	v_cmp_gt_i64_e64 s[4:5], 0, v[0:1]
	v_not_b32_e32 v1, v1
	v_ashrrev_i32_e32 v1, 31, v1
	v_and_b32_e32 v99, v99, v100
	;; [unrolled: 8-line block ×5, first 2 shown]
	v_xor_b32_e32 v100, s5, v1
	v_xor_b32_e32 v1, s4, v1
	v_and_b32_e32 v39, v39, v1
	v_lshlrev_b32_e32 v1, 24, v38
	v_cmp_gt_i64_e64 s[4:5], 0, v[0:1]
	v_not_b32_e32 v0, v1
	v_ashrrev_i32_e32 v0, 31, v0
	v_xor_b32_e32 v1, s5, v0
	v_xor_b32_e32 v0, s4, v0
	; wave barrier
	ds_read_b32 v66, v98 offset:32
	v_and_b32_e32 v99, v99, v100
	v_and_b32_e32 v0, v39, v0
	;; [unrolled: 1-line block ×3, first 2 shown]
	v_mbcnt_lo_u32_b32 v38, v0, 0
	v_mbcnt_hi_u32_b32 v99, v1, v38
	v_cmp_eq_u32_e64 s[4:5], 0, v99
	v_cmp_ne_u64_e64 s[46:47], 0, v[0:1]
	s_and_b64 s[46:47], s[46:47], s[4:5]
	; wave barrier
	s_and_saveexec_b64 s[4:5], s[46:47]
	s_cbranch_execz .LBB235_82
; %bb.81:
	v_bcnt_u32_b32 v0, v0, 0
	v_bcnt_u32_b32 v0, v1, v0
	s_waitcnt lgkmcnt(0)
	v_add_u32_e32 v0, v66, v0
	ds_write_b32 v98, v0 offset:32
.LBB235_82:
	s_or_b64 exec, exec, s[4:5]
	; wave barrier
	s_waitcnt lgkmcnt(0)
	s_barrier
	ds_read2_b32 v[38:39], v62 offset0:8 offset1:9
	ds_read2_b32 v[0:1], v67 offset0:2 offset1:3
	s_waitcnt lgkmcnt(1)
	v_add_u32_e32 v100, v39, v38
	s_waitcnt lgkmcnt(0)
	v_add3_u32 v1, v100, v0, v1
	s_nop 1
	v_mov_b32_dpp v100, v1 row_shr:1 row_mask:0xf bank_mask:0xf
	v_cndmask_b32_e64 v100, v100, 0, s[24:25]
	v_add_u32_e32 v1, v100, v1
	s_nop 1
	v_mov_b32_dpp v100, v1 row_shr:2 row_mask:0xf bank_mask:0xf
	v_cndmask_b32_e64 v100, 0, v100, s[26:27]
	v_add_u32_e32 v1, v1, v100
	;; [unrolled: 4-line block ×4, first 2 shown]
	s_nop 1
	v_mov_b32_dpp v100, v1 row_bcast:15 row_mask:0xf bank_mask:0xf
	v_cndmask_b32_e64 v100, v100, 0, vcc
	v_add_u32_e32 v1, v1, v100
	s_nop 1
	v_mov_b32_dpp v100, v1 row_bcast:31 row_mask:0xf bank_mask:0xf
	v_cndmask_b32_e64 v100, 0, v100, s[36:37]
	v_add_u32_e32 v100, v1, v100
	s_and_saveexec_b64 s[4:5], s[16:17]
	s_cbranch_execz .LBB235_84
; %bb.83:
	ds_write_b32 v68, v100
.LBB235_84:
	s_or_b64 exec, exec, s[4:5]
	s_waitcnt lgkmcnt(0)
	s_barrier
	s_and_saveexec_b64 s[4:5], s[28:29]
	s_cbranch_execz .LBB235_86
; %bb.85:
	ds_read_b32 v1, v41
	s_waitcnt lgkmcnt(0)
	s_nop 0
	v_mov_b32_dpp v68, v1 row_shr:1 row_mask:0xf bank_mask:0xf
	v_cndmask_b32_e64 v68, v68, 0, s[22:23]
	v_add_u32_e32 v1, v68, v1
	s_nop 1
	v_mov_b32_dpp v68, v1 row_shr:2 row_mask:0xf bank_mask:0xf
	v_cndmask_b32_e64 v68, 0, v68, s[20:21]
	v_add_u32_e32 v1, v1, v68
	;; [unrolled: 4-line block ×3, first 2 shown]
	ds_write_b32 v41, v1
.LBB235_86:
	s_or_b64 exec, exec, s[4:5]
	v_mov_b32_e32 v1, 0
	v_mov_b32_e32 v41, 0
	s_waitcnt lgkmcnt(0)
	s_barrier
	s_and_saveexec_b64 s[4:5], s[38:39]
	s_cbranch_execz .LBB235_88
; %bb.87:
	ds_read_b32 v41, v78
.LBB235_88:
	s_or_b64 exec, exec, s[4:5]
	s_waitcnt lgkmcnt(0)
	v_add_u32_e32 v68, v41, v100
	ds_bpermute_b32 v68, v79, v68
	s_mov_b32 s16, 0x5040100
	s_waitcnt lgkmcnt(0)
	v_cndmask_b32_e64 v41, v68, v41, s[40:41]
	v_cndmask_b32_e64 v41, v41, 0, s[42:43]
	v_add_u32_e32 v38, v41, v38
	v_add_u32_e32 v39, v38, v39
	;; [unrolled: 1-line block ×3, first 2 shown]
	ds_write2_b32 v62, v41, v38 offset0:8 offset1:9
	ds_write2_b32 v67, v39, v0 offset0:2 offset1:3
	s_waitcnt lgkmcnt(0)
	s_barrier
	ds_read_b32 v0, v98 offset:32
	ds_read_b32 v38, v96 offset:32
	;; [unrolled: 1-line block ×4, first 2 shown]
	s_waitcnt lgkmcnt(3)
	v_add3_u32 v0, v99, v66, v0
	ds_read_b32 v66, v87 offset:32
	ds_read_b32 v67, v84 offset:32
	;; [unrolled: 1-line block ×4, first 2 shown]
	s_waitcnt lgkmcnt(0)
	s_barrier
	v_add3_u32 v67, v85, v83, v67
	v_add3_u32 v68, v82, v80, v68
	v_add_u32_e32 v76, v76, v77
	v_lshlrev_b32_e32 v77, 1, v76
	ds_write_b16 v77, v75
	v_lshlrev_b32_e32 v75, 1, v68
	v_add3_u32 v66, v88, v86, v66
	ds_write_b16 v75, v74
	v_lshlrev_b32_e32 v74, 1, v67
	v_add3_u32 v41, v91, v89, v41
	;; [unrolled: 3-line block ×4, first 2 shown]
	ds_write_b16 v72, v71
	v_lshlrev_b32_e32 v71, 1, v39
	ds_write_b16 v71, v70
	v_lshlrev_b32_e32 v70, 1, v38
	;; [unrolled: 2-line block ×4, first 2 shown]
	s_waitcnt lgkmcnt(0)
	s_barrier
	v_lshlrev_b32_e32 v70, 3, v41
	v_lshlrev_b32_e32 v71, 3, v39
	;; [unrolled: 1-line block ×3, first 2 shown]
	ds_read_b128 v[38:41], v40
	v_mov_b32_e32 v75, 0xffff8000
	v_lshlrev_b32_e32 v69, 3, v76
	v_lshlrev_b32_e32 v73, 3, v60
	;; [unrolled: 1-line block ×3, first 2 shown]
	s_waitcnt lgkmcnt(0)
	v_cmp_lt_i16_sdwa vcc, v38, v1 src0_sel:WORD_1 src1_sel:DWORD
	v_cndmask_b32_e32 v76, -1, v75, vcc
	v_cmp_gt_i16_e32 vcc, 0, v38
	v_lshlrev_b32_e32 v67, 3, v67
	v_lshlrev_b32_e32 v66, 3, v66
	;; [unrolled: 1-line block ×3, first 2 shown]
	v_cndmask_b32_e32 v77, -1, v75, vcc
	v_cmp_lt_i16_e32 vcc, -1, v39
	s_barrier
	ds_write_b64 v69, v[34:35]
	ds_write_b64 v68, v[36:37]
	;; [unrolled: 1-line block ×8, first 2 shown]
	s_waitcnt lgkmcnt(0)
	s_barrier
	ds_read2_b64 v[22:25], v73 offset1:1
	ds_read2_b64 v[26:29], v73 offset0:2 offset1:3
	ds_read2_b64 v[30:33], v73 offset0:4 offset1:5
	;; [unrolled: 1-line block ×3, first 2 shown]
	v_mov_b32_e32 v74, -1
	v_cndmask_b32_e64 v79, v75, -1, vcc
	v_cmp_lt_i16_sdwa vcc, v40, v1 src0_sel:WORD_1 src1_sel:DWORD
	v_cmp_gt_i16_sdwa s[4:5], v39, v74 src0_sel:WORD_1 src1_sel:DWORD
	v_cndmask_b32_e32 v0, -1, v75, vcc
	v_cmp_gt_i16_e32 vcc, 0, v40
	v_cndmask_b32_e64 v78, v75, -1, s[4:5]
	v_cndmask_b32_e32 v1, -1, v75, vcc
	v_cmp_gt_i16_sdwa s[4:5], v41, v74 src0_sel:WORD_1 src1_sel:DWORD
	v_cmp_lt_i16_e32 vcc, -1, v41
	v_cndmask_b32_e64 v66, v75, -1, s[4:5]
	v_cndmask_b32_e64 v67, v75, -1, vcc
	v_xor_b32_e32 v79, v79, v39
	v_xor_b32_sdwa v39, v78, v39 dst_sel:DWORD dst_unused:UNUSED_PAD src0_sel:DWORD src1_sel:WORD_1
	v_xor_b32_e32 v77, v77, v38
	v_xor_b32_sdwa v38, v76, v38 dst_sel:DWORD dst_unused:UNUSED_PAD src0_sel:DWORD src1_sel:WORD_1
	;; [unrolled: 2-line block ×4, first 2 shown]
	v_perm_b32 v39, v39, v79, s16
	v_perm_b32 v38, v38, v77, s16
	;; [unrolled: 1-line block ×4, first 2 shown]
	s_branch .LBB235_142
.LBB235_89:
	v_mad_u64_u32 v[2:3], s[16:17], v42, s50, 0
	v_mov_b32_e32 v4, v3
	v_mad_u64_u32 v[4:5], s[16:17], v42, s51, v[4:5]
	v_mov_b32_e32 v3, v4
	v_lshlrev_b64 v[2:3], 3, v[2:3]
	v_mov_b32_e32 v4, s56
	v_add_co_u32_e32 v2, vcc, s55, v2
	v_addc_co_u32_e32 v3, vcc, v4, v3, vcc
	global_load_dwordx2 v[2:3], v[2:3], off
	v_mov_b32_e32 v4, 0
	v_mov_b32_e32 v5, v4
	;; [unrolled: 1-line block ×14, first 2 shown]
	s_or_b64 exec, exec, s[4:5]
	s_and_saveexec_b64 s[4:5], s[2:3]
	s_cbranch_execz .LBB235_36
.LBB235_90:
	v_mad_u64_u32 v[4:5], s[16:17], v33, s50, 0
	v_mov_b32_e32 v38, v5
	v_mad_u64_u32 v[38:39], s[16:17], v33, s51, v[38:39]
	v_mov_b32_e32 v5, v38
	v_lshlrev_b64 v[4:5], 3, v[4:5]
	v_mov_b32_e32 v33, s56
	v_add_co_u32_e32 v4, vcc, s55, v4
	v_addc_co_u32_e32 v5, vcc, v33, v5, vcc
	global_load_dwordx2 v[4:5], v[4:5], off
	s_or_b64 exec, exec, s[4:5]
	s_and_saveexec_b64 s[4:5], s[44:45]
	s_cbranch_execz .LBB235_37
.LBB235_91:
	v_mad_u64_u32 v[6:7], s[16:17], v31, s50, 0
	v_mov_b32_e32 v38, v7
	v_mad_u64_u32 v[38:39], s[16:17], v31, s51, v[38:39]
	v_mov_b32_e32 v7, v38
	v_lshlrev_b64 v[6:7], 3, v[6:7]
	v_mov_b32_e32 v31, s56
	v_add_co_u32_e32 v6, vcc, s55, v6
	v_addc_co_u32_e32 v7, vcc, v31, v7, vcc
	global_load_dwordx2 v[6:7], v[6:7], off
	s_or_b64 exec, exec, s[4:5]
	s_and_saveexec_b64 s[4:5], s[6:7]
	s_cbranch_execz .LBB235_38
.LBB235_92:
	v_mad_u64_u32 v[8:9], s[16:17], v28, s50, 0
	v_mov_b32_e32 v38, v9
	v_mad_u64_u32 v[38:39], s[16:17], v28, s51, v[38:39]
	v_mov_b32_e32 v9, v38
	v_lshlrev_b64 v[8:9], 3, v[8:9]
	v_mov_b32_e32 v28, s56
	v_add_co_u32_e32 v8, vcc, s55, v8
	v_addc_co_u32_e32 v9, vcc, v28, v9, vcc
	global_load_dwordx2 v[8:9], v[8:9], off
	s_or_b64 exec, exec, s[4:5]
	s_and_saveexec_b64 s[4:5], s[8:9]
	s_cbranch_execz .LBB235_39
.LBB235_93:
	v_mad_u64_u32 v[10:11], s[16:17], v25, s50, 0
	v_mov_b32_e32 v28, v11
	v_mad_u64_u32 v[38:39], s[16:17], v25, s51, v[28:29]
	v_mov_b32_e32 v11, v38
	v_lshlrev_b64 v[10:11], 3, v[10:11]
	v_mov_b32_e32 v25, s56
	v_add_co_u32_e32 v10, vcc, s55, v10
	v_addc_co_u32_e32 v11, vcc, v25, v11, vcc
	global_load_dwordx2 v[10:11], v[10:11], off
	s_or_b64 exec, exec, s[4:5]
	s_and_saveexec_b64 s[4:5], s[10:11]
	s_cbranch_execz .LBB235_40
.LBB235_94:
	v_mad_u64_u32 v[12:13], s[16:17], v23, s50, 0
	v_mov_b32_e32 v28, v13
	v_mad_u64_u32 v[38:39], s[16:17], v23, s51, v[28:29]
	v_mov_b32_e32 v13, v38
	v_lshlrev_b64 v[12:13], 3, v[12:13]
	v_mov_b32_e32 v23, s56
	v_add_co_u32_e32 v12, vcc, s55, v12
	v_addc_co_u32_e32 v13, vcc, v23, v13, vcc
	global_load_dwordx2 v[12:13], v[12:13], off
	s_or_b64 exec, exec, s[4:5]
	s_and_saveexec_b64 s[4:5], s[12:13]
	s_cbranch_execz .LBB235_41
.LBB235_95:
	v_mad_u64_u32 v[14:15], s[16:17], v22, s50, 0
	v_mov_b32_e32 v28, v15
	v_mad_u64_u32 v[22:23], s[16:17], v22, s51, v[28:29]
	v_mov_b32_e32 v15, v22
	v_lshlrev_b64 v[14:15], 3, v[14:15]
	v_mov_b32_e32 v22, s56
	v_add_co_u32_e32 v14, vcc, s55, v14
	v_addc_co_u32_e32 v15, vcc, v22, v15, vcc
	global_load_dwordx2 v[14:15], v[14:15], off
	s_or_b64 exec, exec, s[4:5]
	s_xor_b64 s[4:5], s[34:35], -1
	s_and_saveexec_b64 s[16:17], s[14:15]
	s_cbranch_execnz .LBB235_42
	s_branch .LBB235_43
.LBB235_96:
                                        ; implicit-def: $vgpr36_vgpr37
                                        ; implicit-def: $vgpr32_vgpr33
                                        ; implicit-def: $vgpr28_vgpr29
                                        ; implicit-def: $vgpr24_vgpr25
                                        ; implicit-def: $vgpr40_vgpr41
	s_cbranch_execz .LBB235_142
; %bb.97:
	s_waitcnt lgkmcnt(3)
	v_mov_b32_e32 v22, 0
	s_waitcnt lgkmcnt(0)
	v_mov_b32_e32 v35, 0x7fff
	v_cmp_gt_i16_e32 vcc, 0, v19
	v_cmp_lt_i16_sdwa s[4:5], v19, v22 src0_sel:WORD_1 src1_sel:DWORD
	v_cndmask_b32_e64 v23, v35, 0, vcc
	v_cmp_gt_i16_e32 vcc, 0, v18
	v_cndmask_b32_e64 v25, v35, 0, s[4:5]
	v_cmp_lt_i16_sdwa s[4:5], v18, v22 src0_sel:WORD_1 src1_sel:DWORD
	v_cndmask_b32_e64 v24, v35, 0, vcc
	v_cndmask_b32_e64 v27, v35, 0, s[4:5]
	v_cmp_gt_i16_e32 vcc, 0, v21
	v_cmp_lt_i16_sdwa s[4:5], v21, v22 src0_sel:WORD_1 src1_sel:DWORD
	v_xor_b32_sdwa v25, v25, v19 dst_sel:DWORD dst_unused:UNUSED_PAD src0_sel:DWORD src1_sel:WORD_1
	v_xor_b32_e32 v19, v23, v19
	v_cndmask_b32_e64 v23, v35, 0, vcc
	v_cmp_gt_i16_e32 vcc, 0, v20
	v_cndmask_b32_e64 v28, v35, 0, s[4:5]
	v_cmp_lt_i16_sdwa s[4:5], v20, v22 src0_sel:WORD_1 src1_sel:DWORD
	v_mbcnt_hi_u32_b32 v26, -1, v65
	v_and_b32_e32 v34, 0x3c0, v42
	v_xor_b32_sdwa v27, v27, v18 dst_sel:DWORD dst_unused:UNUSED_PAD src0_sel:DWORD src1_sel:WORD_1
	v_xor_b32_e32 v18, v24, v18
	v_cndmask_b32_e64 v24, v35, 0, vcc
	v_cndmask_b32_e64 v29, v35, 0, s[4:5]
	v_add_u32_e32 v0, v26, v34
	v_xor_b32_sdwa v29, v29, v20 dst_sel:DWORD dst_unused:UNUSED_PAD src0_sel:DWORD src1_sel:WORD_1
	v_xor_b32_sdwa v28, v28, v21 dst_sel:DWORD dst_unused:UNUSED_PAD src0_sel:DWORD src1_sel:WORD_1
	v_xor_b32_e32 v20, v24, v20
	v_xor_b32_e32 v21, v23, v21
	s_mov_b32 s4, 0x5040100
	v_lshlrev_b32_e32 v1, 4, v0
	v_perm_b32 v21, v28, v21, s4
	v_perm_b32 v20, v29, v20, s4
	;; [unrolled: 1-line block ×4, first 2 shown]
	v_and_b32_e32 v36, 0x1e00, v60
	ds_write_b128 v1, v[18:21]
	v_or_b32_e32 v1, v26, v36
	v_lshlrev_b32_e32 v18, 1, v1
	v_lshlrev_b32_e32 v0, 6, v0
	; wave barrier
	ds_read_u16 v33, v18
	ds_read_u16 v32, v18 offset:128
	ds_read_u16 v31, v18 offset:256
	;; [unrolled: 1-line block ×7, first 2 shown]
	s_waitcnt lgkmcnt(0)
	s_barrier
	ds_write2_b64 v0, v[14:15], v[16:17] offset1:1
	ds_write2_b64 v0, v[10:11], v[12:13] offset0:2 offset1:3
	ds_write2_b64 v0, v[6:7], v[8:9] offset0:4 offset1:5
	;; [unrolled: 1-line block ×3, first 2 shown]
	v_lshlrev_b32_e32 v0, 3, v1
	; wave barrier
	ds_read2st64_b64 v[12:15], v0 offset1:1
	ds_read2st64_b64 v[8:11], v0 offset0:2 offset1:3
	ds_read2st64_b64 v[4:7], v0 offset0:4 offset1:5
	;; [unrolled: 1-line block ×3, first 2 shown]
	s_waitcnt lgkmcnt(0)
	s_barrier
	s_load_dword s16, s[52:53], 0xc
	s_getpc_b64 s[4:5]
	s_add_u32 s4, s4, _ZN7rocprim17ROCPRIM_400000_NS16block_radix_sortI6__halfLj512ELj8ElLj1ELj1ELj0ELNS0_26block_radix_rank_algorithmE1ELNS0_18block_padding_hintE2ELNS0_4arch9wavefront6targetE1EE19radix_bits_per_passE@rel32@lo+4
	s_addc_u32 s5, s5, _ZN7rocprim17ROCPRIM_400000_NS16block_radix_sortI6__halfLj512ELj8ElLj1ELj1ELj0ELNS0_26block_radix_rank_algorithmE1ELNS0_18block_padding_hintE2ELNS0_4arch9wavefront6targetE1EE19radix_bits_per_passE@rel32@hi+12
	s_load_dword s46, s[4:5], 0x0
	s_movk_i32 s17, 0x8000
	v_cmp_ne_u16_e32 vcc, s17, v33
	s_waitcnt lgkmcnt(0)
	s_lshr_b32 s4, s16, 16
	s_and_b32 s5, s16, 0xffff
	v_mad_u32_u24 v16, v64, s4, v63
	v_mad_u64_u32 v[16:17], s[4:5], v16, s5, v[42:43]
	s_min_u32 s4, s46, 16
	s_lshl_b32 s4, -1, s4
	v_lshrrev_b32_e32 v24, 6, v16
	s_not_b32 s16, s4
	v_cndmask_b32_e32 v16, v35, v33, vcc
	v_and_b32_sdwa v16, s16, v16 dst_sel:DWORD dst_unused:UNUSED_PAD src0_sel:DWORD src1_sel:WORD_0
	v_lshlrev_b32_e32 v17, 3, v16
	v_add_lshl_u32 v37, v24, v17, 2
	v_and_b32_e32 v17, 1, v16
	v_add_co_u32_e32 v18, vcc, -1, v17
	v_addc_co_u32_e64 v19, s[4:5], 0, -1, vcc
	v_cmp_ne_u32_e32 vcc, 0, v17
	v_lshlrev_b32_e32 v23, 30, v16
	v_xor_b32_e32 v17, vcc_hi, v19
	v_not_b32_e32 v19, v23
	v_xor_b32_e32 v18, vcc_lo, v18
	v_cmp_gt_i64_e32 vcc, 0, v[22:23]
	v_ashrrev_i32_e32 v19, 31, v19
	v_and_b32_e32 v18, exec_lo, v18
	v_xor_b32_e32 v20, vcc_hi, v19
	v_xor_b32_e32 v19, vcc_lo, v19
	v_lshlrev_b32_e32 v23, 29, v16
	v_and_b32_e32 v18, v18, v19
	v_not_b32_e32 v19, v23
	v_and_b32_e32 v17, exec_hi, v17
	v_cmp_gt_i64_e32 vcc, 0, v[22:23]
	v_ashrrev_i32_e32 v19, 31, v19
	v_and_b32_e32 v17, v17, v20
	v_xor_b32_e32 v20, vcc_hi, v19
	v_xor_b32_e32 v19, vcc_lo, v19
	v_lshlrev_b32_e32 v23, 28, v16
	v_and_b32_e32 v18, v18, v19
	v_not_b32_e32 v19, v23
	v_cmp_gt_i64_e32 vcc, 0, v[22:23]
	v_ashrrev_i32_e32 v19, 31, v19
	v_and_b32_e32 v17, v17, v20
	v_xor_b32_e32 v20, vcc_hi, v19
	v_xor_b32_e32 v19, vcc_lo, v19
	v_lshlrev_b32_e32 v23, 27, v16
	v_and_b32_e32 v18, v18, v19
	v_not_b32_e32 v19, v23
	;; [unrolled: 8-line block ×3, first 2 shown]
	v_cmp_gt_i64_e32 vcc, 0, v[22:23]
	v_ashrrev_i32_e32 v19, 31, v19
	v_and_b32_e32 v17, v17, v20
	v_xor_b32_e32 v20, vcc_hi, v19
	v_xor_b32_e32 v19, vcc_lo, v19
	v_lshlrev_b32_e32 v23, 25, v16
	v_and_b32_e32 v18, v18, v19
	v_cmp_gt_i64_e32 vcc, 0, v[22:23]
	v_not_b32_e32 v19, v23
	v_lshlrev_b32_e32 v23, 24, v16
	v_ashrrev_i32_e32 v19, 31, v19
	v_not_b32_e32 v16, v23
	v_and_b32_e32 v17, v17, v20
	v_xor_b32_e32 v20, vcc_hi, v19
	v_xor_b32_e32 v19, vcc_lo, v19
	v_cmp_gt_i64_e32 vcc, 0, v[22:23]
	v_ashrrev_i32_e32 v16, 31, v16
	v_and_b32_e32 v18, v18, v19
	v_xor_b32_e32 v19, vcc_hi, v16
	v_xor_b32_e32 v16, vcc_lo, v16
	v_and_b32_e32 v17, v17, v20
	v_and_b32_e32 v16, v18, v16
	;; [unrolled: 1-line block ×3, first 2 shown]
	v_mbcnt_lo_u32_b32 v18, v16, 0
	v_mbcnt_hi_u32_b32 v38, v17, v18
	v_cmp_eq_u32_e32 vcc, 0, v38
	v_cmp_ne_u64_e64 s[4:5], 0, v[16:17]
	s_and_b64 s[18:19], s[4:5], vcc
	ds_write2_b32 v62, v22, v22 offset0:8 offset1:9
	ds_write2_b32 v62, v22, v22 offset0:10 offset1:11
	s_waitcnt lgkmcnt(0)
	s_barrier
	s_waitcnt lgkmcnt(0)
	; wave barrier
	s_and_saveexec_b64 s[4:5], s[18:19]
	s_cbranch_execz .LBB235_99
; %bb.98:
	v_bcnt_u32_b32 v16, v16, 0
	v_bcnt_u32_b32 v16, v17, v16
	ds_write_b32 v37, v16 offset:32
.LBB235_99:
	s_or_b64 exec, exec, s[4:5]
	v_cmp_ne_u16_e32 vcc, s17, v32
	v_cndmask_b32_e32 v16, v35, v32, vcc
	v_and_b32_sdwa v16, s16, v16 dst_sel:DWORD dst_unused:UNUSED_PAD src0_sel:DWORD src1_sel:WORD_0
	v_lshlrev_b32_e32 v17, 3, v16
	v_add_lshl_u32 v40, v24, v17, 2
	v_and_b32_e32 v17, 1, v16
	v_add_co_u32_e32 v18, vcc, -1, v17
	v_addc_co_u32_e64 v19, s[4:5], 0, -1, vcc
	v_cmp_ne_u32_e32 vcc, 0, v17
	v_lshlrev_b32_e32 v23, 30, v16
	v_xor_b32_e32 v17, vcc_hi, v19
	v_not_b32_e32 v19, v23
	v_xor_b32_e32 v18, vcc_lo, v18
	v_cmp_gt_i64_e32 vcc, 0, v[22:23]
	v_ashrrev_i32_e32 v19, 31, v19
	v_and_b32_e32 v18, exec_lo, v18
	v_xor_b32_e32 v20, vcc_hi, v19
	v_xor_b32_e32 v19, vcc_lo, v19
	v_lshlrev_b32_e32 v23, 29, v16
	v_and_b32_e32 v18, v18, v19
	v_not_b32_e32 v19, v23
	v_and_b32_e32 v17, exec_hi, v17
	v_cmp_gt_i64_e32 vcc, 0, v[22:23]
	v_ashrrev_i32_e32 v19, 31, v19
	v_and_b32_e32 v17, v17, v20
	v_xor_b32_e32 v20, vcc_hi, v19
	v_xor_b32_e32 v19, vcc_lo, v19
	v_lshlrev_b32_e32 v23, 28, v16
	v_and_b32_e32 v18, v18, v19
	v_not_b32_e32 v19, v23
	v_cmp_gt_i64_e32 vcc, 0, v[22:23]
	v_ashrrev_i32_e32 v19, 31, v19
	v_and_b32_e32 v17, v17, v20
	v_xor_b32_e32 v20, vcc_hi, v19
	v_xor_b32_e32 v19, vcc_lo, v19
	v_lshlrev_b32_e32 v23, 27, v16
	v_and_b32_e32 v18, v18, v19
	v_not_b32_e32 v19, v23
	;; [unrolled: 8-line block ×3, first 2 shown]
	v_cmp_gt_i64_e32 vcc, 0, v[22:23]
	v_ashrrev_i32_e32 v19, 31, v19
	v_and_b32_e32 v17, v17, v20
	v_xor_b32_e32 v20, vcc_hi, v19
	v_xor_b32_e32 v19, vcc_lo, v19
	v_lshlrev_b32_e32 v23, 25, v16
	v_and_b32_e32 v18, v18, v19
	v_cmp_gt_i64_e32 vcc, 0, v[22:23]
	v_not_b32_e32 v19, v23
	v_lshlrev_b32_e32 v23, 24, v16
	v_ashrrev_i32_e32 v19, 31, v19
	v_not_b32_e32 v16, v23
	v_and_b32_e32 v17, v17, v20
	v_xor_b32_e32 v20, vcc_hi, v19
	v_xor_b32_e32 v19, vcc_lo, v19
	v_cmp_gt_i64_e32 vcc, 0, v[22:23]
	v_ashrrev_i32_e32 v16, 31, v16
	v_and_b32_e32 v18, v18, v19
	v_xor_b32_e32 v19, vcc_hi, v16
	v_xor_b32_e32 v16, vcc_lo, v16
	; wave barrier
	ds_read_b32 v39, v40 offset:32
	v_and_b32_e32 v17, v17, v20
	v_and_b32_e32 v16, v18, v16
	;; [unrolled: 1-line block ×3, first 2 shown]
	v_mbcnt_lo_u32_b32 v18, v16, 0
	v_mbcnt_hi_u32_b32 v41, v17, v18
	v_cmp_eq_u32_e32 vcc, 0, v41
	v_cmp_ne_u64_e64 s[4:5], 0, v[16:17]
	s_and_b64 s[18:19], s[4:5], vcc
	; wave barrier
	s_and_saveexec_b64 s[4:5], s[18:19]
	s_cbranch_execz .LBB235_101
; %bb.100:
	v_bcnt_u32_b32 v16, v16, 0
	v_bcnt_u32_b32 v16, v17, v16
	s_waitcnt lgkmcnt(0)
	v_add_u32_e32 v16, v39, v16
	ds_write_b32 v40, v16 offset:32
.LBB235_101:
	s_or_b64 exec, exec, s[4:5]
	v_mov_b32_e32 v20, 0x7fff
	v_cmp_ne_u16_e32 vcc, s17, v31
	v_cndmask_b32_e32 v16, v20, v31, vcc
	v_and_b32_sdwa v18, s16, v16 dst_sel:DWORD dst_unused:UNUSED_PAD src0_sel:DWORD src1_sel:WORD_0
	v_and_b32_e32 v17, 1, v18
	v_add_co_u32_e32 v19, vcc, -1, v17
	v_addc_co_u32_e64 v21, s[4:5], 0, -1, vcc
	v_cmp_ne_u32_e32 vcc, 0, v17
	v_lshlrev_b32_e32 v16, 3, v18
	v_xor_b32_e32 v17, vcc_hi, v21
	v_add_lshl_u32 v64, v24, v16, 2
	v_mov_b32_e32 v16, 0
	v_and_b32_e32 v21, exec_hi, v17
	v_lshlrev_b32_e32 v17, 30, v18
	v_xor_b32_e32 v19, vcc_lo, v19
	v_cmp_gt_i64_e32 vcc, 0, v[16:17]
	v_not_b32_e32 v17, v17
	v_ashrrev_i32_e32 v17, 31, v17
	v_and_b32_e32 v19, exec_lo, v19
	v_xor_b32_e32 v22, vcc_hi, v17
	v_xor_b32_e32 v17, vcc_lo, v17
	v_and_b32_e32 v19, v19, v17
	v_lshlrev_b32_e32 v17, 29, v18
	v_cmp_gt_i64_e32 vcc, 0, v[16:17]
	v_not_b32_e32 v17, v17
	v_ashrrev_i32_e32 v17, 31, v17
	v_and_b32_e32 v21, v21, v22
	v_xor_b32_e32 v22, vcc_hi, v17
	v_xor_b32_e32 v17, vcc_lo, v17
	v_and_b32_e32 v19, v19, v17
	v_lshlrev_b32_e32 v17, 28, v18
	v_cmp_gt_i64_e32 vcc, 0, v[16:17]
	v_not_b32_e32 v17, v17
	v_ashrrev_i32_e32 v17, 31, v17
	v_and_b32_e32 v21, v21, v22
	;; [unrolled: 8-line block ×5, first 2 shown]
	v_xor_b32_e32 v22, vcc_hi, v17
	v_xor_b32_e32 v17, vcc_lo, v17
	v_and_b32_e32 v21, v21, v22
	v_and_b32_e32 v22, v19, v17
	v_lshlrev_b32_e32 v17, 24, v18
	v_cmp_gt_i64_e32 vcc, 0, v[16:17]
	v_not_b32_e32 v17, v17
	v_ashrrev_i32_e32 v17, 31, v17
	v_xor_b32_e32 v18, vcc_hi, v17
	v_xor_b32_e32 v17, vcc_lo, v17
	; wave barrier
	ds_read_b32 v63, v64 offset:32
	v_and_b32_e32 v19, v21, v18
	v_and_b32_e32 v18, v22, v17
	v_mbcnt_lo_u32_b32 v17, v18, 0
	v_mbcnt_hi_u32_b32 v65, v19, v17
	v_cmp_eq_u32_e32 vcc, 0, v65
	v_cmp_ne_u64_e64 s[4:5], 0, v[18:19]
	s_and_b64 s[18:19], s[4:5], vcc
	; wave barrier
	s_and_saveexec_b64 s[4:5], s[18:19]
	s_cbranch_execz .LBB235_103
; %bb.102:
	v_bcnt_u32_b32 v17, v18, 0
	v_bcnt_u32_b32 v17, v19, v17
	s_waitcnt lgkmcnt(0)
	v_add_u32_e32 v17, v63, v17
	ds_write_b32 v64, v17 offset:32
.LBB235_103:
	s_or_b64 exec, exec, s[4:5]
	v_cmp_ne_u16_e32 vcc, s17, v30
	v_cndmask_b32_e32 v17, v20, v30, vcc
	v_and_b32_sdwa v18, s16, v17 dst_sel:DWORD dst_unused:UNUSED_PAD src0_sel:DWORD src1_sel:WORD_0
	v_lshlrev_b32_e32 v17, 3, v18
	v_add_lshl_u32 v67, v24, v17, 2
	v_and_b32_e32 v17, 1, v18
	v_add_co_u32_e32 v19, vcc, -1, v17
	v_addc_co_u32_e64 v20, s[4:5], 0, -1, vcc
	v_cmp_ne_u32_e32 vcc, 0, v17
	v_xor_b32_e32 v17, vcc_hi, v20
	v_and_b32_e32 v20, exec_hi, v17
	v_lshlrev_b32_e32 v17, 30, v18
	v_xor_b32_e32 v19, vcc_lo, v19
	v_cmp_gt_i64_e32 vcc, 0, v[16:17]
	v_not_b32_e32 v17, v17
	v_ashrrev_i32_e32 v17, 31, v17
	v_and_b32_e32 v19, exec_lo, v19
	v_xor_b32_e32 v21, vcc_hi, v17
	v_xor_b32_e32 v17, vcc_lo, v17
	v_and_b32_e32 v19, v19, v17
	v_lshlrev_b32_e32 v17, 29, v18
	v_cmp_gt_i64_e32 vcc, 0, v[16:17]
	v_not_b32_e32 v17, v17
	v_ashrrev_i32_e32 v17, 31, v17
	v_and_b32_e32 v20, v20, v21
	v_xor_b32_e32 v21, vcc_hi, v17
	v_xor_b32_e32 v17, vcc_lo, v17
	v_and_b32_e32 v19, v19, v17
	v_lshlrev_b32_e32 v17, 28, v18
	v_cmp_gt_i64_e32 vcc, 0, v[16:17]
	v_not_b32_e32 v17, v17
	v_ashrrev_i32_e32 v17, 31, v17
	v_and_b32_e32 v20, v20, v21
	;; [unrolled: 8-line block ×5, first 2 shown]
	v_xor_b32_e32 v21, vcc_hi, v17
	v_xor_b32_e32 v17, vcc_lo, v17
	v_and_b32_e32 v19, v19, v17
	v_lshlrev_b32_e32 v17, 24, v18
	v_cmp_gt_i64_e32 vcc, 0, v[16:17]
	v_not_b32_e32 v16, v17
	v_ashrrev_i32_e32 v16, 31, v16
	v_xor_b32_e32 v17, vcc_hi, v16
	v_xor_b32_e32 v16, vcc_lo, v16
	; wave barrier
	ds_read_b32 v66, v67 offset:32
	v_and_b32_e32 v20, v20, v21
	v_and_b32_e32 v16, v19, v16
	;; [unrolled: 1-line block ×3, first 2 shown]
	v_mbcnt_lo_u32_b32 v18, v16, 0
	v_mbcnt_hi_u32_b32 v68, v17, v18
	v_cmp_eq_u32_e32 vcc, 0, v68
	v_cmp_ne_u64_e64 s[4:5], 0, v[16:17]
	s_and_b64 s[18:19], s[4:5], vcc
	; wave barrier
	s_and_saveexec_b64 s[4:5], s[18:19]
	s_cbranch_execz .LBB235_105
; %bb.104:
	v_bcnt_u32_b32 v16, v16, 0
	v_bcnt_u32_b32 v16, v17, v16
	s_waitcnt lgkmcnt(0)
	v_add_u32_e32 v16, v66, v16
	ds_write_b32 v67, v16 offset:32
.LBB235_105:
	s_or_b64 exec, exec, s[4:5]
	v_mov_b32_e32 v20, 0x7fff
	v_cmp_ne_u16_e32 vcc, s17, v29
	v_cndmask_b32_e32 v16, v20, v29, vcc
	v_and_b32_sdwa v18, s16, v16 dst_sel:DWORD dst_unused:UNUSED_PAD src0_sel:DWORD src1_sel:WORD_0
	v_and_b32_e32 v17, 1, v18
	v_add_co_u32_e32 v19, vcc, -1, v17
	v_addc_co_u32_e64 v21, s[4:5], 0, -1, vcc
	v_cmp_ne_u32_e32 vcc, 0, v17
	v_lshlrev_b32_e32 v16, 3, v18
	v_xor_b32_e32 v17, vcc_hi, v21
	v_add_lshl_u32 v70, v24, v16, 2
	v_mov_b32_e32 v16, 0
	v_and_b32_e32 v21, exec_hi, v17
	v_lshlrev_b32_e32 v17, 30, v18
	v_xor_b32_e32 v19, vcc_lo, v19
	v_cmp_gt_i64_e32 vcc, 0, v[16:17]
	v_not_b32_e32 v17, v17
	v_ashrrev_i32_e32 v17, 31, v17
	v_and_b32_e32 v19, exec_lo, v19
	v_xor_b32_e32 v22, vcc_hi, v17
	v_xor_b32_e32 v17, vcc_lo, v17
	v_and_b32_e32 v19, v19, v17
	v_lshlrev_b32_e32 v17, 29, v18
	v_cmp_gt_i64_e32 vcc, 0, v[16:17]
	v_not_b32_e32 v17, v17
	v_ashrrev_i32_e32 v17, 31, v17
	v_and_b32_e32 v21, v21, v22
	v_xor_b32_e32 v22, vcc_hi, v17
	v_xor_b32_e32 v17, vcc_lo, v17
	v_and_b32_e32 v19, v19, v17
	v_lshlrev_b32_e32 v17, 28, v18
	v_cmp_gt_i64_e32 vcc, 0, v[16:17]
	v_not_b32_e32 v17, v17
	v_ashrrev_i32_e32 v17, 31, v17
	v_and_b32_e32 v21, v21, v22
	;; [unrolled: 8-line block ×5, first 2 shown]
	v_xor_b32_e32 v22, vcc_hi, v17
	v_xor_b32_e32 v17, vcc_lo, v17
	v_and_b32_e32 v21, v21, v22
	v_and_b32_e32 v22, v19, v17
	v_lshlrev_b32_e32 v17, 24, v18
	v_cmp_gt_i64_e32 vcc, 0, v[16:17]
	v_not_b32_e32 v17, v17
	v_ashrrev_i32_e32 v17, 31, v17
	v_xor_b32_e32 v18, vcc_hi, v17
	v_xor_b32_e32 v17, vcc_lo, v17
	; wave barrier
	ds_read_b32 v69, v70 offset:32
	v_and_b32_e32 v19, v21, v18
	v_and_b32_e32 v18, v22, v17
	v_mbcnt_lo_u32_b32 v17, v18, 0
	v_mbcnt_hi_u32_b32 v71, v19, v17
	v_cmp_eq_u32_e32 vcc, 0, v71
	v_cmp_ne_u64_e64 s[4:5], 0, v[18:19]
	s_and_b64 s[18:19], s[4:5], vcc
	; wave barrier
	s_and_saveexec_b64 s[4:5], s[18:19]
	s_cbranch_execz .LBB235_107
; %bb.106:
	v_bcnt_u32_b32 v17, v18, 0
	v_bcnt_u32_b32 v17, v19, v17
	s_waitcnt lgkmcnt(0)
	v_add_u32_e32 v17, v69, v17
	ds_write_b32 v70, v17 offset:32
.LBB235_107:
	s_or_b64 exec, exec, s[4:5]
	v_cmp_ne_u16_e32 vcc, s17, v28
	v_cndmask_b32_e32 v17, v20, v28, vcc
	v_and_b32_sdwa v18, s16, v17 dst_sel:DWORD dst_unused:UNUSED_PAD src0_sel:DWORD src1_sel:WORD_0
	v_lshlrev_b32_e32 v17, 3, v18
	v_add_lshl_u32 v73, v24, v17, 2
	v_and_b32_e32 v17, 1, v18
	v_add_co_u32_e32 v19, vcc, -1, v17
	v_addc_co_u32_e64 v20, s[4:5], 0, -1, vcc
	v_cmp_ne_u32_e32 vcc, 0, v17
	v_xor_b32_e32 v17, vcc_hi, v20
	v_and_b32_e32 v20, exec_hi, v17
	v_lshlrev_b32_e32 v17, 30, v18
	v_xor_b32_e32 v19, vcc_lo, v19
	v_cmp_gt_i64_e32 vcc, 0, v[16:17]
	v_not_b32_e32 v17, v17
	v_ashrrev_i32_e32 v17, 31, v17
	v_and_b32_e32 v19, exec_lo, v19
	v_xor_b32_e32 v21, vcc_hi, v17
	v_xor_b32_e32 v17, vcc_lo, v17
	v_and_b32_e32 v19, v19, v17
	v_lshlrev_b32_e32 v17, 29, v18
	v_cmp_gt_i64_e32 vcc, 0, v[16:17]
	v_not_b32_e32 v17, v17
	v_ashrrev_i32_e32 v17, 31, v17
	v_and_b32_e32 v20, v20, v21
	v_xor_b32_e32 v21, vcc_hi, v17
	v_xor_b32_e32 v17, vcc_lo, v17
	v_and_b32_e32 v19, v19, v17
	v_lshlrev_b32_e32 v17, 28, v18
	v_cmp_gt_i64_e32 vcc, 0, v[16:17]
	v_not_b32_e32 v17, v17
	v_ashrrev_i32_e32 v17, 31, v17
	v_and_b32_e32 v20, v20, v21
	;; [unrolled: 8-line block ×5, first 2 shown]
	v_xor_b32_e32 v21, vcc_hi, v17
	v_xor_b32_e32 v17, vcc_lo, v17
	v_and_b32_e32 v19, v19, v17
	v_lshlrev_b32_e32 v17, 24, v18
	v_cmp_gt_i64_e32 vcc, 0, v[16:17]
	v_not_b32_e32 v16, v17
	v_ashrrev_i32_e32 v16, 31, v16
	v_xor_b32_e32 v17, vcc_hi, v16
	v_xor_b32_e32 v16, vcc_lo, v16
	; wave barrier
	ds_read_b32 v72, v73 offset:32
	v_and_b32_e32 v20, v20, v21
	v_and_b32_e32 v16, v19, v16
	;; [unrolled: 1-line block ×3, first 2 shown]
	v_mbcnt_lo_u32_b32 v18, v16, 0
	v_mbcnt_hi_u32_b32 v74, v17, v18
	v_cmp_eq_u32_e32 vcc, 0, v74
	v_cmp_ne_u64_e64 s[4:5], 0, v[16:17]
	s_and_b64 s[18:19], s[4:5], vcc
	; wave barrier
	s_and_saveexec_b64 s[4:5], s[18:19]
	s_cbranch_execz .LBB235_109
; %bb.108:
	v_bcnt_u32_b32 v16, v16, 0
	v_bcnt_u32_b32 v16, v17, v16
	s_waitcnt lgkmcnt(0)
	v_add_u32_e32 v16, v72, v16
	ds_write_b32 v73, v16 offset:32
.LBB235_109:
	s_or_b64 exec, exec, s[4:5]
	v_mov_b32_e32 v20, 0x7fff
	v_cmp_ne_u16_e32 vcc, s17, v27
	v_cndmask_b32_e32 v16, v20, v27, vcc
	v_and_b32_sdwa v18, s16, v16 dst_sel:DWORD dst_unused:UNUSED_PAD src0_sel:DWORD src1_sel:WORD_0
	v_and_b32_e32 v17, 1, v18
	v_add_co_u32_e32 v19, vcc, -1, v17
	v_addc_co_u32_e64 v21, s[4:5], 0, -1, vcc
	v_cmp_ne_u32_e32 vcc, 0, v17
	v_lshlrev_b32_e32 v16, 3, v18
	v_xor_b32_e32 v17, vcc_hi, v21
	v_add_lshl_u32 v76, v24, v16, 2
	v_mov_b32_e32 v16, 0
	v_and_b32_e32 v21, exec_hi, v17
	v_lshlrev_b32_e32 v17, 30, v18
	v_xor_b32_e32 v19, vcc_lo, v19
	v_cmp_gt_i64_e32 vcc, 0, v[16:17]
	v_not_b32_e32 v17, v17
	v_ashrrev_i32_e32 v17, 31, v17
	v_and_b32_e32 v19, exec_lo, v19
	v_xor_b32_e32 v22, vcc_hi, v17
	v_xor_b32_e32 v17, vcc_lo, v17
	v_and_b32_e32 v19, v19, v17
	v_lshlrev_b32_e32 v17, 29, v18
	v_cmp_gt_i64_e32 vcc, 0, v[16:17]
	v_not_b32_e32 v17, v17
	v_ashrrev_i32_e32 v17, 31, v17
	v_and_b32_e32 v21, v21, v22
	v_xor_b32_e32 v22, vcc_hi, v17
	v_xor_b32_e32 v17, vcc_lo, v17
	v_and_b32_e32 v19, v19, v17
	v_lshlrev_b32_e32 v17, 28, v18
	v_cmp_gt_i64_e32 vcc, 0, v[16:17]
	v_not_b32_e32 v17, v17
	v_ashrrev_i32_e32 v17, 31, v17
	v_and_b32_e32 v21, v21, v22
	;; [unrolled: 8-line block ×5, first 2 shown]
	v_xor_b32_e32 v22, vcc_hi, v17
	v_xor_b32_e32 v17, vcc_lo, v17
	v_and_b32_e32 v21, v21, v22
	v_and_b32_e32 v22, v19, v17
	v_lshlrev_b32_e32 v17, 24, v18
	v_cmp_gt_i64_e32 vcc, 0, v[16:17]
	v_not_b32_e32 v17, v17
	v_ashrrev_i32_e32 v17, 31, v17
	v_xor_b32_e32 v18, vcc_hi, v17
	v_xor_b32_e32 v17, vcc_lo, v17
	; wave barrier
	ds_read_b32 v75, v76 offset:32
	v_and_b32_e32 v19, v21, v18
	v_and_b32_e32 v18, v22, v17
	v_mbcnt_lo_u32_b32 v17, v18, 0
	v_mbcnt_hi_u32_b32 v77, v19, v17
	v_cmp_eq_u32_e32 vcc, 0, v77
	v_cmp_ne_u64_e64 s[4:5], 0, v[18:19]
	s_and_b64 s[18:19], s[4:5], vcc
	; wave barrier
	s_and_saveexec_b64 s[4:5], s[18:19]
	s_cbranch_execz .LBB235_111
; %bb.110:
	v_bcnt_u32_b32 v17, v18, 0
	v_bcnt_u32_b32 v17, v19, v17
	s_waitcnt lgkmcnt(0)
	v_add_u32_e32 v17, v75, v17
	ds_write_b32 v76, v17 offset:32
.LBB235_111:
	s_or_b64 exec, exec, s[4:5]
	v_cmp_ne_u16_e32 vcc, s17, v25
	v_cndmask_b32_e32 v17, v20, v25, vcc
	v_and_b32_sdwa v18, s16, v17 dst_sel:DWORD dst_unused:UNUSED_PAD src0_sel:DWORD src1_sel:WORD_0
	v_lshlrev_b32_e32 v17, 3, v18
	v_add_lshl_u32 v79, v24, v17, 2
	v_and_b32_e32 v17, 1, v18
	v_add_co_u32_e32 v19, vcc, -1, v17
	v_addc_co_u32_e64 v20, s[4:5], 0, -1, vcc
	v_cmp_ne_u32_e32 vcc, 0, v17
	v_xor_b32_e32 v17, vcc_hi, v20
	v_and_b32_e32 v20, exec_hi, v17
	v_lshlrev_b32_e32 v17, 30, v18
	v_xor_b32_e32 v19, vcc_lo, v19
	v_cmp_gt_i64_e32 vcc, 0, v[16:17]
	v_not_b32_e32 v17, v17
	v_ashrrev_i32_e32 v17, 31, v17
	v_and_b32_e32 v19, exec_lo, v19
	v_xor_b32_e32 v21, vcc_hi, v17
	v_xor_b32_e32 v17, vcc_lo, v17
	v_and_b32_e32 v19, v19, v17
	v_lshlrev_b32_e32 v17, 29, v18
	v_cmp_gt_i64_e32 vcc, 0, v[16:17]
	v_not_b32_e32 v17, v17
	v_ashrrev_i32_e32 v17, 31, v17
	v_and_b32_e32 v20, v20, v21
	v_xor_b32_e32 v21, vcc_hi, v17
	v_xor_b32_e32 v17, vcc_lo, v17
	v_and_b32_e32 v19, v19, v17
	v_lshlrev_b32_e32 v17, 28, v18
	v_cmp_gt_i64_e32 vcc, 0, v[16:17]
	v_not_b32_e32 v17, v17
	v_ashrrev_i32_e32 v17, 31, v17
	v_and_b32_e32 v20, v20, v21
	;; [unrolled: 8-line block ×5, first 2 shown]
	v_xor_b32_e32 v21, vcc_hi, v17
	v_xor_b32_e32 v17, vcc_lo, v17
	v_and_b32_e32 v19, v19, v17
	v_lshlrev_b32_e32 v17, 24, v18
	v_cmp_gt_i64_e32 vcc, 0, v[16:17]
	v_not_b32_e32 v16, v17
	v_ashrrev_i32_e32 v16, 31, v16
	v_xor_b32_e32 v17, vcc_hi, v16
	v_xor_b32_e32 v16, vcc_lo, v16
	; wave barrier
	ds_read_b32 v78, v79 offset:32
	v_and_b32_e32 v20, v20, v21
	v_and_b32_e32 v16, v19, v16
	;; [unrolled: 1-line block ×3, first 2 shown]
	v_mbcnt_lo_u32_b32 v18, v16, 0
	v_mbcnt_hi_u32_b32 v80, v17, v18
	v_cmp_eq_u32_e32 vcc, 0, v80
	v_cmp_ne_u64_e64 s[4:5], 0, v[16:17]
	v_add_u32_e32 v22, 32, v62
	v_lshrrev_b32_e32 v23, 6, v42
	v_min_u32_e32 v34, 0x1c0, v34
	s_and_b64 s[16:17], s[4:5], vcc
	; wave barrier
	s_and_saveexec_b64 s[4:5], s[16:17]
	s_cbranch_execz .LBB235_113
; %bb.112:
	v_bcnt_u32_b32 v16, v16, 0
	v_bcnt_u32_b32 v16, v17, v16
	s_waitcnt lgkmcnt(0)
	v_add_u32_e32 v16, v78, v16
	ds_write_b32 v79, v16 offset:32
.LBB235_113:
	s_or_b64 exec, exec, s[4:5]
	; wave barrier
	s_waitcnt lgkmcnt(0)
	s_barrier
	ds_read2_b32 v[18:19], v62 offset0:8 offset1:9
	ds_read2_b32 v[20:21], v22 offset0:2 offset1:3
	v_and_b32_e32 v17, 16, v26
	v_cmp_eq_u32_e32 vcc, 0, v17
	v_or_b32_e32 v17, 63, v34
	v_cmp_eq_u32_e64 s[16:17], v17, v42
	s_waitcnt lgkmcnt(1)
	v_add_u32_e32 v17, v19, v18
	v_and_b32_e32 v16, 15, v26
	s_waitcnt lgkmcnt(0)
	v_add3_u32 v17, v17, v20, v21
	v_cmp_eq_u32_e64 s[24:25], 0, v16
	v_cmp_lt_u32_e64 s[26:27], 1, v16
	v_mov_b32_dpp v21, v17 row_shr:1 row_mask:0xf bank_mask:0xf
	v_cndmask_b32_e64 v21, v21, 0, s[24:25]
	v_add_u32_e32 v17, v21, v17
	v_cmp_lt_u32_e64 s[30:31], 3, v16
	v_cmp_lt_u32_e64 s[34:35], 7, v16
	v_mov_b32_dpp v21, v17 row_shr:2 row_mask:0xf bank_mask:0xf
	v_cndmask_b32_e64 v21, 0, v21, s[26:27]
	v_add_u32_e32 v17, v17, v21
	v_bfe_i32 v35, v26, 4, 1
	v_cmp_lt_u32_e64 s[36:37], 31, v26
	v_mov_b32_dpp v21, v17 row_shr:4 row_mask:0xf bank_mask:0xf
	v_cndmask_b32_e64 v21, 0, v21, s[30:31]
	v_add_u32_e32 v17, v17, v21
	v_lshlrev_b32_e32 v23, 2, v23
	s_nop 0
	v_mov_b32_dpp v21, v17 row_shr:8 row_mask:0xf bank_mask:0xf
	v_cndmask_b32_e64 v16, 0, v21, s[34:35]
	v_add_u32_e32 v16, v17, v16
	s_nop 1
	v_mov_b32_dpp v17, v16 row_bcast:15 row_mask:0xf bank_mask:0xf
	v_and_b32_e32 v17, v35, v17
	v_add_u32_e32 v16, v16, v17
	s_nop 1
	v_mov_b32_dpp v17, v16 row_bcast:31 row_mask:0xf bank_mask:0xf
	v_cndmask_b32_e64 v17, 0, v17, s[36:37]
	v_add_u32_e32 v17, v16, v17
	s_and_saveexec_b64 s[4:5], s[16:17]
	s_cbranch_execz .LBB235_115
; %bb.114:
	ds_write_b32 v23, v17
.LBB235_115:
	s_or_b64 exec, exec, s[4:5]
	v_and_b32_e32 v16, 7, v26
	v_cmp_gt_u32_e64 s[28:29], 8, v42
	v_lshlrev_b32_e32 v21, 2, v42
	v_cmp_eq_u32_e64 s[22:23], 0, v16
	v_cmp_lt_u32_e64 s[20:21], 1, v16
	v_cmp_lt_u32_e64 s[18:19], 3, v16
	s_waitcnt lgkmcnt(0)
	s_barrier
	s_and_saveexec_b64 s[4:5], s[28:29]
	s_cbranch_execz .LBB235_117
; %bb.116:
	ds_read_b32 v16, v21
	s_waitcnt lgkmcnt(0)
	s_nop 0
	v_mov_b32_dpp v34, v16 row_shr:1 row_mask:0xf bank_mask:0xf
	v_cndmask_b32_e64 v34, v34, 0, s[22:23]
	v_add_u32_e32 v16, v34, v16
	s_nop 1
	v_mov_b32_dpp v34, v16 row_shr:2 row_mask:0xf bank_mask:0xf
	v_cndmask_b32_e64 v34, 0, v34, s[20:21]
	v_add_u32_e32 v16, v16, v34
	;; [unrolled: 4-line block ×3, first 2 shown]
	ds_write_b32 v21, v16
.LBB235_117:
	s_or_b64 exec, exec, s[4:5]
	v_cmp_lt_u32_e64 s[38:39], 63, v42
	v_add_u32_e32 v34, -4, v23
	v_mov_b32_e32 v16, 0
	v_mov_b32_e32 v81, 0
	s_waitcnt lgkmcnt(0)
	s_barrier
	s_and_saveexec_b64 s[4:5], s[38:39]
	s_cbranch_execz .LBB235_119
; %bb.118:
	ds_read_b32 v81, v34
.LBB235_119:
	s_or_b64 exec, exec, s[4:5]
	v_add_u32_e32 v35, -1, v26
	v_and_b32_e32 v82, 64, v26
	v_cmp_lt_i32_e64 s[4:5], v35, v82
	v_cndmask_b32_e64 v35, v35, v26, s[4:5]
	v_lshlrev_b32_e32 v35, 2, v35
	s_waitcnt lgkmcnt(0)
	v_add_u32_e32 v17, v81, v17
	ds_bpermute_b32 v17, v35, v17
	v_cmp_eq_u32_e64 s[40:41], 0, v26
	v_cmp_eq_u32_e64 s[42:43], 0, v42
	v_and_or_b32 v36, v26, 63, v36
	v_lshlrev_b32_e32 v82, 1, v36
	s_waitcnt lgkmcnt(0)
	v_cndmask_b32_e64 v17, v17, v81, s[40:41]
	v_cndmask_b32_e64 v17, v17, 0, s[42:43]
	v_add_u32_e32 v18, v17, v18
	v_add_u32_e32 v19, v18, v19
	;; [unrolled: 1-line block ×3, first 2 shown]
	ds_write2_b32 v62, v17, v18 offset0:8 offset1:9
	ds_write2_b32 v22, v19, v20 offset0:2 offset1:3
	s_waitcnt lgkmcnt(0)
	s_barrier
	ds_read_b32 v17, v37 offset:32
	ds_read_b32 v18, v40 offset:32
	;; [unrolled: 1-line block ×8, first 2 shown]
	s_waitcnt lgkmcnt(7)
	v_add_u32_e32 v17, v17, v38
	s_waitcnt lgkmcnt(6)
	v_add3_u32 v18, v41, v39, v18
	s_waitcnt lgkmcnt(4)
	v_add3_u32 v38, v68, v66, v20
	v_lshlrev_b32_e32 v20, 1, v17
	v_add3_u32 v19, v65, v63, v19
	s_waitcnt lgkmcnt(0)
	s_barrier
	ds_write_b16 v20, v33
	v_lshlrev_b32_e32 v20, 1, v18
	ds_write_b16 v20, v32
	v_lshlrev_b32_e32 v20, 1, v19
	v_add3_u32 v39, v71, v69, v26
	ds_write_b16 v20, v31
	v_lshlrev_b32_e32 v20, 1, v38
	v_add3_u32 v37, v74, v72, v37
	ds_write_b16 v20, v30
	v_lshlrev_b32_e32 v20, 1, v39
	v_add3_u32 v40, v77, v75, v40
	ds_write_b16 v20, v29
	v_lshlrev_b32_e32 v20, 1, v37
	v_add3_u32 v41, v80, v78, v64
	ds_write_b16 v20, v28
	v_lshlrev_b32_e32 v20, 1, v40
	ds_write_b16 v20, v27
	v_lshlrev_b32_e32 v20, 1, v41
	v_lshlrev_b32_e32 v17, 3, v17
	s_min_u32 s4, s46, 8
	ds_write_b16 v20, v25
	s_waitcnt lgkmcnt(0)
	s_barrier
	ds_read_u16 v31, v82
	ds_read_u16 v30, v82 offset:128
	ds_read_u16 v29, v82 offset:256
	;; [unrolled: 1-line block ×7, first 2 shown]
	s_waitcnt lgkmcnt(0)
	s_barrier
	ds_write_b64 v17, v[12:13]
	v_lshlrev_b32_e32 v12, 3, v18
	s_lshl_b32 s4, -1, s4
	s_movk_i32 s53, 0x8000
	ds_write_b64 v12, v[14:15]
	v_lshlrev_b32_e32 v12, 3, v19
	s_not_b32 s52, s4
	v_lshrrev_b16_e32 v17, 8, v31
	v_mov_b32_e32 v18, 0x7f
	v_cmp_ne_u16_e64 s[4:5], s53, v31
	ds_write_b64 v12, v[8:9]
	v_lshlrev_b32_e32 v8, 3, v38
	v_cndmask_b32_e64 v17, v18, v17, s[4:5]
	ds_write_b64 v8, v[10:11]
	v_lshlrev_b32_e32 v8, 3, v39
	v_and_b32_sdwa v19, v17, s52 dst_sel:DWORD dst_unused:UNUSED_PAD src0_sel:WORD_0 src1_sel:DWORD
	ds_write_b64 v8, v[4:5]
	v_lshlrev_b32_e32 v4, 3, v37
	v_lshlrev_b32_e32 v17, 3, v19
	ds_write_b64 v4, v[6:7]
	v_lshlrev_b32_e32 v4, 3, v40
	v_add_lshl_u32 v32, v17, v24, 2
	v_and_b32_e32 v17, 1, v19
	v_lshlrev_b32_e32 v36, 3, v36
	ds_write_b64 v4, v[0:1]
	v_lshlrev_b32_e32 v0, 3, v41
	v_add_co_u32_e64 v33, s[4:5], -1, v17
	ds_write_b64 v0, v[2:3]
	s_waitcnt lgkmcnt(0)
	s_barrier
	ds_read2st64_b64 v[12:15], v36 offset1:1
	ds_read2st64_b64 v[8:11], v36 offset0:2 offset1:3
	ds_read2st64_b64 v[4:7], v36 offset0:4 offset1:5
	;; [unrolled: 1-line block ×3, first 2 shown]
	v_addc_co_u32_e64 v36, s[4:5], 0, -1, s[4:5]
	v_cmp_ne_u32_e64 s[4:5], 0, v17
	v_xor_b32_e32 v17, s5, v36
	v_and_b32_e32 v36, exec_hi, v17
	v_lshlrev_b32_e32 v17, 30, v19
	v_xor_b32_e32 v33, s4, v33
	v_cmp_gt_i64_e64 s[4:5], 0, v[16:17]
	v_not_b32_e32 v17, v17
	v_ashrrev_i32_e32 v17, 31, v17
	v_and_b32_e32 v33, exec_lo, v33
	v_xor_b32_e32 v37, s5, v17
	v_xor_b32_e32 v17, s4, v17
	v_and_b32_e32 v33, v33, v17
	v_lshlrev_b32_e32 v17, 29, v19
	v_cmp_gt_i64_e64 s[4:5], 0, v[16:17]
	v_not_b32_e32 v17, v17
	v_ashrrev_i32_e32 v17, 31, v17
	v_and_b32_e32 v36, v36, v37
	v_xor_b32_e32 v37, s5, v17
	v_xor_b32_e32 v17, s4, v17
	v_and_b32_e32 v33, v33, v17
	v_lshlrev_b32_e32 v17, 28, v19
	v_cmp_gt_i64_e64 s[4:5], 0, v[16:17]
	v_not_b32_e32 v17, v17
	v_ashrrev_i32_e32 v17, 31, v17
	v_and_b32_e32 v36, v36, v37
	;; [unrolled: 8-line block ×5, first 2 shown]
	v_xor_b32_e32 v37, s5, v17
	v_xor_b32_e32 v17, s4, v17
	v_and_b32_e32 v33, v33, v17
	v_lshlrev_b32_e32 v17, 24, v19
	s_waitcnt lgkmcnt(0)
	s_barrier
	ds_write2_b32 v62, v16, v16 offset0:8 offset1:9
	ds_write2_b32 v22, v16, v16 offset0:2 offset1:3
	v_cmp_gt_i64_e64 s[4:5], 0, v[16:17]
	v_not_b32_e32 v16, v17
	v_ashrrev_i32_e32 v16, 31, v16
	v_xor_b32_e32 v17, s5, v16
	v_xor_b32_e32 v16, s4, v16
	v_and_b32_e32 v36, v36, v37
	v_and_b32_e32 v16, v33, v16
	;; [unrolled: 1-line block ×3, first 2 shown]
	v_mbcnt_lo_u32_b32 v19, v16, 0
	v_mbcnt_hi_u32_b32 v33, v17, v19
	v_cmp_eq_u32_e64 s[4:5], 0, v33
	v_cmp_ne_u64_e64 s[46:47], 0, v[16:17]
	s_and_b64 s[46:47], s[46:47], s[4:5]
	s_waitcnt lgkmcnt(0)
	s_barrier
	s_waitcnt lgkmcnt(0)
	; wave barrier
	s_and_saveexec_b64 s[4:5], s[46:47]
	s_cbranch_execz .LBB235_121
; %bb.120:
	v_bcnt_u32_b32 v16, v16, 0
	v_bcnt_u32_b32 v16, v17, v16
	ds_write_b32 v32, v16 offset:32
.LBB235_121:
	s_or_b64 exec, exec, s[4:5]
	v_lshrrev_b16_e32 v16, 8, v30
	v_cmp_ne_u16_e64 s[4:5], s53, v30
	v_cndmask_b32_e64 v16, v18, v16, s[4:5]
	v_and_b32_e32 v18, s52, v16
	v_and_b32_e32 v17, 1, v18
	v_add_co_u32_e64 v19, s[4:5], -1, v17
	v_addc_co_u32_e64 v38, s[4:5], 0, -1, s[4:5]
	v_cmp_ne_u32_e64 s[4:5], 0, v17
	v_lshlrev_b32_e32 v16, 3, v18
	v_xor_b32_e32 v17, s5, v38
	v_add_lshl_u32 v37, v16, v24, 2
	v_mov_b32_e32 v16, 0
	v_and_b32_e32 v38, exec_hi, v17
	v_lshlrev_b32_e32 v17, 30, v18
	v_xor_b32_e32 v19, s4, v19
	v_cmp_gt_i64_e64 s[4:5], 0, v[16:17]
	v_not_b32_e32 v17, v17
	v_ashrrev_i32_e32 v17, 31, v17
	v_and_b32_e32 v19, exec_lo, v19
	v_xor_b32_e32 v39, s5, v17
	v_xor_b32_e32 v17, s4, v17
	v_and_b32_e32 v19, v19, v17
	v_lshlrev_b32_e32 v17, 29, v18
	v_cmp_gt_i64_e64 s[4:5], 0, v[16:17]
	v_not_b32_e32 v17, v17
	v_ashrrev_i32_e32 v17, 31, v17
	v_and_b32_e32 v38, v38, v39
	v_xor_b32_e32 v39, s5, v17
	v_xor_b32_e32 v17, s4, v17
	v_and_b32_e32 v19, v19, v17
	v_lshlrev_b32_e32 v17, 28, v18
	v_cmp_gt_i64_e64 s[4:5], 0, v[16:17]
	v_not_b32_e32 v17, v17
	v_ashrrev_i32_e32 v17, 31, v17
	v_and_b32_e32 v38, v38, v39
	;; [unrolled: 8-line block ×5, first 2 shown]
	v_xor_b32_e32 v39, s5, v17
	v_xor_b32_e32 v17, s4, v17
	v_and_b32_e32 v38, v38, v39
	v_and_b32_e32 v39, v19, v17
	v_lshlrev_b32_e32 v17, 24, v18
	v_cmp_gt_i64_e64 s[4:5], 0, v[16:17]
	v_not_b32_e32 v17, v17
	v_ashrrev_i32_e32 v17, 31, v17
	v_xor_b32_e32 v18, s5, v17
	v_xor_b32_e32 v17, s4, v17
	; wave barrier
	ds_read_b32 v36, v37 offset:32
	v_and_b32_e32 v19, v38, v18
	v_and_b32_e32 v18, v39, v17
	v_mbcnt_lo_u32_b32 v17, v18, 0
	v_mbcnt_hi_u32_b32 v38, v19, v17
	v_cmp_eq_u32_e64 s[4:5], 0, v38
	v_cmp_ne_u64_e64 s[46:47], 0, v[18:19]
	s_and_b64 s[46:47], s[46:47], s[4:5]
	; wave barrier
	s_and_saveexec_b64 s[4:5], s[46:47]
	s_cbranch_execz .LBB235_123
; %bb.122:
	v_bcnt_u32_b32 v17, v18, 0
	v_bcnt_u32_b32 v17, v19, v17
	s_waitcnt lgkmcnt(0)
	v_add_u32_e32 v17, v36, v17
	ds_write_b32 v37, v17 offset:32
.LBB235_123:
	s_or_b64 exec, exec, s[4:5]
	v_lshrrev_b16_e32 v17, 8, v29
	v_mov_b32_e32 v18, 0x7f
	v_cmp_ne_u16_e64 s[4:5], s53, v29
	v_cndmask_b32_e64 v17, v18, v17, s[4:5]
	v_and_b32_e32 v19, s52, v17
	v_lshlrev_b32_e32 v17, 3, v19
	v_add_lshl_u32 v40, v17, v24, 2
	v_and_b32_e32 v17, 1, v19
	v_add_co_u32_e64 v41, s[4:5], -1, v17
	v_addc_co_u32_e64 v63, s[4:5], 0, -1, s[4:5]
	v_cmp_ne_u32_e64 s[4:5], 0, v17
	v_xor_b32_e32 v17, s5, v63
	v_and_b32_e32 v63, exec_hi, v17
	v_lshlrev_b32_e32 v17, 30, v19
	v_xor_b32_e32 v41, s4, v41
	v_cmp_gt_i64_e64 s[4:5], 0, v[16:17]
	v_not_b32_e32 v17, v17
	v_ashrrev_i32_e32 v17, 31, v17
	v_and_b32_e32 v41, exec_lo, v41
	v_xor_b32_e32 v64, s5, v17
	v_xor_b32_e32 v17, s4, v17
	v_and_b32_e32 v41, v41, v17
	v_lshlrev_b32_e32 v17, 29, v19
	v_cmp_gt_i64_e64 s[4:5], 0, v[16:17]
	v_not_b32_e32 v17, v17
	v_ashrrev_i32_e32 v17, 31, v17
	v_and_b32_e32 v63, v63, v64
	v_xor_b32_e32 v64, s5, v17
	v_xor_b32_e32 v17, s4, v17
	v_and_b32_e32 v41, v41, v17
	v_lshlrev_b32_e32 v17, 28, v19
	v_cmp_gt_i64_e64 s[4:5], 0, v[16:17]
	v_not_b32_e32 v17, v17
	v_ashrrev_i32_e32 v17, 31, v17
	v_and_b32_e32 v63, v63, v64
	;; [unrolled: 8-line block ×5, first 2 shown]
	v_xor_b32_e32 v64, s5, v17
	v_xor_b32_e32 v17, s4, v17
	v_and_b32_e32 v41, v41, v17
	v_lshlrev_b32_e32 v17, 24, v19
	v_cmp_gt_i64_e64 s[4:5], 0, v[16:17]
	v_not_b32_e32 v16, v17
	v_ashrrev_i32_e32 v16, 31, v16
	v_xor_b32_e32 v17, s5, v16
	v_xor_b32_e32 v16, s4, v16
	; wave barrier
	ds_read_b32 v39, v40 offset:32
	v_and_b32_e32 v63, v63, v64
	v_and_b32_e32 v16, v41, v16
	;; [unrolled: 1-line block ×3, first 2 shown]
	v_mbcnt_lo_u32_b32 v19, v16, 0
	v_mbcnt_hi_u32_b32 v41, v17, v19
	v_cmp_eq_u32_e64 s[4:5], 0, v41
	v_cmp_ne_u64_e64 s[46:47], 0, v[16:17]
	s_and_b64 s[46:47], s[46:47], s[4:5]
	; wave barrier
	s_and_saveexec_b64 s[4:5], s[46:47]
	s_cbranch_execz .LBB235_125
; %bb.124:
	v_bcnt_u32_b32 v16, v16, 0
	v_bcnt_u32_b32 v16, v17, v16
	s_waitcnt lgkmcnt(0)
	v_add_u32_e32 v16, v39, v16
	ds_write_b32 v40, v16 offset:32
.LBB235_125:
	s_or_b64 exec, exec, s[4:5]
	v_lshrrev_b16_e32 v16, 8, v28
	v_cmp_ne_u16_e64 s[4:5], s53, v28
	v_cndmask_b32_e64 v16, v18, v16, s[4:5]
	v_and_b32_e32 v18, s52, v16
	v_and_b32_e32 v17, 1, v18
	v_add_co_u32_e64 v19, s[4:5], -1, v17
	v_addc_co_u32_e64 v65, s[4:5], 0, -1, s[4:5]
	v_cmp_ne_u32_e64 s[4:5], 0, v17
	v_lshlrev_b32_e32 v16, 3, v18
	v_xor_b32_e32 v17, s5, v65
	v_add_lshl_u32 v64, v16, v24, 2
	v_mov_b32_e32 v16, 0
	v_and_b32_e32 v65, exec_hi, v17
	v_lshlrev_b32_e32 v17, 30, v18
	v_xor_b32_e32 v19, s4, v19
	v_cmp_gt_i64_e64 s[4:5], 0, v[16:17]
	v_not_b32_e32 v17, v17
	v_ashrrev_i32_e32 v17, 31, v17
	v_and_b32_e32 v19, exec_lo, v19
	v_xor_b32_e32 v66, s5, v17
	v_xor_b32_e32 v17, s4, v17
	v_and_b32_e32 v19, v19, v17
	v_lshlrev_b32_e32 v17, 29, v18
	v_cmp_gt_i64_e64 s[4:5], 0, v[16:17]
	v_not_b32_e32 v17, v17
	v_ashrrev_i32_e32 v17, 31, v17
	v_and_b32_e32 v65, v65, v66
	v_xor_b32_e32 v66, s5, v17
	v_xor_b32_e32 v17, s4, v17
	v_and_b32_e32 v19, v19, v17
	v_lshlrev_b32_e32 v17, 28, v18
	v_cmp_gt_i64_e64 s[4:5], 0, v[16:17]
	v_not_b32_e32 v17, v17
	v_ashrrev_i32_e32 v17, 31, v17
	v_and_b32_e32 v65, v65, v66
	v_xor_b32_e32 v66, s5, v17
	v_xor_b32_e32 v17, s4, v17
	v_and_b32_e32 v19, v19, v17
	v_lshlrev_b32_e32 v17, 27, v18
	v_cmp_gt_i64_e64 s[4:5], 0, v[16:17]
	v_not_b32_e32 v17, v17
	v_ashrrev_i32_e32 v17, 31, v17
	v_and_b32_e32 v65, v65, v66
	v_xor_b32_e32 v66, s5, v17
	v_xor_b32_e32 v17, s4, v17
	v_and_b32_e32 v19, v19, v17
	v_lshlrev_b32_e32 v17, 26, v18
	v_cmp_gt_i64_e64 s[4:5], 0, v[16:17]
	v_not_b32_e32 v17, v17
	v_ashrrev_i32_e32 v17, 31, v17
	v_and_b32_e32 v65, v65, v66
	v_xor_b32_e32 v66, s5, v17
	v_xor_b32_e32 v17, s4, v17
	v_and_b32_e32 v19, v19, v17
	v_lshlrev_b32_e32 v17, 25, v18
	v_cmp_gt_i64_e64 s[4:5], 0, v[16:17]
	v_not_b32_e32 v17, v17
	v_ashrrev_i32_e32 v17, 31, v17
	v_and_b32_e32 v65, v65, v66
	v_xor_b32_e32 v66, s5, v17
	v_xor_b32_e32 v17, s4, v17
	v_and_b32_e32 v65, v65, v66
	v_and_b32_e32 v66, v19, v17
	v_lshlrev_b32_e32 v17, 24, v18
	v_cmp_gt_i64_e64 s[4:5], 0, v[16:17]
	v_not_b32_e32 v17, v17
	v_ashrrev_i32_e32 v17, 31, v17
	v_xor_b32_e32 v18, s5, v17
	v_xor_b32_e32 v17, s4, v17
	; wave barrier
	ds_read_b32 v63, v64 offset:32
	v_and_b32_e32 v19, v65, v18
	v_and_b32_e32 v18, v66, v17
	v_mbcnt_lo_u32_b32 v17, v18, 0
	v_mbcnt_hi_u32_b32 v65, v19, v17
	v_cmp_eq_u32_e64 s[4:5], 0, v65
	v_cmp_ne_u64_e64 s[46:47], 0, v[18:19]
	s_and_b64 s[46:47], s[46:47], s[4:5]
	; wave barrier
	s_and_saveexec_b64 s[4:5], s[46:47]
	s_cbranch_execz .LBB235_127
; %bb.126:
	v_bcnt_u32_b32 v17, v18, 0
	v_bcnt_u32_b32 v17, v19, v17
	s_waitcnt lgkmcnt(0)
	v_add_u32_e32 v17, v63, v17
	ds_write_b32 v64, v17 offset:32
.LBB235_127:
	s_or_b64 exec, exec, s[4:5]
	v_lshrrev_b16_e32 v17, 8, v27
	v_mov_b32_e32 v18, 0x7f
	v_cmp_ne_u16_e64 s[4:5], s53, v27
	v_cndmask_b32_e64 v17, v18, v17, s[4:5]
	v_and_b32_e32 v19, s52, v17
	v_lshlrev_b32_e32 v17, 3, v19
	v_add_lshl_u32 v67, v17, v24, 2
	v_and_b32_e32 v17, 1, v19
	v_add_co_u32_e64 v68, s[4:5], -1, v17
	v_addc_co_u32_e64 v69, s[4:5], 0, -1, s[4:5]
	v_cmp_ne_u32_e64 s[4:5], 0, v17
	v_xor_b32_e32 v17, s5, v69
	v_and_b32_e32 v69, exec_hi, v17
	v_lshlrev_b32_e32 v17, 30, v19
	v_xor_b32_e32 v68, s4, v68
	v_cmp_gt_i64_e64 s[4:5], 0, v[16:17]
	v_not_b32_e32 v17, v17
	v_ashrrev_i32_e32 v17, 31, v17
	v_and_b32_e32 v68, exec_lo, v68
	v_xor_b32_e32 v70, s5, v17
	v_xor_b32_e32 v17, s4, v17
	v_and_b32_e32 v68, v68, v17
	v_lshlrev_b32_e32 v17, 29, v19
	v_cmp_gt_i64_e64 s[4:5], 0, v[16:17]
	v_not_b32_e32 v17, v17
	v_ashrrev_i32_e32 v17, 31, v17
	v_and_b32_e32 v69, v69, v70
	v_xor_b32_e32 v70, s5, v17
	v_xor_b32_e32 v17, s4, v17
	v_and_b32_e32 v68, v68, v17
	v_lshlrev_b32_e32 v17, 28, v19
	v_cmp_gt_i64_e64 s[4:5], 0, v[16:17]
	v_not_b32_e32 v17, v17
	v_ashrrev_i32_e32 v17, 31, v17
	v_and_b32_e32 v69, v69, v70
	;; [unrolled: 8-line block ×5, first 2 shown]
	v_xor_b32_e32 v70, s5, v17
	v_xor_b32_e32 v17, s4, v17
	v_and_b32_e32 v68, v68, v17
	v_lshlrev_b32_e32 v17, 24, v19
	v_cmp_gt_i64_e64 s[4:5], 0, v[16:17]
	v_not_b32_e32 v16, v17
	v_ashrrev_i32_e32 v16, 31, v16
	v_xor_b32_e32 v17, s5, v16
	v_xor_b32_e32 v16, s4, v16
	; wave barrier
	ds_read_b32 v66, v67 offset:32
	v_and_b32_e32 v69, v69, v70
	v_and_b32_e32 v16, v68, v16
	;; [unrolled: 1-line block ×3, first 2 shown]
	v_mbcnt_lo_u32_b32 v19, v16, 0
	v_mbcnt_hi_u32_b32 v68, v17, v19
	v_cmp_eq_u32_e64 s[4:5], 0, v68
	v_cmp_ne_u64_e64 s[46:47], 0, v[16:17]
	s_and_b64 s[46:47], s[46:47], s[4:5]
	; wave barrier
	s_and_saveexec_b64 s[4:5], s[46:47]
	s_cbranch_execz .LBB235_129
; %bb.128:
	v_bcnt_u32_b32 v16, v16, 0
	v_bcnt_u32_b32 v16, v17, v16
	s_waitcnt lgkmcnt(0)
	v_add_u32_e32 v16, v66, v16
	ds_write_b32 v67, v16 offset:32
.LBB235_129:
	s_or_b64 exec, exec, s[4:5]
	v_lshrrev_b16_e32 v16, 8, v26
	v_cmp_ne_u16_e64 s[4:5], s53, v26
	v_cndmask_b32_e64 v16, v18, v16, s[4:5]
	v_and_b32_e32 v18, s52, v16
	v_and_b32_e32 v17, 1, v18
	v_add_co_u32_e64 v19, s[4:5], -1, v17
	v_addc_co_u32_e64 v71, s[4:5], 0, -1, s[4:5]
	v_cmp_ne_u32_e64 s[4:5], 0, v17
	v_lshlrev_b32_e32 v16, 3, v18
	v_xor_b32_e32 v17, s5, v71
	v_add_lshl_u32 v70, v16, v24, 2
	v_mov_b32_e32 v16, 0
	v_and_b32_e32 v71, exec_hi, v17
	v_lshlrev_b32_e32 v17, 30, v18
	v_xor_b32_e32 v19, s4, v19
	v_cmp_gt_i64_e64 s[4:5], 0, v[16:17]
	v_not_b32_e32 v17, v17
	v_ashrrev_i32_e32 v17, 31, v17
	v_and_b32_e32 v19, exec_lo, v19
	v_xor_b32_e32 v72, s5, v17
	v_xor_b32_e32 v17, s4, v17
	v_and_b32_e32 v19, v19, v17
	v_lshlrev_b32_e32 v17, 29, v18
	v_cmp_gt_i64_e64 s[4:5], 0, v[16:17]
	v_not_b32_e32 v17, v17
	v_ashrrev_i32_e32 v17, 31, v17
	v_and_b32_e32 v71, v71, v72
	v_xor_b32_e32 v72, s5, v17
	v_xor_b32_e32 v17, s4, v17
	v_and_b32_e32 v19, v19, v17
	v_lshlrev_b32_e32 v17, 28, v18
	v_cmp_gt_i64_e64 s[4:5], 0, v[16:17]
	v_not_b32_e32 v17, v17
	v_ashrrev_i32_e32 v17, 31, v17
	v_and_b32_e32 v71, v71, v72
	;; [unrolled: 8-line block ×5, first 2 shown]
	v_xor_b32_e32 v72, s5, v17
	v_xor_b32_e32 v17, s4, v17
	v_and_b32_e32 v71, v71, v72
	v_and_b32_e32 v72, v19, v17
	v_lshlrev_b32_e32 v17, 24, v18
	v_cmp_gt_i64_e64 s[4:5], 0, v[16:17]
	v_not_b32_e32 v17, v17
	v_ashrrev_i32_e32 v17, 31, v17
	v_xor_b32_e32 v18, s5, v17
	v_xor_b32_e32 v17, s4, v17
	; wave barrier
	ds_read_b32 v69, v70 offset:32
	v_and_b32_e32 v19, v71, v18
	v_and_b32_e32 v18, v72, v17
	v_mbcnt_lo_u32_b32 v17, v18, 0
	v_mbcnt_hi_u32_b32 v71, v19, v17
	v_cmp_eq_u32_e64 s[4:5], 0, v71
	v_cmp_ne_u64_e64 s[46:47], 0, v[18:19]
	s_and_b64 s[46:47], s[46:47], s[4:5]
	; wave barrier
	s_and_saveexec_b64 s[4:5], s[46:47]
	s_cbranch_execz .LBB235_131
; %bb.130:
	v_bcnt_u32_b32 v17, v18, 0
	v_bcnt_u32_b32 v17, v19, v17
	s_waitcnt lgkmcnt(0)
	v_add_u32_e32 v17, v69, v17
	ds_write_b32 v70, v17 offset:32
.LBB235_131:
	s_or_b64 exec, exec, s[4:5]
	v_lshrrev_b16_e32 v17, 8, v25
	v_mov_b32_e32 v18, 0x7f
	v_cmp_ne_u16_e64 s[4:5], s53, v25
	v_cndmask_b32_e64 v17, v18, v17, s[4:5]
	v_and_b32_e32 v19, s52, v17
	v_lshlrev_b32_e32 v17, 3, v19
	v_add_lshl_u32 v73, v17, v24, 2
	v_and_b32_e32 v17, 1, v19
	v_add_co_u32_e64 v74, s[4:5], -1, v17
	v_addc_co_u32_e64 v75, s[4:5], 0, -1, s[4:5]
	v_cmp_ne_u32_e64 s[4:5], 0, v17
	v_xor_b32_e32 v17, s5, v75
	v_and_b32_e32 v75, exec_hi, v17
	v_lshlrev_b32_e32 v17, 30, v19
	v_xor_b32_e32 v74, s4, v74
	v_cmp_gt_i64_e64 s[4:5], 0, v[16:17]
	v_not_b32_e32 v17, v17
	v_ashrrev_i32_e32 v17, 31, v17
	v_and_b32_e32 v74, exec_lo, v74
	v_xor_b32_e32 v76, s5, v17
	v_xor_b32_e32 v17, s4, v17
	v_and_b32_e32 v74, v74, v17
	v_lshlrev_b32_e32 v17, 29, v19
	v_cmp_gt_i64_e64 s[4:5], 0, v[16:17]
	v_not_b32_e32 v17, v17
	v_ashrrev_i32_e32 v17, 31, v17
	v_and_b32_e32 v75, v75, v76
	v_xor_b32_e32 v76, s5, v17
	v_xor_b32_e32 v17, s4, v17
	v_and_b32_e32 v74, v74, v17
	v_lshlrev_b32_e32 v17, 28, v19
	v_cmp_gt_i64_e64 s[4:5], 0, v[16:17]
	v_not_b32_e32 v17, v17
	v_ashrrev_i32_e32 v17, 31, v17
	v_and_b32_e32 v75, v75, v76
	;; [unrolled: 8-line block ×5, first 2 shown]
	v_xor_b32_e32 v76, s5, v17
	v_xor_b32_e32 v17, s4, v17
	v_and_b32_e32 v74, v74, v17
	v_lshlrev_b32_e32 v17, 24, v19
	v_cmp_gt_i64_e64 s[4:5], 0, v[16:17]
	v_not_b32_e32 v16, v17
	v_ashrrev_i32_e32 v16, 31, v16
	v_xor_b32_e32 v17, s5, v16
	v_xor_b32_e32 v16, s4, v16
	; wave barrier
	ds_read_b32 v72, v73 offset:32
	v_and_b32_e32 v75, v75, v76
	v_and_b32_e32 v16, v74, v16
	;; [unrolled: 1-line block ×3, first 2 shown]
	v_mbcnt_lo_u32_b32 v19, v16, 0
	v_mbcnt_hi_u32_b32 v74, v17, v19
	v_cmp_eq_u32_e64 s[4:5], 0, v74
	v_cmp_ne_u64_e64 s[46:47], 0, v[16:17]
	s_and_b64 s[46:47], s[46:47], s[4:5]
	; wave barrier
	s_and_saveexec_b64 s[4:5], s[46:47]
	s_cbranch_execz .LBB235_133
; %bb.132:
	v_bcnt_u32_b32 v16, v16, 0
	v_bcnt_u32_b32 v16, v17, v16
	s_waitcnt lgkmcnt(0)
	v_add_u32_e32 v16, v72, v16
	ds_write_b32 v73, v16 offset:32
.LBB235_133:
	s_or_b64 exec, exec, s[4:5]
	v_lshrrev_b16_e32 v16, 8, v20
	v_cmp_ne_u16_e64 s[4:5], s53, v20
	v_cndmask_b32_e64 v16, v18, v16, s[4:5]
	v_and_b32_e32 v18, s52, v16
	v_and_b32_e32 v17, 1, v18
	v_add_co_u32_e64 v19, s[4:5], -1, v17
	v_addc_co_u32_e64 v76, s[4:5], 0, -1, s[4:5]
	v_cmp_ne_u32_e64 s[4:5], 0, v17
	v_lshlrev_b32_e32 v16, 3, v18
	v_xor_b32_e32 v17, s5, v76
	v_add_lshl_u32 v75, v16, v24, 2
	v_mov_b32_e32 v16, 0
	v_and_b32_e32 v76, exec_hi, v17
	v_lshlrev_b32_e32 v17, 30, v18
	v_xor_b32_e32 v19, s4, v19
	v_cmp_gt_i64_e64 s[4:5], 0, v[16:17]
	v_not_b32_e32 v17, v17
	v_ashrrev_i32_e32 v17, 31, v17
	v_and_b32_e32 v19, exec_lo, v19
	v_xor_b32_e32 v77, s5, v17
	v_xor_b32_e32 v17, s4, v17
	v_and_b32_e32 v19, v19, v17
	v_lshlrev_b32_e32 v17, 29, v18
	v_cmp_gt_i64_e64 s[4:5], 0, v[16:17]
	v_not_b32_e32 v17, v17
	v_ashrrev_i32_e32 v17, 31, v17
	v_and_b32_e32 v76, v76, v77
	v_xor_b32_e32 v77, s5, v17
	v_xor_b32_e32 v17, s4, v17
	v_and_b32_e32 v19, v19, v17
	v_lshlrev_b32_e32 v17, 28, v18
	v_cmp_gt_i64_e64 s[4:5], 0, v[16:17]
	v_not_b32_e32 v17, v17
	v_ashrrev_i32_e32 v17, 31, v17
	v_and_b32_e32 v76, v76, v77
	;; [unrolled: 8-line block ×5, first 2 shown]
	v_xor_b32_e32 v77, s5, v17
	v_xor_b32_e32 v17, s4, v17
	v_and_b32_e32 v19, v19, v17
	v_lshlrev_b32_e32 v17, 24, v18
	v_cmp_gt_i64_e64 s[4:5], 0, v[16:17]
	v_not_b32_e32 v16, v17
	v_ashrrev_i32_e32 v16, 31, v16
	v_xor_b32_e32 v17, s5, v16
	v_xor_b32_e32 v16, s4, v16
	; wave barrier
	ds_read_b32 v24, v75 offset:32
	v_and_b32_e32 v76, v76, v77
	v_and_b32_e32 v16, v19, v16
	;; [unrolled: 1-line block ×3, first 2 shown]
	v_mbcnt_lo_u32_b32 v18, v16, 0
	v_mbcnt_hi_u32_b32 v76, v17, v18
	v_cmp_eq_u32_e64 s[4:5], 0, v76
	v_cmp_ne_u64_e64 s[46:47], 0, v[16:17]
	s_and_b64 s[46:47], s[46:47], s[4:5]
	; wave barrier
	s_and_saveexec_b64 s[4:5], s[46:47]
	s_cbranch_execz .LBB235_135
; %bb.134:
	v_bcnt_u32_b32 v16, v16, 0
	v_bcnt_u32_b32 v16, v17, v16
	s_waitcnt lgkmcnt(0)
	v_add_u32_e32 v16, v24, v16
	ds_write_b32 v75, v16 offset:32
.LBB235_135:
	s_or_b64 exec, exec, s[4:5]
	; wave barrier
	s_waitcnt lgkmcnt(0)
	s_barrier
	ds_read2_b32 v[18:19], v62 offset0:8 offset1:9
	ds_read2_b32 v[16:17], v22 offset0:2 offset1:3
	s_waitcnt lgkmcnt(1)
	v_add_u32_e32 v77, v19, v18
	s_waitcnt lgkmcnt(0)
	v_add3_u32 v17, v77, v16, v17
	s_nop 1
	v_mov_b32_dpp v77, v17 row_shr:1 row_mask:0xf bank_mask:0xf
	v_cndmask_b32_e64 v77, v77, 0, s[24:25]
	v_add_u32_e32 v17, v77, v17
	s_nop 1
	v_mov_b32_dpp v77, v17 row_shr:2 row_mask:0xf bank_mask:0xf
	v_cndmask_b32_e64 v77, 0, v77, s[26:27]
	v_add_u32_e32 v17, v17, v77
	s_nop 1
	v_mov_b32_dpp v77, v17 row_shr:4 row_mask:0xf bank_mask:0xf
	v_cndmask_b32_e64 v77, 0, v77, s[30:31]
	v_add_u32_e32 v17, v17, v77
	s_nop 1
	v_mov_b32_dpp v77, v17 row_shr:8 row_mask:0xf bank_mask:0xf
	v_cndmask_b32_e64 v77, 0, v77, s[34:35]
	v_add_u32_e32 v17, v17, v77
	s_nop 1
	v_mov_b32_dpp v77, v17 row_bcast:15 row_mask:0xf bank_mask:0xf
	v_cndmask_b32_e64 v77, v77, 0, vcc
	v_add_u32_e32 v17, v17, v77
	s_nop 1
	v_mov_b32_dpp v77, v17 row_bcast:31 row_mask:0xf bank_mask:0xf
	v_cndmask_b32_e64 v77, 0, v77, s[36:37]
	v_add_u32_e32 v77, v17, v77
	s_and_saveexec_b64 s[4:5], s[16:17]
	s_cbranch_execz .LBB235_137
; %bb.136:
	ds_write_b32 v23, v77
.LBB235_137:
	s_or_b64 exec, exec, s[4:5]
	s_waitcnt lgkmcnt(0)
	s_barrier
	s_and_saveexec_b64 s[4:5], s[28:29]
	s_cbranch_execz .LBB235_139
; %bb.138:
	ds_read_b32 v17, v21
	s_waitcnt lgkmcnt(0)
	s_nop 0
	v_mov_b32_dpp v23, v17 row_shr:1 row_mask:0xf bank_mask:0xf
	v_cndmask_b32_e64 v23, v23, 0, s[22:23]
	v_add_u32_e32 v17, v23, v17
	s_nop 1
	v_mov_b32_dpp v23, v17 row_shr:2 row_mask:0xf bank_mask:0xf
	v_cndmask_b32_e64 v23, 0, v23, s[20:21]
	v_add_u32_e32 v17, v17, v23
	;; [unrolled: 4-line block ×3, first 2 shown]
	ds_write_b32 v21, v17
.LBB235_139:
	s_or_b64 exec, exec, s[4:5]
	v_mov_b32_e32 v17, 0
	v_mov_b32_e32 v21, 0
	s_waitcnt lgkmcnt(0)
	s_barrier
	s_and_saveexec_b64 s[4:5], s[38:39]
	s_cbranch_execz .LBB235_141
; %bb.140:
	ds_read_b32 v21, v34
.LBB235_141:
	s_or_b64 exec, exec, s[4:5]
	s_waitcnt lgkmcnt(0)
	v_add_u32_e32 v23, v21, v77
	ds_bpermute_b32 v23, v35, v23
	v_lshlrev_b32_e32 v34, 3, v60
	s_mov_b32 s16, 0x5040100
	s_waitcnt lgkmcnt(0)
	v_cndmask_b32_e64 v21, v23, v21, s[40:41]
	v_cndmask_b32_e64 v21, v21, 0, s[42:43]
	v_add_u32_e32 v18, v21, v18
	v_add_u32_e32 v19, v18, v19
	;; [unrolled: 1-line block ×3, first 2 shown]
	ds_write2_b32 v62, v21, v18 offset0:8 offset1:9
	ds_write2_b32 v22, v19, v16 offset0:2 offset1:3
	s_waitcnt lgkmcnt(0)
	s_barrier
	ds_read_b32 v16, v75 offset:32
	ds_read_b32 v18, v73 offset:32
	;; [unrolled: 1-line block ×4, first 2 shown]
	s_waitcnt lgkmcnt(3)
	v_add3_u32 v16, v76, v24, v16
	ds_read_b32 v22, v64 offset:32
	ds_read_b32 v23, v40 offset:32
	ds_read_b32 v24, v37 offset:32
	ds_read_b32 v32, v32 offset:32
	s_waitcnt lgkmcnt(0)
	s_barrier
	v_add3_u32 v23, v41, v39, v23
	v_add3_u32 v24, v38, v36, v24
	v_add_u32_e32 v32, v32, v33
	v_lshlrev_b32_e32 v33, 1, v32
	ds_write_b16 v33, v31
	v_lshlrev_b32_e32 v31, 1, v24
	v_add3_u32 v22, v65, v63, v22
	ds_write_b16 v31, v30
	v_lshlrev_b32_e32 v30, 1, v23
	v_add3_u32 v21, v68, v66, v21
	;; [unrolled: 3-line block ×4, first 2 shown]
	ds_write_b16 v28, v27
	v_lshlrev_b32_e32 v27, 1, v19
	ds_write_b16 v27, v26
	v_lshlrev_b32_e32 v26, 1, v18
	;; [unrolled: 2-line block ×4, first 2 shown]
	s_waitcnt lgkmcnt(0)
	s_barrier
	v_lshlrev_b32_e32 v26, 3, v21
	v_lshlrev_b32_e32 v27, 3, v19
	;; [unrolled: 1-line block ×3, first 2 shown]
	ds_read_b128 v[18:21], v20
	v_mov_b32_e32 v40, -1
	v_mov_b32_e32 v41, 0x7fff
	v_lshlrev_b32_e32 v25, 3, v32
	v_lshlrev_b32_e32 v24, 3, v24
	s_waitcnt lgkmcnt(0)
	v_cmp_gt_i16_sdwa vcc, v18, v40 src0_sel:WORD_1 src1_sel:DWORD
	v_cndmask_b32_e32 v29, 0, v41, vcc
	v_cmp_lt_i16_e32 vcc, -1, v18
	v_cndmask_b32_e32 v30, 0, v41, vcc
	v_cmp_lt_i16_sdwa s[4:5], v19, v17 src0_sel:WORD_1 src1_sel:DWORD
	v_cmp_gt_i16_e32 vcc, 0, v19
	v_cndmask_b32_e64 v31, v41, 0, s[4:5]
	v_cndmask_b32_e64 v32, v41, 0, vcc
	v_lshlrev_b32_e32 v23, 3, v23
	v_lshlrev_b32_e32 v22, 3, v22
	v_xor_b32_e32 v32, v32, v19
	v_xor_b32_sdwa v19, v31, v19 dst_sel:DWORD dst_unused:UNUSED_PAD src0_sel:DWORD src1_sel:WORD_1
	v_lshlrev_b32_e32 v16, 3, v16
	v_perm_b32 v39, v19, v32, s16
	v_xor_b32_e32 v19, v30, v18
	v_xor_b32_sdwa v18, v29, v18 dst_sel:DWORD dst_unused:UNUSED_PAD src0_sel:DWORD src1_sel:WORD_1
	s_barrier
	ds_write_b64 v25, v[12:13]
	ds_write_b64 v24, v[14:15]
	;; [unrolled: 1-line block ×8, first 2 shown]
	s_waitcnt lgkmcnt(0)
	s_barrier
	ds_read2_b64 v[22:25], v34 offset1:1
	ds_read2_b64 v[26:29], v34 offset0:2 offset1:3
	ds_read2_b64 v[30:33], v34 offset0:4 offset1:5
	;; [unrolled: 1-line block ×3, first 2 shown]
	v_cmp_gt_i16_sdwa vcc, v20, v40 src0_sel:WORD_1 src1_sel:DWORD
	v_cndmask_b32_e32 v0, 0, v41, vcc
	v_cmp_lt_i16_e32 vcc, -1, v20
	v_cndmask_b32_e32 v1, 0, v41, vcc
	v_cmp_lt_i16_sdwa s[4:5], v21, v17 src0_sel:WORD_1 src1_sel:DWORD
	v_cmp_gt_i16_e32 vcc, 0, v21
	v_cndmask_b32_e64 v2, v41, 0, s[4:5]
	v_cndmask_b32_e64 v3, v41, 0, vcc
	v_xor_b32_e32 v3, v3, v21
	v_xor_b32_sdwa v2, v2, v21 dst_sel:DWORD dst_unused:UNUSED_PAD src0_sel:DWORD src1_sel:WORD_1
	v_xor_b32_e32 v1, v1, v20
	v_xor_b32_sdwa v0, v0, v20 dst_sel:DWORD dst_unused:UNUSED_PAD src0_sel:DWORD src1_sel:WORD_1
	v_perm_b32 v38, v18, v19, s16
	v_perm_b32 v41, v2, v3, s16
	;; [unrolled: 1-line block ×3, first 2 shown]
.LBB235_142:
	s_waitcnt lgkmcnt(0)
	s_barrier
	ds_write_b128 v51, v[38:41]
	s_waitcnt lgkmcnt(0)
	s_barrier
	ds_read_u16 v8, v44 offset:1024
	ds_read_u16 v7, v45 offset:2048
	;; [unrolled: 1-line block ×7, first 2 shown]
	v_mad_u64_u32 v[0:1], s[4:5], v42, s48, 0
	v_mov_b32_e32 v10, v1
	v_mad_u64_u32 v[10:11], s[4:5], v42, s49, v[10:11]
	v_mov_b32_e32 v1, v10
	v_lshlrev_b64 v[0:1], 1, v[0:1]
	v_mov_b32_e32 v9, s54
	v_add_co_u32_e32 v0, vcc, s33, v0
	v_addc_co_u32_e32 v1, vcc, v9, v1, vcc
	s_and_saveexec_b64 s[4:5], s[0:1]
	s_cbranch_execnz .LBB235_161
; %bb.143:
	s_or_b64 exec, exec, s[4:5]
	s_and_saveexec_b64 s[4:5], s[2:3]
	s_cbranch_execnz .LBB235_162
.LBB235_144:
	s_or_b64 exec, exec, s[4:5]
	s_and_saveexec_b64 s[4:5], s[44:45]
	s_cbranch_execnz .LBB235_163
.LBB235_145:
	s_or_b64 exec, exec, s[4:5]
	s_and_saveexec_b64 s[4:5], s[6:7]
	s_cbranch_execnz .LBB235_164
.LBB235_146:
	s_or_b64 exec, exec, s[4:5]
	s_and_saveexec_b64 s[4:5], s[8:9]
	s_cbranch_execnz .LBB235_165
.LBB235_147:
	s_or_b64 exec, exec, s[4:5]
	s_and_saveexec_b64 s[4:5], s[10:11]
	s_cbranch_execnz .LBB235_166
.LBB235_148:
	s_or_b64 exec, exec, s[4:5]
	s_and_saveexec_b64 s[4:5], s[12:13]
	s_cbranch_execnz .LBB235_167
.LBB235_149:
	s_or_b64 exec, exec, s[4:5]
	s_and_saveexec_b64 s[4:5], s[14:15]
	s_cbranch_execz .LBB235_151
.LBB235_150:
	s_waitcnt lgkmcnt(1)
	v_mov_b32_e32 v3, 0x1c00
	v_mad_u64_u32 v[0:1], s[16:17], s48, v3, v[0:1]
	s_mul_i32 s16, s49, 0x1c00
	v_add_u32_e32 v1, s16, v1
	s_waitcnt lgkmcnt(0)
	global_store_short v[0:1], v2, off
.LBB235_151:
	s_or_b64 exec, exec, s[4:5]
	s_waitcnt lgkmcnt(0)
	s_barrier
	ds_write2_b64 v61, v[22:23], v[24:25] offset1:1
	ds_write2_b64 v61, v[26:27], v[28:29] offset0:2 offset1:3
	ds_write2_b64 v61, v[30:31], v[32:33] offset0:4 offset1:5
	;; [unrolled: 1-line block ×3, first 2 shown]
	s_waitcnt lgkmcnt(0)
	s_barrier
	ds_read_b64 v[14:15], v53 offset:4096
	ds_read_b64 v[12:13], v54 offset:8192
	;; [unrolled: 1-line block ×7, first 2 shown]
	v_mad_u64_u32 v[4:5], s[4:5], v42, s50, 0
	v_mov_b32_e32 v16, v5
	v_mad_u64_u32 v[16:17], s[4:5], v42, s51, v[16:17]
	v_mov_b32_e32 v5, v16
	v_lshlrev_b64 v[4:5], 3, v[4:5]
	v_mov_b32_e32 v16, s56
	v_add_co_u32_e32 v4, vcc, s55, v4
	v_addc_co_u32_e32 v5, vcc, v16, v5, vcc
	s_and_saveexec_b64 s[4:5], s[0:1]
	s_cbranch_execnz .LBB235_168
; %bb.152:
	s_or_b64 exec, exec, s[4:5]
	s_and_saveexec_b64 s[0:1], s[2:3]
	s_cbranch_execnz .LBB235_169
.LBB235_153:
	s_or_b64 exec, exec, s[0:1]
	s_and_saveexec_b64 s[0:1], s[44:45]
	s_cbranch_execnz .LBB235_170
.LBB235_154:
	s_or_b64 exec, exec, s[0:1]
	s_and_saveexec_b64 s[0:1], s[6:7]
	s_cbranch_execnz .LBB235_171
.LBB235_155:
	s_or_b64 exec, exec, s[0:1]
	s_and_saveexec_b64 s[0:1], s[8:9]
	s_cbranch_execnz .LBB235_172
.LBB235_156:
	s_or_b64 exec, exec, s[0:1]
	s_and_saveexec_b64 s[0:1], s[10:11]
	s_cbranch_execnz .LBB235_173
.LBB235_157:
	s_or_b64 exec, exec, s[0:1]
	s_and_saveexec_b64 s[0:1], s[12:13]
	s_cbranch_execnz .LBB235_174
.LBB235_158:
	s_or_b64 exec, exec, s[0:1]
	s_and_saveexec_b64 s[0:1], s[14:15]
	s_cbranch_execz .LBB235_160
.LBB235_159:
	s_waitcnt lgkmcnt(1)
	v_mov_b32_e32 v2, 0x7000
	v_mad_u64_u32 v[2:3], s[0:1], s50, v2, v[4:5]
	s_mul_i32 s0, s51, 0x7000
	v_add_u32_e32 v3, s0, v3
	s_waitcnt lgkmcnt(0)
	global_store_dwordx2 v[2:3], v[0:1], off
.LBB235_160:
	s_endpgm
.LBB235_161:
	ds_read_u16 v9, v43
	s_waitcnt lgkmcnt(0)
	global_store_short v[0:1], v9, off
	s_or_b64 exec, exec, s[4:5]
	s_and_saveexec_b64 s[4:5], s[2:3]
	s_cbranch_execz .LBB235_144
.LBB235_162:
	s_lshl_b64 s[16:17], s[48:49], 10
	v_mov_b32_e32 v9, s17
	v_add_co_u32_e32 v10, vcc, s16, v0
	v_addc_co_u32_e32 v11, vcc, v1, v9, vcc
	s_waitcnt lgkmcnt(6)
	global_store_short v[10:11], v8, off
	s_or_b64 exec, exec, s[4:5]
	s_and_saveexec_b64 s[4:5], s[44:45]
	s_cbranch_execz .LBB235_145
.LBB235_163:
	s_lshl_b64 s[16:17], s[48:49], 11
	v_mov_b32_e32 v9, s17
	s_waitcnt lgkmcnt(6)
	v_add_co_u32_e32 v8, vcc, s16, v0
	v_addc_co_u32_e32 v9, vcc, v1, v9, vcc
	s_waitcnt lgkmcnt(5)
	global_store_short v[8:9], v7, off
	s_or_b64 exec, exec, s[4:5]
	s_and_saveexec_b64 s[4:5], s[6:7]
	s_cbranch_execz .LBB235_146
.LBB235_164:
	s_waitcnt lgkmcnt(5)
	v_mov_b32_e32 v7, 0xc00
	v_mad_u64_u32 v[8:9], s[16:17], s48, v7, v[0:1]
	s_mul_i32 s16, s49, 0xc00
	v_add_u32_e32 v9, s16, v9
	s_waitcnt lgkmcnt(4)
	global_store_short v[8:9], v6, off
	s_or_b64 exec, exec, s[4:5]
	s_and_saveexec_b64 s[4:5], s[8:9]
	s_cbranch_execz .LBB235_147
.LBB235_165:
	s_lshl_b64 s[16:17], s[48:49], 12
	s_waitcnt lgkmcnt(5)
	v_mov_b32_e32 v7, s17
	s_waitcnt lgkmcnt(4)
	v_add_co_u32_e32 v6, vcc, s16, v0
	v_addc_co_u32_e32 v7, vcc, v1, v7, vcc
	s_waitcnt lgkmcnt(3)
	global_store_short v[6:7], v5, off
	s_or_b64 exec, exec, s[4:5]
	s_and_saveexec_b64 s[4:5], s[10:11]
	s_cbranch_execz .LBB235_148
.LBB235_166:
	s_waitcnt lgkmcnt(3)
	v_mov_b32_e32 v5, 0x1400
	v_mad_u64_u32 v[6:7], s[16:17], s48, v5, v[0:1]
	s_mul_i32 s16, s49, 0x1400
	v_add_u32_e32 v7, s16, v7
	s_waitcnt lgkmcnt(2)
	global_store_short v[6:7], v4, off
	s_or_b64 exec, exec, s[4:5]
	s_and_saveexec_b64 s[4:5], s[12:13]
	s_cbranch_execz .LBB235_149
.LBB235_167:
	s_waitcnt lgkmcnt(2)
	v_mov_b32_e32 v4, 0x1800
	v_mad_u64_u32 v[4:5], s[16:17], s48, v4, v[0:1]
	s_mul_i32 s16, s49, 0x1800
	v_add_u32_e32 v5, s16, v5
	s_waitcnt lgkmcnt(1)
	global_store_short v[4:5], v3, off
	s_or_b64 exec, exec, s[4:5]
	s_and_saveexec_b64 s[4:5], s[14:15]
	s_cbranch_execnz .LBB235_150
	s_branch .LBB235_151
.LBB235_168:
	ds_read_b64 v[16:17], v52
	s_waitcnt lgkmcnt(0)
	global_store_dwordx2 v[4:5], v[16:17], off
	s_or_b64 exec, exec, s[4:5]
	s_and_saveexec_b64 s[0:1], s[2:3]
	s_cbranch_execz .LBB235_153
.LBB235_169:
	s_lshl_b64 s[2:3], s[50:51], 12
	v_mov_b32_e32 v17, s3
	v_add_co_u32_e32 v16, vcc, s2, v4
	v_addc_co_u32_e32 v17, vcc, v5, v17, vcc
	s_waitcnt lgkmcnt(6)
	global_store_dwordx2 v[16:17], v[14:15], off
	s_or_b64 exec, exec, s[0:1]
	s_and_saveexec_b64 s[0:1], s[44:45]
	s_cbranch_execz .LBB235_154
.LBB235_170:
	s_lshl_b64 s[2:3], s[50:51], 13
	s_waitcnt lgkmcnt(6)
	v_mov_b32_e32 v15, s3
	v_add_co_u32_e32 v14, vcc, s2, v4
	v_addc_co_u32_e32 v15, vcc, v5, v15, vcc
	s_waitcnt lgkmcnt(5)
	global_store_dwordx2 v[14:15], v[12:13], off
	s_or_b64 exec, exec, s[0:1]
	s_and_saveexec_b64 s[0:1], s[6:7]
	s_cbranch_execz .LBB235_155
.LBB235_171:
	s_waitcnt lgkmcnt(5)
	v_mov_b32_e32 v12, 0x3000
	v_mad_u64_u32 v[12:13], s[2:3], s50, v12, v[4:5]
	s_mul_i32 s2, s51, 0x3000
	v_add_u32_e32 v13, s2, v13
	s_waitcnt lgkmcnt(4)
	global_store_dwordx2 v[12:13], v[10:11], off
	s_or_b64 exec, exec, s[0:1]
	s_and_saveexec_b64 s[0:1], s[8:9]
	s_cbranch_execz .LBB235_156
.LBB235_172:
	s_lshl_b64 s[2:3], s[50:51], 14
	s_waitcnt lgkmcnt(4)
	v_mov_b32_e32 v11, s3
	v_add_co_u32_e32 v10, vcc, s2, v4
	v_addc_co_u32_e32 v11, vcc, v5, v11, vcc
	s_waitcnt lgkmcnt(3)
	global_store_dwordx2 v[10:11], v[8:9], off
	s_or_b64 exec, exec, s[0:1]
	s_and_saveexec_b64 s[0:1], s[10:11]
	s_cbranch_execz .LBB235_157
.LBB235_173:
	s_waitcnt lgkmcnt(3)
	v_mov_b32_e32 v8, 0x5000
	v_mad_u64_u32 v[8:9], s[2:3], s50, v8, v[4:5]
	s_mul_i32 s2, s51, 0x5000
	v_add_u32_e32 v9, s2, v9
	s_waitcnt lgkmcnt(2)
	global_store_dwordx2 v[8:9], v[6:7], off
	s_or_b64 exec, exec, s[0:1]
	s_and_saveexec_b64 s[0:1], s[12:13]
	s_cbranch_execz .LBB235_158
.LBB235_174:
	s_waitcnt lgkmcnt(2)
	v_mov_b32_e32 v6, 0x6000
	v_mad_u64_u32 v[6:7], s[2:3], s50, v6, v[4:5]
	s_mul_i32 s2, s51, 0x6000
	v_add_u32_e32 v7, s2, v7
	s_waitcnt lgkmcnt(1)
	global_store_dwordx2 v[6:7], v[2:3], off
	s_or_b64 exec, exec, s[0:1]
	s_and_saveexec_b64 s[0:1], s[14:15]
	s_cbranch_execnz .LBB235_159
	s_branch .LBB235_160
	.section	.rodata,"a",@progbits
	.p2align	6, 0x0
	.amdhsa_kernel _ZN2at6native18radixSortKVInPlaceILin1ELin1ELi512ELi8EN3c104HalfElmEEvNS_4cuda6detail10TensorInfoIT3_T5_EES8_S8_S8_NS6_IT4_S8_EES8_b
		.amdhsa_group_segment_fixed_size 33792
		.amdhsa_private_segment_fixed_size 0
		.amdhsa_kernarg_size 1128
		.amdhsa_user_sgpr_count 6
		.amdhsa_user_sgpr_private_segment_buffer 1
		.amdhsa_user_sgpr_dispatch_ptr 0
		.amdhsa_user_sgpr_queue_ptr 0
		.amdhsa_user_sgpr_kernarg_segment_ptr 1
		.amdhsa_user_sgpr_dispatch_id 0
		.amdhsa_user_sgpr_flat_scratch_init 0
		.amdhsa_user_sgpr_kernarg_preload_length 0
		.amdhsa_user_sgpr_kernarg_preload_offset 0
		.amdhsa_user_sgpr_private_segment_size 0
		.amdhsa_uses_dynamic_stack 0
		.amdhsa_system_sgpr_private_segment_wavefront_offset 0
		.amdhsa_system_sgpr_workgroup_id_x 1
		.amdhsa_system_sgpr_workgroup_id_y 1
		.amdhsa_system_sgpr_workgroup_id_z 1
		.amdhsa_system_sgpr_workgroup_info 0
		.amdhsa_system_vgpr_workitem_id 2
		.amdhsa_next_free_vgpr 106
		.amdhsa_next_free_sgpr 59
		.amdhsa_accum_offset 108
		.amdhsa_reserve_vcc 1
		.amdhsa_reserve_flat_scratch 0
		.amdhsa_float_round_mode_32 0
		.amdhsa_float_round_mode_16_64 0
		.amdhsa_float_denorm_mode_32 3
		.amdhsa_float_denorm_mode_16_64 3
		.amdhsa_dx10_clamp 1
		.amdhsa_ieee_mode 1
		.amdhsa_fp16_overflow 0
		.amdhsa_tg_split 0
		.amdhsa_exception_fp_ieee_invalid_op 0
		.amdhsa_exception_fp_denorm_src 0
		.amdhsa_exception_fp_ieee_div_zero 0
		.amdhsa_exception_fp_ieee_overflow 0
		.amdhsa_exception_fp_ieee_underflow 0
		.amdhsa_exception_fp_ieee_inexact 0
		.amdhsa_exception_int_div_zero 0
	.end_amdhsa_kernel
	.section	.text._ZN2at6native18radixSortKVInPlaceILin1ELin1ELi512ELi8EN3c104HalfElmEEvNS_4cuda6detail10TensorInfoIT3_T5_EES8_S8_S8_NS6_IT4_S8_EES8_b,"axG",@progbits,_ZN2at6native18radixSortKVInPlaceILin1ELin1ELi512ELi8EN3c104HalfElmEEvNS_4cuda6detail10TensorInfoIT3_T5_EES8_S8_S8_NS6_IT4_S8_EES8_b,comdat
.Lfunc_end235:
	.size	_ZN2at6native18radixSortKVInPlaceILin1ELin1ELi512ELi8EN3c104HalfElmEEvNS_4cuda6detail10TensorInfoIT3_T5_EES8_S8_S8_NS6_IT4_S8_EES8_b, .Lfunc_end235-_ZN2at6native18radixSortKVInPlaceILin1ELin1ELi512ELi8EN3c104HalfElmEEvNS_4cuda6detail10TensorInfoIT3_T5_EES8_S8_S8_NS6_IT4_S8_EES8_b
                                        ; -- End function
	.section	.AMDGPU.csdata,"",@progbits
; Kernel info:
; codeLenInByte = 23136
; NumSgprs: 63
; NumVgprs: 106
; NumAgprs: 0
; TotalNumVgprs: 106
; ScratchSize: 0
; MemoryBound: 0
; FloatMode: 240
; IeeeMode: 1
; LDSByteSize: 33792 bytes/workgroup (compile time only)
; SGPRBlocks: 7
; VGPRBlocks: 13
; NumSGPRsForWavesPerEU: 63
; NumVGPRsForWavesPerEU: 106
; AccumOffset: 108
; Occupancy: 2
; WaveLimiterHint : 1
; COMPUTE_PGM_RSRC2:SCRATCH_EN: 0
; COMPUTE_PGM_RSRC2:USER_SGPR: 6
; COMPUTE_PGM_RSRC2:TRAP_HANDLER: 0
; COMPUTE_PGM_RSRC2:TGID_X_EN: 1
; COMPUTE_PGM_RSRC2:TGID_Y_EN: 1
; COMPUTE_PGM_RSRC2:TGID_Z_EN: 1
; COMPUTE_PGM_RSRC2:TIDIG_COMP_CNT: 2
; COMPUTE_PGM_RSRC3_GFX90A:ACCUM_OFFSET: 26
; COMPUTE_PGM_RSRC3_GFX90A:TG_SPLIT: 0
	.section	.text._ZN2at6native18radixSortKVInPlaceILin1ELin1ELi256ELi8EN3c104HalfElmEEvNS_4cuda6detail10TensorInfoIT3_T5_EES8_S8_S8_NS6_IT4_S8_EES8_b,"axG",@progbits,_ZN2at6native18radixSortKVInPlaceILin1ELin1ELi256ELi8EN3c104HalfElmEEvNS_4cuda6detail10TensorInfoIT3_T5_EES8_S8_S8_NS6_IT4_S8_EES8_b,comdat
	.protected	_ZN2at6native18radixSortKVInPlaceILin1ELin1ELi256ELi8EN3c104HalfElmEEvNS_4cuda6detail10TensorInfoIT3_T5_EES8_S8_S8_NS6_IT4_S8_EES8_b ; -- Begin function _ZN2at6native18radixSortKVInPlaceILin1ELin1ELi256ELi8EN3c104HalfElmEEvNS_4cuda6detail10TensorInfoIT3_T5_EES8_S8_S8_NS6_IT4_S8_EES8_b
	.globl	_ZN2at6native18radixSortKVInPlaceILin1ELin1ELi256ELi8EN3c104HalfElmEEvNS_4cuda6detail10TensorInfoIT3_T5_EES8_S8_S8_NS6_IT4_S8_EES8_b
	.p2align	8
	.type	_ZN2at6native18radixSortKVInPlaceILin1ELin1ELi256ELi8EN3c104HalfElmEEvNS_4cuda6detail10TensorInfoIT3_T5_EES8_S8_S8_NS6_IT4_S8_EES8_b,@function
_ZN2at6native18radixSortKVInPlaceILin1ELin1ELi256ELi8EN3c104HalfElmEEvNS_4cuda6detail10TensorInfoIT3_T5_EES8_S8_S8_NS6_IT4_S8_EES8_b: ; @_ZN2at6native18radixSortKVInPlaceILin1ELin1ELi256ELi8EN3c104HalfElmEEvNS_4cuda6detail10TensorInfoIT3_T5_EES8_S8_S8_NS6_IT4_S8_EES8_b
; %bb.0:
	s_load_dwordx4 s[12:15], s[4:5], 0x1a0
	s_load_dwordx2 s[0:1], s[4:5], 0x368
	s_add_u32 s50, s4, 0x368
	s_addc_u32 s51, s5, 0
	s_waitcnt lgkmcnt(0)
	v_mov_b32_e32 v2, s12
	s_mul_i32 s1, s1, s8
	s_add_i32 s1, s1, s7
	s_mul_i32 s0, s1, s0
	v_mov_b32_e32 v3, s13
	s_add_i32 s6, s0, s6
	s_mov_b32 s7, 0
	v_cmp_ge_u64_e32 vcc, s[6:7], v[2:3]
	s_cbranch_vccnz .LBB236_160
; %bb.1:
	s_load_dword s0, s[4:5], 0x198
	s_load_dwordx2 s[46:47], s[4:5], 0x1b0
	s_mov_b64 s[2:3], 0
	s_mov_b64 s[8:9], s[6:7]
	s_waitcnt lgkmcnt(0)
	s_cmp_lt_i32 s0, 2
	s_cbranch_scc1 .LBB236_9
; %bb.2:
	s_mov_b32 s10, 0
	s_add_i32 s15, s0, 1
	s_add_i32 s0, s0, -1
	s_mov_b32 s1, s10
	s_lshl_b64 s[0:1], s[0:1], 3
	s_add_u32 s0, s0, s4
	s_addc_u32 s1, s1, s5
	s_add_u32 s12, s0, 8
	s_addc_u32 s13, s1, 0
	s_mov_b64 s[16:17], s[6:7]
.LBB236_3:                              ; =>This Inner Loop Header: Depth=1
	s_load_dwordx2 s[18:19], s[12:13], 0x0
	s_waitcnt lgkmcnt(0)
	s_or_b64 s[0:1], s[16:17], s[18:19]
	s_mov_b32 s11, s1
	s_cmp_lg_u64 s[10:11], 0
	s_cbranch_scc0 .LBB236_8
; %bb.4:                                ;   in Loop: Header=BB236_3 Depth=1
	v_cvt_f32_u32_e32 v1, s18
	v_cvt_f32_u32_e32 v2, s19
	s_sub_u32 s0, 0, s18
	s_subb_u32 s1, 0, s19
	v_mac_f32_e32 v1, 0x4f800000, v2
	v_rcp_f32_e32 v1, v1
	v_mul_f32_e32 v1, 0x5f7ffffc, v1
	v_mul_f32_e32 v2, 0x2f800000, v1
	v_trunc_f32_e32 v2, v2
	v_mac_f32_e32 v1, 0xcf800000, v2
	v_cvt_u32_f32_e32 v2, v2
	v_cvt_u32_f32_e32 v1, v1
	v_readfirstlane_b32 s8, v2
	v_readfirstlane_b32 s9, v1
	s_mul_i32 s11, s0, s8
	s_mul_hi_u32 s21, s0, s9
	s_mul_i32 s20, s1, s9
	s_add_i32 s11, s21, s11
	s_mul_i32 s22, s0, s9
	s_add_i32 s11, s11, s20
	s_mul_hi_u32 s20, s9, s11
	s_mul_i32 s21, s9, s11
	s_mul_hi_u32 s9, s9, s22
	s_add_u32 s9, s9, s21
	s_addc_u32 s20, 0, s20
	s_mul_hi_u32 s23, s8, s22
	s_mul_i32 s22, s8, s22
	s_add_u32 s9, s9, s22
	s_mul_hi_u32 s21, s8, s11
	s_addc_u32 s9, s20, s23
	s_addc_u32 s20, s21, 0
	s_mul_i32 s11, s8, s11
	s_add_u32 s9, s9, s11
	s_addc_u32 s11, 0, s20
	v_add_co_u32_e32 v1, vcc, s9, v1
	s_cmp_lg_u64 vcc, 0
	s_addc_u32 s8, s8, s11
	v_readfirstlane_b32 s11, v1
	s_mul_i32 s9, s0, s8
	s_mul_hi_u32 s20, s0, s11
	s_add_i32 s9, s20, s9
	s_mul_i32 s1, s1, s11
	s_add_i32 s9, s9, s1
	s_mul_i32 s0, s0, s11
	s_mul_hi_u32 s20, s8, s0
	s_mul_i32 s21, s8, s0
	s_mul_i32 s23, s11, s9
	s_mul_hi_u32 s0, s11, s0
	s_mul_hi_u32 s22, s11, s9
	s_add_u32 s0, s0, s23
	s_addc_u32 s11, 0, s22
	s_add_u32 s0, s0, s21
	s_mul_hi_u32 s1, s8, s9
	s_addc_u32 s0, s11, s20
	s_addc_u32 s1, s1, 0
	s_mul_i32 s9, s8, s9
	s_add_u32 s0, s0, s9
	s_addc_u32 s1, 0, s1
	v_add_co_u32_e32 v1, vcc, s0, v1
	s_cmp_lg_u64 vcc, 0
	s_addc_u32 s0, s8, s1
	v_readfirstlane_b32 s9, v1
	s_mul_i32 s8, s16, s0
	s_mul_hi_u32 s11, s16, s9
	s_mul_hi_u32 s1, s16, s0
	s_add_u32 s8, s11, s8
	s_addc_u32 s1, 0, s1
	s_mul_hi_u32 s20, s17, s9
	s_mul_i32 s9, s17, s9
	s_add_u32 s8, s8, s9
	s_mul_hi_u32 s11, s17, s0
	s_addc_u32 s1, s1, s20
	s_addc_u32 s8, s11, 0
	s_mul_i32 s0, s17, s0
	s_add_u32 s11, s1, s0
	s_addc_u32 s8, 0, s8
	s_mul_i32 s0, s18, s8
	s_mul_hi_u32 s1, s18, s11
	s_add_i32 s0, s1, s0
	s_mul_i32 s1, s19, s11
	s_add_i32 s9, s0, s1
	s_mul_i32 s1, s18, s11
	v_mov_b32_e32 v1, s1
	s_sub_i32 s0, s17, s9
	v_sub_co_u32_e32 v1, vcc, s16, v1
	s_cmp_lg_u64 vcc, 0
	s_subb_u32 s20, s0, s19
	v_subrev_co_u32_e64 v2, s[0:1], s18, v1
	s_cmp_lg_u64 s[0:1], 0
	s_subb_u32 s0, s20, 0
	s_cmp_ge_u32 s0, s19
	v_readfirstlane_b32 s20, v2
	s_cselect_b32 s1, -1, 0
	s_cmp_ge_u32 s20, s18
	s_cselect_b32 s20, -1, 0
	s_cmp_eq_u32 s0, s19
	s_cselect_b32 s0, s20, s1
	s_add_u32 s1, s11, 1
	s_addc_u32 s20, s8, 0
	s_add_u32 s21, s11, 2
	s_addc_u32 s22, s8, 0
	s_cmp_lg_u32 s0, 0
	s_cselect_b32 s0, s21, s1
	s_cselect_b32 s1, s22, s20
	s_cmp_lg_u64 vcc, 0
	s_subb_u32 s9, s17, s9
	s_cmp_ge_u32 s9, s19
	v_readfirstlane_b32 s21, v1
	s_cselect_b32 s20, -1, 0
	s_cmp_ge_u32 s21, s18
	s_cselect_b32 s21, -1, 0
	s_cmp_eq_u32 s9, s19
	s_cselect_b32 s9, s21, s20
	s_cmp_lg_u32 s9, 0
	s_cselect_b32 s9, s1, s8
	s_cselect_b32 s8, s0, s11
	s_cbranch_execnz .LBB236_6
.LBB236_5:                              ;   in Loop: Header=BB236_3 Depth=1
	v_cvt_f32_u32_e32 v1, s18
	s_sub_i32 s0, 0, s18
	v_rcp_iflag_f32_e32 v1, v1
	v_mul_f32_e32 v1, 0x4f7ffffe, v1
	v_cvt_u32_f32_e32 v1, v1
	v_readfirstlane_b32 s1, v1
	s_mul_i32 s0, s0, s1
	s_mul_hi_u32 s0, s1, s0
	s_add_i32 s1, s1, s0
	s_mul_hi_u32 s0, s16, s1
	s_mul_i32 s8, s0, s18
	s_sub_i32 s8, s16, s8
	s_add_i32 s1, s0, 1
	s_sub_i32 s9, s8, s18
	s_cmp_ge_u32 s8, s18
	s_cselect_b32 s0, s1, s0
	s_cselect_b32 s8, s9, s8
	s_add_i32 s1, s0, 1
	s_cmp_ge_u32 s8, s18
	s_cselect_b32 s8, s1, s0
	s_mov_b32 s9, s10
.LBB236_6:                              ;   in Loop: Header=BB236_3 Depth=1
	s_mul_i32 s0, s8, s19
	s_mul_hi_u32 s1, s8, s18
	s_add_i32 s11, s1, s0
	s_load_dwordx2 s[0:1], s[12:13], 0xc8
	s_mul_i32 s19, s9, s18
	s_add_i32 s11, s11, s19
	s_mul_i32 s18, s8, s18
	s_sub_u32 s16, s16, s18
	s_subb_u32 s11, s17, s11
	s_waitcnt lgkmcnt(0)
	s_mul_i32 s11, s0, s11
	s_mul_hi_u32 s17, s0, s16
	s_add_i32 s11, s17, s11
	s_mul_i32 s1, s1, s16
	s_add_i32 s11, s11, s1
	s_mul_i32 s0, s0, s16
	s_add_u32 s2, s0, s2
	s_addc_u32 s3, s11, s3
	s_add_i32 s15, s15, -1
	s_add_u32 s12, s12, -8
	s_addc_u32 s13, s13, -1
	s_cmp_gt_u32 s15, 2
	s_cbranch_scc0 .LBB236_9
; %bb.7:                                ;   in Loop: Header=BB236_3 Depth=1
	s_mov_b64 s[16:17], s[8:9]
	s_branch .LBB236_3
.LBB236_8:                              ;   in Loop: Header=BB236_3 Depth=1
                                        ; implicit-def: $sgpr8_sgpr9
	s_branch .LBB236_5
.LBB236_9:
	s_load_dword s0, s[4:5], 0x350
	s_load_dwordx2 s[10:11], s[4:5], 0xd0
	s_mov_b64 s[16:17], 0
	s_waitcnt lgkmcnt(0)
	s_cmp_lt_i32 s0, 2
	s_cbranch_scc1 .LBB236_17
; %bb.10:
	s_mov_b32 s12, 0
	s_add_i32 s15, s0, 1
	s_add_i32 s0, s0, -1
	s_mov_b32 s1, s12
	s_lshl_b64 s[0:1], s[0:1], 3
	s_add_u32 s0, s0, s4
	s_addc_u32 s1, s1, s5
	s_add_u32 s20, s0, 0x1c0
	s_addc_u32 s21, s1, 0
.LBB236_11:                             ; =>This Inner Loop Header: Depth=1
	s_load_dwordx2 s[22:23], s[20:21], 0x0
	s_waitcnt lgkmcnt(0)
	s_or_b64 s[0:1], s[6:7], s[22:23]
	s_mov_b32 s13, s1
	s_cmp_lg_u64 s[12:13], 0
	s_cbranch_scc0 .LBB236_16
; %bb.12:                               ;   in Loop: Header=BB236_11 Depth=1
	v_cvt_f32_u32_e32 v1, s22
	v_cvt_f32_u32_e32 v2, s23
	s_sub_u32 s0, 0, s22
	s_subb_u32 s1, 0, s23
	v_mac_f32_e32 v1, 0x4f800000, v2
	v_rcp_f32_e32 v1, v1
	v_mul_f32_e32 v1, 0x5f7ffffc, v1
	v_mul_f32_e32 v2, 0x2f800000, v1
	v_trunc_f32_e32 v2, v2
	v_mac_f32_e32 v1, 0xcf800000, v2
	v_cvt_u32_f32_e32 v2, v2
	v_cvt_u32_f32_e32 v1, v1
	v_readfirstlane_b32 s13, v2
	v_readfirstlane_b32 s18, v1
	s_mul_i32 s19, s0, s13
	s_mul_hi_u32 s25, s0, s18
	s_mul_i32 s24, s1, s18
	s_add_i32 s19, s25, s19
	s_mul_i32 s26, s0, s18
	s_add_i32 s19, s19, s24
	s_mul_hi_u32 s24, s18, s19
	s_mul_i32 s25, s18, s19
	s_mul_hi_u32 s18, s18, s26
	s_add_u32 s18, s18, s25
	s_addc_u32 s24, 0, s24
	s_mul_hi_u32 s27, s13, s26
	s_mul_i32 s26, s13, s26
	s_add_u32 s18, s18, s26
	s_mul_hi_u32 s25, s13, s19
	s_addc_u32 s18, s24, s27
	s_addc_u32 s24, s25, 0
	s_mul_i32 s19, s13, s19
	s_add_u32 s18, s18, s19
	s_addc_u32 s19, 0, s24
	v_add_co_u32_e32 v1, vcc, s18, v1
	s_cmp_lg_u64 vcc, 0
	s_addc_u32 s13, s13, s19
	v_readfirstlane_b32 s19, v1
	s_mul_i32 s18, s0, s13
	s_mul_hi_u32 s24, s0, s19
	s_add_i32 s18, s24, s18
	s_mul_i32 s1, s1, s19
	s_add_i32 s18, s18, s1
	s_mul_i32 s0, s0, s19
	s_mul_hi_u32 s24, s13, s0
	s_mul_i32 s25, s13, s0
	s_mul_i32 s27, s19, s18
	s_mul_hi_u32 s0, s19, s0
	s_mul_hi_u32 s26, s19, s18
	s_add_u32 s0, s0, s27
	s_addc_u32 s19, 0, s26
	s_add_u32 s0, s0, s25
	s_mul_hi_u32 s1, s13, s18
	s_addc_u32 s0, s19, s24
	s_addc_u32 s1, s1, 0
	s_mul_i32 s18, s13, s18
	s_add_u32 s0, s0, s18
	s_addc_u32 s1, 0, s1
	v_add_co_u32_e32 v1, vcc, s0, v1
	s_cmp_lg_u64 vcc, 0
	s_addc_u32 s0, s13, s1
	v_readfirstlane_b32 s18, v1
	s_mul_i32 s13, s6, s0
	s_mul_hi_u32 s19, s6, s18
	s_mul_hi_u32 s1, s6, s0
	s_add_u32 s13, s19, s13
	s_addc_u32 s1, 0, s1
	s_mul_hi_u32 s24, s7, s18
	s_mul_i32 s18, s7, s18
	s_add_u32 s13, s13, s18
	s_mul_hi_u32 s19, s7, s0
	s_addc_u32 s1, s1, s24
	s_addc_u32 s13, s19, 0
	s_mul_i32 s0, s7, s0
	s_add_u32 s18, s1, s0
	s_addc_u32 s13, 0, s13
	s_mul_i32 s0, s22, s13
	s_mul_hi_u32 s1, s22, s18
	s_add_i32 s0, s1, s0
	s_mul_i32 s1, s23, s18
	s_add_i32 s19, s0, s1
	s_mul_i32 s1, s22, s18
	v_mov_b32_e32 v1, s1
	s_sub_i32 s0, s7, s19
	v_sub_co_u32_e32 v1, vcc, s6, v1
	s_cmp_lg_u64 vcc, 0
	s_subb_u32 s24, s0, s23
	v_subrev_co_u32_e64 v2, s[0:1], s22, v1
	s_cmp_lg_u64 s[0:1], 0
	s_subb_u32 s0, s24, 0
	s_cmp_ge_u32 s0, s23
	v_readfirstlane_b32 s24, v2
	s_cselect_b32 s1, -1, 0
	s_cmp_ge_u32 s24, s22
	s_cselect_b32 s24, -1, 0
	s_cmp_eq_u32 s0, s23
	s_cselect_b32 s0, s24, s1
	s_add_u32 s1, s18, 1
	s_addc_u32 s24, s13, 0
	s_add_u32 s25, s18, 2
	s_addc_u32 s26, s13, 0
	s_cmp_lg_u32 s0, 0
	s_cselect_b32 s0, s25, s1
	s_cselect_b32 s1, s26, s24
	s_cmp_lg_u64 vcc, 0
	s_subb_u32 s19, s7, s19
	s_cmp_ge_u32 s19, s23
	v_readfirstlane_b32 s25, v1
	s_cselect_b32 s24, -1, 0
	s_cmp_ge_u32 s25, s22
	s_cselect_b32 s25, -1, 0
	s_cmp_eq_u32 s19, s23
	s_cselect_b32 s19, s25, s24
	s_cmp_lg_u32 s19, 0
	s_cselect_b32 s19, s1, s13
	s_cselect_b32 s18, s0, s18
	s_cbranch_execnz .LBB236_14
.LBB236_13:                             ;   in Loop: Header=BB236_11 Depth=1
	v_cvt_f32_u32_e32 v1, s22
	s_sub_i32 s0, 0, s22
	s_mov_b32 s19, s12
	v_rcp_iflag_f32_e32 v1, v1
	v_mul_f32_e32 v1, 0x4f7ffffe, v1
	v_cvt_u32_f32_e32 v1, v1
	v_readfirstlane_b32 s1, v1
	s_mul_i32 s0, s0, s1
	s_mul_hi_u32 s0, s1, s0
	s_add_i32 s1, s1, s0
	s_mul_hi_u32 s0, s6, s1
	s_mul_i32 s13, s0, s22
	s_sub_i32 s13, s6, s13
	s_add_i32 s1, s0, 1
	s_sub_i32 s18, s13, s22
	s_cmp_ge_u32 s13, s22
	s_cselect_b32 s0, s1, s0
	s_cselect_b32 s13, s18, s13
	s_add_i32 s1, s0, 1
	s_cmp_ge_u32 s13, s22
	s_cselect_b32 s18, s1, s0
.LBB236_14:                             ;   in Loop: Header=BB236_11 Depth=1
	s_mul_i32 s0, s18, s23
	s_mul_hi_u32 s1, s18, s22
	s_add_i32 s13, s1, s0
	s_load_dwordx2 s[0:1], s[20:21], 0xc8
	s_mul_i32 s23, s19, s22
	s_add_i32 s13, s13, s23
	s_mul_i32 s22, s18, s22
	s_sub_u32 s6, s6, s22
	s_subb_u32 s7, s7, s13
	s_waitcnt lgkmcnt(0)
	s_mul_i32 s7, s0, s7
	s_mul_hi_u32 s13, s0, s6
	s_add_i32 s7, s13, s7
	s_mul_i32 s1, s1, s6
	s_add_i32 s7, s7, s1
	s_mul_i32 s0, s0, s6
	s_add_u32 s16, s0, s16
	s_addc_u32 s17, s7, s17
	s_add_i32 s15, s15, -1
	s_add_u32 s20, s20, -8
	s_addc_u32 s21, s21, -1
	s_cmp_gt_u32 s15, 2
	s_cbranch_scc0 .LBB236_18
; %bb.15:                               ;   in Loop: Header=BB236_11 Depth=1
	s_mov_b64 s[6:7], s[18:19]
	s_branch .LBB236_11
.LBB236_16:                             ;   in Loop: Header=BB236_11 Depth=1
                                        ; implicit-def: $sgpr18_sgpr19
	s_branch .LBB236_13
.LBB236_17:
	s_mov_b64 s[18:19], s[6:7]
.LBB236_18:
	s_mul_i32 s0, s10, s9
	s_load_dword s9, s[4:5], 0x360
	s_load_dwordx2 s[6:7], s[4:5], 0x0
	s_mul_hi_u32 s1, s10, s8
	s_add_i32 s0, s1, s0
	s_mul_i32 s1, s11, s8
	s_add_i32 s1, s0, s1
	s_waitcnt lgkmcnt(0)
	s_bitcmp1_b32 s9, 0
	s_cselect_b64 s[34:35], -1, 0
	s_mul_i32 s0, s10, s8
	s_mov_b32 s10, 0xffff
	s_and_b64 s[8:9], s[34:35], exec
	s_cselect_b32 s26, s10, 0x7fff
	s_lshl_b64 s[0:1], s[0:1], 1
	s_add_u32 s6, s6, s0
	s_addc_u32 s7, s7, s1
	s_lshl_b64 s[0:1], s[2:3], 1
	s_add_u32 s33, s6, s0
	v_and_b32_e32 v42, 0x3ff, v0
	s_addc_u32 s52, s7, s1
	v_cmp_gt_u32_e64 s[0:1], s14, v42
	v_mov_b32_e32 v2, s26
	s_and_saveexec_b64 s[2:3], s[0:1]
	s_cbranch_execz .LBB236_20
; %bb.19:
	v_mad_u64_u32 v[2:3], s[6:7], v42, s46, 0
	v_mov_b32_e32 v4, v3
	v_mad_u64_u32 v[4:5], s[6:7], v42, s47, v[4:5]
	v_mov_b32_e32 v3, v4
	v_lshlrev_b64 v[2:3], 1, v[2:3]
	v_mov_b32_e32 v1, s52
	v_add_co_u32_e32 v2, vcc, s33, v2
	v_addc_co_u32_e32 v3, vcc, v1, v3, vcc
	global_load_ushort v2, v[2:3], off
.LBB236_20:
	s_or_b64 exec, exec, s[2:3]
	v_add_u32_e32 v33, 0x100, v42
	v_cmp_gt_u32_e64 s[2:3], s14, v33
	v_mov_b32_e32 v3, s26
	s_and_saveexec_b64 s[6:7], s[2:3]
	s_cbranch_execz .LBB236_22
; %bb.21:
	v_mad_u64_u32 v[4:5], s[8:9], v33, s46, 0
	v_mov_b32_e32 v6, v5
	v_mad_u64_u32 v[6:7], s[8:9], v33, s47, v[6:7]
	v_mov_b32_e32 v5, v6
	v_lshlrev_b64 v[4:5], 1, v[4:5]
	v_mov_b32_e32 v1, s52
	v_add_co_u32_e32 v4, vcc, s33, v4
	v_addc_co_u32_e32 v5, vcc, v1, v5, vcc
	global_load_ushort v3, v[4:5], off
.LBB236_22:
	s_or_b64 exec, exec, s[6:7]
	v_add_u32_e32 v31, 0x200, v42
	;; [unrolled: 17-line block ×3, first 2 shown]
	v_cmp_gt_u32_e64 s[6:7], s14, v28
	v_mov_b32_e32 v5, s26
	s_and_saveexec_b64 s[8:9], s[6:7]
	s_cbranch_execz .LBB236_26
; %bb.25:
	v_mad_u64_u32 v[6:7], s[10:11], v28, s46, 0
	v_mov_b32_e32 v8, v7
	v_mad_u64_u32 v[8:9], s[10:11], v28, s47, v[8:9]
	v_mov_b32_e32 v7, v8
	v_lshlrev_b64 v[6:7], 1, v[6:7]
	v_mov_b32_e32 v1, s52
	v_add_co_u32_e32 v6, vcc, s33, v6
	v_addc_co_u32_e32 v7, vcc, v1, v7, vcc
	global_load_ushort v5, v[6:7], off
.LBB236_26:
	s_or_b64 exec, exec, s[8:9]
	v_or_b32_e32 v25, 0x400, v42
	v_cmp_gt_u32_e64 s[8:9], s14, v25
	v_mov_b32_e32 v6, s26
	s_and_saveexec_b64 s[10:11], s[8:9]
	s_cbranch_execz .LBB236_28
; %bb.27:
	v_mad_u64_u32 v[6:7], s[12:13], v25, s46, 0
	v_mov_b32_e32 v8, v7
	v_mad_u64_u32 v[8:9], s[12:13], v25, s47, v[8:9]
	v_mov_b32_e32 v7, v8
	v_lshlrev_b64 v[6:7], 1, v[6:7]
	v_mov_b32_e32 v1, s52
	v_add_co_u32_e32 v6, vcc, s33, v6
	v_addc_co_u32_e32 v7, vcc, v1, v7, vcc
	global_load_ushort v6, v[6:7], off
.LBB236_28:
	s_or_b64 exec, exec, s[10:11]
	v_add_u32_e32 v23, 0x500, v42
	v_cmp_gt_u32_e64 s[10:11], s14, v23
	v_mov_b32_e32 v7, s26
	s_and_saveexec_b64 s[12:13], s[10:11]
	s_cbranch_execz .LBB236_30
; %bb.29:
	v_mad_u64_u32 v[8:9], s[20:21], v23, s46, 0
	v_mov_b32_e32 v10, v9
	v_mad_u64_u32 v[10:11], s[20:21], v23, s47, v[10:11]
	v_mov_b32_e32 v9, v10
	v_lshlrev_b64 v[8:9], 1, v[8:9]
	v_mov_b32_e32 v1, s52
	v_add_co_u32_e32 v8, vcc, s33, v8
	v_addc_co_u32_e32 v9, vcc, v1, v9, vcc
	global_load_ushort v7, v[8:9], off
.LBB236_30:
	s_or_b64 exec, exec, s[12:13]
	s_load_dwordx2 s[22:23], s[4:5], 0x288
	s_load_dwordx2 s[20:21], s[4:5], 0x1b8
	v_add_u32_e32 v22, 0x600, v42
	v_cmp_gt_u32_e64 s[12:13], s14, v22
	v_mov_b32_e32 v8, s26
	s_and_saveexec_b64 s[24:25], s[12:13]
	s_cbranch_execz .LBB236_32
; %bb.31:
	v_mad_u64_u32 v[8:9], s[28:29], v22, s46, 0
	v_mov_b32_e32 v10, v9
	v_mad_u64_u32 v[10:11], s[28:29], v22, s47, v[10:11]
	v_mov_b32_e32 v9, v10
	v_lshlrev_b64 v[8:9], 1, v[8:9]
	v_mov_b32_e32 v1, s52
	v_add_co_u32_e32 v8, vcc, s33, v8
	v_addc_co_u32_e32 v9, vcc, v1, v9, vcc
	global_load_ushort v8, v[8:9], off
.LBB236_32:
	s_or_b64 exec, exec, s[24:25]
	v_add_u32_e32 v1, 0x700, v42
	v_cmp_gt_u32_e64 s[14:15], s14, v1
	v_mov_b32_e32 v9, s26
	s_and_saveexec_b64 s[24:25], s[14:15]
	s_cbranch_execz .LBB236_34
; %bb.33:
	v_mad_u64_u32 v[10:11], s[26:27], v1, s46, 0
	v_mov_b32_e32 v12, v11
	v_mad_u64_u32 v[12:13], s[26:27], v1, s47, v[12:13]
	v_mov_b32_e32 v11, v12
	v_lshlrev_b64 v[10:11], 1, v[10:11]
	v_mov_b32_e32 v9, s52
	v_add_co_u32_e32 v10, vcc, s33, v10
	v_addc_co_u32_e32 v11, vcc, v9, v11, vcc
	global_load_ushort v9, v[10:11], off
.LBB236_34:
	s_or_b64 exec, exec, s[24:25]
	v_lshrrev_b32_e32 v36, 5, v42
	v_and_b32_e32 v10, 30, v36
	v_add_lshl_u32 v43, v10, v42, 1
	v_lshrrev_b32_e32 v35, 5, v33
	s_waitcnt vmcnt(0)
	ds_write_b16 v43, v2
	v_and_b32_e32 v2, 62, v35
	v_lshrrev_b32_e32 v34, 5, v31
	v_add_lshl_u32 v44, v2, v42, 1
	v_and_b32_e32 v2, 62, v34
	v_lshrrev_b32_e32 v32, 5, v28
	v_add_lshl_u32 v45, v2, v42, 1
	;; [unrolled: 3-line block ×3, first 2 shown]
	v_and_b32_e32 v2, 62, v30
	v_lshrrev_b32_e32 v29, 5, v23
	s_waitcnt lgkmcnt(0)
	s_mul_i32 s19, s22, s19
	s_mul_hi_u32 s24, s22, s18
	v_add_lshl_u32 v47, v2, v42, 1
	v_and_b32_e32 v2, 0x7e, v29
	v_lshrrev_b32_e32 v26, 5, v22
	s_add_i32 s19, s24, s19
	s_mul_i32 s23, s23, s18
	v_add_lshl_u32 v48, v2, v42, 1
	v_and_b32_e32 v2, 0x7e, v26
	v_lshrrev_b32_e32 v24, 5, v1
	s_add_i32 s19, s19, s23
	s_mul_i32 s18, s22, s18
	v_add_lshl_u32 v49, v2, v42, 1
	v_and_b32_e32 v2, 0x7e, v24
	v_lshrrev_b32_e32 v27, 2, v42
	s_lshl_b64 s[18:19], s[18:19], 3
	v_add_lshl_u32 v50, v2, v42, 1
	v_lshlrev_b32_e32 v60, 3, v42
	v_and_b32_e32 v2, 0xfe, v27
	s_add_u32 s18, s20, s18
	v_add_lshl_u32 v51, v2, v60, 1
	s_addc_u32 s19, s21, s19
	s_lshl_b64 s[16:17], s[16:17], 3
	s_load_dwordx2 s[48:49], s[4:5], 0x358
	ds_write_b16 v44, v3 offset:512
	ds_write_b16 v45, v4 offset:1024
	;; [unrolled: 1-line block ×7, first 2 shown]
	s_waitcnt lgkmcnt(0)
	s_barrier
	ds_read_b128 v[18:21], v51
	s_add_u32 s53, s18, s16
	s_mov_b32 s16, 0
	s_addc_u32 s54, s19, s17
	s_mov_b32 s17, s16
	s_mov_b32 s18, s16
	;; [unrolled: 1-line block ×15, first 2 shown]
	v_pk_mov_b32 v[2:3], s[16:17], s[16:17] op_sel:[0,1]
	v_pk_mov_b32 v[4:5], s[18:19], s[18:19] op_sel:[0,1]
	;; [unrolled: 1-line block ×8, first 2 shown]
	v_pk_mov_b32 v[2:3], 0, 0
	s_waitcnt lgkmcnt(0)
	s_barrier
	s_and_saveexec_b64 s[4:5], s[0:1]
	s_cbranch_execnz .LBB236_89
; %bb.35:
	s_or_b64 exec, exec, s[4:5]
	s_and_saveexec_b64 s[4:5], s[2:3]
	s_cbranch_execnz .LBB236_90
.LBB236_36:
	s_or_b64 exec, exec, s[4:5]
	s_and_saveexec_b64 s[4:5], s[42:43]
	s_cbranch_execnz .LBB236_91
.LBB236_37:
	s_or_b64 exec, exec, s[4:5]
	s_and_saveexec_b64 s[4:5], s[6:7]
	s_cbranch_execnz .LBB236_92
.LBB236_38:
	s_or_b64 exec, exec, s[4:5]
	s_and_saveexec_b64 s[4:5], s[8:9]
	s_cbranch_execnz .LBB236_93
.LBB236_39:
	s_or_b64 exec, exec, s[4:5]
	s_and_saveexec_b64 s[4:5], s[10:11]
	s_cbranch_execnz .LBB236_94
.LBB236_40:
	s_or_b64 exec, exec, s[4:5]
	s_and_saveexec_b64 s[4:5], s[12:13]
	s_cbranch_execnz .LBB236_95
.LBB236_41:
	s_or_b64 exec, exec, s[4:5]
	s_xor_b64 s[4:5], s[34:35], -1
	s_and_saveexec_b64 s[16:17], s[14:15]
	s_cbranch_execz .LBB236_43
.LBB236_42:
	v_mad_u64_u32 v[16:17], s[18:19], v1, s48, 0
	v_mov_b32_e32 v22, v17
	v_mad_u64_u32 v[22:23], s[18:19], v1, s49, v[22:23]
	v_mov_b32_e32 v17, v22
	v_lshlrev_b64 v[16:17], 3, v[16:17]
	v_mov_b32_e32 v1, s54
	v_add_co_u32_e32 v16, vcc, s53, v16
	v_addc_co_u32_e32 v17, vcc, v1, v17, vcc
	global_load_dwordx2 v[16:17], v[16:17], off
.LBB236_43:
	s_or_b64 exec, exec, s[16:17]
	v_add_lshl_u32 v52, v36, v42, 3
	v_add_lshl_u32 v53, v35, v42, 3
	v_add_lshl_u32 v54, v34, v42, 3
	v_add_lshl_u32 v55, v32, v42, 3
	v_add_lshl_u32 v56, v30, v42, 3
	v_add_lshl_u32 v57, v29, v42, 3
	v_add_lshl_u32 v58, v26, v42, 3
	v_add_lshl_u32 v59, v24, v42, 3
	v_add_lshl_u32 v61, v27, v60, 3
	s_waitcnt vmcnt(0)
	ds_write_b64 v52, v[2:3]
	ds_write_b64 v53, v[4:5] offset:2048
	ds_write_b64 v54, v[6:7] offset:4096
	;; [unrolled: 1-line block ×7, first 2 shown]
	s_waitcnt lgkmcnt(0)
	s_barrier
	ds_read2_b64 v[14:17], v61 offset1:1
	ds_read2_b64 v[10:13], v61 offset0:2 offset1:3
	ds_read2_b64 v[6:9], v61 offset0:4 offset1:5
	;; [unrolled: 1-line block ×3, first 2 shown]
	s_and_b64 vcc, exec, s[4:5]
	v_bfe_u32 v63, v0, 10, 10
	v_bfe_u32 v64, v0, 20, 10
	v_mbcnt_lo_u32_b32 v65, -1, 0
	v_lshlrev_b32_e32 v62, 4, v42
	s_waitcnt lgkmcnt(0)
	s_barrier
	s_cbranch_vccz .LBB236_96
; %bb.44:
	s_movk_i32 s4, 0x8000
	v_pk_ashrrev_i16 v24, 15, v18 op_sel_hi:[0,1]
	v_or_b32_e32 v25, 0xffff8000, v24
	v_or_b32_sdwa v24, v24, s4 dst_sel:DWORD dst_unused:UNUSED_PAD src0_sel:WORD_1 src1_sel:DWORD
	v_pk_ashrrev_i16 v22, 15, v19 op_sel_hi:[0,1]
	v_xor_b32_sdwa v26, v24, v18 dst_sel:DWORD dst_unused:UNUSED_PAD src0_sel:DWORD src1_sel:WORD_1
	v_pk_ashrrev_i16 v24, 15, v21 op_sel_hi:[0,1]
	v_pk_ashrrev_i16 v28, 15, v20 op_sel_hi:[0,1]
	v_mbcnt_hi_u32_b32 v74, -1, v65
	v_and_b32_e32 v40, 0x3c0, v42
	v_or_b32_e32 v23, 0xffff8000, v22
	v_or_b32_sdwa v22, v22, s4 dst_sel:DWORD dst_unused:UNUSED_PAD src0_sel:WORD_1 src1_sel:DWORD
	v_xor_b32_e32 v27, v25, v18
	v_or_b32_e32 v25, 0xffff8000, v24
	v_or_b32_e32 v29, 0xffff8000, v28
	v_or_b32_sdwa v24, v24, s4 dst_sel:DWORD dst_unused:UNUSED_PAD src0_sel:WORD_1 src1_sel:DWORD
	v_or_b32_sdwa v28, v28, s4 dst_sel:DWORD dst_unused:UNUSED_PAD src0_sel:WORD_1 src1_sel:DWORD
	v_add_u32_e32 v0, v74, v40
	v_xor_b32_sdwa v22, v22, v19 dst_sel:DWORD dst_unused:UNUSED_PAD src0_sel:DWORD src1_sel:WORD_1
	v_xor_b32_e32 v23, v23, v19
	v_xor_b32_sdwa v28, v28, v20 dst_sel:DWORD dst_unused:UNUSED_PAD src0_sel:DWORD src1_sel:WORD_1
	v_xor_b32_sdwa v24, v24, v21 dst_sel:DWORD dst_unused:UNUSED_PAD src0_sel:DWORD src1_sel:WORD_1
	v_xor_b32_e32 v29, v29, v20
	v_xor_b32_e32 v25, v25, v21
	s_mov_b32 s4, 0x5040100
	v_lshlrev_b32_e32 v1, 4, v0
	v_perm_b32 v25, v24, v25, s4
	v_perm_b32 v24, v28, v29, s4
	;; [unrolled: 1-line block ×4, first 2 shown]
	v_and_b32_e32 v80, 0x1e00, v60
	ds_write_b128 v1, v[22:25]
	v_or_b32_e32 v1, v74, v80
	v_lshlrev_b32_e32 v22, 1, v1
	v_lshlrev_b32_e32 v0, 6, v0
	; wave barrier
	ds_read_u16 v77, v22
	ds_read_u16 v76, v22 offset:128
	ds_read_u16 v75, v22 offset:256
	ds_read_u16 v73, v22 offset:384
	ds_read_u16 v72, v22 offset:512
	ds_read_u16 v71, v22 offset:640
	ds_read_u16 v70, v22 offset:768
	ds_read_u16 v69, v22 offset:896
	s_waitcnt lgkmcnt(0)
	s_barrier
	ds_write2_b64 v0, v[14:15], v[16:17] offset1:1
	ds_write2_b64 v0, v[10:11], v[12:13] offset0:2 offset1:3
	ds_write2_b64 v0, v[6:7], v[8:9] offset0:4 offset1:5
	;; [unrolled: 1-line block ×3, first 2 shown]
	v_lshlrev_b32_e32 v0, 3, v1
	; wave barrier
	ds_read2st64_b64 v[34:37], v0 offset1:1
	ds_read2st64_b64 v[30:33], v0 offset0:2 offset1:3
	ds_read2st64_b64 v[26:29], v0 offset0:4 offset1:5
	;; [unrolled: 1-line block ×3, first 2 shown]
	s_waitcnt lgkmcnt(0)
	s_barrier
	s_load_dword s16, s[50:51], 0xc
	s_getpc_b64 s[4:5]
	s_add_u32 s4, s4, _ZN7rocprim17ROCPRIM_400000_NS16block_radix_sortI6__halfLj256ELj8ElLj1ELj1ELj0ELNS0_26block_radix_rank_algorithmE1ELNS0_18block_padding_hintE2ELNS0_4arch9wavefront6targetE1EE19radix_bits_per_passE@rel32@lo+4
	s_addc_u32 s5, s5, _ZN7rocprim17ROCPRIM_400000_NS16block_radix_sortI6__halfLj256ELj8ElLj1ELj1ELj0ELNS0_26block_radix_rank_algorithmE1ELNS0_18block_padding_hintE2ELNS0_4arch9wavefront6targetE1EE19radix_bits_per_passE@rel32@hi+12
	s_load_dword s44, s[4:5], 0x0
	s_movk_i32 s17, 0x7fff
	v_mov_b32_e32 v41, 0xffff8000
	s_waitcnt lgkmcnt(0)
	s_lshr_b32 s4, s16, 16
	s_and_b32 s5, s16, 0xffff
	v_mad_u32_u24 v1, v64, s4, v63
	v_mad_u64_u32 v[38:39], s[4:5], v1, s5, v[42:43]
	s_min_u32 s4, s44, 16
	s_lshl_b32 s4, -1, s4
	v_cmp_ne_u16_e32 vcc, s17, v77
	s_not_b32 s16, s4
	v_cndmask_b32_e32 v1, v41, v77, vcc
	v_lshrrev_b32_e32 v66, 6, v38
	v_and_b32_sdwa v38, s16, v1 dst_sel:DWORD dst_unused:UNUSED_PAD src0_sel:DWORD src1_sel:WORD_0
	v_lshlrev_b32_e32 v1, 2, v38
	v_add_lshl_u32 v81, v66, v1, 2
	v_and_b32_e32 v1, 1, v38
	v_add_co_u32_e32 v39, vcc, -1, v1
	v_addc_co_u32_e64 v67, s[4:5], 0, -1, vcc
	v_cmp_ne_u32_e32 vcc, 0, v1
	v_xor_b32_e32 v1, vcc_hi, v67
	v_mov_b32_e32 v0, 0
	v_and_b32_e32 v67, exec_hi, v1
	v_lshlrev_b32_e32 v1, 30, v38
	v_xor_b32_e32 v39, vcc_lo, v39
	v_cmp_gt_i64_e32 vcc, 0, v[0:1]
	v_not_b32_e32 v1, v1
	v_ashrrev_i32_e32 v1, 31, v1
	v_and_b32_e32 v39, exec_lo, v39
	v_xor_b32_e32 v68, vcc_hi, v1
	v_xor_b32_e32 v1, vcc_lo, v1
	v_and_b32_e32 v39, v39, v1
	v_lshlrev_b32_e32 v1, 29, v38
	v_cmp_gt_i64_e32 vcc, 0, v[0:1]
	v_not_b32_e32 v1, v1
	v_ashrrev_i32_e32 v1, 31, v1
	v_and_b32_e32 v67, v67, v68
	v_xor_b32_e32 v68, vcc_hi, v1
	v_xor_b32_e32 v1, vcc_lo, v1
	v_and_b32_e32 v39, v39, v1
	v_lshlrev_b32_e32 v1, 28, v38
	v_cmp_gt_i64_e32 vcc, 0, v[0:1]
	v_not_b32_e32 v1, v1
	v_ashrrev_i32_e32 v1, 31, v1
	v_and_b32_e32 v67, v67, v68
	;; [unrolled: 8-line block ×5, first 2 shown]
	v_xor_b32_e32 v68, vcc_hi, v1
	v_xor_b32_e32 v1, vcc_lo, v1
	v_and_b32_e32 v67, v67, v68
	v_and_b32_e32 v68, v39, v1
	v_lshlrev_b32_e32 v1, 24, v38
	v_cmp_gt_i64_e32 vcc, 0, v[0:1]
	v_not_b32_e32 v1, v1
	v_ashrrev_i32_e32 v1, 31, v1
	v_xor_b32_e32 v38, vcc_hi, v1
	v_xor_b32_e32 v1, vcc_lo, v1
	v_and_b32_e32 v39, v67, v38
	v_and_b32_e32 v38, v68, v1
	v_mbcnt_lo_u32_b32 v1, v38, 0
	v_mbcnt_hi_u32_b32 v82, v39, v1
	v_cmp_eq_u32_e32 vcc, 0, v82
	v_cmp_ne_u64_e64 s[4:5], 0, v[38:39]
	s_and_b64 s[18:19], s[4:5], vcc
	ds_write2_b32 v62, v0, v0 offset0:4 offset1:5
	ds_write2_b32 v62, v0, v0 offset0:6 offset1:7
	s_waitcnt lgkmcnt(0)
	s_barrier
	s_waitcnt lgkmcnt(0)
	; wave barrier
	s_and_saveexec_b64 s[4:5], s[18:19]
	s_cbranch_execz .LBB236_46
; %bb.45:
	v_bcnt_u32_b32 v1, v38, 0
	v_bcnt_u32_b32 v1, v39, v1
	ds_write_b32 v81, v1 offset:16
.LBB236_46:
	s_or_b64 exec, exec, s[4:5]
	v_cmp_ne_u16_e32 vcc, s17, v76
	v_cndmask_b32_e32 v1, v41, v76, vcc
	v_and_b32_sdwa v38, s16, v1 dst_sel:DWORD dst_unused:UNUSED_PAD src0_sel:DWORD src1_sel:WORD_0
	v_lshlrev_b32_e32 v1, 2, v38
	v_add_lshl_u32 v84, v66, v1, 2
	v_and_b32_e32 v1, 1, v38
	v_add_co_u32_e32 v39, vcc, -1, v1
	v_addc_co_u32_e64 v41, s[4:5], 0, -1, vcc
	v_cmp_ne_u32_e32 vcc, 0, v1
	v_xor_b32_e32 v1, vcc_hi, v41
	v_and_b32_e32 v41, exec_hi, v1
	v_lshlrev_b32_e32 v1, 30, v38
	v_xor_b32_e32 v39, vcc_lo, v39
	v_cmp_gt_i64_e32 vcc, 0, v[0:1]
	v_not_b32_e32 v1, v1
	v_ashrrev_i32_e32 v1, 31, v1
	v_and_b32_e32 v39, exec_lo, v39
	v_xor_b32_e32 v67, vcc_hi, v1
	v_xor_b32_e32 v1, vcc_lo, v1
	v_and_b32_e32 v39, v39, v1
	v_lshlrev_b32_e32 v1, 29, v38
	v_cmp_gt_i64_e32 vcc, 0, v[0:1]
	v_not_b32_e32 v1, v1
	v_ashrrev_i32_e32 v1, 31, v1
	v_and_b32_e32 v41, v41, v67
	v_xor_b32_e32 v67, vcc_hi, v1
	v_xor_b32_e32 v1, vcc_lo, v1
	v_and_b32_e32 v39, v39, v1
	v_lshlrev_b32_e32 v1, 28, v38
	v_cmp_gt_i64_e32 vcc, 0, v[0:1]
	v_not_b32_e32 v1, v1
	v_ashrrev_i32_e32 v1, 31, v1
	v_and_b32_e32 v41, v41, v67
	;; [unrolled: 8-line block ×5, first 2 shown]
	v_xor_b32_e32 v67, vcc_hi, v1
	v_xor_b32_e32 v1, vcc_lo, v1
	v_and_b32_e32 v39, v39, v1
	v_lshlrev_b32_e32 v1, 24, v38
	v_cmp_gt_i64_e32 vcc, 0, v[0:1]
	v_not_b32_e32 v0, v1
	v_ashrrev_i32_e32 v0, 31, v0
	v_xor_b32_e32 v1, vcc_hi, v0
	v_xor_b32_e32 v0, vcc_lo, v0
	; wave barrier
	ds_read_b32 v83, v84 offset:16
	v_and_b32_e32 v41, v41, v67
	v_and_b32_e32 v0, v39, v0
	;; [unrolled: 1-line block ×3, first 2 shown]
	v_mbcnt_lo_u32_b32 v38, v0, 0
	v_mbcnt_hi_u32_b32 v85, v1, v38
	v_cmp_eq_u32_e32 vcc, 0, v85
	v_cmp_ne_u64_e64 s[4:5], 0, v[0:1]
	s_and_b64 s[18:19], s[4:5], vcc
	; wave barrier
	s_and_saveexec_b64 s[4:5], s[18:19]
	s_cbranch_execz .LBB236_48
; %bb.47:
	v_bcnt_u32_b32 v0, v0, 0
	v_bcnt_u32_b32 v0, v1, v0
	s_waitcnt lgkmcnt(0)
	v_add_u32_e32 v0, v83, v0
	ds_write_b32 v84, v0 offset:16
.LBB236_48:
	s_or_b64 exec, exec, s[4:5]
	v_mov_b32_e32 v41, 0xffff8000
	v_cmp_ne_u16_e32 vcc, s17, v75
	v_cndmask_b32_e32 v0, v41, v75, vcc
	v_and_b32_sdwa v38, s16, v0 dst_sel:DWORD dst_unused:UNUSED_PAD src0_sel:DWORD src1_sel:WORD_0
	v_and_b32_e32 v1, 1, v38
	v_add_co_u32_e32 v39, vcc, -1, v1
	v_addc_co_u32_e64 v67, s[4:5], 0, -1, vcc
	v_cmp_ne_u32_e32 vcc, 0, v1
	v_lshlrev_b32_e32 v0, 2, v38
	v_xor_b32_e32 v1, vcc_hi, v67
	v_add_lshl_u32 v87, v66, v0, 2
	v_mov_b32_e32 v0, 0
	v_and_b32_e32 v67, exec_hi, v1
	v_lshlrev_b32_e32 v1, 30, v38
	v_xor_b32_e32 v39, vcc_lo, v39
	v_cmp_gt_i64_e32 vcc, 0, v[0:1]
	v_not_b32_e32 v1, v1
	v_ashrrev_i32_e32 v1, 31, v1
	v_and_b32_e32 v39, exec_lo, v39
	v_xor_b32_e32 v68, vcc_hi, v1
	v_xor_b32_e32 v1, vcc_lo, v1
	v_and_b32_e32 v39, v39, v1
	v_lshlrev_b32_e32 v1, 29, v38
	v_cmp_gt_i64_e32 vcc, 0, v[0:1]
	v_not_b32_e32 v1, v1
	v_ashrrev_i32_e32 v1, 31, v1
	v_and_b32_e32 v67, v67, v68
	v_xor_b32_e32 v68, vcc_hi, v1
	v_xor_b32_e32 v1, vcc_lo, v1
	v_and_b32_e32 v39, v39, v1
	v_lshlrev_b32_e32 v1, 28, v38
	v_cmp_gt_i64_e32 vcc, 0, v[0:1]
	v_not_b32_e32 v1, v1
	v_ashrrev_i32_e32 v1, 31, v1
	v_and_b32_e32 v67, v67, v68
	;; [unrolled: 8-line block ×5, first 2 shown]
	v_xor_b32_e32 v68, vcc_hi, v1
	v_xor_b32_e32 v1, vcc_lo, v1
	v_and_b32_e32 v67, v67, v68
	v_and_b32_e32 v68, v39, v1
	v_lshlrev_b32_e32 v1, 24, v38
	v_cmp_gt_i64_e32 vcc, 0, v[0:1]
	v_not_b32_e32 v1, v1
	v_ashrrev_i32_e32 v1, 31, v1
	v_xor_b32_e32 v38, vcc_hi, v1
	v_xor_b32_e32 v1, vcc_lo, v1
	; wave barrier
	ds_read_b32 v86, v87 offset:16
	v_and_b32_e32 v39, v67, v38
	v_and_b32_e32 v38, v68, v1
	v_mbcnt_lo_u32_b32 v1, v38, 0
	v_mbcnt_hi_u32_b32 v88, v39, v1
	v_cmp_eq_u32_e32 vcc, 0, v88
	v_cmp_ne_u64_e64 s[4:5], 0, v[38:39]
	s_and_b64 s[18:19], s[4:5], vcc
	; wave barrier
	s_and_saveexec_b64 s[4:5], s[18:19]
	s_cbranch_execz .LBB236_50
; %bb.49:
	v_bcnt_u32_b32 v1, v38, 0
	v_bcnt_u32_b32 v1, v39, v1
	s_waitcnt lgkmcnt(0)
	v_add_u32_e32 v1, v86, v1
	ds_write_b32 v87, v1 offset:16
.LBB236_50:
	s_or_b64 exec, exec, s[4:5]
	v_cmp_ne_u16_e32 vcc, s17, v73
	v_cndmask_b32_e32 v1, v41, v73, vcc
	v_and_b32_sdwa v38, s16, v1 dst_sel:DWORD dst_unused:UNUSED_PAD src0_sel:DWORD src1_sel:WORD_0
	v_lshlrev_b32_e32 v1, 2, v38
	v_add_lshl_u32 v90, v66, v1, 2
	v_and_b32_e32 v1, 1, v38
	v_add_co_u32_e32 v39, vcc, -1, v1
	v_addc_co_u32_e64 v41, s[4:5], 0, -1, vcc
	v_cmp_ne_u32_e32 vcc, 0, v1
	v_xor_b32_e32 v1, vcc_hi, v41
	v_and_b32_e32 v41, exec_hi, v1
	v_lshlrev_b32_e32 v1, 30, v38
	v_xor_b32_e32 v39, vcc_lo, v39
	v_cmp_gt_i64_e32 vcc, 0, v[0:1]
	v_not_b32_e32 v1, v1
	v_ashrrev_i32_e32 v1, 31, v1
	v_and_b32_e32 v39, exec_lo, v39
	v_xor_b32_e32 v67, vcc_hi, v1
	v_xor_b32_e32 v1, vcc_lo, v1
	v_and_b32_e32 v39, v39, v1
	v_lshlrev_b32_e32 v1, 29, v38
	v_cmp_gt_i64_e32 vcc, 0, v[0:1]
	v_not_b32_e32 v1, v1
	v_ashrrev_i32_e32 v1, 31, v1
	v_and_b32_e32 v41, v41, v67
	v_xor_b32_e32 v67, vcc_hi, v1
	v_xor_b32_e32 v1, vcc_lo, v1
	v_and_b32_e32 v39, v39, v1
	v_lshlrev_b32_e32 v1, 28, v38
	v_cmp_gt_i64_e32 vcc, 0, v[0:1]
	v_not_b32_e32 v1, v1
	v_ashrrev_i32_e32 v1, 31, v1
	v_and_b32_e32 v41, v41, v67
	;; [unrolled: 8-line block ×5, first 2 shown]
	v_xor_b32_e32 v67, vcc_hi, v1
	v_xor_b32_e32 v1, vcc_lo, v1
	v_and_b32_e32 v39, v39, v1
	v_lshlrev_b32_e32 v1, 24, v38
	v_cmp_gt_i64_e32 vcc, 0, v[0:1]
	v_not_b32_e32 v0, v1
	v_ashrrev_i32_e32 v0, 31, v0
	v_xor_b32_e32 v1, vcc_hi, v0
	v_xor_b32_e32 v0, vcc_lo, v0
	; wave barrier
	ds_read_b32 v89, v90 offset:16
	v_and_b32_e32 v41, v41, v67
	v_and_b32_e32 v0, v39, v0
	;; [unrolled: 1-line block ×3, first 2 shown]
	v_mbcnt_lo_u32_b32 v38, v0, 0
	v_mbcnt_hi_u32_b32 v91, v1, v38
	v_cmp_eq_u32_e32 vcc, 0, v91
	v_cmp_ne_u64_e64 s[4:5], 0, v[0:1]
	s_and_b64 s[18:19], s[4:5], vcc
	; wave barrier
	s_and_saveexec_b64 s[4:5], s[18:19]
	s_cbranch_execz .LBB236_52
; %bb.51:
	v_bcnt_u32_b32 v0, v0, 0
	v_bcnt_u32_b32 v0, v1, v0
	s_waitcnt lgkmcnt(0)
	v_add_u32_e32 v0, v89, v0
	ds_write_b32 v90, v0 offset:16
.LBB236_52:
	s_or_b64 exec, exec, s[4:5]
	v_mov_b32_e32 v41, 0xffff8000
	v_cmp_ne_u16_e32 vcc, s17, v72
	v_cndmask_b32_e32 v0, v41, v72, vcc
	v_and_b32_sdwa v38, s16, v0 dst_sel:DWORD dst_unused:UNUSED_PAD src0_sel:DWORD src1_sel:WORD_0
	v_and_b32_e32 v1, 1, v38
	v_add_co_u32_e32 v39, vcc, -1, v1
	v_addc_co_u32_e64 v67, s[4:5], 0, -1, vcc
	v_cmp_ne_u32_e32 vcc, 0, v1
	v_lshlrev_b32_e32 v0, 2, v38
	v_xor_b32_e32 v1, vcc_hi, v67
	v_add_lshl_u32 v93, v66, v0, 2
	v_mov_b32_e32 v0, 0
	v_and_b32_e32 v67, exec_hi, v1
	v_lshlrev_b32_e32 v1, 30, v38
	v_xor_b32_e32 v39, vcc_lo, v39
	v_cmp_gt_i64_e32 vcc, 0, v[0:1]
	v_not_b32_e32 v1, v1
	v_ashrrev_i32_e32 v1, 31, v1
	v_and_b32_e32 v39, exec_lo, v39
	v_xor_b32_e32 v68, vcc_hi, v1
	v_xor_b32_e32 v1, vcc_lo, v1
	v_and_b32_e32 v39, v39, v1
	v_lshlrev_b32_e32 v1, 29, v38
	v_cmp_gt_i64_e32 vcc, 0, v[0:1]
	v_not_b32_e32 v1, v1
	v_ashrrev_i32_e32 v1, 31, v1
	v_and_b32_e32 v67, v67, v68
	v_xor_b32_e32 v68, vcc_hi, v1
	v_xor_b32_e32 v1, vcc_lo, v1
	v_and_b32_e32 v39, v39, v1
	v_lshlrev_b32_e32 v1, 28, v38
	v_cmp_gt_i64_e32 vcc, 0, v[0:1]
	v_not_b32_e32 v1, v1
	v_ashrrev_i32_e32 v1, 31, v1
	v_and_b32_e32 v67, v67, v68
	;; [unrolled: 8-line block ×5, first 2 shown]
	v_xor_b32_e32 v68, vcc_hi, v1
	v_xor_b32_e32 v1, vcc_lo, v1
	v_and_b32_e32 v67, v67, v68
	v_and_b32_e32 v68, v39, v1
	v_lshlrev_b32_e32 v1, 24, v38
	v_cmp_gt_i64_e32 vcc, 0, v[0:1]
	v_not_b32_e32 v1, v1
	v_ashrrev_i32_e32 v1, 31, v1
	v_xor_b32_e32 v38, vcc_hi, v1
	v_xor_b32_e32 v1, vcc_lo, v1
	; wave barrier
	ds_read_b32 v92, v93 offset:16
	v_and_b32_e32 v39, v67, v38
	v_and_b32_e32 v38, v68, v1
	v_mbcnt_lo_u32_b32 v1, v38, 0
	v_mbcnt_hi_u32_b32 v94, v39, v1
	v_cmp_eq_u32_e32 vcc, 0, v94
	v_cmp_ne_u64_e64 s[4:5], 0, v[38:39]
	s_and_b64 s[18:19], s[4:5], vcc
	; wave barrier
	s_and_saveexec_b64 s[4:5], s[18:19]
	s_cbranch_execz .LBB236_54
; %bb.53:
	v_bcnt_u32_b32 v1, v38, 0
	v_bcnt_u32_b32 v1, v39, v1
	s_waitcnt lgkmcnt(0)
	v_add_u32_e32 v1, v92, v1
	ds_write_b32 v93, v1 offset:16
.LBB236_54:
	s_or_b64 exec, exec, s[4:5]
	v_cmp_ne_u16_e32 vcc, s17, v71
	v_cndmask_b32_e32 v1, v41, v71, vcc
	v_and_b32_sdwa v38, s16, v1 dst_sel:DWORD dst_unused:UNUSED_PAD src0_sel:DWORD src1_sel:WORD_0
	v_lshlrev_b32_e32 v1, 2, v38
	v_add_lshl_u32 v96, v66, v1, 2
	v_and_b32_e32 v1, 1, v38
	v_add_co_u32_e32 v39, vcc, -1, v1
	v_addc_co_u32_e64 v41, s[4:5], 0, -1, vcc
	v_cmp_ne_u32_e32 vcc, 0, v1
	v_xor_b32_e32 v1, vcc_hi, v41
	v_and_b32_e32 v41, exec_hi, v1
	v_lshlrev_b32_e32 v1, 30, v38
	v_xor_b32_e32 v39, vcc_lo, v39
	v_cmp_gt_i64_e32 vcc, 0, v[0:1]
	v_not_b32_e32 v1, v1
	v_ashrrev_i32_e32 v1, 31, v1
	v_and_b32_e32 v39, exec_lo, v39
	v_xor_b32_e32 v67, vcc_hi, v1
	v_xor_b32_e32 v1, vcc_lo, v1
	v_and_b32_e32 v39, v39, v1
	v_lshlrev_b32_e32 v1, 29, v38
	v_cmp_gt_i64_e32 vcc, 0, v[0:1]
	v_not_b32_e32 v1, v1
	v_ashrrev_i32_e32 v1, 31, v1
	v_and_b32_e32 v41, v41, v67
	v_xor_b32_e32 v67, vcc_hi, v1
	v_xor_b32_e32 v1, vcc_lo, v1
	v_and_b32_e32 v39, v39, v1
	v_lshlrev_b32_e32 v1, 28, v38
	v_cmp_gt_i64_e32 vcc, 0, v[0:1]
	v_not_b32_e32 v1, v1
	v_ashrrev_i32_e32 v1, 31, v1
	v_and_b32_e32 v41, v41, v67
	;; [unrolled: 8-line block ×5, first 2 shown]
	v_xor_b32_e32 v67, vcc_hi, v1
	v_xor_b32_e32 v1, vcc_lo, v1
	v_and_b32_e32 v39, v39, v1
	v_lshlrev_b32_e32 v1, 24, v38
	v_cmp_gt_i64_e32 vcc, 0, v[0:1]
	v_not_b32_e32 v0, v1
	v_ashrrev_i32_e32 v0, 31, v0
	v_xor_b32_e32 v1, vcc_hi, v0
	v_xor_b32_e32 v0, vcc_lo, v0
	; wave barrier
	ds_read_b32 v95, v96 offset:16
	v_and_b32_e32 v41, v41, v67
	v_and_b32_e32 v0, v39, v0
	;; [unrolled: 1-line block ×3, first 2 shown]
	v_mbcnt_lo_u32_b32 v38, v0, 0
	v_mbcnt_hi_u32_b32 v97, v1, v38
	v_cmp_eq_u32_e32 vcc, 0, v97
	v_cmp_ne_u64_e64 s[4:5], 0, v[0:1]
	s_and_b64 s[18:19], s[4:5], vcc
	; wave barrier
	s_and_saveexec_b64 s[4:5], s[18:19]
	s_cbranch_execz .LBB236_56
; %bb.55:
	v_bcnt_u32_b32 v0, v0, 0
	v_bcnt_u32_b32 v0, v1, v0
	s_waitcnt lgkmcnt(0)
	v_add_u32_e32 v0, v95, v0
	ds_write_b32 v96, v0 offset:16
.LBB236_56:
	s_or_b64 exec, exec, s[4:5]
	v_mov_b32_e32 v41, 0xffff8000
	v_cmp_ne_u16_e32 vcc, s17, v70
	v_cndmask_b32_e32 v0, v41, v70, vcc
	v_and_b32_sdwa v38, s16, v0 dst_sel:DWORD dst_unused:UNUSED_PAD src0_sel:DWORD src1_sel:WORD_0
	v_and_b32_e32 v1, 1, v38
	v_add_co_u32_e32 v39, vcc, -1, v1
	v_addc_co_u32_e64 v67, s[4:5], 0, -1, vcc
	v_cmp_ne_u32_e32 vcc, 0, v1
	v_lshlrev_b32_e32 v0, 2, v38
	v_xor_b32_e32 v1, vcc_hi, v67
	v_add_lshl_u32 v99, v66, v0, 2
	v_mov_b32_e32 v0, 0
	v_and_b32_e32 v67, exec_hi, v1
	v_lshlrev_b32_e32 v1, 30, v38
	v_xor_b32_e32 v39, vcc_lo, v39
	v_cmp_gt_i64_e32 vcc, 0, v[0:1]
	v_not_b32_e32 v1, v1
	v_ashrrev_i32_e32 v1, 31, v1
	v_and_b32_e32 v39, exec_lo, v39
	v_xor_b32_e32 v68, vcc_hi, v1
	v_xor_b32_e32 v1, vcc_lo, v1
	v_and_b32_e32 v39, v39, v1
	v_lshlrev_b32_e32 v1, 29, v38
	v_cmp_gt_i64_e32 vcc, 0, v[0:1]
	v_not_b32_e32 v1, v1
	v_ashrrev_i32_e32 v1, 31, v1
	v_and_b32_e32 v67, v67, v68
	v_xor_b32_e32 v68, vcc_hi, v1
	v_xor_b32_e32 v1, vcc_lo, v1
	v_and_b32_e32 v39, v39, v1
	v_lshlrev_b32_e32 v1, 28, v38
	v_cmp_gt_i64_e32 vcc, 0, v[0:1]
	v_not_b32_e32 v1, v1
	v_ashrrev_i32_e32 v1, 31, v1
	v_and_b32_e32 v67, v67, v68
	;; [unrolled: 8-line block ×5, first 2 shown]
	v_xor_b32_e32 v68, vcc_hi, v1
	v_xor_b32_e32 v1, vcc_lo, v1
	v_and_b32_e32 v67, v67, v68
	v_and_b32_e32 v68, v39, v1
	v_lshlrev_b32_e32 v1, 24, v38
	v_cmp_gt_i64_e32 vcc, 0, v[0:1]
	v_not_b32_e32 v1, v1
	v_ashrrev_i32_e32 v1, 31, v1
	v_xor_b32_e32 v38, vcc_hi, v1
	v_xor_b32_e32 v1, vcc_lo, v1
	; wave barrier
	ds_read_b32 v98, v99 offset:16
	v_and_b32_e32 v39, v67, v38
	v_and_b32_e32 v38, v68, v1
	v_mbcnt_lo_u32_b32 v1, v38, 0
	v_mbcnt_hi_u32_b32 v100, v39, v1
	v_cmp_eq_u32_e32 vcc, 0, v100
	v_cmp_ne_u64_e64 s[4:5], 0, v[38:39]
	s_and_b64 s[18:19], s[4:5], vcc
	; wave barrier
	s_and_saveexec_b64 s[4:5], s[18:19]
	s_cbranch_execz .LBB236_58
; %bb.57:
	v_bcnt_u32_b32 v1, v38, 0
	v_bcnt_u32_b32 v1, v39, v1
	s_waitcnt lgkmcnt(0)
	v_add_u32_e32 v1, v98, v1
	ds_write_b32 v99, v1 offset:16
.LBB236_58:
	s_or_b64 exec, exec, s[4:5]
	v_cmp_ne_u16_e32 vcc, s17, v69
	v_cndmask_b32_e32 v1, v41, v69, vcc
	v_and_b32_sdwa v38, s16, v1 dst_sel:DWORD dst_unused:UNUSED_PAD src0_sel:DWORD src1_sel:WORD_0
	v_lshlrev_b32_e32 v1, 2, v38
	v_add_lshl_u32 v102, v66, v1, 2
	v_and_b32_e32 v1, 1, v38
	v_add_co_u32_e32 v39, vcc, -1, v1
	v_min_u32_e32 v78, 0xc0, v40
	v_addc_co_u32_e64 v40, s[4:5], 0, -1, vcc
	v_cmp_ne_u32_e32 vcc, 0, v1
	v_xor_b32_e32 v1, vcc_hi, v40
	v_and_b32_e32 v40, exec_hi, v1
	v_lshlrev_b32_e32 v1, 30, v38
	v_xor_b32_e32 v39, vcc_lo, v39
	v_cmp_gt_i64_e32 vcc, 0, v[0:1]
	v_not_b32_e32 v1, v1
	v_ashrrev_i32_e32 v1, 31, v1
	v_and_b32_e32 v39, exec_lo, v39
	v_xor_b32_e32 v41, vcc_hi, v1
	v_xor_b32_e32 v1, vcc_lo, v1
	v_and_b32_e32 v39, v39, v1
	v_lshlrev_b32_e32 v1, 29, v38
	v_cmp_gt_i64_e32 vcc, 0, v[0:1]
	v_not_b32_e32 v1, v1
	v_ashrrev_i32_e32 v1, 31, v1
	v_and_b32_e32 v40, v40, v41
	v_xor_b32_e32 v41, vcc_hi, v1
	v_xor_b32_e32 v1, vcc_lo, v1
	v_and_b32_e32 v39, v39, v1
	v_lshlrev_b32_e32 v1, 28, v38
	v_cmp_gt_i64_e32 vcc, 0, v[0:1]
	v_not_b32_e32 v1, v1
	v_ashrrev_i32_e32 v1, 31, v1
	v_and_b32_e32 v40, v40, v41
	;; [unrolled: 8-line block ×5, first 2 shown]
	v_xor_b32_e32 v41, vcc_hi, v1
	v_xor_b32_e32 v1, vcc_lo, v1
	v_and_b32_e32 v39, v39, v1
	v_lshlrev_b32_e32 v1, 24, v38
	v_cmp_gt_i64_e32 vcc, 0, v[0:1]
	v_not_b32_e32 v0, v1
	v_ashrrev_i32_e32 v0, 31, v0
	v_xor_b32_e32 v1, vcc_hi, v0
	v_xor_b32_e32 v0, vcc_lo, v0
	; wave barrier
	ds_read_b32 v101, v102 offset:16
	v_and_b32_e32 v40, v40, v41
	v_and_b32_e32 v0, v39, v0
	;; [unrolled: 1-line block ×3, first 2 shown]
	v_mbcnt_lo_u32_b32 v38, v0, 0
	v_mbcnt_hi_u32_b32 v103, v1, v38
	v_cmp_eq_u32_e32 vcc, 0, v103
	v_cmp_ne_u64_e64 s[4:5], 0, v[0:1]
	v_add_u32_e32 v67, 16, v62
	v_lshrrev_b32_e32 v68, 6, v42
	s_and_b64 s[16:17], s[4:5], vcc
	; wave barrier
	s_and_saveexec_b64 s[4:5], s[16:17]
	s_cbranch_execz .LBB236_60
; %bb.59:
	v_bcnt_u32_b32 v0, v0, 0
	v_bcnt_u32_b32 v0, v1, v0
	s_waitcnt lgkmcnt(0)
	v_add_u32_e32 v0, v101, v0
	ds_write_b32 v102, v0 offset:16
.LBB236_60:
	s_or_b64 exec, exec, s[4:5]
	; wave barrier
	s_waitcnt lgkmcnt(0)
	s_barrier
	ds_read2_b32 v[38:39], v62 offset0:4 offset1:5
	ds_read2_b32 v[40:41], v67 offset0:2 offset1:3
	v_and_b32_e32 v1, 16, v74
	v_cmp_eq_u32_e32 vcc, 0, v1
	v_or_b32_e32 v1, 63, v78
	v_cmp_eq_u32_e64 s[16:17], v1, v42
	s_waitcnt lgkmcnt(1)
	v_add_u32_e32 v1, v39, v38
	v_and_b32_e32 v0, 15, v74
	s_waitcnt lgkmcnt(0)
	v_add3_u32 v1, v1, v40, v41
	v_cmp_eq_u32_e64 s[22:23], 0, v0
	v_cmp_lt_u32_e64 s[24:25], 1, v0
	v_mov_b32_dpp v41, v1 row_shr:1 row_mask:0xf bank_mask:0xf
	v_cndmask_b32_e64 v41, v41, 0, s[22:23]
	v_add_u32_e32 v1, v41, v1
	v_cmp_lt_u32_e64 s[28:29], 3, v0
	v_cmp_lt_u32_e64 s[30:31], 7, v0
	v_mov_b32_dpp v41, v1 row_shr:2 row_mask:0xf bank_mask:0xf
	v_cndmask_b32_e64 v41, 0, v41, s[24:25]
	v_add_u32_e32 v1, v1, v41
	v_bfe_i32 v79, v74, 4, 1
	v_cmp_lt_u32_e64 s[34:35], 31, v74
	v_mov_b32_dpp v41, v1 row_shr:4 row_mask:0xf bank_mask:0xf
	v_cndmask_b32_e64 v41, 0, v41, s[28:29]
	v_add_u32_e32 v1, v1, v41
	v_lshlrev_b32_e32 v68, 2, v68
	s_nop 0
	v_mov_b32_dpp v41, v1 row_shr:8 row_mask:0xf bank_mask:0xf
	v_cndmask_b32_e64 v0, 0, v41, s[30:31]
	v_add_u32_e32 v0, v1, v0
	s_nop 1
	v_mov_b32_dpp v1, v0 row_bcast:15 row_mask:0xf bank_mask:0xf
	v_and_b32_e32 v1, v79, v1
	v_add_u32_e32 v0, v0, v1
	s_nop 1
	v_mov_b32_dpp v1, v0 row_bcast:31 row_mask:0xf bank_mask:0xf
	v_cndmask_b32_e64 v1, 0, v1, s[34:35]
	v_add_u32_e32 v1, v0, v1
	s_and_saveexec_b64 s[4:5], s[16:17]
	s_cbranch_execz .LBB236_62
; %bb.61:
	ds_write_b32 v68, v1
.LBB236_62:
	s_or_b64 exec, exec, s[4:5]
	v_and_b32_e32 v0, 3, v74
	v_cmp_gt_u32_e64 s[26:27], 4, v42
	v_lshlrev_b32_e32 v41, 2, v42
	v_cmp_eq_u32_e64 s[20:21], 0, v0
	v_cmp_lt_u32_e64 s[18:19], 1, v0
	s_waitcnt lgkmcnt(0)
	s_barrier
	s_and_saveexec_b64 s[4:5], s[26:27]
	s_cbranch_execz .LBB236_64
; %bb.63:
	ds_read_b32 v0, v41
	s_waitcnt lgkmcnt(0)
	s_nop 0
	v_mov_b32_dpp v78, v0 row_shr:1 row_mask:0xf bank_mask:0xf
	v_cndmask_b32_e64 v78, v78, 0, s[20:21]
	v_add_u32_e32 v0, v78, v0
	s_nop 1
	v_mov_b32_dpp v78, v0 row_shr:2 row_mask:0xf bank_mask:0xf
	v_cndmask_b32_e64 v78, 0, v78, s[18:19]
	v_add_u32_e32 v0, v0, v78
	ds_write_b32 v41, v0
.LBB236_64:
	s_or_b64 exec, exec, s[4:5]
	v_cmp_lt_u32_e64 s[36:37], 63, v42
	v_add_u32_e32 v78, -4, v68
	v_mov_b32_e32 v0, 0
	v_mov_b32_e32 v104, 0
	s_waitcnt lgkmcnt(0)
	s_barrier
	s_and_saveexec_b64 s[4:5], s[36:37]
	s_cbranch_execz .LBB236_66
; %bb.65:
	ds_read_b32 v104, v78
.LBB236_66:
	s_or_b64 exec, exec, s[4:5]
	v_add_u32_e32 v79, -1, v74
	v_and_b32_e32 v105, 64, v74
	v_cmp_lt_i32_e64 s[4:5], v79, v105
	v_cndmask_b32_e64 v79, v79, v74, s[4:5]
	v_lshlrev_b32_e32 v79, 2, v79
	s_waitcnt lgkmcnt(0)
	v_add_u32_e32 v1, v104, v1
	ds_bpermute_b32 v1, v79, v1
	v_cmp_eq_u32_e64 s[38:39], 0, v74
	v_cmp_eq_u32_e64 s[40:41], 0, v42
	v_and_or_b32 v80, v74, 63, v80
	v_lshlrev_b32_e32 v105, 1, v80
	s_waitcnt lgkmcnt(0)
	v_cndmask_b32_e64 v1, v1, v104, s[38:39]
	v_cndmask_b32_e64 v1, v1, 0, s[40:41]
	v_add_u32_e32 v38, v1, v38
	v_add_u32_e32 v39, v38, v39
	;; [unrolled: 1-line block ×3, first 2 shown]
	ds_write2_b32 v62, v1, v38 offset0:4 offset1:5
	ds_write2_b32 v67, v39, v40 offset0:2 offset1:3
	s_waitcnt lgkmcnt(0)
	s_barrier
	ds_read_b32 v1, v81 offset:16
	ds_read_b32 v38, v84 offset:16
	;; [unrolled: 1-line block ×8, first 2 shown]
	s_waitcnt lgkmcnt(7)
	v_add_u32_e32 v1, v1, v82
	s_waitcnt lgkmcnt(6)
	v_add3_u32 v38, v85, v83, v38
	s_waitcnt lgkmcnt(4)
	v_add3_u32 v82, v91, v89, v40
	v_lshlrev_b32_e32 v40, 1, v1
	v_add3_u32 v39, v88, v86, v39
	s_waitcnt lgkmcnt(0)
	s_barrier
	ds_write_b16 v40, v77
	v_lshlrev_b32_e32 v40, 1, v38
	ds_write_b16 v40, v76
	v_lshlrev_b32_e32 v40, 1, v39
	v_add3_u32 v83, v94, v92, v74
	ds_write_b16 v40, v75
	v_lshlrev_b32_e32 v40, 1, v82
	v_add3_u32 v81, v97, v95, v81
	ds_write_b16 v40, v73
	v_lshlrev_b32_e32 v40, 1, v83
	v_add3_u32 v84, v100, v98, v84
	ds_write_b16 v40, v72
	v_lshlrev_b32_e32 v40, 1, v81
	v_add3_u32 v85, v103, v101, v87
	ds_write_b16 v40, v71
	v_lshlrev_b32_e32 v40, 1, v84
	ds_write_b16 v40, v70
	v_lshlrev_b32_e32 v40, 1, v85
	v_lshlrev_b32_e32 v1, 3, v1
	ds_write_b16 v40, v69
	s_waitcnt lgkmcnt(0)
	s_barrier
	ds_read_u16 v75, v105
	ds_read_u16 v74, v105 offset:128
	ds_read_u16 v73, v105 offset:256
	;; [unrolled: 1-line block ×7, first 2 shown]
	s_waitcnt lgkmcnt(0)
	s_barrier
	ds_write_b64 v1, v[34:35]
	v_lshlrev_b32_e32 v1, 3, v38
	ds_write_b64 v1, v[36:37]
	v_lshlrev_b32_e32 v1, 3, v39
	;; [unrolled: 2-line block ×6, first 2 shown]
	s_min_u32 s4, s44, 8
	ds_write_b64 v1, v[22:23]
	v_lshlrev_b32_e32 v1, 3, v85
	s_lshl_b32 s4, -1, s4
	s_movk_i32 s56, 0x7fff
	ds_write_b64 v1, v[24:25]
	s_not_b32 s55, s4
	v_lshrrev_b16_e32 v1, 8, v75
	v_mov_b32_e32 v38, 0x80
	v_cmp_ne_u16_e64 s[4:5], s56, v75
	v_cndmask_b32_e64 v1, v38, v1, s[4:5]
	v_and_b32_sdwa v39, v1, s55 dst_sel:DWORD dst_unused:UNUSED_PAD src0_sel:WORD_0 src1_sel:DWORD
	v_lshlrev_b32_e32 v1, 2, v39
	v_add_lshl_u32 v76, v1, v66, 2
	v_and_b32_e32 v1, 1, v39
	v_lshlrev_b32_e32 v80, 3, v80
	v_add_co_u32_e64 v77, s[4:5], -1, v1
	s_waitcnt lgkmcnt(0)
	s_barrier
	ds_read2st64_b64 v[34:37], v80 offset1:1
	ds_read2st64_b64 v[30:33], v80 offset0:2 offset1:3
	ds_read2st64_b64 v[26:29], v80 offset0:4 offset1:5
	;; [unrolled: 1-line block ×3, first 2 shown]
	v_addc_co_u32_e64 v80, s[4:5], 0, -1, s[4:5]
	v_cmp_ne_u32_e64 s[4:5], 0, v1
	v_xor_b32_e32 v1, s5, v80
	v_and_b32_e32 v80, exec_hi, v1
	v_lshlrev_b32_e32 v1, 30, v39
	v_xor_b32_e32 v77, s4, v77
	v_cmp_gt_i64_e64 s[4:5], 0, v[0:1]
	v_not_b32_e32 v1, v1
	v_ashrrev_i32_e32 v1, 31, v1
	v_and_b32_e32 v77, exec_lo, v77
	v_xor_b32_e32 v81, s5, v1
	v_xor_b32_e32 v1, s4, v1
	v_and_b32_e32 v77, v77, v1
	v_lshlrev_b32_e32 v1, 29, v39
	v_cmp_gt_i64_e64 s[4:5], 0, v[0:1]
	v_not_b32_e32 v1, v1
	v_ashrrev_i32_e32 v1, 31, v1
	v_and_b32_e32 v80, v80, v81
	v_xor_b32_e32 v81, s5, v1
	v_xor_b32_e32 v1, s4, v1
	v_and_b32_e32 v77, v77, v1
	v_lshlrev_b32_e32 v1, 28, v39
	v_cmp_gt_i64_e64 s[4:5], 0, v[0:1]
	v_not_b32_e32 v1, v1
	v_ashrrev_i32_e32 v1, 31, v1
	v_and_b32_e32 v80, v80, v81
	;; [unrolled: 8-line block ×5, first 2 shown]
	v_xor_b32_e32 v81, s5, v1
	v_xor_b32_e32 v1, s4, v1
	v_and_b32_e32 v77, v77, v1
	v_lshlrev_b32_e32 v1, 24, v39
	s_waitcnt lgkmcnt(0)
	s_barrier
	ds_write2_b32 v62, v0, v0 offset0:4 offset1:5
	ds_write2_b32 v67, v0, v0 offset0:2 offset1:3
	v_cmp_gt_i64_e64 s[4:5], 0, v[0:1]
	v_not_b32_e32 v0, v1
	v_ashrrev_i32_e32 v0, 31, v0
	v_xor_b32_e32 v1, s5, v0
	v_xor_b32_e32 v0, s4, v0
	v_and_b32_e32 v80, v80, v81
	v_and_b32_e32 v0, v77, v0
	;; [unrolled: 1-line block ×3, first 2 shown]
	v_mbcnt_lo_u32_b32 v39, v0, 0
	v_mbcnt_hi_u32_b32 v77, v1, v39
	v_cmp_eq_u32_e64 s[4:5], 0, v77
	v_cmp_ne_u64_e64 s[44:45], 0, v[0:1]
	s_and_b64 s[44:45], s[44:45], s[4:5]
	s_waitcnt lgkmcnt(0)
	s_barrier
	s_waitcnt lgkmcnt(0)
	; wave barrier
	s_and_saveexec_b64 s[4:5], s[44:45]
	s_cbranch_execz .LBB236_68
; %bb.67:
	v_bcnt_u32_b32 v0, v0, 0
	v_bcnt_u32_b32 v0, v1, v0
	ds_write_b32 v76, v0 offset:16
.LBB236_68:
	s_or_b64 exec, exec, s[4:5]
	v_lshrrev_b16_e32 v0, 8, v74
	v_cmp_ne_u16_e64 s[4:5], s56, v74
	v_cndmask_b32_e64 v0, v38, v0, s[4:5]
	v_and_b32_e32 v38, s55, v0
	v_and_b32_e32 v1, 1, v38
	v_add_co_u32_e64 v39, s[4:5], -1, v1
	v_addc_co_u32_e64 v82, s[4:5], 0, -1, s[4:5]
	v_cmp_ne_u32_e64 s[4:5], 0, v1
	v_lshlrev_b32_e32 v0, 2, v38
	v_xor_b32_e32 v1, s5, v82
	v_add_lshl_u32 v81, v0, v66, 2
	v_mov_b32_e32 v0, 0
	v_and_b32_e32 v82, exec_hi, v1
	v_lshlrev_b32_e32 v1, 30, v38
	v_xor_b32_e32 v39, s4, v39
	v_cmp_gt_i64_e64 s[4:5], 0, v[0:1]
	v_not_b32_e32 v1, v1
	v_ashrrev_i32_e32 v1, 31, v1
	v_and_b32_e32 v39, exec_lo, v39
	v_xor_b32_e32 v83, s5, v1
	v_xor_b32_e32 v1, s4, v1
	v_and_b32_e32 v39, v39, v1
	v_lshlrev_b32_e32 v1, 29, v38
	v_cmp_gt_i64_e64 s[4:5], 0, v[0:1]
	v_not_b32_e32 v1, v1
	v_ashrrev_i32_e32 v1, 31, v1
	v_and_b32_e32 v82, v82, v83
	v_xor_b32_e32 v83, s5, v1
	v_xor_b32_e32 v1, s4, v1
	v_and_b32_e32 v39, v39, v1
	v_lshlrev_b32_e32 v1, 28, v38
	v_cmp_gt_i64_e64 s[4:5], 0, v[0:1]
	v_not_b32_e32 v1, v1
	v_ashrrev_i32_e32 v1, 31, v1
	v_and_b32_e32 v82, v82, v83
	;; [unrolled: 8-line block ×5, first 2 shown]
	v_xor_b32_e32 v83, s5, v1
	v_xor_b32_e32 v1, s4, v1
	v_and_b32_e32 v82, v82, v83
	v_and_b32_e32 v83, v39, v1
	v_lshlrev_b32_e32 v1, 24, v38
	v_cmp_gt_i64_e64 s[4:5], 0, v[0:1]
	v_not_b32_e32 v1, v1
	v_ashrrev_i32_e32 v1, 31, v1
	v_xor_b32_e32 v38, s5, v1
	v_xor_b32_e32 v1, s4, v1
	; wave barrier
	ds_read_b32 v80, v81 offset:16
	v_and_b32_e32 v39, v82, v38
	v_and_b32_e32 v38, v83, v1
	v_mbcnt_lo_u32_b32 v1, v38, 0
	v_mbcnt_hi_u32_b32 v82, v39, v1
	v_cmp_eq_u32_e64 s[4:5], 0, v82
	v_cmp_ne_u64_e64 s[44:45], 0, v[38:39]
	s_and_b64 s[44:45], s[44:45], s[4:5]
	; wave barrier
	s_and_saveexec_b64 s[4:5], s[44:45]
	s_cbranch_execz .LBB236_70
; %bb.69:
	v_bcnt_u32_b32 v1, v38, 0
	v_bcnt_u32_b32 v1, v39, v1
	s_waitcnt lgkmcnt(0)
	v_add_u32_e32 v1, v80, v1
	ds_write_b32 v81, v1 offset:16
.LBB236_70:
	s_or_b64 exec, exec, s[4:5]
	v_lshrrev_b16_e32 v1, 8, v73
	v_mov_b32_e32 v38, 0x80
	v_cmp_ne_u16_e64 s[4:5], s56, v73
	v_cndmask_b32_e64 v1, v38, v1, s[4:5]
	v_and_b32_e32 v39, s55, v1
	v_lshlrev_b32_e32 v1, 2, v39
	v_add_lshl_u32 v84, v1, v66, 2
	v_and_b32_e32 v1, 1, v39
	v_add_co_u32_e64 v85, s[4:5], -1, v1
	v_addc_co_u32_e64 v86, s[4:5], 0, -1, s[4:5]
	v_cmp_ne_u32_e64 s[4:5], 0, v1
	v_xor_b32_e32 v1, s5, v86
	v_and_b32_e32 v86, exec_hi, v1
	v_lshlrev_b32_e32 v1, 30, v39
	v_xor_b32_e32 v85, s4, v85
	v_cmp_gt_i64_e64 s[4:5], 0, v[0:1]
	v_not_b32_e32 v1, v1
	v_ashrrev_i32_e32 v1, 31, v1
	v_and_b32_e32 v85, exec_lo, v85
	v_xor_b32_e32 v87, s5, v1
	v_xor_b32_e32 v1, s4, v1
	v_and_b32_e32 v85, v85, v1
	v_lshlrev_b32_e32 v1, 29, v39
	v_cmp_gt_i64_e64 s[4:5], 0, v[0:1]
	v_not_b32_e32 v1, v1
	v_ashrrev_i32_e32 v1, 31, v1
	v_and_b32_e32 v86, v86, v87
	v_xor_b32_e32 v87, s5, v1
	v_xor_b32_e32 v1, s4, v1
	v_and_b32_e32 v85, v85, v1
	v_lshlrev_b32_e32 v1, 28, v39
	v_cmp_gt_i64_e64 s[4:5], 0, v[0:1]
	v_not_b32_e32 v1, v1
	v_ashrrev_i32_e32 v1, 31, v1
	v_and_b32_e32 v86, v86, v87
	;; [unrolled: 8-line block ×5, first 2 shown]
	v_xor_b32_e32 v87, s5, v1
	v_xor_b32_e32 v1, s4, v1
	v_and_b32_e32 v85, v85, v1
	v_lshlrev_b32_e32 v1, 24, v39
	v_cmp_gt_i64_e64 s[4:5], 0, v[0:1]
	v_not_b32_e32 v0, v1
	v_ashrrev_i32_e32 v0, 31, v0
	v_xor_b32_e32 v1, s5, v0
	v_xor_b32_e32 v0, s4, v0
	; wave barrier
	ds_read_b32 v83, v84 offset:16
	v_and_b32_e32 v86, v86, v87
	v_and_b32_e32 v0, v85, v0
	;; [unrolled: 1-line block ×3, first 2 shown]
	v_mbcnt_lo_u32_b32 v39, v0, 0
	v_mbcnt_hi_u32_b32 v85, v1, v39
	v_cmp_eq_u32_e64 s[4:5], 0, v85
	v_cmp_ne_u64_e64 s[44:45], 0, v[0:1]
	s_and_b64 s[44:45], s[44:45], s[4:5]
	; wave barrier
	s_and_saveexec_b64 s[4:5], s[44:45]
	s_cbranch_execz .LBB236_72
; %bb.71:
	v_bcnt_u32_b32 v0, v0, 0
	v_bcnt_u32_b32 v0, v1, v0
	s_waitcnt lgkmcnt(0)
	v_add_u32_e32 v0, v83, v0
	ds_write_b32 v84, v0 offset:16
.LBB236_72:
	s_or_b64 exec, exec, s[4:5]
	v_lshrrev_b16_e32 v0, 8, v72
	v_cmp_ne_u16_e64 s[4:5], s56, v72
	v_cndmask_b32_e64 v0, v38, v0, s[4:5]
	v_and_b32_e32 v38, s55, v0
	v_and_b32_e32 v1, 1, v38
	v_add_co_u32_e64 v39, s[4:5], -1, v1
	v_addc_co_u32_e64 v88, s[4:5], 0, -1, s[4:5]
	v_cmp_ne_u32_e64 s[4:5], 0, v1
	v_lshlrev_b32_e32 v0, 2, v38
	v_xor_b32_e32 v1, s5, v88
	v_add_lshl_u32 v87, v0, v66, 2
	v_mov_b32_e32 v0, 0
	v_and_b32_e32 v88, exec_hi, v1
	v_lshlrev_b32_e32 v1, 30, v38
	v_xor_b32_e32 v39, s4, v39
	v_cmp_gt_i64_e64 s[4:5], 0, v[0:1]
	v_not_b32_e32 v1, v1
	v_ashrrev_i32_e32 v1, 31, v1
	v_and_b32_e32 v39, exec_lo, v39
	v_xor_b32_e32 v89, s5, v1
	v_xor_b32_e32 v1, s4, v1
	v_and_b32_e32 v39, v39, v1
	v_lshlrev_b32_e32 v1, 29, v38
	v_cmp_gt_i64_e64 s[4:5], 0, v[0:1]
	v_not_b32_e32 v1, v1
	v_ashrrev_i32_e32 v1, 31, v1
	v_and_b32_e32 v88, v88, v89
	v_xor_b32_e32 v89, s5, v1
	v_xor_b32_e32 v1, s4, v1
	v_and_b32_e32 v39, v39, v1
	v_lshlrev_b32_e32 v1, 28, v38
	v_cmp_gt_i64_e64 s[4:5], 0, v[0:1]
	v_not_b32_e32 v1, v1
	v_ashrrev_i32_e32 v1, 31, v1
	v_and_b32_e32 v88, v88, v89
	;; [unrolled: 8-line block ×5, first 2 shown]
	v_xor_b32_e32 v89, s5, v1
	v_xor_b32_e32 v1, s4, v1
	v_and_b32_e32 v88, v88, v89
	v_and_b32_e32 v89, v39, v1
	v_lshlrev_b32_e32 v1, 24, v38
	v_cmp_gt_i64_e64 s[4:5], 0, v[0:1]
	v_not_b32_e32 v1, v1
	v_ashrrev_i32_e32 v1, 31, v1
	v_xor_b32_e32 v38, s5, v1
	v_xor_b32_e32 v1, s4, v1
	; wave barrier
	ds_read_b32 v86, v87 offset:16
	v_and_b32_e32 v39, v88, v38
	v_and_b32_e32 v38, v89, v1
	v_mbcnt_lo_u32_b32 v1, v38, 0
	v_mbcnt_hi_u32_b32 v88, v39, v1
	v_cmp_eq_u32_e64 s[4:5], 0, v88
	v_cmp_ne_u64_e64 s[44:45], 0, v[38:39]
	s_and_b64 s[44:45], s[44:45], s[4:5]
	; wave barrier
	s_and_saveexec_b64 s[4:5], s[44:45]
	s_cbranch_execz .LBB236_74
; %bb.73:
	v_bcnt_u32_b32 v1, v38, 0
	v_bcnt_u32_b32 v1, v39, v1
	s_waitcnt lgkmcnt(0)
	v_add_u32_e32 v1, v86, v1
	ds_write_b32 v87, v1 offset:16
.LBB236_74:
	s_or_b64 exec, exec, s[4:5]
	v_lshrrev_b16_e32 v1, 8, v71
	v_mov_b32_e32 v38, 0x80
	v_cmp_ne_u16_e64 s[4:5], s56, v71
	v_cndmask_b32_e64 v1, v38, v1, s[4:5]
	v_and_b32_e32 v39, s55, v1
	v_lshlrev_b32_e32 v1, 2, v39
	v_add_lshl_u32 v90, v1, v66, 2
	v_and_b32_e32 v1, 1, v39
	v_add_co_u32_e64 v91, s[4:5], -1, v1
	v_addc_co_u32_e64 v92, s[4:5], 0, -1, s[4:5]
	v_cmp_ne_u32_e64 s[4:5], 0, v1
	v_xor_b32_e32 v1, s5, v92
	v_and_b32_e32 v92, exec_hi, v1
	v_lshlrev_b32_e32 v1, 30, v39
	v_xor_b32_e32 v91, s4, v91
	v_cmp_gt_i64_e64 s[4:5], 0, v[0:1]
	v_not_b32_e32 v1, v1
	v_ashrrev_i32_e32 v1, 31, v1
	v_and_b32_e32 v91, exec_lo, v91
	v_xor_b32_e32 v93, s5, v1
	v_xor_b32_e32 v1, s4, v1
	v_and_b32_e32 v91, v91, v1
	v_lshlrev_b32_e32 v1, 29, v39
	v_cmp_gt_i64_e64 s[4:5], 0, v[0:1]
	v_not_b32_e32 v1, v1
	v_ashrrev_i32_e32 v1, 31, v1
	v_and_b32_e32 v92, v92, v93
	v_xor_b32_e32 v93, s5, v1
	v_xor_b32_e32 v1, s4, v1
	v_and_b32_e32 v91, v91, v1
	v_lshlrev_b32_e32 v1, 28, v39
	v_cmp_gt_i64_e64 s[4:5], 0, v[0:1]
	v_not_b32_e32 v1, v1
	v_ashrrev_i32_e32 v1, 31, v1
	v_and_b32_e32 v92, v92, v93
	v_xor_b32_e32 v93, s5, v1
	v_xor_b32_e32 v1, s4, v1
	v_and_b32_e32 v91, v91, v1
	v_lshlrev_b32_e32 v1, 27, v39
	v_cmp_gt_i64_e64 s[4:5], 0, v[0:1]
	v_not_b32_e32 v1, v1
	v_ashrrev_i32_e32 v1, 31, v1
	v_and_b32_e32 v92, v92, v93
	v_xor_b32_e32 v93, s5, v1
	v_xor_b32_e32 v1, s4, v1
	v_and_b32_e32 v91, v91, v1
	v_lshlrev_b32_e32 v1, 26, v39
	v_cmp_gt_i64_e64 s[4:5], 0, v[0:1]
	v_not_b32_e32 v1, v1
	v_ashrrev_i32_e32 v1, 31, v1
	v_and_b32_e32 v92, v92, v93
	v_xor_b32_e32 v93, s5, v1
	v_xor_b32_e32 v1, s4, v1
	v_and_b32_e32 v91, v91, v1
	v_lshlrev_b32_e32 v1, 25, v39
	v_cmp_gt_i64_e64 s[4:5], 0, v[0:1]
	v_not_b32_e32 v1, v1
	v_ashrrev_i32_e32 v1, 31, v1
	v_and_b32_e32 v92, v92, v93
	v_xor_b32_e32 v93, s5, v1
	v_xor_b32_e32 v1, s4, v1
	v_and_b32_e32 v91, v91, v1
	v_lshlrev_b32_e32 v1, 24, v39
	v_cmp_gt_i64_e64 s[4:5], 0, v[0:1]
	v_not_b32_e32 v0, v1
	v_ashrrev_i32_e32 v0, 31, v0
	v_xor_b32_e32 v1, s5, v0
	v_xor_b32_e32 v0, s4, v0
	; wave barrier
	ds_read_b32 v89, v90 offset:16
	v_and_b32_e32 v92, v92, v93
	v_and_b32_e32 v0, v91, v0
	;; [unrolled: 1-line block ×3, first 2 shown]
	v_mbcnt_lo_u32_b32 v39, v0, 0
	v_mbcnt_hi_u32_b32 v91, v1, v39
	v_cmp_eq_u32_e64 s[4:5], 0, v91
	v_cmp_ne_u64_e64 s[44:45], 0, v[0:1]
	s_and_b64 s[44:45], s[44:45], s[4:5]
	; wave barrier
	s_and_saveexec_b64 s[4:5], s[44:45]
	s_cbranch_execz .LBB236_76
; %bb.75:
	v_bcnt_u32_b32 v0, v0, 0
	v_bcnt_u32_b32 v0, v1, v0
	s_waitcnt lgkmcnt(0)
	v_add_u32_e32 v0, v89, v0
	ds_write_b32 v90, v0 offset:16
.LBB236_76:
	s_or_b64 exec, exec, s[4:5]
	v_lshrrev_b16_e32 v0, 8, v70
	v_cmp_ne_u16_e64 s[4:5], s56, v70
	v_cndmask_b32_e64 v0, v38, v0, s[4:5]
	v_and_b32_e32 v38, s55, v0
	v_and_b32_e32 v1, 1, v38
	v_add_co_u32_e64 v39, s[4:5], -1, v1
	v_addc_co_u32_e64 v94, s[4:5], 0, -1, s[4:5]
	v_cmp_ne_u32_e64 s[4:5], 0, v1
	v_lshlrev_b32_e32 v0, 2, v38
	v_xor_b32_e32 v1, s5, v94
	v_add_lshl_u32 v93, v0, v66, 2
	v_mov_b32_e32 v0, 0
	v_and_b32_e32 v94, exec_hi, v1
	v_lshlrev_b32_e32 v1, 30, v38
	v_xor_b32_e32 v39, s4, v39
	v_cmp_gt_i64_e64 s[4:5], 0, v[0:1]
	v_not_b32_e32 v1, v1
	v_ashrrev_i32_e32 v1, 31, v1
	v_and_b32_e32 v39, exec_lo, v39
	v_xor_b32_e32 v95, s5, v1
	v_xor_b32_e32 v1, s4, v1
	v_and_b32_e32 v39, v39, v1
	v_lshlrev_b32_e32 v1, 29, v38
	v_cmp_gt_i64_e64 s[4:5], 0, v[0:1]
	v_not_b32_e32 v1, v1
	v_ashrrev_i32_e32 v1, 31, v1
	v_and_b32_e32 v94, v94, v95
	v_xor_b32_e32 v95, s5, v1
	v_xor_b32_e32 v1, s4, v1
	v_and_b32_e32 v39, v39, v1
	v_lshlrev_b32_e32 v1, 28, v38
	v_cmp_gt_i64_e64 s[4:5], 0, v[0:1]
	v_not_b32_e32 v1, v1
	v_ashrrev_i32_e32 v1, 31, v1
	v_and_b32_e32 v94, v94, v95
	;; [unrolled: 8-line block ×5, first 2 shown]
	v_xor_b32_e32 v95, s5, v1
	v_xor_b32_e32 v1, s4, v1
	v_and_b32_e32 v94, v94, v95
	v_and_b32_e32 v95, v39, v1
	v_lshlrev_b32_e32 v1, 24, v38
	v_cmp_gt_i64_e64 s[4:5], 0, v[0:1]
	v_not_b32_e32 v1, v1
	v_ashrrev_i32_e32 v1, 31, v1
	v_xor_b32_e32 v38, s5, v1
	v_xor_b32_e32 v1, s4, v1
	; wave barrier
	ds_read_b32 v92, v93 offset:16
	v_and_b32_e32 v39, v94, v38
	v_and_b32_e32 v38, v95, v1
	v_mbcnt_lo_u32_b32 v1, v38, 0
	v_mbcnt_hi_u32_b32 v94, v39, v1
	v_cmp_eq_u32_e64 s[4:5], 0, v94
	v_cmp_ne_u64_e64 s[44:45], 0, v[38:39]
	s_and_b64 s[44:45], s[44:45], s[4:5]
	; wave barrier
	s_and_saveexec_b64 s[4:5], s[44:45]
	s_cbranch_execz .LBB236_78
; %bb.77:
	v_bcnt_u32_b32 v1, v38, 0
	v_bcnt_u32_b32 v1, v39, v1
	s_waitcnt lgkmcnt(0)
	v_add_u32_e32 v1, v92, v1
	ds_write_b32 v93, v1 offset:16
.LBB236_78:
	s_or_b64 exec, exec, s[4:5]
	v_lshrrev_b16_e32 v1, 8, v69
	v_mov_b32_e32 v38, 0x80
	v_cmp_ne_u16_e64 s[4:5], s56, v69
	v_cndmask_b32_e64 v1, v38, v1, s[4:5]
	v_and_b32_e32 v39, s55, v1
	v_lshlrev_b32_e32 v1, 2, v39
	v_add_lshl_u32 v96, v1, v66, 2
	v_and_b32_e32 v1, 1, v39
	v_add_co_u32_e64 v97, s[4:5], -1, v1
	v_addc_co_u32_e64 v98, s[4:5], 0, -1, s[4:5]
	v_cmp_ne_u32_e64 s[4:5], 0, v1
	v_xor_b32_e32 v1, s5, v98
	v_and_b32_e32 v98, exec_hi, v1
	v_lshlrev_b32_e32 v1, 30, v39
	v_xor_b32_e32 v97, s4, v97
	v_cmp_gt_i64_e64 s[4:5], 0, v[0:1]
	v_not_b32_e32 v1, v1
	v_ashrrev_i32_e32 v1, 31, v1
	v_and_b32_e32 v97, exec_lo, v97
	v_xor_b32_e32 v99, s5, v1
	v_xor_b32_e32 v1, s4, v1
	v_and_b32_e32 v97, v97, v1
	v_lshlrev_b32_e32 v1, 29, v39
	v_cmp_gt_i64_e64 s[4:5], 0, v[0:1]
	v_not_b32_e32 v1, v1
	v_ashrrev_i32_e32 v1, 31, v1
	v_and_b32_e32 v98, v98, v99
	v_xor_b32_e32 v99, s5, v1
	v_xor_b32_e32 v1, s4, v1
	v_and_b32_e32 v97, v97, v1
	v_lshlrev_b32_e32 v1, 28, v39
	v_cmp_gt_i64_e64 s[4:5], 0, v[0:1]
	v_not_b32_e32 v1, v1
	v_ashrrev_i32_e32 v1, 31, v1
	v_and_b32_e32 v98, v98, v99
	;; [unrolled: 8-line block ×5, first 2 shown]
	v_xor_b32_e32 v99, s5, v1
	v_xor_b32_e32 v1, s4, v1
	v_and_b32_e32 v97, v97, v1
	v_lshlrev_b32_e32 v1, 24, v39
	v_cmp_gt_i64_e64 s[4:5], 0, v[0:1]
	v_not_b32_e32 v0, v1
	v_ashrrev_i32_e32 v0, 31, v0
	v_xor_b32_e32 v1, s5, v0
	v_xor_b32_e32 v0, s4, v0
	; wave barrier
	ds_read_b32 v95, v96 offset:16
	v_and_b32_e32 v98, v98, v99
	v_and_b32_e32 v0, v97, v0
	;; [unrolled: 1-line block ×3, first 2 shown]
	v_mbcnt_lo_u32_b32 v39, v0, 0
	v_mbcnt_hi_u32_b32 v97, v1, v39
	v_cmp_eq_u32_e64 s[4:5], 0, v97
	v_cmp_ne_u64_e64 s[44:45], 0, v[0:1]
	s_and_b64 s[44:45], s[44:45], s[4:5]
	; wave barrier
	s_and_saveexec_b64 s[4:5], s[44:45]
	s_cbranch_execz .LBB236_80
; %bb.79:
	v_bcnt_u32_b32 v0, v0, 0
	v_bcnt_u32_b32 v0, v1, v0
	s_waitcnt lgkmcnt(0)
	v_add_u32_e32 v0, v95, v0
	ds_write_b32 v96, v0 offset:16
.LBB236_80:
	s_or_b64 exec, exec, s[4:5]
	v_lshrrev_b16_e32 v0, 8, v40
	v_cmp_ne_u16_e64 s[4:5], s56, v40
	v_cndmask_b32_e64 v0, v38, v0, s[4:5]
	v_and_b32_e32 v38, s55, v0
	v_and_b32_e32 v1, 1, v38
	v_add_co_u32_e64 v39, s[4:5], -1, v1
	v_addc_co_u32_e64 v99, s[4:5], 0, -1, s[4:5]
	v_cmp_ne_u32_e64 s[4:5], 0, v1
	v_lshlrev_b32_e32 v0, 2, v38
	v_xor_b32_e32 v1, s5, v99
	v_add_lshl_u32 v98, v0, v66, 2
	v_mov_b32_e32 v0, 0
	v_and_b32_e32 v99, exec_hi, v1
	v_lshlrev_b32_e32 v1, 30, v38
	v_xor_b32_e32 v39, s4, v39
	v_cmp_gt_i64_e64 s[4:5], 0, v[0:1]
	v_not_b32_e32 v1, v1
	v_ashrrev_i32_e32 v1, 31, v1
	v_and_b32_e32 v39, exec_lo, v39
	v_xor_b32_e32 v100, s5, v1
	v_xor_b32_e32 v1, s4, v1
	v_and_b32_e32 v39, v39, v1
	v_lshlrev_b32_e32 v1, 29, v38
	v_cmp_gt_i64_e64 s[4:5], 0, v[0:1]
	v_not_b32_e32 v1, v1
	v_ashrrev_i32_e32 v1, 31, v1
	v_and_b32_e32 v99, v99, v100
	v_xor_b32_e32 v100, s5, v1
	v_xor_b32_e32 v1, s4, v1
	v_and_b32_e32 v39, v39, v1
	v_lshlrev_b32_e32 v1, 28, v38
	v_cmp_gt_i64_e64 s[4:5], 0, v[0:1]
	v_not_b32_e32 v1, v1
	v_ashrrev_i32_e32 v1, 31, v1
	v_and_b32_e32 v99, v99, v100
	;; [unrolled: 8-line block ×5, first 2 shown]
	v_xor_b32_e32 v100, s5, v1
	v_xor_b32_e32 v1, s4, v1
	v_and_b32_e32 v39, v39, v1
	v_lshlrev_b32_e32 v1, 24, v38
	v_cmp_gt_i64_e64 s[4:5], 0, v[0:1]
	v_not_b32_e32 v0, v1
	v_ashrrev_i32_e32 v0, 31, v0
	v_xor_b32_e32 v1, s5, v0
	v_xor_b32_e32 v0, s4, v0
	; wave barrier
	ds_read_b32 v66, v98 offset:16
	v_and_b32_e32 v99, v99, v100
	v_and_b32_e32 v0, v39, v0
	;; [unrolled: 1-line block ×3, first 2 shown]
	v_mbcnt_lo_u32_b32 v38, v0, 0
	v_mbcnt_hi_u32_b32 v99, v1, v38
	v_cmp_eq_u32_e64 s[4:5], 0, v99
	v_cmp_ne_u64_e64 s[44:45], 0, v[0:1]
	s_and_b64 s[44:45], s[44:45], s[4:5]
	; wave barrier
	s_and_saveexec_b64 s[4:5], s[44:45]
	s_cbranch_execz .LBB236_82
; %bb.81:
	v_bcnt_u32_b32 v0, v0, 0
	v_bcnt_u32_b32 v0, v1, v0
	s_waitcnt lgkmcnt(0)
	v_add_u32_e32 v0, v66, v0
	ds_write_b32 v98, v0 offset:16
.LBB236_82:
	s_or_b64 exec, exec, s[4:5]
	; wave barrier
	s_waitcnt lgkmcnt(0)
	s_barrier
	ds_read2_b32 v[38:39], v62 offset0:4 offset1:5
	ds_read2_b32 v[0:1], v67 offset0:2 offset1:3
	s_waitcnt lgkmcnt(1)
	v_add_u32_e32 v100, v39, v38
	s_waitcnt lgkmcnt(0)
	v_add3_u32 v1, v100, v0, v1
	s_nop 1
	v_mov_b32_dpp v100, v1 row_shr:1 row_mask:0xf bank_mask:0xf
	v_cndmask_b32_e64 v100, v100, 0, s[22:23]
	v_add_u32_e32 v1, v100, v1
	s_nop 1
	v_mov_b32_dpp v100, v1 row_shr:2 row_mask:0xf bank_mask:0xf
	v_cndmask_b32_e64 v100, 0, v100, s[24:25]
	v_add_u32_e32 v1, v1, v100
	;; [unrolled: 4-line block ×4, first 2 shown]
	s_nop 1
	v_mov_b32_dpp v100, v1 row_bcast:15 row_mask:0xf bank_mask:0xf
	v_cndmask_b32_e64 v100, v100, 0, vcc
	v_add_u32_e32 v1, v1, v100
	s_nop 1
	v_mov_b32_dpp v100, v1 row_bcast:31 row_mask:0xf bank_mask:0xf
	v_cndmask_b32_e64 v100, 0, v100, s[34:35]
	v_add_u32_e32 v100, v1, v100
	s_and_saveexec_b64 s[4:5], s[16:17]
	s_cbranch_execz .LBB236_84
; %bb.83:
	ds_write_b32 v68, v100
.LBB236_84:
	s_or_b64 exec, exec, s[4:5]
	s_waitcnt lgkmcnt(0)
	s_barrier
	s_and_saveexec_b64 s[4:5], s[26:27]
	s_cbranch_execz .LBB236_86
; %bb.85:
	ds_read_b32 v1, v41
	s_waitcnt lgkmcnt(0)
	s_nop 0
	v_mov_b32_dpp v68, v1 row_shr:1 row_mask:0xf bank_mask:0xf
	v_cndmask_b32_e64 v68, v68, 0, s[20:21]
	v_add_u32_e32 v1, v68, v1
	s_nop 1
	v_mov_b32_dpp v68, v1 row_shr:2 row_mask:0xf bank_mask:0xf
	v_cndmask_b32_e64 v68, 0, v68, s[18:19]
	v_add_u32_e32 v1, v1, v68
	ds_write_b32 v41, v1
.LBB236_86:
	s_or_b64 exec, exec, s[4:5]
	v_mov_b32_e32 v1, 0
	v_mov_b32_e32 v41, 0
	s_waitcnt lgkmcnt(0)
	s_barrier
	s_and_saveexec_b64 s[4:5], s[36:37]
	s_cbranch_execz .LBB236_88
; %bb.87:
	ds_read_b32 v41, v78
.LBB236_88:
	s_or_b64 exec, exec, s[4:5]
	s_waitcnt lgkmcnt(0)
	v_add_u32_e32 v68, v41, v100
	ds_bpermute_b32 v68, v79, v68
	s_mov_b32 s16, 0x5040100
	s_waitcnt lgkmcnt(0)
	v_cndmask_b32_e64 v41, v68, v41, s[38:39]
	v_cndmask_b32_e64 v41, v41, 0, s[40:41]
	v_add_u32_e32 v38, v41, v38
	v_add_u32_e32 v39, v38, v39
	;; [unrolled: 1-line block ×3, first 2 shown]
	ds_write2_b32 v62, v41, v38 offset0:4 offset1:5
	ds_write2_b32 v67, v39, v0 offset0:2 offset1:3
	s_waitcnt lgkmcnt(0)
	s_barrier
	ds_read_b32 v0, v98 offset:16
	ds_read_b32 v38, v96 offset:16
	;; [unrolled: 1-line block ×4, first 2 shown]
	s_waitcnt lgkmcnt(3)
	v_add3_u32 v0, v99, v66, v0
	ds_read_b32 v66, v87 offset:16
	ds_read_b32 v67, v84 offset:16
	;; [unrolled: 1-line block ×4, first 2 shown]
	s_waitcnt lgkmcnt(0)
	s_barrier
	v_add3_u32 v67, v85, v83, v67
	v_add3_u32 v68, v82, v80, v68
	v_add_u32_e32 v76, v76, v77
	v_lshlrev_b32_e32 v77, 1, v76
	ds_write_b16 v77, v75
	v_lshlrev_b32_e32 v75, 1, v68
	v_add3_u32 v66, v88, v86, v66
	ds_write_b16 v75, v74
	v_lshlrev_b32_e32 v74, 1, v67
	v_add3_u32 v41, v91, v89, v41
	;; [unrolled: 3-line block ×4, first 2 shown]
	ds_write_b16 v72, v71
	v_lshlrev_b32_e32 v71, 1, v39
	ds_write_b16 v71, v70
	v_lshlrev_b32_e32 v70, 1, v38
	;; [unrolled: 2-line block ×4, first 2 shown]
	s_waitcnt lgkmcnt(0)
	s_barrier
	v_lshlrev_b32_e32 v70, 3, v41
	v_lshlrev_b32_e32 v71, 3, v39
	;; [unrolled: 1-line block ×3, first 2 shown]
	ds_read_b128 v[38:41], v40
	v_mov_b32_e32 v75, 0xffff8000
	v_lshlrev_b32_e32 v69, 3, v76
	v_lshlrev_b32_e32 v73, 3, v60
	;; [unrolled: 1-line block ×3, first 2 shown]
	s_waitcnt lgkmcnt(0)
	v_cmp_lt_i16_sdwa vcc, v38, v1 src0_sel:WORD_1 src1_sel:DWORD
	v_cndmask_b32_e32 v76, -1, v75, vcc
	v_cmp_gt_i16_e32 vcc, 0, v38
	v_lshlrev_b32_e32 v67, 3, v67
	v_lshlrev_b32_e32 v66, 3, v66
	v_lshlrev_b32_e32 v0, 3, v0
	v_cndmask_b32_e32 v77, -1, v75, vcc
	v_cmp_lt_i16_e32 vcc, -1, v39
	s_barrier
	ds_write_b64 v69, v[34:35]
	ds_write_b64 v68, v[36:37]
	;; [unrolled: 1-line block ×8, first 2 shown]
	s_waitcnt lgkmcnt(0)
	s_barrier
	ds_read2_b64 v[22:25], v73 offset1:1
	ds_read2_b64 v[26:29], v73 offset0:2 offset1:3
	ds_read2_b64 v[30:33], v73 offset0:4 offset1:5
	;; [unrolled: 1-line block ×3, first 2 shown]
	v_mov_b32_e32 v74, -1
	v_cndmask_b32_e64 v79, v75, -1, vcc
	v_cmp_lt_i16_sdwa vcc, v40, v1 src0_sel:WORD_1 src1_sel:DWORD
	v_cmp_gt_i16_sdwa s[4:5], v39, v74 src0_sel:WORD_1 src1_sel:DWORD
	v_cndmask_b32_e32 v0, -1, v75, vcc
	v_cmp_gt_i16_e32 vcc, 0, v40
	v_cndmask_b32_e64 v78, v75, -1, s[4:5]
	v_cndmask_b32_e32 v1, -1, v75, vcc
	v_cmp_gt_i16_sdwa s[4:5], v41, v74 src0_sel:WORD_1 src1_sel:DWORD
	v_cmp_lt_i16_e32 vcc, -1, v41
	v_cndmask_b32_e64 v66, v75, -1, s[4:5]
	v_cndmask_b32_e64 v67, v75, -1, vcc
	v_xor_b32_e32 v79, v79, v39
	v_xor_b32_sdwa v39, v78, v39 dst_sel:DWORD dst_unused:UNUSED_PAD src0_sel:DWORD src1_sel:WORD_1
	v_xor_b32_e32 v77, v77, v38
	v_xor_b32_sdwa v38, v76, v38 dst_sel:DWORD dst_unused:UNUSED_PAD src0_sel:DWORD src1_sel:WORD_1
	;; [unrolled: 2-line block ×4, first 2 shown]
	v_perm_b32 v39, v39, v79, s16
	v_perm_b32 v38, v38, v77, s16
	;; [unrolled: 1-line block ×4, first 2 shown]
	s_branch .LBB236_142
.LBB236_89:
	v_mad_u64_u32 v[2:3], s[16:17], v42, s48, 0
	v_mov_b32_e32 v4, v3
	v_mad_u64_u32 v[4:5], s[16:17], v42, s49, v[4:5]
	v_mov_b32_e32 v3, v4
	v_lshlrev_b64 v[2:3], 3, v[2:3]
	v_mov_b32_e32 v4, s54
	v_add_co_u32_e32 v2, vcc, s53, v2
	v_addc_co_u32_e32 v3, vcc, v4, v3, vcc
	global_load_dwordx2 v[2:3], v[2:3], off
	v_mov_b32_e32 v4, 0
	v_mov_b32_e32 v5, v4
	;; [unrolled: 1-line block ×14, first 2 shown]
	s_or_b64 exec, exec, s[4:5]
	s_and_saveexec_b64 s[4:5], s[2:3]
	s_cbranch_execz .LBB236_36
.LBB236_90:
	v_mad_u64_u32 v[4:5], s[16:17], v33, s48, 0
	v_mov_b32_e32 v38, v5
	v_mad_u64_u32 v[38:39], s[16:17], v33, s49, v[38:39]
	v_mov_b32_e32 v5, v38
	v_lshlrev_b64 v[4:5], 3, v[4:5]
	v_mov_b32_e32 v33, s54
	v_add_co_u32_e32 v4, vcc, s53, v4
	v_addc_co_u32_e32 v5, vcc, v33, v5, vcc
	global_load_dwordx2 v[4:5], v[4:5], off
	s_or_b64 exec, exec, s[4:5]
	s_and_saveexec_b64 s[4:5], s[42:43]
	s_cbranch_execz .LBB236_37
.LBB236_91:
	v_mad_u64_u32 v[6:7], s[16:17], v31, s48, 0
	v_mov_b32_e32 v38, v7
	v_mad_u64_u32 v[38:39], s[16:17], v31, s49, v[38:39]
	v_mov_b32_e32 v7, v38
	v_lshlrev_b64 v[6:7], 3, v[6:7]
	v_mov_b32_e32 v31, s54
	v_add_co_u32_e32 v6, vcc, s53, v6
	v_addc_co_u32_e32 v7, vcc, v31, v7, vcc
	global_load_dwordx2 v[6:7], v[6:7], off
	s_or_b64 exec, exec, s[4:5]
	s_and_saveexec_b64 s[4:5], s[6:7]
	s_cbranch_execz .LBB236_38
.LBB236_92:
	v_mad_u64_u32 v[8:9], s[16:17], v28, s48, 0
	v_mov_b32_e32 v38, v9
	v_mad_u64_u32 v[38:39], s[16:17], v28, s49, v[38:39]
	v_mov_b32_e32 v9, v38
	v_lshlrev_b64 v[8:9], 3, v[8:9]
	v_mov_b32_e32 v28, s54
	v_add_co_u32_e32 v8, vcc, s53, v8
	v_addc_co_u32_e32 v9, vcc, v28, v9, vcc
	global_load_dwordx2 v[8:9], v[8:9], off
	s_or_b64 exec, exec, s[4:5]
	s_and_saveexec_b64 s[4:5], s[8:9]
	s_cbranch_execz .LBB236_39
.LBB236_93:
	v_mad_u64_u32 v[10:11], s[16:17], v25, s48, 0
	v_mov_b32_e32 v28, v11
	v_mad_u64_u32 v[38:39], s[16:17], v25, s49, v[28:29]
	v_mov_b32_e32 v11, v38
	v_lshlrev_b64 v[10:11], 3, v[10:11]
	v_mov_b32_e32 v25, s54
	v_add_co_u32_e32 v10, vcc, s53, v10
	v_addc_co_u32_e32 v11, vcc, v25, v11, vcc
	global_load_dwordx2 v[10:11], v[10:11], off
	s_or_b64 exec, exec, s[4:5]
	s_and_saveexec_b64 s[4:5], s[10:11]
	s_cbranch_execz .LBB236_40
.LBB236_94:
	v_mad_u64_u32 v[12:13], s[16:17], v23, s48, 0
	v_mov_b32_e32 v28, v13
	v_mad_u64_u32 v[38:39], s[16:17], v23, s49, v[28:29]
	v_mov_b32_e32 v13, v38
	v_lshlrev_b64 v[12:13], 3, v[12:13]
	v_mov_b32_e32 v23, s54
	v_add_co_u32_e32 v12, vcc, s53, v12
	v_addc_co_u32_e32 v13, vcc, v23, v13, vcc
	global_load_dwordx2 v[12:13], v[12:13], off
	s_or_b64 exec, exec, s[4:5]
	s_and_saveexec_b64 s[4:5], s[12:13]
	s_cbranch_execz .LBB236_41
.LBB236_95:
	v_mad_u64_u32 v[14:15], s[16:17], v22, s48, 0
	v_mov_b32_e32 v28, v15
	v_mad_u64_u32 v[22:23], s[16:17], v22, s49, v[28:29]
	v_mov_b32_e32 v15, v22
	v_lshlrev_b64 v[14:15], 3, v[14:15]
	v_mov_b32_e32 v22, s54
	v_add_co_u32_e32 v14, vcc, s53, v14
	v_addc_co_u32_e32 v15, vcc, v22, v15, vcc
	global_load_dwordx2 v[14:15], v[14:15], off
	s_or_b64 exec, exec, s[4:5]
	s_xor_b64 s[4:5], s[34:35], -1
	s_and_saveexec_b64 s[16:17], s[14:15]
	s_cbranch_execnz .LBB236_42
	s_branch .LBB236_43
.LBB236_96:
                                        ; implicit-def: $vgpr36_vgpr37
                                        ; implicit-def: $vgpr32_vgpr33
                                        ; implicit-def: $vgpr28_vgpr29
                                        ; implicit-def: $vgpr24_vgpr25
                                        ; implicit-def: $vgpr40_vgpr41
	s_cbranch_execz .LBB236_142
; %bb.97:
	s_waitcnt lgkmcnt(3)
	v_mov_b32_e32 v22, 0
	s_waitcnt lgkmcnt(0)
	v_mov_b32_e32 v35, 0x7fff
	v_cmp_gt_i16_e32 vcc, 0, v19
	v_cmp_lt_i16_sdwa s[4:5], v19, v22 src0_sel:WORD_1 src1_sel:DWORD
	v_cndmask_b32_e64 v23, v35, 0, vcc
	v_cmp_gt_i16_e32 vcc, 0, v18
	v_cndmask_b32_e64 v25, v35, 0, s[4:5]
	v_cmp_lt_i16_sdwa s[4:5], v18, v22 src0_sel:WORD_1 src1_sel:DWORD
	v_cndmask_b32_e64 v24, v35, 0, vcc
	v_cndmask_b32_e64 v27, v35, 0, s[4:5]
	v_cmp_gt_i16_e32 vcc, 0, v21
	v_cmp_lt_i16_sdwa s[4:5], v21, v22 src0_sel:WORD_1 src1_sel:DWORD
	v_xor_b32_sdwa v25, v25, v19 dst_sel:DWORD dst_unused:UNUSED_PAD src0_sel:DWORD src1_sel:WORD_1
	v_xor_b32_e32 v19, v23, v19
	v_cndmask_b32_e64 v23, v35, 0, vcc
	v_cmp_gt_i16_e32 vcc, 0, v20
	v_cndmask_b32_e64 v28, v35, 0, s[4:5]
	v_cmp_lt_i16_sdwa s[4:5], v20, v22 src0_sel:WORD_1 src1_sel:DWORD
	v_mbcnt_hi_u32_b32 v26, -1, v65
	v_and_b32_e32 v34, 0x3c0, v42
	v_xor_b32_sdwa v27, v27, v18 dst_sel:DWORD dst_unused:UNUSED_PAD src0_sel:DWORD src1_sel:WORD_1
	v_xor_b32_e32 v18, v24, v18
	v_cndmask_b32_e64 v24, v35, 0, vcc
	v_cndmask_b32_e64 v29, v35, 0, s[4:5]
	v_add_u32_e32 v0, v26, v34
	v_xor_b32_sdwa v29, v29, v20 dst_sel:DWORD dst_unused:UNUSED_PAD src0_sel:DWORD src1_sel:WORD_1
	v_xor_b32_sdwa v28, v28, v21 dst_sel:DWORD dst_unused:UNUSED_PAD src0_sel:DWORD src1_sel:WORD_1
	v_xor_b32_e32 v20, v24, v20
	v_xor_b32_e32 v21, v23, v21
	s_mov_b32 s4, 0x5040100
	v_lshlrev_b32_e32 v1, 4, v0
	v_perm_b32 v21, v28, v21, s4
	v_perm_b32 v20, v29, v20, s4
	;; [unrolled: 1-line block ×4, first 2 shown]
	v_and_b32_e32 v36, 0x1e00, v60
	ds_write_b128 v1, v[18:21]
	v_or_b32_e32 v1, v26, v36
	v_lshlrev_b32_e32 v18, 1, v1
	v_lshlrev_b32_e32 v0, 6, v0
	; wave barrier
	ds_read_u16 v33, v18
	ds_read_u16 v32, v18 offset:128
	ds_read_u16 v31, v18 offset:256
	;; [unrolled: 1-line block ×7, first 2 shown]
	s_waitcnt lgkmcnt(0)
	s_barrier
	ds_write2_b64 v0, v[14:15], v[16:17] offset1:1
	ds_write2_b64 v0, v[10:11], v[12:13] offset0:2 offset1:3
	ds_write2_b64 v0, v[6:7], v[8:9] offset0:4 offset1:5
	;; [unrolled: 1-line block ×3, first 2 shown]
	v_lshlrev_b32_e32 v0, 3, v1
	; wave barrier
	ds_read2st64_b64 v[12:15], v0 offset1:1
	ds_read2st64_b64 v[8:11], v0 offset0:2 offset1:3
	ds_read2st64_b64 v[4:7], v0 offset0:4 offset1:5
	;; [unrolled: 1-line block ×3, first 2 shown]
	s_waitcnt lgkmcnt(0)
	s_barrier
	s_load_dword s16, s[50:51], 0xc
	s_getpc_b64 s[4:5]
	s_add_u32 s4, s4, _ZN7rocprim17ROCPRIM_400000_NS16block_radix_sortI6__halfLj256ELj8ElLj1ELj1ELj0ELNS0_26block_radix_rank_algorithmE1ELNS0_18block_padding_hintE2ELNS0_4arch9wavefront6targetE1EE19radix_bits_per_passE@rel32@lo+4
	s_addc_u32 s5, s5, _ZN7rocprim17ROCPRIM_400000_NS16block_radix_sortI6__halfLj256ELj8ElLj1ELj1ELj0ELNS0_26block_radix_rank_algorithmE1ELNS0_18block_padding_hintE2ELNS0_4arch9wavefront6targetE1EE19radix_bits_per_passE@rel32@hi+12
	s_load_dword s44, s[4:5], 0x0
	s_movk_i32 s17, 0x8000
	v_cmp_ne_u16_e32 vcc, s17, v33
	s_waitcnt lgkmcnt(0)
	s_lshr_b32 s4, s16, 16
	s_and_b32 s5, s16, 0xffff
	v_mad_u32_u24 v16, v64, s4, v63
	v_mad_u64_u32 v[16:17], s[4:5], v16, s5, v[42:43]
	s_min_u32 s4, s44, 16
	s_lshl_b32 s4, -1, s4
	v_lshrrev_b32_e32 v24, 6, v16
	s_not_b32 s16, s4
	v_cndmask_b32_e32 v16, v35, v33, vcc
	v_and_b32_sdwa v16, s16, v16 dst_sel:DWORD dst_unused:UNUSED_PAD src0_sel:DWORD src1_sel:WORD_0
	v_lshlrev_b32_e32 v17, 2, v16
	v_add_lshl_u32 v37, v24, v17, 2
	v_and_b32_e32 v17, 1, v16
	v_add_co_u32_e32 v18, vcc, -1, v17
	v_addc_co_u32_e64 v19, s[4:5], 0, -1, vcc
	v_cmp_ne_u32_e32 vcc, 0, v17
	v_lshlrev_b32_e32 v23, 30, v16
	v_xor_b32_e32 v17, vcc_hi, v19
	v_not_b32_e32 v19, v23
	v_xor_b32_e32 v18, vcc_lo, v18
	v_cmp_gt_i64_e32 vcc, 0, v[22:23]
	v_ashrrev_i32_e32 v19, 31, v19
	v_and_b32_e32 v18, exec_lo, v18
	v_xor_b32_e32 v20, vcc_hi, v19
	v_xor_b32_e32 v19, vcc_lo, v19
	v_lshlrev_b32_e32 v23, 29, v16
	v_and_b32_e32 v18, v18, v19
	v_not_b32_e32 v19, v23
	v_and_b32_e32 v17, exec_hi, v17
	v_cmp_gt_i64_e32 vcc, 0, v[22:23]
	v_ashrrev_i32_e32 v19, 31, v19
	v_and_b32_e32 v17, v17, v20
	v_xor_b32_e32 v20, vcc_hi, v19
	v_xor_b32_e32 v19, vcc_lo, v19
	v_lshlrev_b32_e32 v23, 28, v16
	v_and_b32_e32 v18, v18, v19
	v_not_b32_e32 v19, v23
	v_cmp_gt_i64_e32 vcc, 0, v[22:23]
	v_ashrrev_i32_e32 v19, 31, v19
	v_and_b32_e32 v17, v17, v20
	v_xor_b32_e32 v20, vcc_hi, v19
	v_xor_b32_e32 v19, vcc_lo, v19
	v_lshlrev_b32_e32 v23, 27, v16
	v_and_b32_e32 v18, v18, v19
	v_not_b32_e32 v19, v23
	;; [unrolled: 8-line block ×3, first 2 shown]
	v_cmp_gt_i64_e32 vcc, 0, v[22:23]
	v_ashrrev_i32_e32 v19, 31, v19
	v_and_b32_e32 v17, v17, v20
	v_xor_b32_e32 v20, vcc_hi, v19
	v_xor_b32_e32 v19, vcc_lo, v19
	v_lshlrev_b32_e32 v23, 25, v16
	v_and_b32_e32 v18, v18, v19
	v_cmp_gt_i64_e32 vcc, 0, v[22:23]
	v_not_b32_e32 v19, v23
	v_lshlrev_b32_e32 v23, 24, v16
	v_ashrrev_i32_e32 v19, 31, v19
	v_not_b32_e32 v16, v23
	v_and_b32_e32 v17, v17, v20
	v_xor_b32_e32 v20, vcc_hi, v19
	v_xor_b32_e32 v19, vcc_lo, v19
	v_cmp_gt_i64_e32 vcc, 0, v[22:23]
	v_ashrrev_i32_e32 v16, 31, v16
	v_and_b32_e32 v18, v18, v19
	v_xor_b32_e32 v19, vcc_hi, v16
	v_xor_b32_e32 v16, vcc_lo, v16
	v_and_b32_e32 v17, v17, v20
	v_and_b32_e32 v16, v18, v16
	;; [unrolled: 1-line block ×3, first 2 shown]
	v_mbcnt_lo_u32_b32 v18, v16, 0
	v_mbcnt_hi_u32_b32 v38, v17, v18
	v_cmp_eq_u32_e32 vcc, 0, v38
	v_cmp_ne_u64_e64 s[4:5], 0, v[16:17]
	s_and_b64 s[18:19], s[4:5], vcc
	ds_write2_b32 v62, v22, v22 offset0:4 offset1:5
	ds_write2_b32 v62, v22, v22 offset0:6 offset1:7
	s_waitcnt lgkmcnt(0)
	s_barrier
	s_waitcnt lgkmcnt(0)
	; wave barrier
	s_and_saveexec_b64 s[4:5], s[18:19]
	s_cbranch_execz .LBB236_99
; %bb.98:
	v_bcnt_u32_b32 v16, v16, 0
	v_bcnt_u32_b32 v16, v17, v16
	ds_write_b32 v37, v16 offset:16
.LBB236_99:
	s_or_b64 exec, exec, s[4:5]
	v_cmp_ne_u16_e32 vcc, s17, v32
	v_cndmask_b32_e32 v16, v35, v32, vcc
	v_and_b32_sdwa v16, s16, v16 dst_sel:DWORD dst_unused:UNUSED_PAD src0_sel:DWORD src1_sel:WORD_0
	v_lshlrev_b32_e32 v17, 2, v16
	v_add_lshl_u32 v40, v24, v17, 2
	v_and_b32_e32 v17, 1, v16
	v_add_co_u32_e32 v18, vcc, -1, v17
	v_addc_co_u32_e64 v19, s[4:5], 0, -1, vcc
	v_cmp_ne_u32_e32 vcc, 0, v17
	v_lshlrev_b32_e32 v23, 30, v16
	v_xor_b32_e32 v17, vcc_hi, v19
	v_not_b32_e32 v19, v23
	v_xor_b32_e32 v18, vcc_lo, v18
	v_cmp_gt_i64_e32 vcc, 0, v[22:23]
	v_ashrrev_i32_e32 v19, 31, v19
	v_and_b32_e32 v18, exec_lo, v18
	v_xor_b32_e32 v20, vcc_hi, v19
	v_xor_b32_e32 v19, vcc_lo, v19
	v_lshlrev_b32_e32 v23, 29, v16
	v_and_b32_e32 v18, v18, v19
	v_not_b32_e32 v19, v23
	v_and_b32_e32 v17, exec_hi, v17
	v_cmp_gt_i64_e32 vcc, 0, v[22:23]
	v_ashrrev_i32_e32 v19, 31, v19
	v_and_b32_e32 v17, v17, v20
	v_xor_b32_e32 v20, vcc_hi, v19
	v_xor_b32_e32 v19, vcc_lo, v19
	v_lshlrev_b32_e32 v23, 28, v16
	v_and_b32_e32 v18, v18, v19
	v_not_b32_e32 v19, v23
	v_cmp_gt_i64_e32 vcc, 0, v[22:23]
	v_ashrrev_i32_e32 v19, 31, v19
	v_and_b32_e32 v17, v17, v20
	v_xor_b32_e32 v20, vcc_hi, v19
	v_xor_b32_e32 v19, vcc_lo, v19
	v_lshlrev_b32_e32 v23, 27, v16
	v_and_b32_e32 v18, v18, v19
	v_not_b32_e32 v19, v23
	;; [unrolled: 8-line block ×3, first 2 shown]
	v_cmp_gt_i64_e32 vcc, 0, v[22:23]
	v_ashrrev_i32_e32 v19, 31, v19
	v_and_b32_e32 v17, v17, v20
	v_xor_b32_e32 v20, vcc_hi, v19
	v_xor_b32_e32 v19, vcc_lo, v19
	v_lshlrev_b32_e32 v23, 25, v16
	v_and_b32_e32 v18, v18, v19
	v_cmp_gt_i64_e32 vcc, 0, v[22:23]
	v_not_b32_e32 v19, v23
	v_lshlrev_b32_e32 v23, 24, v16
	v_ashrrev_i32_e32 v19, 31, v19
	v_not_b32_e32 v16, v23
	v_and_b32_e32 v17, v17, v20
	v_xor_b32_e32 v20, vcc_hi, v19
	v_xor_b32_e32 v19, vcc_lo, v19
	v_cmp_gt_i64_e32 vcc, 0, v[22:23]
	v_ashrrev_i32_e32 v16, 31, v16
	v_and_b32_e32 v18, v18, v19
	v_xor_b32_e32 v19, vcc_hi, v16
	v_xor_b32_e32 v16, vcc_lo, v16
	; wave barrier
	ds_read_b32 v39, v40 offset:16
	v_and_b32_e32 v17, v17, v20
	v_and_b32_e32 v16, v18, v16
	;; [unrolled: 1-line block ×3, first 2 shown]
	v_mbcnt_lo_u32_b32 v18, v16, 0
	v_mbcnt_hi_u32_b32 v41, v17, v18
	v_cmp_eq_u32_e32 vcc, 0, v41
	v_cmp_ne_u64_e64 s[4:5], 0, v[16:17]
	s_and_b64 s[18:19], s[4:5], vcc
	; wave barrier
	s_and_saveexec_b64 s[4:5], s[18:19]
	s_cbranch_execz .LBB236_101
; %bb.100:
	v_bcnt_u32_b32 v16, v16, 0
	v_bcnt_u32_b32 v16, v17, v16
	s_waitcnt lgkmcnt(0)
	v_add_u32_e32 v16, v39, v16
	ds_write_b32 v40, v16 offset:16
.LBB236_101:
	s_or_b64 exec, exec, s[4:5]
	v_mov_b32_e32 v20, 0x7fff
	v_cmp_ne_u16_e32 vcc, s17, v31
	v_cndmask_b32_e32 v16, v20, v31, vcc
	v_and_b32_sdwa v18, s16, v16 dst_sel:DWORD dst_unused:UNUSED_PAD src0_sel:DWORD src1_sel:WORD_0
	v_and_b32_e32 v17, 1, v18
	v_add_co_u32_e32 v19, vcc, -1, v17
	v_addc_co_u32_e64 v21, s[4:5], 0, -1, vcc
	v_cmp_ne_u32_e32 vcc, 0, v17
	v_lshlrev_b32_e32 v16, 2, v18
	v_xor_b32_e32 v17, vcc_hi, v21
	v_add_lshl_u32 v64, v24, v16, 2
	v_mov_b32_e32 v16, 0
	v_and_b32_e32 v21, exec_hi, v17
	v_lshlrev_b32_e32 v17, 30, v18
	v_xor_b32_e32 v19, vcc_lo, v19
	v_cmp_gt_i64_e32 vcc, 0, v[16:17]
	v_not_b32_e32 v17, v17
	v_ashrrev_i32_e32 v17, 31, v17
	v_and_b32_e32 v19, exec_lo, v19
	v_xor_b32_e32 v22, vcc_hi, v17
	v_xor_b32_e32 v17, vcc_lo, v17
	v_and_b32_e32 v19, v19, v17
	v_lshlrev_b32_e32 v17, 29, v18
	v_cmp_gt_i64_e32 vcc, 0, v[16:17]
	v_not_b32_e32 v17, v17
	v_ashrrev_i32_e32 v17, 31, v17
	v_and_b32_e32 v21, v21, v22
	v_xor_b32_e32 v22, vcc_hi, v17
	v_xor_b32_e32 v17, vcc_lo, v17
	v_and_b32_e32 v19, v19, v17
	v_lshlrev_b32_e32 v17, 28, v18
	v_cmp_gt_i64_e32 vcc, 0, v[16:17]
	v_not_b32_e32 v17, v17
	v_ashrrev_i32_e32 v17, 31, v17
	v_and_b32_e32 v21, v21, v22
	;; [unrolled: 8-line block ×5, first 2 shown]
	v_xor_b32_e32 v22, vcc_hi, v17
	v_xor_b32_e32 v17, vcc_lo, v17
	v_and_b32_e32 v21, v21, v22
	v_and_b32_e32 v22, v19, v17
	v_lshlrev_b32_e32 v17, 24, v18
	v_cmp_gt_i64_e32 vcc, 0, v[16:17]
	v_not_b32_e32 v17, v17
	v_ashrrev_i32_e32 v17, 31, v17
	v_xor_b32_e32 v18, vcc_hi, v17
	v_xor_b32_e32 v17, vcc_lo, v17
	; wave barrier
	ds_read_b32 v63, v64 offset:16
	v_and_b32_e32 v19, v21, v18
	v_and_b32_e32 v18, v22, v17
	v_mbcnt_lo_u32_b32 v17, v18, 0
	v_mbcnt_hi_u32_b32 v65, v19, v17
	v_cmp_eq_u32_e32 vcc, 0, v65
	v_cmp_ne_u64_e64 s[4:5], 0, v[18:19]
	s_and_b64 s[18:19], s[4:5], vcc
	; wave barrier
	s_and_saveexec_b64 s[4:5], s[18:19]
	s_cbranch_execz .LBB236_103
; %bb.102:
	v_bcnt_u32_b32 v17, v18, 0
	v_bcnt_u32_b32 v17, v19, v17
	s_waitcnt lgkmcnt(0)
	v_add_u32_e32 v17, v63, v17
	ds_write_b32 v64, v17 offset:16
.LBB236_103:
	s_or_b64 exec, exec, s[4:5]
	v_cmp_ne_u16_e32 vcc, s17, v30
	v_cndmask_b32_e32 v17, v20, v30, vcc
	v_and_b32_sdwa v18, s16, v17 dst_sel:DWORD dst_unused:UNUSED_PAD src0_sel:DWORD src1_sel:WORD_0
	v_lshlrev_b32_e32 v17, 2, v18
	v_add_lshl_u32 v67, v24, v17, 2
	v_and_b32_e32 v17, 1, v18
	v_add_co_u32_e32 v19, vcc, -1, v17
	v_addc_co_u32_e64 v20, s[4:5], 0, -1, vcc
	v_cmp_ne_u32_e32 vcc, 0, v17
	v_xor_b32_e32 v17, vcc_hi, v20
	v_and_b32_e32 v20, exec_hi, v17
	v_lshlrev_b32_e32 v17, 30, v18
	v_xor_b32_e32 v19, vcc_lo, v19
	v_cmp_gt_i64_e32 vcc, 0, v[16:17]
	v_not_b32_e32 v17, v17
	v_ashrrev_i32_e32 v17, 31, v17
	v_and_b32_e32 v19, exec_lo, v19
	v_xor_b32_e32 v21, vcc_hi, v17
	v_xor_b32_e32 v17, vcc_lo, v17
	v_and_b32_e32 v19, v19, v17
	v_lshlrev_b32_e32 v17, 29, v18
	v_cmp_gt_i64_e32 vcc, 0, v[16:17]
	v_not_b32_e32 v17, v17
	v_ashrrev_i32_e32 v17, 31, v17
	v_and_b32_e32 v20, v20, v21
	v_xor_b32_e32 v21, vcc_hi, v17
	v_xor_b32_e32 v17, vcc_lo, v17
	v_and_b32_e32 v19, v19, v17
	v_lshlrev_b32_e32 v17, 28, v18
	v_cmp_gt_i64_e32 vcc, 0, v[16:17]
	v_not_b32_e32 v17, v17
	v_ashrrev_i32_e32 v17, 31, v17
	v_and_b32_e32 v20, v20, v21
	;; [unrolled: 8-line block ×5, first 2 shown]
	v_xor_b32_e32 v21, vcc_hi, v17
	v_xor_b32_e32 v17, vcc_lo, v17
	v_and_b32_e32 v19, v19, v17
	v_lshlrev_b32_e32 v17, 24, v18
	v_cmp_gt_i64_e32 vcc, 0, v[16:17]
	v_not_b32_e32 v16, v17
	v_ashrrev_i32_e32 v16, 31, v16
	v_xor_b32_e32 v17, vcc_hi, v16
	v_xor_b32_e32 v16, vcc_lo, v16
	; wave barrier
	ds_read_b32 v66, v67 offset:16
	v_and_b32_e32 v20, v20, v21
	v_and_b32_e32 v16, v19, v16
	;; [unrolled: 1-line block ×3, first 2 shown]
	v_mbcnt_lo_u32_b32 v18, v16, 0
	v_mbcnt_hi_u32_b32 v68, v17, v18
	v_cmp_eq_u32_e32 vcc, 0, v68
	v_cmp_ne_u64_e64 s[4:5], 0, v[16:17]
	s_and_b64 s[18:19], s[4:5], vcc
	; wave barrier
	s_and_saveexec_b64 s[4:5], s[18:19]
	s_cbranch_execz .LBB236_105
; %bb.104:
	v_bcnt_u32_b32 v16, v16, 0
	v_bcnt_u32_b32 v16, v17, v16
	s_waitcnt lgkmcnt(0)
	v_add_u32_e32 v16, v66, v16
	ds_write_b32 v67, v16 offset:16
.LBB236_105:
	s_or_b64 exec, exec, s[4:5]
	v_mov_b32_e32 v20, 0x7fff
	v_cmp_ne_u16_e32 vcc, s17, v29
	v_cndmask_b32_e32 v16, v20, v29, vcc
	v_and_b32_sdwa v18, s16, v16 dst_sel:DWORD dst_unused:UNUSED_PAD src0_sel:DWORD src1_sel:WORD_0
	v_and_b32_e32 v17, 1, v18
	v_add_co_u32_e32 v19, vcc, -1, v17
	v_addc_co_u32_e64 v21, s[4:5], 0, -1, vcc
	v_cmp_ne_u32_e32 vcc, 0, v17
	v_lshlrev_b32_e32 v16, 2, v18
	v_xor_b32_e32 v17, vcc_hi, v21
	v_add_lshl_u32 v70, v24, v16, 2
	v_mov_b32_e32 v16, 0
	v_and_b32_e32 v21, exec_hi, v17
	v_lshlrev_b32_e32 v17, 30, v18
	v_xor_b32_e32 v19, vcc_lo, v19
	v_cmp_gt_i64_e32 vcc, 0, v[16:17]
	v_not_b32_e32 v17, v17
	v_ashrrev_i32_e32 v17, 31, v17
	v_and_b32_e32 v19, exec_lo, v19
	v_xor_b32_e32 v22, vcc_hi, v17
	v_xor_b32_e32 v17, vcc_lo, v17
	v_and_b32_e32 v19, v19, v17
	v_lshlrev_b32_e32 v17, 29, v18
	v_cmp_gt_i64_e32 vcc, 0, v[16:17]
	v_not_b32_e32 v17, v17
	v_ashrrev_i32_e32 v17, 31, v17
	v_and_b32_e32 v21, v21, v22
	v_xor_b32_e32 v22, vcc_hi, v17
	v_xor_b32_e32 v17, vcc_lo, v17
	v_and_b32_e32 v19, v19, v17
	v_lshlrev_b32_e32 v17, 28, v18
	v_cmp_gt_i64_e32 vcc, 0, v[16:17]
	v_not_b32_e32 v17, v17
	v_ashrrev_i32_e32 v17, 31, v17
	v_and_b32_e32 v21, v21, v22
	v_xor_b32_e32 v22, vcc_hi, v17
	v_xor_b32_e32 v17, vcc_lo, v17
	v_and_b32_e32 v19, v19, v17
	v_lshlrev_b32_e32 v17, 27, v18
	v_cmp_gt_i64_e32 vcc, 0, v[16:17]
	v_not_b32_e32 v17, v17
	v_ashrrev_i32_e32 v17, 31, v17
	v_and_b32_e32 v21, v21, v22
	v_xor_b32_e32 v22, vcc_hi, v17
	v_xor_b32_e32 v17, vcc_lo, v17
	v_and_b32_e32 v19, v19, v17
	v_lshlrev_b32_e32 v17, 26, v18
	v_cmp_gt_i64_e32 vcc, 0, v[16:17]
	v_not_b32_e32 v17, v17
	v_ashrrev_i32_e32 v17, 31, v17
	v_and_b32_e32 v21, v21, v22
	v_xor_b32_e32 v22, vcc_hi, v17
	v_xor_b32_e32 v17, vcc_lo, v17
	v_and_b32_e32 v19, v19, v17
	v_lshlrev_b32_e32 v17, 25, v18
	v_cmp_gt_i64_e32 vcc, 0, v[16:17]
	v_not_b32_e32 v17, v17
	v_ashrrev_i32_e32 v17, 31, v17
	v_and_b32_e32 v21, v21, v22
	v_xor_b32_e32 v22, vcc_hi, v17
	v_xor_b32_e32 v17, vcc_lo, v17
	v_and_b32_e32 v21, v21, v22
	v_and_b32_e32 v22, v19, v17
	v_lshlrev_b32_e32 v17, 24, v18
	v_cmp_gt_i64_e32 vcc, 0, v[16:17]
	v_not_b32_e32 v17, v17
	v_ashrrev_i32_e32 v17, 31, v17
	v_xor_b32_e32 v18, vcc_hi, v17
	v_xor_b32_e32 v17, vcc_lo, v17
	; wave barrier
	ds_read_b32 v69, v70 offset:16
	v_and_b32_e32 v19, v21, v18
	v_and_b32_e32 v18, v22, v17
	v_mbcnt_lo_u32_b32 v17, v18, 0
	v_mbcnt_hi_u32_b32 v71, v19, v17
	v_cmp_eq_u32_e32 vcc, 0, v71
	v_cmp_ne_u64_e64 s[4:5], 0, v[18:19]
	s_and_b64 s[18:19], s[4:5], vcc
	; wave barrier
	s_and_saveexec_b64 s[4:5], s[18:19]
	s_cbranch_execz .LBB236_107
; %bb.106:
	v_bcnt_u32_b32 v17, v18, 0
	v_bcnt_u32_b32 v17, v19, v17
	s_waitcnt lgkmcnt(0)
	v_add_u32_e32 v17, v69, v17
	ds_write_b32 v70, v17 offset:16
.LBB236_107:
	s_or_b64 exec, exec, s[4:5]
	v_cmp_ne_u16_e32 vcc, s17, v28
	v_cndmask_b32_e32 v17, v20, v28, vcc
	v_and_b32_sdwa v18, s16, v17 dst_sel:DWORD dst_unused:UNUSED_PAD src0_sel:DWORD src1_sel:WORD_0
	v_lshlrev_b32_e32 v17, 2, v18
	v_add_lshl_u32 v73, v24, v17, 2
	v_and_b32_e32 v17, 1, v18
	v_add_co_u32_e32 v19, vcc, -1, v17
	v_addc_co_u32_e64 v20, s[4:5], 0, -1, vcc
	v_cmp_ne_u32_e32 vcc, 0, v17
	v_xor_b32_e32 v17, vcc_hi, v20
	v_and_b32_e32 v20, exec_hi, v17
	v_lshlrev_b32_e32 v17, 30, v18
	v_xor_b32_e32 v19, vcc_lo, v19
	v_cmp_gt_i64_e32 vcc, 0, v[16:17]
	v_not_b32_e32 v17, v17
	v_ashrrev_i32_e32 v17, 31, v17
	v_and_b32_e32 v19, exec_lo, v19
	v_xor_b32_e32 v21, vcc_hi, v17
	v_xor_b32_e32 v17, vcc_lo, v17
	v_and_b32_e32 v19, v19, v17
	v_lshlrev_b32_e32 v17, 29, v18
	v_cmp_gt_i64_e32 vcc, 0, v[16:17]
	v_not_b32_e32 v17, v17
	v_ashrrev_i32_e32 v17, 31, v17
	v_and_b32_e32 v20, v20, v21
	v_xor_b32_e32 v21, vcc_hi, v17
	v_xor_b32_e32 v17, vcc_lo, v17
	v_and_b32_e32 v19, v19, v17
	v_lshlrev_b32_e32 v17, 28, v18
	v_cmp_gt_i64_e32 vcc, 0, v[16:17]
	v_not_b32_e32 v17, v17
	v_ashrrev_i32_e32 v17, 31, v17
	v_and_b32_e32 v20, v20, v21
	;; [unrolled: 8-line block ×5, first 2 shown]
	v_xor_b32_e32 v21, vcc_hi, v17
	v_xor_b32_e32 v17, vcc_lo, v17
	v_and_b32_e32 v19, v19, v17
	v_lshlrev_b32_e32 v17, 24, v18
	v_cmp_gt_i64_e32 vcc, 0, v[16:17]
	v_not_b32_e32 v16, v17
	v_ashrrev_i32_e32 v16, 31, v16
	v_xor_b32_e32 v17, vcc_hi, v16
	v_xor_b32_e32 v16, vcc_lo, v16
	; wave barrier
	ds_read_b32 v72, v73 offset:16
	v_and_b32_e32 v20, v20, v21
	v_and_b32_e32 v16, v19, v16
	;; [unrolled: 1-line block ×3, first 2 shown]
	v_mbcnt_lo_u32_b32 v18, v16, 0
	v_mbcnt_hi_u32_b32 v74, v17, v18
	v_cmp_eq_u32_e32 vcc, 0, v74
	v_cmp_ne_u64_e64 s[4:5], 0, v[16:17]
	s_and_b64 s[18:19], s[4:5], vcc
	; wave barrier
	s_and_saveexec_b64 s[4:5], s[18:19]
	s_cbranch_execz .LBB236_109
; %bb.108:
	v_bcnt_u32_b32 v16, v16, 0
	v_bcnt_u32_b32 v16, v17, v16
	s_waitcnt lgkmcnt(0)
	v_add_u32_e32 v16, v72, v16
	ds_write_b32 v73, v16 offset:16
.LBB236_109:
	s_or_b64 exec, exec, s[4:5]
	v_mov_b32_e32 v20, 0x7fff
	v_cmp_ne_u16_e32 vcc, s17, v27
	v_cndmask_b32_e32 v16, v20, v27, vcc
	v_and_b32_sdwa v18, s16, v16 dst_sel:DWORD dst_unused:UNUSED_PAD src0_sel:DWORD src1_sel:WORD_0
	v_and_b32_e32 v17, 1, v18
	v_add_co_u32_e32 v19, vcc, -1, v17
	v_addc_co_u32_e64 v21, s[4:5], 0, -1, vcc
	v_cmp_ne_u32_e32 vcc, 0, v17
	v_lshlrev_b32_e32 v16, 2, v18
	v_xor_b32_e32 v17, vcc_hi, v21
	v_add_lshl_u32 v76, v24, v16, 2
	v_mov_b32_e32 v16, 0
	v_and_b32_e32 v21, exec_hi, v17
	v_lshlrev_b32_e32 v17, 30, v18
	v_xor_b32_e32 v19, vcc_lo, v19
	v_cmp_gt_i64_e32 vcc, 0, v[16:17]
	v_not_b32_e32 v17, v17
	v_ashrrev_i32_e32 v17, 31, v17
	v_and_b32_e32 v19, exec_lo, v19
	v_xor_b32_e32 v22, vcc_hi, v17
	v_xor_b32_e32 v17, vcc_lo, v17
	v_and_b32_e32 v19, v19, v17
	v_lshlrev_b32_e32 v17, 29, v18
	v_cmp_gt_i64_e32 vcc, 0, v[16:17]
	v_not_b32_e32 v17, v17
	v_ashrrev_i32_e32 v17, 31, v17
	v_and_b32_e32 v21, v21, v22
	v_xor_b32_e32 v22, vcc_hi, v17
	v_xor_b32_e32 v17, vcc_lo, v17
	v_and_b32_e32 v19, v19, v17
	v_lshlrev_b32_e32 v17, 28, v18
	v_cmp_gt_i64_e32 vcc, 0, v[16:17]
	v_not_b32_e32 v17, v17
	v_ashrrev_i32_e32 v17, 31, v17
	v_and_b32_e32 v21, v21, v22
	;; [unrolled: 8-line block ×5, first 2 shown]
	v_xor_b32_e32 v22, vcc_hi, v17
	v_xor_b32_e32 v17, vcc_lo, v17
	v_and_b32_e32 v21, v21, v22
	v_and_b32_e32 v22, v19, v17
	v_lshlrev_b32_e32 v17, 24, v18
	v_cmp_gt_i64_e32 vcc, 0, v[16:17]
	v_not_b32_e32 v17, v17
	v_ashrrev_i32_e32 v17, 31, v17
	v_xor_b32_e32 v18, vcc_hi, v17
	v_xor_b32_e32 v17, vcc_lo, v17
	; wave barrier
	ds_read_b32 v75, v76 offset:16
	v_and_b32_e32 v19, v21, v18
	v_and_b32_e32 v18, v22, v17
	v_mbcnt_lo_u32_b32 v17, v18, 0
	v_mbcnt_hi_u32_b32 v77, v19, v17
	v_cmp_eq_u32_e32 vcc, 0, v77
	v_cmp_ne_u64_e64 s[4:5], 0, v[18:19]
	s_and_b64 s[18:19], s[4:5], vcc
	; wave barrier
	s_and_saveexec_b64 s[4:5], s[18:19]
	s_cbranch_execz .LBB236_111
; %bb.110:
	v_bcnt_u32_b32 v17, v18, 0
	v_bcnt_u32_b32 v17, v19, v17
	s_waitcnt lgkmcnt(0)
	v_add_u32_e32 v17, v75, v17
	ds_write_b32 v76, v17 offset:16
.LBB236_111:
	s_or_b64 exec, exec, s[4:5]
	v_cmp_ne_u16_e32 vcc, s17, v25
	v_cndmask_b32_e32 v17, v20, v25, vcc
	v_and_b32_sdwa v18, s16, v17 dst_sel:DWORD dst_unused:UNUSED_PAD src0_sel:DWORD src1_sel:WORD_0
	v_lshlrev_b32_e32 v17, 2, v18
	v_add_lshl_u32 v79, v24, v17, 2
	v_and_b32_e32 v17, 1, v18
	v_add_co_u32_e32 v19, vcc, -1, v17
	v_addc_co_u32_e64 v20, s[4:5], 0, -1, vcc
	v_cmp_ne_u32_e32 vcc, 0, v17
	v_xor_b32_e32 v17, vcc_hi, v20
	v_and_b32_e32 v20, exec_hi, v17
	v_lshlrev_b32_e32 v17, 30, v18
	v_xor_b32_e32 v19, vcc_lo, v19
	v_cmp_gt_i64_e32 vcc, 0, v[16:17]
	v_not_b32_e32 v17, v17
	v_ashrrev_i32_e32 v17, 31, v17
	v_and_b32_e32 v19, exec_lo, v19
	v_xor_b32_e32 v21, vcc_hi, v17
	v_xor_b32_e32 v17, vcc_lo, v17
	v_and_b32_e32 v19, v19, v17
	v_lshlrev_b32_e32 v17, 29, v18
	v_cmp_gt_i64_e32 vcc, 0, v[16:17]
	v_not_b32_e32 v17, v17
	v_ashrrev_i32_e32 v17, 31, v17
	v_and_b32_e32 v20, v20, v21
	v_xor_b32_e32 v21, vcc_hi, v17
	v_xor_b32_e32 v17, vcc_lo, v17
	v_and_b32_e32 v19, v19, v17
	v_lshlrev_b32_e32 v17, 28, v18
	v_cmp_gt_i64_e32 vcc, 0, v[16:17]
	v_not_b32_e32 v17, v17
	v_ashrrev_i32_e32 v17, 31, v17
	v_and_b32_e32 v20, v20, v21
	;; [unrolled: 8-line block ×5, first 2 shown]
	v_xor_b32_e32 v21, vcc_hi, v17
	v_xor_b32_e32 v17, vcc_lo, v17
	v_and_b32_e32 v19, v19, v17
	v_lshlrev_b32_e32 v17, 24, v18
	v_cmp_gt_i64_e32 vcc, 0, v[16:17]
	v_not_b32_e32 v16, v17
	v_ashrrev_i32_e32 v16, 31, v16
	v_xor_b32_e32 v17, vcc_hi, v16
	v_xor_b32_e32 v16, vcc_lo, v16
	; wave barrier
	ds_read_b32 v78, v79 offset:16
	v_and_b32_e32 v20, v20, v21
	v_and_b32_e32 v16, v19, v16
	;; [unrolled: 1-line block ×3, first 2 shown]
	v_mbcnt_lo_u32_b32 v18, v16, 0
	v_mbcnt_hi_u32_b32 v80, v17, v18
	v_cmp_eq_u32_e32 vcc, 0, v80
	v_cmp_ne_u64_e64 s[4:5], 0, v[16:17]
	v_add_u32_e32 v22, 16, v62
	v_lshrrev_b32_e32 v23, 6, v42
	v_min_u32_e32 v34, 0xc0, v34
	s_and_b64 s[16:17], s[4:5], vcc
	; wave barrier
	s_and_saveexec_b64 s[4:5], s[16:17]
	s_cbranch_execz .LBB236_113
; %bb.112:
	v_bcnt_u32_b32 v16, v16, 0
	v_bcnt_u32_b32 v16, v17, v16
	s_waitcnt lgkmcnt(0)
	v_add_u32_e32 v16, v78, v16
	ds_write_b32 v79, v16 offset:16
.LBB236_113:
	s_or_b64 exec, exec, s[4:5]
	; wave barrier
	s_waitcnt lgkmcnt(0)
	s_barrier
	ds_read2_b32 v[18:19], v62 offset0:4 offset1:5
	ds_read2_b32 v[20:21], v22 offset0:2 offset1:3
	v_and_b32_e32 v17, 16, v26
	v_cmp_eq_u32_e32 vcc, 0, v17
	v_or_b32_e32 v17, 63, v34
	v_cmp_eq_u32_e64 s[16:17], v17, v42
	s_waitcnt lgkmcnt(1)
	v_add_u32_e32 v17, v19, v18
	v_and_b32_e32 v16, 15, v26
	s_waitcnt lgkmcnt(0)
	v_add3_u32 v17, v17, v20, v21
	v_cmp_eq_u32_e64 s[22:23], 0, v16
	v_cmp_lt_u32_e64 s[24:25], 1, v16
	v_mov_b32_dpp v21, v17 row_shr:1 row_mask:0xf bank_mask:0xf
	v_cndmask_b32_e64 v21, v21, 0, s[22:23]
	v_add_u32_e32 v17, v21, v17
	v_cmp_lt_u32_e64 s[28:29], 3, v16
	v_cmp_lt_u32_e64 s[30:31], 7, v16
	v_mov_b32_dpp v21, v17 row_shr:2 row_mask:0xf bank_mask:0xf
	v_cndmask_b32_e64 v21, 0, v21, s[24:25]
	v_add_u32_e32 v17, v17, v21
	v_bfe_i32 v35, v26, 4, 1
	v_cmp_lt_u32_e64 s[34:35], 31, v26
	v_mov_b32_dpp v21, v17 row_shr:4 row_mask:0xf bank_mask:0xf
	v_cndmask_b32_e64 v21, 0, v21, s[28:29]
	v_add_u32_e32 v17, v17, v21
	v_lshlrev_b32_e32 v23, 2, v23
	s_nop 0
	v_mov_b32_dpp v21, v17 row_shr:8 row_mask:0xf bank_mask:0xf
	v_cndmask_b32_e64 v16, 0, v21, s[30:31]
	v_add_u32_e32 v16, v17, v16
	s_nop 1
	v_mov_b32_dpp v17, v16 row_bcast:15 row_mask:0xf bank_mask:0xf
	v_and_b32_e32 v17, v35, v17
	v_add_u32_e32 v16, v16, v17
	s_nop 1
	v_mov_b32_dpp v17, v16 row_bcast:31 row_mask:0xf bank_mask:0xf
	v_cndmask_b32_e64 v17, 0, v17, s[34:35]
	v_add_u32_e32 v17, v16, v17
	s_and_saveexec_b64 s[4:5], s[16:17]
	s_cbranch_execz .LBB236_115
; %bb.114:
	ds_write_b32 v23, v17
.LBB236_115:
	s_or_b64 exec, exec, s[4:5]
	v_and_b32_e32 v16, 3, v26
	v_cmp_gt_u32_e64 s[26:27], 4, v42
	v_lshlrev_b32_e32 v21, 2, v42
	v_cmp_eq_u32_e64 s[20:21], 0, v16
	v_cmp_lt_u32_e64 s[18:19], 1, v16
	s_waitcnt lgkmcnt(0)
	s_barrier
	s_and_saveexec_b64 s[4:5], s[26:27]
	s_cbranch_execz .LBB236_117
; %bb.116:
	ds_read_b32 v16, v21
	s_waitcnt lgkmcnt(0)
	s_nop 0
	v_mov_b32_dpp v34, v16 row_shr:1 row_mask:0xf bank_mask:0xf
	v_cndmask_b32_e64 v34, v34, 0, s[20:21]
	v_add_u32_e32 v16, v34, v16
	s_nop 1
	v_mov_b32_dpp v34, v16 row_shr:2 row_mask:0xf bank_mask:0xf
	v_cndmask_b32_e64 v34, 0, v34, s[18:19]
	v_add_u32_e32 v16, v16, v34
	ds_write_b32 v21, v16
.LBB236_117:
	s_or_b64 exec, exec, s[4:5]
	v_cmp_lt_u32_e64 s[36:37], 63, v42
	v_add_u32_e32 v34, -4, v23
	v_mov_b32_e32 v16, 0
	v_mov_b32_e32 v81, 0
	s_waitcnt lgkmcnt(0)
	s_barrier
	s_and_saveexec_b64 s[4:5], s[36:37]
	s_cbranch_execz .LBB236_119
; %bb.118:
	ds_read_b32 v81, v34
.LBB236_119:
	s_or_b64 exec, exec, s[4:5]
	v_add_u32_e32 v35, -1, v26
	v_and_b32_e32 v82, 64, v26
	v_cmp_lt_i32_e64 s[4:5], v35, v82
	v_cndmask_b32_e64 v35, v35, v26, s[4:5]
	v_lshlrev_b32_e32 v35, 2, v35
	s_waitcnt lgkmcnt(0)
	v_add_u32_e32 v17, v81, v17
	ds_bpermute_b32 v17, v35, v17
	v_cmp_eq_u32_e64 s[38:39], 0, v26
	v_cmp_eq_u32_e64 s[40:41], 0, v42
	v_and_or_b32 v36, v26, 63, v36
	v_lshlrev_b32_e32 v82, 1, v36
	s_waitcnt lgkmcnt(0)
	v_cndmask_b32_e64 v17, v17, v81, s[38:39]
	v_cndmask_b32_e64 v17, v17, 0, s[40:41]
	v_add_u32_e32 v18, v17, v18
	v_add_u32_e32 v19, v18, v19
	;; [unrolled: 1-line block ×3, first 2 shown]
	ds_write2_b32 v62, v17, v18 offset0:4 offset1:5
	ds_write2_b32 v22, v19, v20 offset0:2 offset1:3
	s_waitcnt lgkmcnt(0)
	s_barrier
	ds_read_b32 v17, v37 offset:16
	ds_read_b32 v18, v40 offset:16
	;; [unrolled: 1-line block ×8, first 2 shown]
	s_waitcnt lgkmcnt(7)
	v_add_u32_e32 v17, v17, v38
	s_waitcnt lgkmcnt(6)
	v_add3_u32 v18, v41, v39, v18
	s_waitcnt lgkmcnt(4)
	v_add3_u32 v38, v68, v66, v20
	v_lshlrev_b32_e32 v20, 1, v17
	v_add3_u32 v19, v65, v63, v19
	s_waitcnt lgkmcnt(0)
	s_barrier
	ds_write_b16 v20, v33
	v_lshlrev_b32_e32 v20, 1, v18
	ds_write_b16 v20, v32
	v_lshlrev_b32_e32 v20, 1, v19
	v_add3_u32 v39, v71, v69, v26
	ds_write_b16 v20, v31
	v_lshlrev_b32_e32 v20, 1, v38
	v_add3_u32 v37, v74, v72, v37
	ds_write_b16 v20, v30
	v_lshlrev_b32_e32 v20, 1, v39
	v_add3_u32 v40, v77, v75, v40
	ds_write_b16 v20, v29
	v_lshlrev_b32_e32 v20, 1, v37
	v_add3_u32 v41, v80, v78, v64
	ds_write_b16 v20, v28
	v_lshlrev_b32_e32 v20, 1, v40
	ds_write_b16 v20, v27
	v_lshlrev_b32_e32 v20, 1, v41
	v_lshlrev_b32_e32 v17, 3, v17
	s_min_u32 s4, s44, 8
	ds_write_b16 v20, v25
	s_waitcnt lgkmcnt(0)
	s_barrier
	ds_read_u16 v31, v82
	ds_read_u16 v30, v82 offset:128
	ds_read_u16 v29, v82 offset:256
	;; [unrolled: 1-line block ×7, first 2 shown]
	s_waitcnt lgkmcnt(0)
	s_barrier
	ds_write_b64 v17, v[12:13]
	v_lshlrev_b32_e32 v12, 3, v18
	s_lshl_b32 s4, -1, s4
	s_movk_i32 s51, 0x8000
	ds_write_b64 v12, v[14:15]
	v_lshlrev_b32_e32 v12, 3, v19
	s_not_b32 s50, s4
	v_lshrrev_b16_e32 v17, 8, v31
	v_mov_b32_e32 v18, 0x7f
	v_cmp_ne_u16_e64 s[4:5], s51, v31
	ds_write_b64 v12, v[8:9]
	v_lshlrev_b32_e32 v8, 3, v38
	v_cndmask_b32_e64 v17, v18, v17, s[4:5]
	ds_write_b64 v8, v[10:11]
	v_lshlrev_b32_e32 v8, 3, v39
	v_and_b32_sdwa v19, v17, s50 dst_sel:DWORD dst_unused:UNUSED_PAD src0_sel:WORD_0 src1_sel:DWORD
	ds_write_b64 v8, v[4:5]
	v_lshlrev_b32_e32 v4, 3, v37
	v_lshlrev_b32_e32 v17, 2, v19
	ds_write_b64 v4, v[6:7]
	v_lshlrev_b32_e32 v4, 3, v40
	v_add_lshl_u32 v32, v17, v24, 2
	v_and_b32_e32 v17, 1, v19
	v_lshlrev_b32_e32 v36, 3, v36
	ds_write_b64 v4, v[0:1]
	v_lshlrev_b32_e32 v0, 3, v41
	v_add_co_u32_e64 v33, s[4:5], -1, v17
	ds_write_b64 v0, v[2:3]
	s_waitcnt lgkmcnt(0)
	s_barrier
	ds_read2st64_b64 v[12:15], v36 offset1:1
	ds_read2st64_b64 v[8:11], v36 offset0:2 offset1:3
	ds_read2st64_b64 v[4:7], v36 offset0:4 offset1:5
	;; [unrolled: 1-line block ×3, first 2 shown]
	v_addc_co_u32_e64 v36, s[4:5], 0, -1, s[4:5]
	v_cmp_ne_u32_e64 s[4:5], 0, v17
	v_xor_b32_e32 v17, s5, v36
	v_and_b32_e32 v36, exec_hi, v17
	v_lshlrev_b32_e32 v17, 30, v19
	v_xor_b32_e32 v33, s4, v33
	v_cmp_gt_i64_e64 s[4:5], 0, v[16:17]
	v_not_b32_e32 v17, v17
	v_ashrrev_i32_e32 v17, 31, v17
	v_and_b32_e32 v33, exec_lo, v33
	v_xor_b32_e32 v37, s5, v17
	v_xor_b32_e32 v17, s4, v17
	v_and_b32_e32 v33, v33, v17
	v_lshlrev_b32_e32 v17, 29, v19
	v_cmp_gt_i64_e64 s[4:5], 0, v[16:17]
	v_not_b32_e32 v17, v17
	v_ashrrev_i32_e32 v17, 31, v17
	v_and_b32_e32 v36, v36, v37
	v_xor_b32_e32 v37, s5, v17
	v_xor_b32_e32 v17, s4, v17
	v_and_b32_e32 v33, v33, v17
	v_lshlrev_b32_e32 v17, 28, v19
	v_cmp_gt_i64_e64 s[4:5], 0, v[16:17]
	v_not_b32_e32 v17, v17
	v_ashrrev_i32_e32 v17, 31, v17
	v_and_b32_e32 v36, v36, v37
	;; [unrolled: 8-line block ×5, first 2 shown]
	v_xor_b32_e32 v37, s5, v17
	v_xor_b32_e32 v17, s4, v17
	v_and_b32_e32 v33, v33, v17
	v_lshlrev_b32_e32 v17, 24, v19
	s_waitcnt lgkmcnt(0)
	s_barrier
	ds_write2_b32 v62, v16, v16 offset0:4 offset1:5
	ds_write2_b32 v22, v16, v16 offset0:2 offset1:3
	v_cmp_gt_i64_e64 s[4:5], 0, v[16:17]
	v_not_b32_e32 v16, v17
	v_ashrrev_i32_e32 v16, 31, v16
	v_xor_b32_e32 v17, s5, v16
	v_xor_b32_e32 v16, s4, v16
	v_and_b32_e32 v36, v36, v37
	v_and_b32_e32 v16, v33, v16
	;; [unrolled: 1-line block ×3, first 2 shown]
	v_mbcnt_lo_u32_b32 v19, v16, 0
	v_mbcnt_hi_u32_b32 v33, v17, v19
	v_cmp_eq_u32_e64 s[4:5], 0, v33
	v_cmp_ne_u64_e64 s[44:45], 0, v[16:17]
	s_and_b64 s[44:45], s[44:45], s[4:5]
	s_waitcnt lgkmcnt(0)
	s_barrier
	s_waitcnt lgkmcnt(0)
	; wave barrier
	s_and_saveexec_b64 s[4:5], s[44:45]
	s_cbranch_execz .LBB236_121
; %bb.120:
	v_bcnt_u32_b32 v16, v16, 0
	v_bcnt_u32_b32 v16, v17, v16
	ds_write_b32 v32, v16 offset:16
.LBB236_121:
	s_or_b64 exec, exec, s[4:5]
	v_lshrrev_b16_e32 v16, 8, v30
	v_cmp_ne_u16_e64 s[4:5], s51, v30
	v_cndmask_b32_e64 v16, v18, v16, s[4:5]
	v_and_b32_e32 v18, s50, v16
	v_and_b32_e32 v17, 1, v18
	v_add_co_u32_e64 v19, s[4:5], -1, v17
	v_addc_co_u32_e64 v38, s[4:5], 0, -1, s[4:5]
	v_cmp_ne_u32_e64 s[4:5], 0, v17
	v_lshlrev_b32_e32 v16, 2, v18
	v_xor_b32_e32 v17, s5, v38
	v_add_lshl_u32 v37, v16, v24, 2
	v_mov_b32_e32 v16, 0
	v_and_b32_e32 v38, exec_hi, v17
	v_lshlrev_b32_e32 v17, 30, v18
	v_xor_b32_e32 v19, s4, v19
	v_cmp_gt_i64_e64 s[4:5], 0, v[16:17]
	v_not_b32_e32 v17, v17
	v_ashrrev_i32_e32 v17, 31, v17
	v_and_b32_e32 v19, exec_lo, v19
	v_xor_b32_e32 v39, s5, v17
	v_xor_b32_e32 v17, s4, v17
	v_and_b32_e32 v19, v19, v17
	v_lshlrev_b32_e32 v17, 29, v18
	v_cmp_gt_i64_e64 s[4:5], 0, v[16:17]
	v_not_b32_e32 v17, v17
	v_ashrrev_i32_e32 v17, 31, v17
	v_and_b32_e32 v38, v38, v39
	v_xor_b32_e32 v39, s5, v17
	v_xor_b32_e32 v17, s4, v17
	v_and_b32_e32 v19, v19, v17
	v_lshlrev_b32_e32 v17, 28, v18
	v_cmp_gt_i64_e64 s[4:5], 0, v[16:17]
	v_not_b32_e32 v17, v17
	v_ashrrev_i32_e32 v17, 31, v17
	v_and_b32_e32 v38, v38, v39
	;; [unrolled: 8-line block ×5, first 2 shown]
	v_xor_b32_e32 v39, s5, v17
	v_xor_b32_e32 v17, s4, v17
	v_and_b32_e32 v38, v38, v39
	v_and_b32_e32 v39, v19, v17
	v_lshlrev_b32_e32 v17, 24, v18
	v_cmp_gt_i64_e64 s[4:5], 0, v[16:17]
	v_not_b32_e32 v17, v17
	v_ashrrev_i32_e32 v17, 31, v17
	v_xor_b32_e32 v18, s5, v17
	v_xor_b32_e32 v17, s4, v17
	; wave barrier
	ds_read_b32 v36, v37 offset:16
	v_and_b32_e32 v19, v38, v18
	v_and_b32_e32 v18, v39, v17
	v_mbcnt_lo_u32_b32 v17, v18, 0
	v_mbcnt_hi_u32_b32 v38, v19, v17
	v_cmp_eq_u32_e64 s[4:5], 0, v38
	v_cmp_ne_u64_e64 s[44:45], 0, v[18:19]
	s_and_b64 s[44:45], s[44:45], s[4:5]
	; wave barrier
	s_and_saveexec_b64 s[4:5], s[44:45]
	s_cbranch_execz .LBB236_123
; %bb.122:
	v_bcnt_u32_b32 v17, v18, 0
	v_bcnt_u32_b32 v17, v19, v17
	s_waitcnt lgkmcnt(0)
	v_add_u32_e32 v17, v36, v17
	ds_write_b32 v37, v17 offset:16
.LBB236_123:
	s_or_b64 exec, exec, s[4:5]
	v_lshrrev_b16_e32 v17, 8, v29
	v_mov_b32_e32 v18, 0x7f
	v_cmp_ne_u16_e64 s[4:5], s51, v29
	v_cndmask_b32_e64 v17, v18, v17, s[4:5]
	v_and_b32_e32 v19, s50, v17
	v_lshlrev_b32_e32 v17, 2, v19
	v_add_lshl_u32 v40, v17, v24, 2
	v_and_b32_e32 v17, 1, v19
	v_add_co_u32_e64 v41, s[4:5], -1, v17
	v_addc_co_u32_e64 v63, s[4:5], 0, -1, s[4:5]
	v_cmp_ne_u32_e64 s[4:5], 0, v17
	v_xor_b32_e32 v17, s5, v63
	v_and_b32_e32 v63, exec_hi, v17
	v_lshlrev_b32_e32 v17, 30, v19
	v_xor_b32_e32 v41, s4, v41
	v_cmp_gt_i64_e64 s[4:5], 0, v[16:17]
	v_not_b32_e32 v17, v17
	v_ashrrev_i32_e32 v17, 31, v17
	v_and_b32_e32 v41, exec_lo, v41
	v_xor_b32_e32 v64, s5, v17
	v_xor_b32_e32 v17, s4, v17
	v_and_b32_e32 v41, v41, v17
	v_lshlrev_b32_e32 v17, 29, v19
	v_cmp_gt_i64_e64 s[4:5], 0, v[16:17]
	v_not_b32_e32 v17, v17
	v_ashrrev_i32_e32 v17, 31, v17
	v_and_b32_e32 v63, v63, v64
	v_xor_b32_e32 v64, s5, v17
	v_xor_b32_e32 v17, s4, v17
	v_and_b32_e32 v41, v41, v17
	v_lshlrev_b32_e32 v17, 28, v19
	v_cmp_gt_i64_e64 s[4:5], 0, v[16:17]
	v_not_b32_e32 v17, v17
	v_ashrrev_i32_e32 v17, 31, v17
	v_and_b32_e32 v63, v63, v64
	;; [unrolled: 8-line block ×5, first 2 shown]
	v_xor_b32_e32 v64, s5, v17
	v_xor_b32_e32 v17, s4, v17
	v_and_b32_e32 v41, v41, v17
	v_lshlrev_b32_e32 v17, 24, v19
	v_cmp_gt_i64_e64 s[4:5], 0, v[16:17]
	v_not_b32_e32 v16, v17
	v_ashrrev_i32_e32 v16, 31, v16
	v_xor_b32_e32 v17, s5, v16
	v_xor_b32_e32 v16, s4, v16
	; wave barrier
	ds_read_b32 v39, v40 offset:16
	v_and_b32_e32 v63, v63, v64
	v_and_b32_e32 v16, v41, v16
	;; [unrolled: 1-line block ×3, first 2 shown]
	v_mbcnt_lo_u32_b32 v19, v16, 0
	v_mbcnt_hi_u32_b32 v41, v17, v19
	v_cmp_eq_u32_e64 s[4:5], 0, v41
	v_cmp_ne_u64_e64 s[44:45], 0, v[16:17]
	s_and_b64 s[44:45], s[44:45], s[4:5]
	; wave barrier
	s_and_saveexec_b64 s[4:5], s[44:45]
	s_cbranch_execz .LBB236_125
; %bb.124:
	v_bcnt_u32_b32 v16, v16, 0
	v_bcnt_u32_b32 v16, v17, v16
	s_waitcnt lgkmcnt(0)
	v_add_u32_e32 v16, v39, v16
	ds_write_b32 v40, v16 offset:16
.LBB236_125:
	s_or_b64 exec, exec, s[4:5]
	v_lshrrev_b16_e32 v16, 8, v28
	v_cmp_ne_u16_e64 s[4:5], s51, v28
	v_cndmask_b32_e64 v16, v18, v16, s[4:5]
	v_and_b32_e32 v18, s50, v16
	v_and_b32_e32 v17, 1, v18
	v_add_co_u32_e64 v19, s[4:5], -1, v17
	v_addc_co_u32_e64 v65, s[4:5], 0, -1, s[4:5]
	v_cmp_ne_u32_e64 s[4:5], 0, v17
	v_lshlrev_b32_e32 v16, 2, v18
	v_xor_b32_e32 v17, s5, v65
	v_add_lshl_u32 v64, v16, v24, 2
	v_mov_b32_e32 v16, 0
	v_and_b32_e32 v65, exec_hi, v17
	v_lshlrev_b32_e32 v17, 30, v18
	v_xor_b32_e32 v19, s4, v19
	v_cmp_gt_i64_e64 s[4:5], 0, v[16:17]
	v_not_b32_e32 v17, v17
	v_ashrrev_i32_e32 v17, 31, v17
	v_and_b32_e32 v19, exec_lo, v19
	v_xor_b32_e32 v66, s5, v17
	v_xor_b32_e32 v17, s4, v17
	v_and_b32_e32 v19, v19, v17
	v_lshlrev_b32_e32 v17, 29, v18
	v_cmp_gt_i64_e64 s[4:5], 0, v[16:17]
	v_not_b32_e32 v17, v17
	v_ashrrev_i32_e32 v17, 31, v17
	v_and_b32_e32 v65, v65, v66
	v_xor_b32_e32 v66, s5, v17
	v_xor_b32_e32 v17, s4, v17
	v_and_b32_e32 v19, v19, v17
	v_lshlrev_b32_e32 v17, 28, v18
	v_cmp_gt_i64_e64 s[4:5], 0, v[16:17]
	v_not_b32_e32 v17, v17
	v_ashrrev_i32_e32 v17, 31, v17
	v_and_b32_e32 v65, v65, v66
	;; [unrolled: 8-line block ×5, first 2 shown]
	v_xor_b32_e32 v66, s5, v17
	v_xor_b32_e32 v17, s4, v17
	v_and_b32_e32 v65, v65, v66
	v_and_b32_e32 v66, v19, v17
	v_lshlrev_b32_e32 v17, 24, v18
	v_cmp_gt_i64_e64 s[4:5], 0, v[16:17]
	v_not_b32_e32 v17, v17
	v_ashrrev_i32_e32 v17, 31, v17
	v_xor_b32_e32 v18, s5, v17
	v_xor_b32_e32 v17, s4, v17
	; wave barrier
	ds_read_b32 v63, v64 offset:16
	v_and_b32_e32 v19, v65, v18
	v_and_b32_e32 v18, v66, v17
	v_mbcnt_lo_u32_b32 v17, v18, 0
	v_mbcnt_hi_u32_b32 v65, v19, v17
	v_cmp_eq_u32_e64 s[4:5], 0, v65
	v_cmp_ne_u64_e64 s[44:45], 0, v[18:19]
	s_and_b64 s[44:45], s[44:45], s[4:5]
	; wave barrier
	s_and_saveexec_b64 s[4:5], s[44:45]
	s_cbranch_execz .LBB236_127
; %bb.126:
	v_bcnt_u32_b32 v17, v18, 0
	v_bcnt_u32_b32 v17, v19, v17
	s_waitcnt lgkmcnt(0)
	v_add_u32_e32 v17, v63, v17
	ds_write_b32 v64, v17 offset:16
.LBB236_127:
	s_or_b64 exec, exec, s[4:5]
	v_lshrrev_b16_e32 v17, 8, v27
	v_mov_b32_e32 v18, 0x7f
	v_cmp_ne_u16_e64 s[4:5], s51, v27
	v_cndmask_b32_e64 v17, v18, v17, s[4:5]
	v_and_b32_e32 v19, s50, v17
	v_lshlrev_b32_e32 v17, 2, v19
	v_add_lshl_u32 v67, v17, v24, 2
	v_and_b32_e32 v17, 1, v19
	v_add_co_u32_e64 v68, s[4:5], -1, v17
	v_addc_co_u32_e64 v69, s[4:5], 0, -1, s[4:5]
	v_cmp_ne_u32_e64 s[4:5], 0, v17
	v_xor_b32_e32 v17, s5, v69
	v_and_b32_e32 v69, exec_hi, v17
	v_lshlrev_b32_e32 v17, 30, v19
	v_xor_b32_e32 v68, s4, v68
	v_cmp_gt_i64_e64 s[4:5], 0, v[16:17]
	v_not_b32_e32 v17, v17
	v_ashrrev_i32_e32 v17, 31, v17
	v_and_b32_e32 v68, exec_lo, v68
	v_xor_b32_e32 v70, s5, v17
	v_xor_b32_e32 v17, s4, v17
	v_and_b32_e32 v68, v68, v17
	v_lshlrev_b32_e32 v17, 29, v19
	v_cmp_gt_i64_e64 s[4:5], 0, v[16:17]
	v_not_b32_e32 v17, v17
	v_ashrrev_i32_e32 v17, 31, v17
	v_and_b32_e32 v69, v69, v70
	v_xor_b32_e32 v70, s5, v17
	v_xor_b32_e32 v17, s4, v17
	v_and_b32_e32 v68, v68, v17
	v_lshlrev_b32_e32 v17, 28, v19
	v_cmp_gt_i64_e64 s[4:5], 0, v[16:17]
	v_not_b32_e32 v17, v17
	v_ashrrev_i32_e32 v17, 31, v17
	v_and_b32_e32 v69, v69, v70
	;; [unrolled: 8-line block ×5, first 2 shown]
	v_xor_b32_e32 v70, s5, v17
	v_xor_b32_e32 v17, s4, v17
	v_and_b32_e32 v68, v68, v17
	v_lshlrev_b32_e32 v17, 24, v19
	v_cmp_gt_i64_e64 s[4:5], 0, v[16:17]
	v_not_b32_e32 v16, v17
	v_ashrrev_i32_e32 v16, 31, v16
	v_xor_b32_e32 v17, s5, v16
	v_xor_b32_e32 v16, s4, v16
	; wave barrier
	ds_read_b32 v66, v67 offset:16
	v_and_b32_e32 v69, v69, v70
	v_and_b32_e32 v16, v68, v16
	;; [unrolled: 1-line block ×3, first 2 shown]
	v_mbcnt_lo_u32_b32 v19, v16, 0
	v_mbcnt_hi_u32_b32 v68, v17, v19
	v_cmp_eq_u32_e64 s[4:5], 0, v68
	v_cmp_ne_u64_e64 s[44:45], 0, v[16:17]
	s_and_b64 s[44:45], s[44:45], s[4:5]
	; wave barrier
	s_and_saveexec_b64 s[4:5], s[44:45]
	s_cbranch_execz .LBB236_129
; %bb.128:
	v_bcnt_u32_b32 v16, v16, 0
	v_bcnt_u32_b32 v16, v17, v16
	s_waitcnt lgkmcnt(0)
	v_add_u32_e32 v16, v66, v16
	ds_write_b32 v67, v16 offset:16
.LBB236_129:
	s_or_b64 exec, exec, s[4:5]
	v_lshrrev_b16_e32 v16, 8, v26
	v_cmp_ne_u16_e64 s[4:5], s51, v26
	v_cndmask_b32_e64 v16, v18, v16, s[4:5]
	v_and_b32_e32 v18, s50, v16
	v_and_b32_e32 v17, 1, v18
	v_add_co_u32_e64 v19, s[4:5], -1, v17
	v_addc_co_u32_e64 v71, s[4:5], 0, -1, s[4:5]
	v_cmp_ne_u32_e64 s[4:5], 0, v17
	v_lshlrev_b32_e32 v16, 2, v18
	v_xor_b32_e32 v17, s5, v71
	v_add_lshl_u32 v70, v16, v24, 2
	v_mov_b32_e32 v16, 0
	v_and_b32_e32 v71, exec_hi, v17
	v_lshlrev_b32_e32 v17, 30, v18
	v_xor_b32_e32 v19, s4, v19
	v_cmp_gt_i64_e64 s[4:5], 0, v[16:17]
	v_not_b32_e32 v17, v17
	v_ashrrev_i32_e32 v17, 31, v17
	v_and_b32_e32 v19, exec_lo, v19
	v_xor_b32_e32 v72, s5, v17
	v_xor_b32_e32 v17, s4, v17
	v_and_b32_e32 v19, v19, v17
	v_lshlrev_b32_e32 v17, 29, v18
	v_cmp_gt_i64_e64 s[4:5], 0, v[16:17]
	v_not_b32_e32 v17, v17
	v_ashrrev_i32_e32 v17, 31, v17
	v_and_b32_e32 v71, v71, v72
	v_xor_b32_e32 v72, s5, v17
	v_xor_b32_e32 v17, s4, v17
	v_and_b32_e32 v19, v19, v17
	v_lshlrev_b32_e32 v17, 28, v18
	v_cmp_gt_i64_e64 s[4:5], 0, v[16:17]
	v_not_b32_e32 v17, v17
	v_ashrrev_i32_e32 v17, 31, v17
	v_and_b32_e32 v71, v71, v72
	;; [unrolled: 8-line block ×5, first 2 shown]
	v_xor_b32_e32 v72, s5, v17
	v_xor_b32_e32 v17, s4, v17
	v_and_b32_e32 v71, v71, v72
	v_and_b32_e32 v72, v19, v17
	v_lshlrev_b32_e32 v17, 24, v18
	v_cmp_gt_i64_e64 s[4:5], 0, v[16:17]
	v_not_b32_e32 v17, v17
	v_ashrrev_i32_e32 v17, 31, v17
	v_xor_b32_e32 v18, s5, v17
	v_xor_b32_e32 v17, s4, v17
	; wave barrier
	ds_read_b32 v69, v70 offset:16
	v_and_b32_e32 v19, v71, v18
	v_and_b32_e32 v18, v72, v17
	v_mbcnt_lo_u32_b32 v17, v18, 0
	v_mbcnt_hi_u32_b32 v71, v19, v17
	v_cmp_eq_u32_e64 s[4:5], 0, v71
	v_cmp_ne_u64_e64 s[44:45], 0, v[18:19]
	s_and_b64 s[44:45], s[44:45], s[4:5]
	; wave barrier
	s_and_saveexec_b64 s[4:5], s[44:45]
	s_cbranch_execz .LBB236_131
; %bb.130:
	v_bcnt_u32_b32 v17, v18, 0
	v_bcnt_u32_b32 v17, v19, v17
	s_waitcnt lgkmcnt(0)
	v_add_u32_e32 v17, v69, v17
	ds_write_b32 v70, v17 offset:16
.LBB236_131:
	s_or_b64 exec, exec, s[4:5]
	v_lshrrev_b16_e32 v17, 8, v25
	v_mov_b32_e32 v18, 0x7f
	v_cmp_ne_u16_e64 s[4:5], s51, v25
	v_cndmask_b32_e64 v17, v18, v17, s[4:5]
	v_and_b32_e32 v19, s50, v17
	v_lshlrev_b32_e32 v17, 2, v19
	v_add_lshl_u32 v73, v17, v24, 2
	v_and_b32_e32 v17, 1, v19
	v_add_co_u32_e64 v74, s[4:5], -1, v17
	v_addc_co_u32_e64 v75, s[4:5], 0, -1, s[4:5]
	v_cmp_ne_u32_e64 s[4:5], 0, v17
	v_xor_b32_e32 v17, s5, v75
	v_and_b32_e32 v75, exec_hi, v17
	v_lshlrev_b32_e32 v17, 30, v19
	v_xor_b32_e32 v74, s4, v74
	v_cmp_gt_i64_e64 s[4:5], 0, v[16:17]
	v_not_b32_e32 v17, v17
	v_ashrrev_i32_e32 v17, 31, v17
	v_and_b32_e32 v74, exec_lo, v74
	v_xor_b32_e32 v76, s5, v17
	v_xor_b32_e32 v17, s4, v17
	v_and_b32_e32 v74, v74, v17
	v_lshlrev_b32_e32 v17, 29, v19
	v_cmp_gt_i64_e64 s[4:5], 0, v[16:17]
	v_not_b32_e32 v17, v17
	v_ashrrev_i32_e32 v17, 31, v17
	v_and_b32_e32 v75, v75, v76
	v_xor_b32_e32 v76, s5, v17
	v_xor_b32_e32 v17, s4, v17
	v_and_b32_e32 v74, v74, v17
	v_lshlrev_b32_e32 v17, 28, v19
	v_cmp_gt_i64_e64 s[4:5], 0, v[16:17]
	v_not_b32_e32 v17, v17
	v_ashrrev_i32_e32 v17, 31, v17
	v_and_b32_e32 v75, v75, v76
	;; [unrolled: 8-line block ×5, first 2 shown]
	v_xor_b32_e32 v76, s5, v17
	v_xor_b32_e32 v17, s4, v17
	v_and_b32_e32 v74, v74, v17
	v_lshlrev_b32_e32 v17, 24, v19
	v_cmp_gt_i64_e64 s[4:5], 0, v[16:17]
	v_not_b32_e32 v16, v17
	v_ashrrev_i32_e32 v16, 31, v16
	v_xor_b32_e32 v17, s5, v16
	v_xor_b32_e32 v16, s4, v16
	; wave barrier
	ds_read_b32 v72, v73 offset:16
	v_and_b32_e32 v75, v75, v76
	v_and_b32_e32 v16, v74, v16
	;; [unrolled: 1-line block ×3, first 2 shown]
	v_mbcnt_lo_u32_b32 v19, v16, 0
	v_mbcnt_hi_u32_b32 v74, v17, v19
	v_cmp_eq_u32_e64 s[4:5], 0, v74
	v_cmp_ne_u64_e64 s[44:45], 0, v[16:17]
	s_and_b64 s[44:45], s[44:45], s[4:5]
	; wave barrier
	s_and_saveexec_b64 s[4:5], s[44:45]
	s_cbranch_execz .LBB236_133
; %bb.132:
	v_bcnt_u32_b32 v16, v16, 0
	v_bcnt_u32_b32 v16, v17, v16
	s_waitcnt lgkmcnt(0)
	v_add_u32_e32 v16, v72, v16
	ds_write_b32 v73, v16 offset:16
.LBB236_133:
	s_or_b64 exec, exec, s[4:5]
	v_lshrrev_b16_e32 v16, 8, v20
	v_cmp_ne_u16_e64 s[4:5], s51, v20
	v_cndmask_b32_e64 v16, v18, v16, s[4:5]
	v_and_b32_e32 v18, s50, v16
	v_and_b32_e32 v17, 1, v18
	v_add_co_u32_e64 v19, s[4:5], -1, v17
	v_addc_co_u32_e64 v76, s[4:5], 0, -1, s[4:5]
	v_cmp_ne_u32_e64 s[4:5], 0, v17
	v_lshlrev_b32_e32 v16, 2, v18
	v_xor_b32_e32 v17, s5, v76
	v_add_lshl_u32 v75, v16, v24, 2
	v_mov_b32_e32 v16, 0
	v_and_b32_e32 v76, exec_hi, v17
	v_lshlrev_b32_e32 v17, 30, v18
	v_xor_b32_e32 v19, s4, v19
	v_cmp_gt_i64_e64 s[4:5], 0, v[16:17]
	v_not_b32_e32 v17, v17
	v_ashrrev_i32_e32 v17, 31, v17
	v_and_b32_e32 v19, exec_lo, v19
	v_xor_b32_e32 v77, s5, v17
	v_xor_b32_e32 v17, s4, v17
	v_and_b32_e32 v19, v19, v17
	v_lshlrev_b32_e32 v17, 29, v18
	v_cmp_gt_i64_e64 s[4:5], 0, v[16:17]
	v_not_b32_e32 v17, v17
	v_ashrrev_i32_e32 v17, 31, v17
	v_and_b32_e32 v76, v76, v77
	v_xor_b32_e32 v77, s5, v17
	v_xor_b32_e32 v17, s4, v17
	v_and_b32_e32 v19, v19, v17
	v_lshlrev_b32_e32 v17, 28, v18
	v_cmp_gt_i64_e64 s[4:5], 0, v[16:17]
	v_not_b32_e32 v17, v17
	v_ashrrev_i32_e32 v17, 31, v17
	v_and_b32_e32 v76, v76, v77
	;; [unrolled: 8-line block ×5, first 2 shown]
	v_xor_b32_e32 v77, s5, v17
	v_xor_b32_e32 v17, s4, v17
	v_and_b32_e32 v19, v19, v17
	v_lshlrev_b32_e32 v17, 24, v18
	v_cmp_gt_i64_e64 s[4:5], 0, v[16:17]
	v_not_b32_e32 v16, v17
	v_ashrrev_i32_e32 v16, 31, v16
	v_xor_b32_e32 v17, s5, v16
	v_xor_b32_e32 v16, s4, v16
	; wave barrier
	ds_read_b32 v24, v75 offset:16
	v_and_b32_e32 v76, v76, v77
	v_and_b32_e32 v16, v19, v16
	v_and_b32_e32 v17, v76, v17
	v_mbcnt_lo_u32_b32 v18, v16, 0
	v_mbcnt_hi_u32_b32 v76, v17, v18
	v_cmp_eq_u32_e64 s[4:5], 0, v76
	v_cmp_ne_u64_e64 s[44:45], 0, v[16:17]
	s_and_b64 s[44:45], s[44:45], s[4:5]
	; wave barrier
	s_and_saveexec_b64 s[4:5], s[44:45]
	s_cbranch_execz .LBB236_135
; %bb.134:
	v_bcnt_u32_b32 v16, v16, 0
	v_bcnt_u32_b32 v16, v17, v16
	s_waitcnt lgkmcnt(0)
	v_add_u32_e32 v16, v24, v16
	ds_write_b32 v75, v16 offset:16
.LBB236_135:
	s_or_b64 exec, exec, s[4:5]
	; wave barrier
	s_waitcnt lgkmcnt(0)
	s_barrier
	ds_read2_b32 v[18:19], v62 offset0:4 offset1:5
	ds_read2_b32 v[16:17], v22 offset0:2 offset1:3
	s_waitcnt lgkmcnt(1)
	v_add_u32_e32 v77, v19, v18
	s_waitcnt lgkmcnt(0)
	v_add3_u32 v17, v77, v16, v17
	s_nop 1
	v_mov_b32_dpp v77, v17 row_shr:1 row_mask:0xf bank_mask:0xf
	v_cndmask_b32_e64 v77, v77, 0, s[22:23]
	v_add_u32_e32 v17, v77, v17
	s_nop 1
	v_mov_b32_dpp v77, v17 row_shr:2 row_mask:0xf bank_mask:0xf
	v_cndmask_b32_e64 v77, 0, v77, s[24:25]
	v_add_u32_e32 v17, v17, v77
	s_nop 1
	v_mov_b32_dpp v77, v17 row_shr:4 row_mask:0xf bank_mask:0xf
	v_cndmask_b32_e64 v77, 0, v77, s[28:29]
	v_add_u32_e32 v17, v17, v77
	s_nop 1
	v_mov_b32_dpp v77, v17 row_shr:8 row_mask:0xf bank_mask:0xf
	v_cndmask_b32_e64 v77, 0, v77, s[30:31]
	v_add_u32_e32 v17, v17, v77
	s_nop 1
	v_mov_b32_dpp v77, v17 row_bcast:15 row_mask:0xf bank_mask:0xf
	v_cndmask_b32_e64 v77, v77, 0, vcc
	v_add_u32_e32 v17, v17, v77
	s_nop 1
	v_mov_b32_dpp v77, v17 row_bcast:31 row_mask:0xf bank_mask:0xf
	v_cndmask_b32_e64 v77, 0, v77, s[34:35]
	v_add_u32_e32 v77, v17, v77
	s_and_saveexec_b64 s[4:5], s[16:17]
	s_cbranch_execz .LBB236_137
; %bb.136:
	ds_write_b32 v23, v77
.LBB236_137:
	s_or_b64 exec, exec, s[4:5]
	s_waitcnt lgkmcnt(0)
	s_barrier
	s_and_saveexec_b64 s[4:5], s[26:27]
	s_cbranch_execz .LBB236_139
; %bb.138:
	ds_read_b32 v17, v21
	s_waitcnt lgkmcnt(0)
	s_nop 0
	v_mov_b32_dpp v23, v17 row_shr:1 row_mask:0xf bank_mask:0xf
	v_cndmask_b32_e64 v23, v23, 0, s[20:21]
	v_add_u32_e32 v17, v23, v17
	s_nop 1
	v_mov_b32_dpp v23, v17 row_shr:2 row_mask:0xf bank_mask:0xf
	v_cndmask_b32_e64 v23, 0, v23, s[18:19]
	v_add_u32_e32 v17, v17, v23
	ds_write_b32 v21, v17
.LBB236_139:
	s_or_b64 exec, exec, s[4:5]
	v_mov_b32_e32 v17, 0
	v_mov_b32_e32 v21, 0
	s_waitcnt lgkmcnt(0)
	s_barrier
	s_and_saveexec_b64 s[4:5], s[36:37]
	s_cbranch_execz .LBB236_141
; %bb.140:
	ds_read_b32 v21, v34
.LBB236_141:
	s_or_b64 exec, exec, s[4:5]
	s_waitcnt lgkmcnt(0)
	v_add_u32_e32 v23, v21, v77
	ds_bpermute_b32 v23, v35, v23
	v_lshlrev_b32_e32 v34, 3, v60
	s_mov_b32 s16, 0x5040100
	s_waitcnt lgkmcnt(0)
	v_cndmask_b32_e64 v21, v23, v21, s[38:39]
	v_cndmask_b32_e64 v21, v21, 0, s[40:41]
	v_add_u32_e32 v18, v21, v18
	v_add_u32_e32 v19, v18, v19
	;; [unrolled: 1-line block ×3, first 2 shown]
	ds_write2_b32 v62, v21, v18 offset0:4 offset1:5
	ds_write2_b32 v22, v19, v16 offset0:2 offset1:3
	s_waitcnt lgkmcnt(0)
	s_barrier
	ds_read_b32 v16, v75 offset:16
	ds_read_b32 v18, v73 offset:16
	ds_read_b32 v19, v70 offset:16
	ds_read_b32 v21, v67 offset:16
	s_waitcnt lgkmcnt(3)
	v_add3_u32 v16, v76, v24, v16
	ds_read_b32 v22, v64 offset:16
	ds_read_b32 v23, v40 offset:16
	;; [unrolled: 1-line block ×4, first 2 shown]
	s_waitcnt lgkmcnt(0)
	s_barrier
	v_add3_u32 v23, v41, v39, v23
	v_add3_u32 v24, v38, v36, v24
	v_add_u32_e32 v32, v32, v33
	v_lshlrev_b32_e32 v33, 1, v32
	ds_write_b16 v33, v31
	v_lshlrev_b32_e32 v31, 1, v24
	v_add3_u32 v22, v65, v63, v22
	ds_write_b16 v31, v30
	v_lshlrev_b32_e32 v30, 1, v23
	v_add3_u32 v21, v68, v66, v21
	;; [unrolled: 3-line block ×4, first 2 shown]
	ds_write_b16 v28, v27
	v_lshlrev_b32_e32 v27, 1, v19
	ds_write_b16 v27, v26
	v_lshlrev_b32_e32 v26, 1, v18
	ds_write_b16 v26, v25
	v_lshlrev_b32_e32 v25, 1, v16
	ds_write_b16 v25, v20
	v_lshlrev_b32_e32 v20, 1, v60
	s_waitcnt lgkmcnt(0)
	s_barrier
	v_lshlrev_b32_e32 v26, 3, v21
	v_lshlrev_b32_e32 v27, 3, v19
	;; [unrolled: 1-line block ×3, first 2 shown]
	ds_read_b128 v[18:21], v20
	v_mov_b32_e32 v40, -1
	v_mov_b32_e32 v41, 0x7fff
	v_lshlrev_b32_e32 v25, 3, v32
	v_lshlrev_b32_e32 v24, 3, v24
	s_waitcnt lgkmcnt(0)
	v_cmp_gt_i16_sdwa vcc, v18, v40 src0_sel:WORD_1 src1_sel:DWORD
	v_cndmask_b32_e32 v29, 0, v41, vcc
	v_cmp_lt_i16_e32 vcc, -1, v18
	v_cndmask_b32_e32 v30, 0, v41, vcc
	v_cmp_lt_i16_sdwa s[4:5], v19, v17 src0_sel:WORD_1 src1_sel:DWORD
	v_cmp_gt_i16_e32 vcc, 0, v19
	v_cndmask_b32_e64 v31, v41, 0, s[4:5]
	v_cndmask_b32_e64 v32, v41, 0, vcc
	v_lshlrev_b32_e32 v23, 3, v23
	v_lshlrev_b32_e32 v22, 3, v22
	v_xor_b32_e32 v32, v32, v19
	v_xor_b32_sdwa v19, v31, v19 dst_sel:DWORD dst_unused:UNUSED_PAD src0_sel:DWORD src1_sel:WORD_1
	v_lshlrev_b32_e32 v16, 3, v16
	v_perm_b32 v39, v19, v32, s16
	v_xor_b32_e32 v19, v30, v18
	v_xor_b32_sdwa v18, v29, v18 dst_sel:DWORD dst_unused:UNUSED_PAD src0_sel:DWORD src1_sel:WORD_1
	s_barrier
	ds_write_b64 v25, v[12:13]
	ds_write_b64 v24, v[14:15]
	;; [unrolled: 1-line block ×8, first 2 shown]
	s_waitcnt lgkmcnt(0)
	s_barrier
	ds_read2_b64 v[22:25], v34 offset1:1
	ds_read2_b64 v[26:29], v34 offset0:2 offset1:3
	ds_read2_b64 v[30:33], v34 offset0:4 offset1:5
	;; [unrolled: 1-line block ×3, first 2 shown]
	v_cmp_gt_i16_sdwa vcc, v20, v40 src0_sel:WORD_1 src1_sel:DWORD
	v_cndmask_b32_e32 v0, 0, v41, vcc
	v_cmp_lt_i16_e32 vcc, -1, v20
	v_cndmask_b32_e32 v1, 0, v41, vcc
	v_cmp_lt_i16_sdwa s[4:5], v21, v17 src0_sel:WORD_1 src1_sel:DWORD
	v_cmp_gt_i16_e32 vcc, 0, v21
	v_cndmask_b32_e64 v2, v41, 0, s[4:5]
	v_cndmask_b32_e64 v3, v41, 0, vcc
	v_xor_b32_e32 v3, v3, v21
	v_xor_b32_sdwa v2, v2, v21 dst_sel:DWORD dst_unused:UNUSED_PAD src0_sel:DWORD src1_sel:WORD_1
	v_xor_b32_e32 v1, v1, v20
	v_xor_b32_sdwa v0, v0, v20 dst_sel:DWORD dst_unused:UNUSED_PAD src0_sel:DWORD src1_sel:WORD_1
	v_perm_b32 v38, v18, v19, s16
	v_perm_b32 v41, v2, v3, s16
	;; [unrolled: 1-line block ×3, first 2 shown]
.LBB236_142:
	s_waitcnt lgkmcnt(0)
	s_barrier
	ds_write_b128 v51, v[38:41]
	s_waitcnt lgkmcnt(0)
	s_barrier
	ds_read_u16 v8, v44 offset:512
	ds_read_u16 v7, v45 offset:1024
	;; [unrolled: 1-line block ×7, first 2 shown]
	v_mad_u64_u32 v[0:1], s[4:5], v42, s46, 0
	v_mov_b32_e32 v10, v1
	v_mad_u64_u32 v[10:11], s[4:5], v42, s47, v[10:11]
	v_mov_b32_e32 v1, v10
	v_lshlrev_b64 v[0:1], 1, v[0:1]
	v_mov_b32_e32 v9, s52
	v_add_co_u32_e32 v0, vcc, s33, v0
	v_addc_co_u32_e32 v1, vcc, v9, v1, vcc
	s_and_saveexec_b64 s[4:5], s[0:1]
	s_cbranch_execnz .LBB236_161
; %bb.143:
	s_or_b64 exec, exec, s[4:5]
	s_and_saveexec_b64 s[4:5], s[2:3]
	s_cbranch_execnz .LBB236_162
.LBB236_144:
	s_or_b64 exec, exec, s[4:5]
	s_and_saveexec_b64 s[4:5], s[42:43]
	s_cbranch_execnz .LBB236_163
.LBB236_145:
	s_or_b64 exec, exec, s[4:5]
	s_and_saveexec_b64 s[4:5], s[6:7]
	s_cbranch_execnz .LBB236_164
.LBB236_146:
	s_or_b64 exec, exec, s[4:5]
	s_and_saveexec_b64 s[4:5], s[8:9]
	s_cbranch_execnz .LBB236_165
.LBB236_147:
	s_or_b64 exec, exec, s[4:5]
	s_and_saveexec_b64 s[4:5], s[10:11]
	s_cbranch_execnz .LBB236_166
.LBB236_148:
	s_or_b64 exec, exec, s[4:5]
	s_and_saveexec_b64 s[4:5], s[12:13]
	s_cbranch_execnz .LBB236_167
.LBB236_149:
	s_or_b64 exec, exec, s[4:5]
	s_and_saveexec_b64 s[4:5], s[14:15]
	s_cbranch_execz .LBB236_151
.LBB236_150:
	s_waitcnt lgkmcnt(1)
	v_mov_b32_e32 v3, 0xe00
	v_mad_u64_u32 v[0:1], s[16:17], s46, v3, v[0:1]
	s_mul_i32 s16, s47, 0xe00
	v_add_u32_e32 v1, s16, v1
	s_waitcnt lgkmcnt(0)
	global_store_short v[0:1], v2, off
.LBB236_151:
	s_or_b64 exec, exec, s[4:5]
	s_waitcnt lgkmcnt(0)
	s_barrier
	ds_write2_b64 v61, v[22:23], v[24:25] offset1:1
	ds_write2_b64 v61, v[26:27], v[28:29] offset0:2 offset1:3
	ds_write2_b64 v61, v[30:31], v[32:33] offset0:4 offset1:5
	;; [unrolled: 1-line block ×3, first 2 shown]
	s_waitcnt lgkmcnt(0)
	s_barrier
	ds_read_b64 v[14:15], v53 offset:2048
	ds_read_b64 v[12:13], v54 offset:4096
	;; [unrolled: 1-line block ×7, first 2 shown]
	v_mad_u64_u32 v[4:5], s[4:5], v42, s48, 0
	v_mov_b32_e32 v16, v5
	v_mad_u64_u32 v[16:17], s[4:5], v42, s49, v[16:17]
	v_mov_b32_e32 v5, v16
	v_lshlrev_b64 v[4:5], 3, v[4:5]
	v_mov_b32_e32 v16, s54
	v_add_co_u32_e32 v4, vcc, s53, v4
	v_addc_co_u32_e32 v5, vcc, v16, v5, vcc
	s_and_saveexec_b64 s[4:5], s[0:1]
	s_cbranch_execnz .LBB236_168
; %bb.152:
	s_or_b64 exec, exec, s[4:5]
	s_and_saveexec_b64 s[0:1], s[2:3]
	s_cbranch_execnz .LBB236_169
.LBB236_153:
	s_or_b64 exec, exec, s[0:1]
	s_and_saveexec_b64 s[0:1], s[42:43]
	s_cbranch_execnz .LBB236_170
.LBB236_154:
	s_or_b64 exec, exec, s[0:1]
	s_and_saveexec_b64 s[0:1], s[6:7]
	s_cbranch_execnz .LBB236_171
.LBB236_155:
	s_or_b64 exec, exec, s[0:1]
	s_and_saveexec_b64 s[0:1], s[8:9]
	s_cbranch_execnz .LBB236_172
.LBB236_156:
	s_or_b64 exec, exec, s[0:1]
	s_and_saveexec_b64 s[0:1], s[10:11]
	s_cbranch_execnz .LBB236_173
.LBB236_157:
	s_or_b64 exec, exec, s[0:1]
	s_and_saveexec_b64 s[0:1], s[12:13]
	s_cbranch_execnz .LBB236_174
.LBB236_158:
	s_or_b64 exec, exec, s[0:1]
	s_and_saveexec_b64 s[0:1], s[14:15]
	s_cbranch_execz .LBB236_160
.LBB236_159:
	s_waitcnt lgkmcnt(1)
	v_mov_b32_e32 v2, 0x3800
	v_mad_u64_u32 v[2:3], s[0:1], s48, v2, v[4:5]
	s_mul_i32 s0, s49, 0x3800
	v_add_u32_e32 v3, s0, v3
	s_waitcnt lgkmcnt(0)
	global_store_dwordx2 v[2:3], v[0:1], off
.LBB236_160:
	s_endpgm
.LBB236_161:
	ds_read_u16 v9, v43
	s_waitcnt lgkmcnt(0)
	global_store_short v[0:1], v9, off
	s_or_b64 exec, exec, s[4:5]
	s_and_saveexec_b64 s[4:5], s[2:3]
	s_cbranch_execz .LBB236_144
.LBB236_162:
	s_lshl_b64 s[16:17], s[46:47], 9
	v_mov_b32_e32 v9, s17
	v_add_co_u32_e32 v10, vcc, s16, v0
	v_addc_co_u32_e32 v11, vcc, v1, v9, vcc
	s_waitcnt lgkmcnt(6)
	global_store_short v[10:11], v8, off
	s_or_b64 exec, exec, s[4:5]
	s_and_saveexec_b64 s[4:5], s[42:43]
	s_cbranch_execz .LBB236_145
.LBB236_163:
	s_lshl_b64 s[16:17], s[46:47], 10
	v_mov_b32_e32 v9, s17
	s_waitcnt lgkmcnt(6)
	v_add_co_u32_e32 v8, vcc, s16, v0
	v_addc_co_u32_e32 v9, vcc, v1, v9, vcc
	s_waitcnt lgkmcnt(5)
	global_store_short v[8:9], v7, off
	s_or_b64 exec, exec, s[4:5]
	s_and_saveexec_b64 s[4:5], s[6:7]
	s_cbranch_execz .LBB236_146
.LBB236_164:
	s_waitcnt lgkmcnt(5)
	v_mov_b32_e32 v7, 0x600
	v_mad_u64_u32 v[8:9], s[16:17], s46, v7, v[0:1]
	s_mul_i32 s16, s47, 0x600
	v_add_u32_e32 v9, s16, v9
	s_waitcnt lgkmcnt(4)
	global_store_short v[8:9], v6, off
	s_or_b64 exec, exec, s[4:5]
	s_and_saveexec_b64 s[4:5], s[8:9]
	s_cbranch_execz .LBB236_147
.LBB236_165:
	s_lshl_b64 s[16:17], s[46:47], 11
	s_waitcnt lgkmcnt(5)
	v_mov_b32_e32 v7, s17
	s_waitcnt lgkmcnt(4)
	v_add_co_u32_e32 v6, vcc, s16, v0
	v_addc_co_u32_e32 v7, vcc, v1, v7, vcc
	s_waitcnt lgkmcnt(3)
	global_store_short v[6:7], v5, off
	s_or_b64 exec, exec, s[4:5]
	s_and_saveexec_b64 s[4:5], s[10:11]
	s_cbranch_execz .LBB236_148
.LBB236_166:
	s_waitcnt lgkmcnt(3)
	v_mov_b32_e32 v5, 0xa00
	v_mad_u64_u32 v[6:7], s[16:17], s46, v5, v[0:1]
	s_mul_i32 s16, s47, 0xa00
	v_add_u32_e32 v7, s16, v7
	s_waitcnt lgkmcnt(2)
	global_store_short v[6:7], v4, off
	s_or_b64 exec, exec, s[4:5]
	s_and_saveexec_b64 s[4:5], s[12:13]
	s_cbranch_execz .LBB236_149
.LBB236_167:
	s_waitcnt lgkmcnt(2)
	v_mov_b32_e32 v4, 0xc00
	v_mad_u64_u32 v[4:5], s[16:17], s46, v4, v[0:1]
	s_mul_i32 s16, s47, 0xc00
	v_add_u32_e32 v5, s16, v5
	s_waitcnt lgkmcnt(1)
	global_store_short v[4:5], v3, off
	s_or_b64 exec, exec, s[4:5]
	s_and_saveexec_b64 s[4:5], s[14:15]
	s_cbranch_execnz .LBB236_150
	s_branch .LBB236_151
.LBB236_168:
	ds_read_b64 v[16:17], v52
	s_waitcnt lgkmcnt(0)
	global_store_dwordx2 v[4:5], v[16:17], off
	s_or_b64 exec, exec, s[4:5]
	s_and_saveexec_b64 s[0:1], s[2:3]
	s_cbranch_execz .LBB236_153
.LBB236_169:
	s_lshl_b64 s[2:3], s[48:49], 11
	v_mov_b32_e32 v17, s3
	v_add_co_u32_e32 v16, vcc, s2, v4
	v_addc_co_u32_e32 v17, vcc, v5, v17, vcc
	s_waitcnt lgkmcnt(6)
	global_store_dwordx2 v[16:17], v[14:15], off
	s_or_b64 exec, exec, s[0:1]
	s_and_saveexec_b64 s[0:1], s[42:43]
	s_cbranch_execz .LBB236_154
.LBB236_170:
	s_lshl_b64 s[2:3], s[48:49], 12
	s_waitcnt lgkmcnt(6)
	v_mov_b32_e32 v15, s3
	v_add_co_u32_e32 v14, vcc, s2, v4
	v_addc_co_u32_e32 v15, vcc, v5, v15, vcc
	s_waitcnt lgkmcnt(5)
	global_store_dwordx2 v[14:15], v[12:13], off
	s_or_b64 exec, exec, s[0:1]
	s_and_saveexec_b64 s[0:1], s[6:7]
	s_cbranch_execz .LBB236_155
.LBB236_171:
	s_waitcnt lgkmcnt(5)
	v_mov_b32_e32 v12, 0x1800
	v_mad_u64_u32 v[12:13], s[2:3], s48, v12, v[4:5]
	s_mul_i32 s2, s49, 0x1800
	v_add_u32_e32 v13, s2, v13
	s_waitcnt lgkmcnt(4)
	global_store_dwordx2 v[12:13], v[10:11], off
	s_or_b64 exec, exec, s[0:1]
	s_and_saveexec_b64 s[0:1], s[8:9]
	s_cbranch_execz .LBB236_156
.LBB236_172:
	s_lshl_b64 s[2:3], s[48:49], 13
	s_waitcnt lgkmcnt(4)
	v_mov_b32_e32 v11, s3
	v_add_co_u32_e32 v10, vcc, s2, v4
	v_addc_co_u32_e32 v11, vcc, v5, v11, vcc
	s_waitcnt lgkmcnt(3)
	global_store_dwordx2 v[10:11], v[8:9], off
	s_or_b64 exec, exec, s[0:1]
	s_and_saveexec_b64 s[0:1], s[10:11]
	s_cbranch_execz .LBB236_157
.LBB236_173:
	s_waitcnt lgkmcnt(3)
	v_mov_b32_e32 v8, 0x2800
	v_mad_u64_u32 v[8:9], s[2:3], s48, v8, v[4:5]
	s_mul_i32 s2, s49, 0x2800
	v_add_u32_e32 v9, s2, v9
	s_waitcnt lgkmcnt(2)
	global_store_dwordx2 v[8:9], v[6:7], off
	s_or_b64 exec, exec, s[0:1]
	s_and_saveexec_b64 s[0:1], s[12:13]
	s_cbranch_execz .LBB236_158
.LBB236_174:
	s_waitcnt lgkmcnt(2)
	v_mov_b32_e32 v6, 0x3000
	v_mad_u64_u32 v[6:7], s[2:3], s48, v6, v[4:5]
	s_mul_i32 s2, s49, 0x3000
	v_add_u32_e32 v7, s2, v7
	s_waitcnt lgkmcnt(1)
	global_store_dwordx2 v[6:7], v[2:3], off
	s_or_b64 exec, exec, s[0:1]
	s_and_saveexec_b64 s[0:1], s[14:15]
	s_cbranch_execnz .LBB236_159
	s_branch .LBB236_160
	.section	.rodata,"a",@progbits
	.p2align	6, 0x0
	.amdhsa_kernel _ZN2at6native18radixSortKVInPlaceILin1ELin1ELi256ELi8EN3c104HalfElmEEvNS_4cuda6detail10TensorInfoIT3_T5_EES8_S8_S8_NS6_IT4_S8_EES8_b
		.amdhsa_group_segment_fixed_size 16896
		.amdhsa_private_segment_fixed_size 0
		.amdhsa_kernarg_size 1128
		.amdhsa_user_sgpr_count 6
		.amdhsa_user_sgpr_private_segment_buffer 1
		.amdhsa_user_sgpr_dispatch_ptr 0
		.amdhsa_user_sgpr_queue_ptr 0
		.amdhsa_user_sgpr_kernarg_segment_ptr 1
		.amdhsa_user_sgpr_dispatch_id 0
		.amdhsa_user_sgpr_flat_scratch_init 0
		.amdhsa_user_sgpr_kernarg_preload_length 0
		.amdhsa_user_sgpr_kernarg_preload_offset 0
		.amdhsa_user_sgpr_private_segment_size 0
		.amdhsa_uses_dynamic_stack 0
		.amdhsa_system_sgpr_private_segment_wavefront_offset 0
		.amdhsa_system_sgpr_workgroup_id_x 1
		.amdhsa_system_sgpr_workgroup_id_y 1
		.amdhsa_system_sgpr_workgroup_id_z 1
		.amdhsa_system_sgpr_workgroup_info 0
		.amdhsa_system_vgpr_workitem_id 2
		.amdhsa_next_free_vgpr 106
		.amdhsa_next_free_sgpr 57
		.amdhsa_accum_offset 108
		.amdhsa_reserve_vcc 1
		.amdhsa_reserve_flat_scratch 0
		.amdhsa_float_round_mode_32 0
		.amdhsa_float_round_mode_16_64 0
		.amdhsa_float_denorm_mode_32 3
		.amdhsa_float_denorm_mode_16_64 3
		.amdhsa_dx10_clamp 1
		.amdhsa_ieee_mode 1
		.amdhsa_fp16_overflow 0
		.amdhsa_tg_split 0
		.amdhsa_exception_fp_ieee_invalid_op 0
		.amdhsa_exception_fp_denorm_src 0
		.amdhsa_exception_fp_ieee_div_zero 0
		.amdhsa_exception_fp_ieee_overflow 0
		.amdhsa_exception_fp_ieee_underflow 0
		.amdhsa_exception_fp_ieee_inexact 0
		.amdhsa_exception_int_div_zero 0
	.end_amdhsa_kernel
	.section	.text._ZN2at6native18radixSortKVInPlaceILin1ELin1ELi256ELi8EN3c104HalfElmEEvNS_4cuda6detail10TensorInfoIT3_T5_EES8_S8_S8_NS6_IT4_S8_EES8_b,"axG",@progbits,_ZN2at6native18radixSortKVInPlaceILin1ELin1ELi256ELi8EN3c104HalfElmEEvNS_4cuda6detail10TensorInfoIT3_T5_EES8_S8_S8_NS6_IT4_S8_EES8_b,comdat
.Lfunc_end236:
	.size	_ZN2at6native18radixSortKVInPlaceILin1ELin1ELi256ELi8EN3c104HalfElmEEvNS_4cuda6detail10TensorInfoIT3_T5_EES8_S8_S8_NS6_IT4_S8_EES8_b, .Lfunc_end236-_ZN2at6native18radixSortKVInPlaceILin1ELin1ELi256ELi8EN3c104HalfElmEEvNS_4cuda6detail10TensorInfoIT3_T5_EES8_S8_S8_NS6_IT4_S8_EES8_b
                                        ; -- End function
	.section	.AMDGPU.csdata,"",@progbits
; Kernel info:
; codeLenInByte = 23016
; NumSgprs: 61
; NumVgprs: 106
; NumAgprs: 0
; TotalNumVgprs: 106
; ScratchSize: 0
; MemoryBound: 0
; FloatMode: 240
; IeeeMode: 1
; LDSByteSize: 16896 bytes/workgroup (compile time only)
; SGPRBlocks: 7
; VGPRBlocks: 13
; NumSGPRsForWavesPerEU: 61
; NumVGPRsForWavesPerEU: 106
; AccumOffset: 108
; Occupancy: 3
; WaveLimiterHint : 1
; COMPUTE_PGM_RSRC2:SCRATCH_EN: 0
; COMPUTE_PGM_RSRC2:USER_SGPR: 6
; COMPUTE_PGM_RSRC2:TRAP_HANDLER: 0
; COMPUTE_PGM_RSRC2:TGID_X_EN: 1
; COMPUTE_PGM_RSRC2:TGID_Y_EN: 1
; COMPUTE_PGM_RSRC2:TGID_Z_EN: 1
; COMPUTE_PGM_RSRC2:TIDIG_COMP_CNT: 2
; COMPUTE_PGM_RSRC3_GFX90A:ACCUM_OFFSET: 26
; COMPUTE_PGM_RSRC3_GFX90A:TG_SPLIT: 0
	.section	.text._ZN2at6native18radixSortKVInPlaceILin1ELin1ELi128ELi8EN3c104HalfElmEEvNS_4cuda6detail10TensorInfoIT3_T5_EES8_S8_S8_NS6_IT4_S8_EES8_b,"axG",@progbits,_ZN2at6native18radixSortKVInPlaceILin1ELin1ELi128ELi8EN3c104HalfElmEEvNS_4cuda6detail10TensorInfoIT3_T5_EES8_S8_S8_NS6_IT4_S8_EES8_b,comdat
	.protected	_ZN2at6native18radixSortKVInPlaceILin1ELin1ELi128ELi8EN3c104HalfElmEEvNS_4cuda6detail10TensorInfoIT3_T5_EES8_S8_S8_NS6_IT4_S8_EES8_b ; -- Begin function _ZN2at6native18radixSortKVInPlaceILin1ELin1ELi128ELi8EN3c104HalfElmEEvNS_4cuda6detail10TensorInfoIT3_T5_EES8_S8_S8_NS6_IT4_S8_EES8_b
	.globl	_ZN2at6native18radixSortKVInPlaceILin1ELin1ELi128ELi8EN3c104HalfElmEEvNS_4cuda6detail10TensorInfoIT3_T5_EES8_S8_S8_NS6_IT4_S8_EES8_b
	.p2align	8
	.type	_ZN2at6native18radixSortKVInPlaceILin1ELin1ELi128ELi8EN3c104HalfElmEEvNS_4cuda6detail10TensorInfoIT3_T5_EES8_S8_S8_NS6_IT4_S8_EES8_b,@function
_ZN2at6native18radixSortKVInPlaceILin1ELin1ELi128ELi8EN3c104HalfElmEEvNS_4cuda6detail10TensorInfoIT3_T5_EES8_S8_S8_NS6_IT4_S8_EES8_b: ; @_ZN2at6native18radixSortKVInPlaceILin1ELin1ELi128ELi8EN3c104HalfElmEEvNS_4cuda6detail10TensorInfoIT3_T5_EES8_S8_S8_NS6_IT4_S8_EES8_b
; %bb.0:
	s_load_dwordx4 s[12:15], s[4:5], 0x1a0
	s_load_dwordx2 s[0:1], s[4:5], 0x368
	s_add_u32 s48, s4, 0x368
	s_addc_u32 s49, s5, 0
	s_waitcnt lgkmcnt(0)
	v_mov_b32_e32 v2, s12
	s_mul_i32 s1, s1, s8
	s_add_i32 s1, s1, s7
	s_mul_i32 s0, s1, s0
	v_mov_b32_e32 v3, s13
	s_add_i32 s6, s0, s6
	s_mov_b32 s7, 0
	v_cmp_ge_u64_e32 vcc, s[6:7], v[2:3]
	s_cbranch_vccnz .LBB237_160
; %bb.1:
	s_load_dword s0, s[4:5], 0x198
	s_load_dwordx2 s[44:45], s[4:5], 0x1b0
	s_mov_b64 s[2:3], 0
	s_mov_b64 s[8:9], s[6:7]
	s_waitcnt lgkmcnt(0)
	s_cmp_lt_i32 s0, 2
	s_cbranch_scc1 .LBB237_9
; %bb.2:
	s_mov_b32 s10, 0
	s_add_i32 s15, s0, 1
	s_add_i32 s0, s0, -1
	s_mov_b32 s1, s10
	s_lshl_b64 s[0:1], s[0:1], 3
	s_add_u32 s0, s0, s4
	s_addc_u32 s1, s1, s5
	s_add_u32 s12, s0, 8
	s_addc_u32 s13, s1, 0
	s_mov_b64 s[16:17], s[6:7]
.LBB237_3:                              ; =>This Inner Loop Header: Depth=1
	s_load_dwordx2 s[18:19], s[12:13], 0x0
	s_waitcnt lgkmcnt(0)
	s_or_b64 s[0:1], s[16:17], s[18:19]
	s_mov_b32 s11, s1
	s_cmp_lg_u64 s[10:11], 0
	s_cbranch_scc0 .LBB237_8
; %bb.4:                                ;   in Loop: Header=BB237_3 Depth=1
	v_cvt_f32_u32_e32 v1, s18
	v_cvt_f32_u32_e32 v2, s19
	s_sub_u32 s0, 0, s18
	s_subb_u32 s1, 0, s19
	v_mac_f32_e32 v1, 0x4f800000, v2
	v_rcp_f32_e32 v1, v1
	v_mul_f32_e32 v1, 0x5f7ffffc, v1
	v_mul_f32_e32 v2, 0x2f800000, v1
	v_trunc_f32_e32 v2, v2
	v_mac_f32_e32 v1, 0xcf800000, v2
	v_cvt_u32_f32_e32 v2, v2
	v_cvt_u32_f32_e32 v1, v1
	v_readfirstlane_b32 s8, v2
	v_readfirstlane_b32 s9, v1
	s_mul_i32 s11, s0, s8
	s_mul_hi_u32 s21, s0, s9
	s_mul_i32 s20, s1, s9
	s_add_i32 s11, s21, s11
	s_mul_i32 s22, s0, s9
	s_add_i32 s11, s11, s20
	s_mul_hi_u32 s20, s9, s11
	s_mul_i32 s21, s9, s11
	s_mul_hi_u32 s9, s9, s22
	s_add_u32 s9, s9, s21
	s_addc_u32 s20, 0, s20
	s_mul_hi_u32 s23, s8, s22
	s_mul_i32 s22, s8, s22
	s_add_u32 s9, s9, s22
	s_mul_hi_u32 s21, s8, s11
	s_addc_u32 s9, s20, s23
	s_addc_u32 s20, s21, 0
	s_mul_i32 s11, s8, s11
	s_add_u32 s9, s9, s11
	s_addc_u32 s11, 0, s20
	v_add_co_u32_e32 v1, vcc, s9, v1
	s_cmp_lg_u64 vcc, 0
	s_addc_u32 s8, s8, s11
	v_readfirstlane_b32 s11, v1
	s_mul_i32 s9, s0, s8
	s_mul_hi_u32 s20, s0, s11
	s_add_i32 s9, s20, s9
	s_mul_i32 s1, s1, s11
	s_add_i32 s9, s9, s1
	s_mul_i32 s0, s0, s11
	s_mul_hi_u32 s20, s8, s0
	s_mul_i32 s21, s8, s0
	s_mul_i32 s23, s11, s9
	s_mul_hi_u32 s0, s11, s0
	s_mul_hi_u32 s22, s11, s9
	s_add_u32 s0, s0, s23
	s_addc_u32 s11, 0, s22
	s_add_u32 s0, s0, s21
	s_mul_hi_u32 s1, s8, s9
	s_addc_u32 s0, s11, s20
	s_addc_u32 s1, s1, 0
	s_mul_i32 s9, s8, s9
	s_add_u32 s0, s0, s9
	s_addc_u32 s1, 0, s1
	v_add_co_u32_e32 v1, vcc, s0, v1
	s_cmp_lg_u64 vcc, 0
	s_addc_u32 s0, s8, s1
	v_readfirstlane_b32 s9, v1
	s_mul_i32 s8, s16, s0
	s_mul_hi_u32 s11, s16, s9
	s_mul_hi_u32 s1, s16, s0
	s_add_u32 s8, s11, s8
	s_addc_u32 s1, 0, s1
	s_mul_hi_u32 s20, s17, s9
	s_mul_i32 s9, s17, s9
	s_add_u32 s8, s8, s9
	s_mul_hi_u32 s11, s17, s0
	s_addc_u32 s1, s1, s20
	s_addc_u32 s8, s11, 0
	s_mul_i32 s0, s17, s0
	s_add_u32 s11, s1, s0
	s_addc_u32 s8, 0, s8
	s_mul_i32 s0, s18, s8
	s_mul_hi_u32 s1, s18, s11
	s_add_i32 s0, s1, s0
	s_mul_i32 s1, s19, s11
	s_add_i32 s9, s0, s1
	s_mul_i32 s1, s18, s11
	v_mov_b32_e32 v1, s1
	s_sub_i32 s0, s17, s9
	v_sub_co_u32_e32 v1, vcc, s16, v1
	s_cmp_lg_u64 vcc, 0
	s_subb_u32 s20, s0, s19
	v_subrev_co_u32_e64 v2, s[0:1], s18, v1
	s_cmp_lg_u64 s[0:1], 0
	s_subb_u32 s0, s20, 0
	s_cmp_ge_u32 s0, s19
	v_readfirstlane_b32 s20, v2
	s_cselect_b32 s1, -1, 0
	s_cmp_ge_u32 s20, s18
	s_cselect_b32 s20, -1, 0
	s_cmp_eq_u32 s0, s19
	s_cselect_b32 s0, s20, s1
	s_add_u32 s1, s11, 1
	s_addc_u32 s20, s8, 0
	s_add_u32 s21, s11, 2
	s_addc_u32 s22, s8, 0
	s_cmp_lg_u32 s0, 0
	s_cselect_b32 s0, s21, s1
	s_cselect_b32 s1, s22, s20
	s_cmp_lg_u64 vcc, 0
	s_subb_u32 s9, s17, s9
	s_cmp_ge_u32 s9, s19
	v_readfirstlane_b32 s21, v1
	s_cselect_b32 s20, -1, 0
	s_cmp_ge_u32 s21, s18
	s_cselect_b32 s21, -1, 0
	s_cmp_eq_u32 s9, s19
	s_cselect_b32 s9, s21, s20
	s_cmp_lg_u32 s9, 0
	s_cselect_b32 s9, s1, s8
	s_cselect_b32 s8, s0, s11
	s_cbranch_execnz .LBB237_6
.LBB237_5:                              ;   in Loop: Header=BB237_3 Depth=1
	v_cvt_f32_u32_e32 v1, s18
	s_sub_i32 s0, 0, s18
	v_rcp_iflag_f32_e32 v1, v1
	v_mul_f32_e32 v1, 0x4f7ffffe, v1
	v_cvt_u32_f32_e32 v1, v1
	v_readfirstlane_b32 s1, v1
	s_mul_i32 s0, s0, s1
	s_mul_hi_u32 s0, s1, s0
	s_add_i32 s1, s1, s0
	s_mul_hi_u32 s0, s16, s1
	s_mul_i32 s8, s0, s18
	s_sub_i32 s8, s16, s8
	s_add_i32 s1, s0, 1
	s_sub_i32 s9, s8, s18
	s_cmp_ge_u32 s8, s18
	s_cselect_b32 s0, s1, s0
	s_cselect_b32 s8, s9, s8
	s_add_i32 s1, s0, 1
	s_cmp_ge_u32 s8, s18
	s_cselect_b32 s8, s1, s0
	s_mov_b32 s9, s10
.LBB237_6:                              ;   in Loop: Header=BB237_3 Depth=1
	s_mul_i32 s0, s8, s19
	s_mul_hi_u32 s1, s8, s18
	s_add_i32 s11, s1, s0
	s_load_dwordx2 s[0:1], s[12:13], 0xc8
	s_mul_i32 s19, s9, s18
	s_add_i32 s11, s11, s19
	s_mul_i32 s18, s8, s18
	s_sub_u32 s16, s16, s18
	s_subb_u32 s11, s17, s11
	s_waitcnt lgkmcnt(0)
	s_mul_i32 s11, s0, s11
	s_mul_hi_u32 s17, s0, s16
	s_add_i32 s11, s17, s11
	s_mul_i32 s1, s1, s16
	s_add_i32 s11, s11, s1
	s_mul_i32 s0, s0, s16
	s_add_u32 s2, s0, s2
	s_addc_u32 s3, s11, s3
	s_add_i32 s15, s15, -1
	s_add_u32 s12, s12, -8
	s_addc_u32 s13, s13, -1
	s_cmp_gt_u32 s15, 2
	s_cbranch_scc0 .LBB237_9
; %bb.7:                                ;   in Loop: Header=BB237_3 Depth=1
	s_mov_b64 s[16:17], s[8:9]
	s_branch .LBB237_3
.LBB237_8:                              ;   in Loop: Header=BB237_3 Depth=1
                                        ; implicit-def: $sgpr8_sgpr9
	s_branch .LBB237_5
.LBB237_9:
	s_load_dword s0, s[4:5], 0x350
	s_load_dwordx2 s[10:11], s[4:5], 0xd0
	s_mov_b64 s[16:17], 0
	s_waitcnt lgkmcnt(0)
	s_cmp_lt_i32 s0, 2
	s_cbranch_scc1 .LBB237_17
; %bb.10:
	s_mov_b32 s12, 0
	s_add_i32 s15, s0, 1
	s_add_i32 s0, s0, -1
	s_mov_b32 s1, s12
	s_lshl_b64 s[0:1], s[0:1], 3
	s_add_u32 s0, s0, s4
	s_addc_u32 s1, s1, s5
	s_add_u32 s20, s0, 0x1c0
	s_addc_u32 s21, s1, 0
.LBB237_11:                             ; =>This Inner Loop Header: Depth=1
	s_load_dwordx2 s[22:23], s[20:21], 0x0
	s_waitcnt lgkmcnt(0)
	s_or_b64 s[0:1], s[6:7], s[22:23]
	s_mov_b32 s13, s1
	s_cmp_lg_u64 s[12:13], 0
	s_cbranch_scc0 .LBB237_16
; %bb.12:                               ;   in Loop: Header=BB237_11 Depth=1
	v_cvt_f32_u32_e32 v1, s22
	v_cvt_f32_u32_e32 v2, s23
	s_sub_u32 s0, 0, s22
	s_subb_u32 s1, 0, s23
	v_mac_f32_e32 v1, 0x4f800000, v2
	v_rcp_f32_e32 v1, v1
	v_mul_f32_e32 v1, 0x5f7ffffc, v1
	v_mul_f32_e32 v2, 0x2f800000, v1
	v_trunc_f32_e32 v2, v2
	v_mac_f32_e32 v1, 0xcf800000, v2
	v_cvt_u32_f32_e32 v2, v2
	v_cvt_u32_f32_e32 v1, v1
	v_readfirstlane_b32 s13, v2
	v_readfirstlane_b32 s18, v1
	s_mul_i32 s19, s0, s13
	s_mul_hi_u32 s25, s0, s18
	s_mul_i32 s24, s1, s18
	s_add_i32 s19, s25, s19
	s_mul_i32 s26, s0, s18
	s_add_i32 s19, s19, s24
	s_mul_hi_u32 s24, s18, s19
	s_mul_i32 s25, s18, s19
	s_mul_hi_u32 s18, s18, s26
	s_add_u32 s18, s18, s25
	s_addc_u32 s24, 0, s24
	s_mul_hi_u32 s27, s13, s26
	s_mul_i32 s26, s13, s26
	s_add_u32 s18, s18, s26
	s_mul_hi_u32 s25, s13, s19
	s_addc_u32 s18, s24, s27
	s_addc_u32 s24, s25, 0
	s_mul_i32 s19, s13, s19
	s_add_u32 s18, s18, s19
	s_addc_u32 s19, 0, s24
	v_add_co_u32_e32 v1, vcc, s18, v1
	s_cmp_lg_u64 vcc, 0
	s_addc_u32 s13, s13, s19
	v_readfirstlane_b32 s19, v1
	s_mul_i32 s18, s0, s13
	s_mul_hi_u32 s24, s0, s19
	s_add_i32 s18, s24, s18
	s_mul_i32 s1, s1, s19
	s_add_i32 s18, s18, s1
	s_mul_i32 s0, s0, s19
	s_mul_hi_u32 s24, s13, s0
	s_mul_i32 s25, s13, s0
	s_mul_i32 s27, s19, s18
	s_mul_hi_u32 s0, s19, s0
	s_mul_hi_u32 s26, s19, s18
	s_add_u32 s0, s0, s27
	s_addc_u32 s19, 0, s26
	s_add_u32 s0, s0, s25
	s_mul_hi_u32 s1, s13, s18
	s_addc_u32 s0, s19, s24
	s_addc_u32 s1, s1, 0
	s_mul_i32 s18, s13, s18
	s_add_u32 s0, s0, s18
	s_addc_u32 s1, 0, s1
	v_add_co_u32_e32 v1, vcc, s0, v1
	s_cmp_lg_u64 vcc, 0
	s_addc_u32 s0, s13, s1
	v_readfirstlane_b32 s18, v1
	s_mul_i32 s13, s6, s0
	s_mul_hi_u32 s19, s6, s18
	s_mul_hi_u32 s1, s6, s0
	s_add_u32 s13, s19, s13
	s_addc_u32 s1, 0, s1
	s_mul_hi_u32 s24, s7, s18
	s_mul_i32 s18, s7, s18
	s_add_u32 s13, s13, s18
	s_mul_hi_u32 s19, s7, s0
	s_addc_u32 s1, s1, s24
	s_addc_u32 s13, s19, 0
	s_mul_i32 s0, s7, s0
	s_add_u32 s18, s1, s0
	s_addc_u32 s13, 0, s13
	s_mul_i32 s0, s22, s13
	s_mul_hi_u32 s1, s22, s18
	s_add_i32 s0, s1, s0
	s_mul_i32 s1, s23, s18
	s_add_i32 s19, s0, s1
	s_mul_i32 s1, s22, s18
	v_mov_b32_e32 v1, s1
	s_sub_i32 s0, s7, s19
	v_sub_co_u32_e32 v1, vcc, s6, v1
	s_cmp_lg_u64 vcc, 0
	s_subb_u32 s24, s0, s23
	v_subrev_co_u32_e64 v2, s[0:1], s22, v1
	s_cmp_lg_u64 s[0:1], 0
	s_subb_u32 s0, s24, 0
	s_cmp_ge_u32 s0, s23
	v_readfirstlane_b32 s24, v2
	s_cselect_b32 s1, -1, 0
	s_cmp_ge_u32 s24, s22
	s_cselect_b32 s24, -1, 0
	s_cmp_eq_u32 s0, s23
	s_cselect_b32 s0, s24, s1
	s_add_u32 s1, s18, 1
	s_addc_u32 s24, s13, 0
	s_add_u32 s25, s18, 2
	s_addc_u32 s26, s13, 0
	s_cmp_lg_u32 s0, 0
	s_cselect_b32 s0, s25, s1
	s_cselect_b32 s1, s26, s24
	s_cmp_lg_u64 vcc, 0
	s_subb_u32 s19, s7, s19
	s_cmp_ge_u32 s19, s23
	v_readfirstlane_b32 s25, v1
	s_cselect_b32 s24, -1, 0
	s_cmp_ge_u32 s25, s22
	s_cselect_b32 s25, -1, 0
	s_cmp_eq_u32 s19, s23
	s_cselect_b32 s19, s25, s24
	s_cmp_lg_u32 s19, 0
	s_cselect_b32 s19, s1, s13
	s_cselect_b32 s18, s0, s18
	s_cbranch_execnz .LBB237_14
.LBB237_13:                             ;   in Loop: Header=BB237_11 Depth=1
	v_cvt_f32_u32_e32 v1, s22
	s_sub_i32 s0, 0, s22
	s_mov_b32 s19, s12
	v_rcp_iflag_f32_e32 v1, v1
	v_mul_f32_e32 v1, 0x4f7ffffe, v1
	v_cvt_u32_f32_e32 v1, v1
	v_readfirstlane_b32 s1, v1
	s_mul_i32 s0, s0, s1
	s_mul_hi_u32 s0, s1, s0
	s_add_i32 s1, s1, s0
	s_mul_hi_u32 s0, s6, s1
	s_mul_i32 s13, s0, s22
	s_sub_i32 s13, s6, s13
	s_add_i32 s1, s0, 1
	s_sub_i32 s18, s13, s22
	s_cmp_ge_u32 s13, s22
	s_cselect_b32 s0, s1, s0
	s_cselect_b32 s13, s18, s13
	s_add_i32 s1, s0, 1
	s_cmp_ge_u32 s13, s22
	s_cselect_b32 s18, s1, s0
.LBB237_14:                             ;   in Loop: Header=BB237_11 Depth=1
	s_mul_i32 s0, s18, s23
	s_mul_hi_u32 s1, s18, s22
	s_add_i32 s13, s1, s0
	s_load_dwordx2 s[0:1], s[20:21], 0xc8
	s_mul_i32 s23, s19, s22
	s_add_i32 s13, s13, s23
	s_mul_i32 s22, s18, s22
	s_sub_u32 s6, s6, s22
	s_subb_u32 s7, s7, s13
	s_waitcnt lgkmcnt(0)
	s_mul_i32 s7, s0, s7
	s_mul_hi_u32 s13, s0, s6
	s_add_i32 s7, s13, s7
	s_mul_i32 s1, s1, s6
	s_add_i32 s7, s7, s1
	s_mul_i32 s0, s0, s6
	s_add_u32 s16, s0, s16
	s_addc_u32 s17, s7, s17
	s_add_i32 s15, s15, -1
	s_add_u32 s20, s20, -8
	s_addc_u32 s21, s21, -1
	s_cmp_gt_u32 s15, 2
	s_cbranch_scc0 .LBB237_18
; %bb.15:                               ;   in Loop: Header=BB237_11 Depth=1
	s_mov_b64 s[6:7], s[18:19]
	s_branch .LBB237_11
.LBB237_16:                             ;   in Loop: Header=BB237_11 Depth=1
                                        ; implicit-def: $sgpr18_sgpr19
	s_branch .LBB237_13
.LBB237_17:
	s_mov_b64 s[18:19], s[6:7]
.LBB237_18:
	s_mul_i32 s0, s10, s9
	s_load_dword s9, s[4:5], 0x360
	s_load_dwordx2 s[6:7], s[4:5], 0x0
	s_mul_hi_u32 s1, s10, s8
	s_add_i32 s0, s1, s0
	s_mul_i32 s1, s11, s8
	s_add_i32 s1, s0, s1
	s_waitcnt lgkmcnt(0)
	s_bitcmp1_b32 s9, 0
	s_cselect_b64 s[34:35], -1, 0
	s_mul_i32 s0, s10, s8
	s_mov_b32 s10, 0xffff
	s_and_b64 s[8:9], s[34:35], exec
	s_cselect_b32 s26, s10, 0x7fff
	s_lshl_b64 s[0:1], s[0:1], 1
	s_add_u32 s6, s6, s0
	s_addc_u32 s7, s7, s1
	s_lshl_b64 s[0:1], s[2:3], 1
	s_add_u32 s33, s6, s0
	v_and_b32_e32 v42, 0x3ff, v0
	s_addc_u32 s50, s7, s1
	v_cmp_gt_u32_e64 s[0:1], s14, v42
	v_mov_b32_e32 v2, s26
	s_and_saveexec_b64 s[2:3], s[0:1]
	s_cbranch_execz .LBB237_20
; %bb.19:
	v_mad_u64_u32 v[2:3], s[6:7], v42, s44, 0
	v_mov_b32_e32 v4, v3
	v_mad_u64_u32 v[4:5], s[6:7], v42, s45, v[4:5]
	v_mov_b32_e32 v3, v4
	v_lshlrev_b64 v[2:3], 1, v[2:3]
	v_mov_b32_e32 v1, s50
	v_add_co_u32_e32 v2, vcc, s33, v2
	v_addc_co_u32_e32 v3, vcc, v1, v3, vcc
	global_load_ushort v2, v[2:3], off
.LBB237_20:
	s_or_b64 exec, exec, s[2:3]
	v_add_u32_e32 v33, 0x80, v42
	v_cmp_gt_u32_e64 s[2:3], s14, v33
	v_mov_b32_e32 v3, s26
	s_and_saveexec_b64 s[6:7], s[2:3]
	s_cbranch_execz .LBB237_22
; %bb.21:
	v_mad_u64_u32 v[4:5], s[8:9], v33, s44, 0
	v_mov_b32_e32 v6, v5
	v_mad_u64_u32 v[6:7], s[8:9], v33, s45, v[6:7]
	v_mov_b32_e32 v5, v6
	v_lshlrev_b64 v[4:5], 1, v[4:5]
	v_mov_b32_e32 v1, s50
	v_add_co_u32_e32 v4, vcc, s33, v4
	v_addc_co_u32_e32 v5, vcc, v1, v5, vcc
	global_load_ushort v3, v[4:5], off
.LBB237_22:
	s_or_b64 exec, exec, s[6:7]
	v_add_u32_e32 v31, 0x100, v42
	;; [unrolled: 17-line block ×5, first 2 shown]
	v_cmp_gt_u32_e64 s[10:11], s14, v23
	v_mov_b32_e32 v7, s26
	s_and_saveexec_b64 s[12:13], s[10:11]
	s_cbranch_execz .LBB237_30
; %bb.29:
	v_mad_u64_u32 v[8:9], s[20:21], v23, s44, 0
	v_mov_b32_e32 v10, v9
	v_mad_u64_u32 v[10:11], s[20:21], v23, s45, v[10:11]
	v_mov_b32_e32 v9, v10
	v_lshlrev_b64 v[8:9], 1, v[8:9]
	v_mov_b32_e32 v1, s50
	v_add_co_u32_e32 v8, vcc, s33, v8
	v_addc_co_u32_e32 v9, vcc, v1, v9, vcc
	global_load_ushort v7, v[8:9], off
.LBB237_30:
	s_or_b64 exec, exec, s[12:13]
	s_load_dwordx2 s[22:23], s[4:5], 0x288
	s_load_dwordx2 s[20:21], s[4:5], 0x1b8
	v_add_u32_e32 v22, 0x300, v42
	v_cmp_gt_u32_e64 s[12:13], s14, v22
	v_mov_b32_e32 v8, s26
	s_and_saveexec_b64 s[24:25], s[12:13]
	s_cbranch_execz .LBB237_32
; %bb.31:
	v_mad_u64_u32 v[8:9], s[28:29], v22, s44, 0
	v_mov_b32_e32 v10, v9
	v_mad_u64_u32 v[10:11], s[28:29], v22, s45, v[10:11]
	v_mov_b32_e32 v9, v10
	v_lshlrev_b64 v[8:9], 1, v[8:9]
	v_mov_b32_e32 v1, s50
	v_add_co_u32_e32 v8, vcc, s33, v8
	v_addc_co_u32_e32 v9, vcc, v1, v9, vcc
	global_load_ushort v8, v[8:9], off
.LBB237_32:
	s_or_b64 exec, exec, s[24:25]
	v_add_u32_e32 v1, 0x380, v42
	v_cmp_gt_u32_e64 s[14:15], s14, v1
	v_mov_b32_e32 v9, s26
	s_and_saveexec_b64 s[24:25], s[14:15]
	s_cbranch_execz .LBB237_34
; %bb.33:
	v_mad_u64_u32 v[10:11], s[26:27], v1, s44, 0
	v_mov_b32_e32 v12, v11
	v_mad_u64_u32 v[12:13], s[26:27], v1, s45, v[12:13]
	v_mov_b32_e32 v11, v12
	v_lshlrev_b64 v[10:11], 1, v[10:11]
	v_mov_b32_e32 v9, s50
	v_add_co_u32_e32 v10, vcc, s33, v10
	v_addc_co_u32_e32 v11, vcc, v9, v11, vcc
	global_load_ushort v9, v[10:11], off
.LBB237_34:
	s_or_b64 exec, exec, s[24:25]
	v_lshrrev_b32_e32 v36, 5, v42
	v_and_b32_e32 v10, 30, v36
	v_add_lshl_u32 v43, v10, v42, 1
	v_lshrrev_b32_e32 v35, 5, v33
	s_waitcnt vmcnt(0)
	ds_write_b16 v43, v2
	v_and_b32_e32 v2, 62, v35
	v_lshrrev_b32_e32 v34, 5, v31
	v_add_lshl_u32 v44, v2, v42, 1
	v_and_b32_e32 v2, 62, v34
	v_lshrrev_b32_e32 v32, 5, v28
	v_add_lshl_u32 v45, v2, v42, 1
	;; [unrolled: 3-line block ×3, first 2 shown]
	v_and_b32_e32 v2, 62, v30
	v_lshrrev_b32_e32 v29, 5, v23
	s_waitcnt lgkmcnt(0)
	s_mul_i32 s19, s22, s19
	s_mul_hi_u32 s24, s22, s18
	v_add_lshl_u32 v47, v2, v42, 1
	v_and_b32_e32 v2, 62, v29
	v_lshrrev_b32_e32 v26, 5, v22
	s_add_i32 s19, s24, s19
	s_mul_i32 s23, s23, s18
	v_add_lshl_u32 v48, v2, v42, 1
	v_and_b32_e32 v2, 62, v26
	v_lshrrev_b32_e32 v24, 5, v1
	s_add_i32 s19, s19, s23
	s_mul_i32 s18, s22, s18
	v_add_lshl_u32 v49, v2, v42, 1
	v_and_b32_e32 v2, 62, v24
	v_lshrrev_b32_e32 v27, 2, v42
	s_lshl_b64 s[18:19], s[18:19], 3
	v_add_lshl_u32 v50, v2, v42, 1
	v_lshlrev_b32_e32 v60, 3, v42
	v_and_b32_e32 v2, 0xfe, v27
	s_add_u32 s18, s20, s18
	v_add_lshl_u32 v51, v2, v60, 1
	s_addc_u32 s19, s21, s19
	s_lshl_b64 s[16:17], s[16:17], 3
	s_load_dwordx2 s[46:47], s[4:5], 0x358
	ds_write_b16 v44, v3 offset:256
	ds_write_b16 v45, v4 offset:512
	;; [unrolled: 1-line block ×7, first 2 shown]
	s_waitcnt lgkmcnt(0)
	s_barrier
	ds_read_b128 v[18:21], v51
	s_add_u32 s51, s18, s16
	s_mov_b32 s16, 0
	s_addc_u32 s52, s19, s17
	s_mov_b32 s17, s16
	s_mov_b32 s18, s16
	;; [unrolled: 1-line block ×15, first 2 shown]
	v_pk_mov_b32 v[2:3], s[16:17], s[16:17] op_sel:[0,1]
	v_pk_mov_b32 v[4:5], s[18:19], s[18:19] op_sel:[0,1]
	;; [unrolled: 1-line block ×8, first 2 shown]
	v_pk_mov_b32 v[2:3], 0, 0
	s_waitcnt lgkmcnt(0)
	s_barrier
	s_and_saveexec_b64 s[4:5], s[0:1]
	s_cbranch_execnz .LBB237_89
; %bb.35:
	s_or_b64 exec, exec, s[4:5]
	s_and_saveexec_b64 s[4:5], s[2:3]
	s_cbranch_execnz .LBB237_90
.LBB237_36:
	s_or_b64 exec, exec, s[4:5]
	s_and_saveexec_b64 s[4:5], s[40:41]
	s_cbranch_execnz .LBB237_91
.LBB237_37:
	s_or_b64 exec, exec, s[4:5]
	s_and_saveexec_b64 s[4:5], s[6:7]
	s_cbranch_execnz .LBB237_92
.LBB237_38:
	s_or_b64 exec, exec, s[4:5]
	s_and_saveexec_b64 s[4:5], s[8:9]
	s_cbranch_execnz .LBB237_93
.LBB237_39:
	s_or_b64 exec, exec, s[4:5]
	s_and_saveexec_b64 s[4:5], s[10:11]
	s_cbranch_execnz .LBB237_94
.LBB237_40:
	s_or_b64 exec, exec, s[4:5]
	s_and_saveexec_b64 s[4:5], s[12:13]
	s_cbranch_execnz .LBB237_95
.LBB237_41:
	s_or_b64 exec, exec, s[4:5]
	s_xor_b64 s[4:5], s[34:35], -1
	s_and_saveexec_b64 s[16:17], s[14:15]
	s_cbranch_execz .LBB237_43
.LBB237_42:
	v_mad_u64_u32 v[16:17], s[18:19], v1, s46, 0
	v_mov_b32_e32 v22, v17
	v_mad_u64_u32 v[22:23], s[18:19], v1, s47, v[22:23]
	v_mov_b32_e32 v17, v22
	v_lshlrev_b64 v[16:17], 3, v[16:17]
	v_mov_b32_e32 v1, s52
	v_add_co_u32_e32 v16, vcc, s51, v16
	v_addc_co_u32_e32 v17, vcc, v1, v17, vcc
	global_load_dwordx2 v[16:17], v[16:17], off
.LBB237_43:
	s_or_b64 exec, exec, s[16:17]
	v_add_lshl_u32 v52, v36, v42, 3
	v_add_lshl_u32 v53, v35, v42, 3
	;; [unrolled: 1-line block ×9, first 2 shown]
	s_waitcnt vmcnt(0)
	ds_write_b64 v52, v[2:3]
	ds_write_b64 v53, v[4:5] offset:1024
	ds_write_b64 v54, v[6:7] offset:2048
	;; [unrolled: 1-line block ×7, first 2 shown]
	s_waitcnt lgkmcnt(0)
	s_barrier
	ds_read2_b64 v[14:17], v61 offset1:1
	ds_read2_b64 v[10:13], v61 offset0:2 offset1:3
	ds_read2_b64 v[6:9], v61 offset0:4 offset1:5
	;; [unrolled: 1-line block ×3, first 2 shown]
	s_and_b64 vcc, exec, s[4:5]
	v_bfe_u32 v63, v0, 10, 10
	v_bfe_u32 v64, v0, 20, 10
	v_mbcnt_lo_u32_b32 v65, -1, 0
	v_lshlrev_b32_e32 v62, 4, v42
	s_waitcnt lgkmcnt(0)
	s_barrier
	s_cbranch_vccz .LBB237_96
; %bb.44:
	s_movk_i32 s4, 0x8000
	v_pk_ashrrev_i16 v24, 15, v18 op_sel_hi:[0,1]
	v_or_b32_e32 v25, 0xffff8000, v24
	v_or_b32_sdwa v24, v24, s4 dst_sel:DWORD dst_unused:UNUSED_PAD src0_sel:WORD_1 src1_sel:DWORD
	v_pk_ashrrev_i16 v22, 15, v19 op_sel_hi:[0,1]
	v_xor_b32_sdwa v26, v24, v18 dst_sel:DWORD dst_unused:UNUSED_PAD src0_sel:DWORD src1_sel:WORD_1
	v_pk_ashrrev_i16 v24, 15, v21 op_sel_hi:[0,1]
	v_pk_ashrrev_i16 v28, 15, v20 op_sel_hi:[0,1]
	v_mbcnt_hi_u32_b32 v74, -1, v65
	v_and_b32_e32 v40, 0x3c0, v42
	v_or_b32_e32 v23, 0xffff8000, v22
	v_or_b32_sdwa v22, v22, s4 dst_sel:DWORD dst_unused:UNUSED_PAD src0_sel:WORD_1 src1_sel:DWORD
	v_xor_b32_e32 v27, v25, v18
	v_or_b32_e32 v25, 0xffff8000, v24
	v_or_b32_e32 v29, 0xffff8000, v28
	v_or_b32_sdwa v24, v24, s4 dst_sel:DWORD dst_unused:UNUSED_PAD src0_sel:WORD_1 src1_sel:DWORD
	v_or_b32_sdwa v28, v28, s4 dst_sel:DWORD dst_unused:UNUSED_PAD src0_sel:WORD_1 src1_sel:DWORD
	v_add_u32_e32 v0, v74, v40
	v_xor_b32_sdwa v22, v22, v19 dst_sel:DWORD dst_unused:UNUSED_PAD src0_sel:DWORD src1_sel:WORD_1
	v_xor_b32_e32 v23, v23, v19
	v_xor_b32_sdwa v28, v28, v20 dst_sel:DWORD dst_unused:UNUSED_PAD src0_sel:DWORD src1_sel:WORD_1
	v_xor_b32_sdwa v24, v24, v21 dst_sel:DWORD dst_unused:UNUSED_PAD src0_sel:DWORD src1_sel:WORD_1
	v_xor_b32_e32 v29, v29, v20
	v_xor_b32_e32 v25, v25, v21
	s_mov_b32 s4, 0x5040100
	v_lshlrev_b32_e32 v1, 4, v0
	v_perm_b32 v25, v24, v25, s4
	v_perm_b32 v24, v28, v29, s4
	;; [unrolled: 1-line block ×4, first 2 shown]
	v_and_b32_e32 v80, 0x1e00, v60
	ds_write_b128 v1, v[22:25]
	v_or_b32_e32 v1, v74, v80
	v_lshlrev_b32_e32 v22, 1, v1
	v_lshlrev_b32_e32 v0, 6, v0
	; wave barrier
	ds_read_u16 v77, v22
	ds_read_u16 v76, v22 offset:128
	ds_read_u16 v75, v22 offset:256
	;; [unrolled: 1-line block ×7, first 2 shown]
	s_waitcnt lgkmcnt(0)
	s_barrier
	ds_write2_b64 v0, v[14:15], v[16:17] offset1:1
	ds_write2_b64 v0, v[10:11], v[12:13] offset0:2 offset1:3
	ds_write2_b64 v0, v[6:7], v[8:9] offset0:4 offset1:5
	;; [unrolled: 1-line block ×3, first 2 shown]
	v_lshlrev_b32_e32 v0, 3, v1
	; wave barrier
	ds_read2st64_b64 v[34:37], v0 offset1:1
	ds_read2st64_b64 v[30:33], v0 offset0:2 offset1:3
	ds_read2st64_b64 v[26:29], v0 offset0:4 offset1:5
	;; [unrolled: 1-line block ×3, first 2 shown]
	s_waitcnt lgkmcnt(0)
	s_barrier
	s_load_dword s16, s[48:49], 0xc
	s_getpc_b64 s[4:5]
	s_add_u32 s4, s4, _ZN7rocprim17ROCPRIM_400000_NS16block_radix_sortI6__halfLj128ELj8ElLj1ELj1ELj0ELNS0_26block_radix_rank_algorithmE1ELNS0_18block_padding_hintE2ELNS0_4arch9wavefront6targetE1EE19radix_bits_per_passE@rel32@lo+4
	s_addc_u32 s5, s5, _ZN7rocprim17ROCPRIM_400000_NS16block_radix_sortI6__halfLj128ELj8ElLj1ELj1ELj0ELNS0_26block_radix_rank_algorithmE1ELNS0_18block_padding_hintE2ELNS0_4arch9wavefront6targetE1EE19radix_bits_per_passE@rel32@hi+12
	s_load_dword s42, s[4:5], 0x0
	s_movk_i32 s17, 0x7fff
	v_mov_b32_e32 v41, 0xffff8000
	s_waitcnt lgkmcnt(0)
	s_lshr_b32 s4, s16, 16
	s_and_b32 s5, s16, 0xffff
	v_mad_u32_u24 v1, v64, s4, v63
	v_mad_u64_u32 v[38:39], s[4:5], v1, s5, v[42:43]
	s_min_u32 s4, s42, 16
	s_lshl_b32 s4, -1, s4
	v_cmp_ne_u16_e32 vcc, s17, v77
	s_not_b32 s16, s4
	v_cndmask_b32_e32 v1, v41, v77, vcc
	v_lshrrev_b32_e32 v66, 6, v38
	v_and_b32_sdwa v38, s16, v1 dst_sel:DWORD dst_unused:UNUSED_PAD src0_sel:DWORD src1_sel:WORD_0
	v_lshlrev_b32_e32 v1, 1, v38
	v_add_lshl_u32 v81, v66, v1, 2
	v_and_b32_e32 v1, 1, v38
	v_add_co_u32_e32 v39, vcc, -1, v1
	v_addc_co_u32_e64 v67, s[4:5], 0, -1, vcc
	v_cmp_ne_u32_e32 vcc, 0, v1
	v_xor_b32_e32 v1, vcc_hi, v67
	v_mov_b32_e32 v0, 0
	v_and_b32_e32 v67, exec_hi, v1
	v_lshlrev_b32_e32 v1, 30, v38
	v_xor_b32_e32 v39, vcc_lo, v39
	v_cmp_gt_i64_e32 vcc, 0, v[0:1]
	v_not_b32_e32 v1, v1
	v_ashrrev_i32_e32 v1, 31, v1
	v_and_b32_e32 v39, exec_lo, v39
	v_xor_b32_e32 v68, vcc_hi, v1
	v_xor_b32_e32 v1, vcc_lo, v1
	v_and_b32_e32 v39, v39, v1
	v_lshlrev_b32_e32 v1, 29, v38
	v_cmp_gt_i64_e32 vcc, 0, v[0:1]
	v_not_b32_e32 v1, v1
	v_ashrrev_i32_e32 v1, 31, v1
	v_and_b32_e32 v67, v67, v68
	v_xor_b32_e32 v68, vcc_hi, v1
	v_xor_b32_e32 v1, vcc_lo, v1
	v_and_b32_e32 v39, v39, v1
	v_lshlrev_b32_e32 v1, 28, v38
	v_cmp_gt_i64_e32 vcc, 0, v[0:1]
	v_not_b32_e32 v1, v1
	v_ashrrev_i32_e32 v1, 31, v1
	v_and_b32_e32 v67, v67, v68
	;; [unrolled: 8-line block ×5, first 2 shown]
	v_xor_b32_e32 v68, vcc_hi, v1
	v_xor_b32_e32 v1, vcc_lo, v1
	v_and_b32_e32 v67, v67, v68
	v_and_b32_e32 v68, v39, v1
	v_lshlrev_b32_e32 v1, 24, v38
	v_cmp_gt_i64_e32 vcc, 0, v[0:1]
	v_not_b32_e32 v1, v1
	v_ashrrev_i32_e32 v1, 31, v1
	v_xor_b32_e32 v38, vcc_hi, v1
	v_xor_b32_e32 v1, vcc_lo, v1
	v_and_b32_e32 v39, v67, v38
	v_and_b32_e32 v38, v68, v1
	v_mbcnt_lo_u32_b32 v1, v38, 0
	v_mbcnt_hi_u32_b32 v82, v39, v1
	v_cmp_eq_u32_e32 vcc, 0, v82
	v_cmp_ne_u64_e64 s[4:5], 0, v[38:39]
	s_and_b64 s[18:19], s[4:5], vcc
	ds_write2_b32 v62, v0, v0 offset0:2 offset1:3
	ds_write2_b32 v62, v0, v0 offset0:4 offset1:5
	s_waitcnt lgkmcnt(0)
	s_barrier
	s_waitcnt lgkmcnt(0)
	; wave barrier
	s_and_saveexec_b64 s[4:5], s[18:19]
	s_cbranch_execz .LBB237_46
; %bb.45:
	v_bcnt_u32_b32 v1, v38, 0
	v_bcnt_u32_b32 v1, v39, v1
	ds_write_b32 v81, v1 offset:8
.LBB237_46:
	s_or_b64 exec, exec, s[4:5]
	v_cmp_ne_u16_e32 vcc, s17, v76
	v_cndmask_b32_e32 v1, v41, v76, vcc
	v_and_b32_sdwa v38, s16, v1 dst_sel:DWORD dst_unused:UNUSED_PAD src0_sel:DWORD src1_sel:WORD_0
	v_lshlrev_b32_e32 v1, 1, v38
	v_add_lshl_u32 v84, v66, v1, 2
	v_and_b32_e32 v1, 1, v38
	v_add_co_u32_e32 v39, vcc, -1, v1
	v_addc_co_u32_e64 v41, s[4:5], 0, -1, vcc
	v_cmp_ne_u32_e32 vcc, 0, v1
	v_xor_b32_e32 v1, vcc_hi, v41
	v_and_b32_e32 v41, exec_hi, v1
	v_lshlrev_b32_e32 v1, 30, v38
	v_xor_b32_e32 v39, vcc_lo, v39
	v_cmp_gt_i64_e32 vcc, 0, v[0:1]
	v_not_b32_e32 v1, v1
	v_ashrrev_i32_e32 v1, 31, v1
	v_and_b32_e32 v39, exec_lo, v39
	v_xor_b32_e32 v67, vcc_hi, v1
	v_xor_b32_e32 v1, vcc_lo, v1
	v_and_b32_e32 v39, v39, v1
	v_lshlrev_b32_e32 v1, 29, v38
	v_cmp_gt_i64_e32 vcc, 0, v[0:1]
	v_not_b32_e32 v1, v1
	v_ashrrev_i32_e32 v1, 31, v1
	v_and_b32_e32 v41, v41, v67
	v_xor_b32_e32 v67, vcc_hi, v1
	v_xor_b32_e32 v1, vcc_lo, v1
	v_and_b32_e32 v39, v39, v1
	v_lshlrev_b32_e32 v1, 28, v38
	v_cmp_gt_i64_e32 vcc, 0, v[0:1]
	v_not_b32_e32 v1, v1
	v_ashrrev_i32_e32 v1, 31, v1
	v_and_b32_e32 v41, v41, v67
	;; [unrolled: 8-line block ×5, first 2 shown]
	v_xor_b32_e32 v67, vcc_hi, v1
	v_xor_b32_e32 v1, vcc_lo, v1
	v_and_b32_e32 v39, v39, v1
	v_lshlrev_b32_e32 v1, 24, v38
	v_cmp_gt_i64_e32 vcc, 0, v[0:1]
	v_not_b32_e32 v0, v1
	v_ashrrev_i32_e32 v0, 31, v0
	v_xor_b32_e32 v1, vcc_hi, v0
	v_xor_b32_e32 v0, vcc_lo, v0
	; wave barrier
	ds_read_b32 v83, v84 offset:8
	v_and_b32_e32 v41, v41, v67
	v_and_b32_e32 v0, v39, v0
	;; [unrolled: 1-line block ×3, first 2 shown]
	v_mbcnt_lo_u32_b32 v38, v0, 0
	v_mbcnt_hi_u32_b32 v85, v1, v38
	v_cmp_eq_u32_e32 vcc, 0, v85
	v_cmp_ne_u64_e64 s[4:5], 0, v[0:1]
	s_and_b64 s[18:19], s[4:5], vcc
	; wave barrier
	s_and_saveexec_b64 s[4:5], s[18:19]
	s_cbranch_execz .LBB237_48
; %bb.47:
	v_bcnt_u32_b32 v0, v0, 0
	v_bcnt_u32_b32 v0, v1, v0
	s_waitcnt lgkmcnt(0)
	v_add_u32_e32 v0, v83, v0
	ds_write_b32 v84, v0 offset:8
.LBB237_48:
	s_or_b64 exec, exec, s[4:5]
	v_mov_b32_e32 v41, 0xffff8000
	v_cmp_ne_u16_e32 vcc, s17, v75
	v_cndmask_b32_e32 v0, v41, v75, vcc
	v_and_b32_sdwa v38, s16, v0 dst_sel:DWORD dst_unused:UNUSED_PAD src0_sel:DWORD src1_sel:WORD_0
	v_and_b32_e32 v1, 1, v38
	v_add_co_u32_e32 v39, vcc, -1, v1
	v_addc_co_u32_e64 v67, s[4:5], 0, -1, vcc
	v_cmp_ne_u32_e32 vcc, 0, v1
	v_lshlrev_b32_e32 v0, 1, v38
	v_xor_b32_e32 v1, vcc_hi, v67
	v_add_lshl_u32 v87, v66, v0, 2
	v_mov_b32_e32 v0, 0
	v_and_b32_e32 v67, exec_hi, v1
	v_lshlrev_b32_e32 v1, 30, v38
	v_xor_b32_e32 v39, vcc_lo, v39
	v_cmp_gt_i64_e32 vcc, 0, v[0:1]
	v_not_b32_e32 v1, v1
	v_ashrrev_i32_e32 v1, 31, v1
	v_and_b32_e32 v39, exec_lo, v39
	v_xor_b32_e32 v68, vcc_hi, v1
	v_xor_b32_e32 v1, vcc_lo, v1
	v_and_b32_e32 v39, v39, v1
	v_lshlrev_b32_e32 v1, 29, v38
	v_cmp_gt_i64_e32 vcc, 0, v[0:1]
	v_not_b32_e32 v1, v1
	v_ashrrev_i32_e32 v1, 31, v1
	v_and_b32_e32 v67, v67, v68
	v_xor_b32_e32 v68, vcc_hi, v1
	v_xor_b32_e32 v1, vcc_lo, v1
	v_and_b32_e32 v39, v39, v1
	v_lshlrev_b32_e32 v1, 28, v38
	v_cmp_gt_i64_e32 vcc, 0, v[0:1]
	v_not_b32_e32 v1, v1
	v_ashrrev_i32_e32 v1, 31, v1
	v_and_b32_e32 v67, v67, v68
	;; [unrolled: 8-line block ×5, first 2 shown]
	v_xor_b32_e32 v68, vcc_hi, v1
	v_xor_b32_e32 v1, vcc_lo, v1
	v_and_b32_e32 v67, v67, v68
	v_and_b32_e32 v68, v39, v1
	v_lshlrev_b32_e32 v1, 24, v38
	v_cmp_gt_i64_e32 vcc, 0, v[0:1]
	v_not_b32_e32 v1, v1
	v_ashrrev_i32_e32 v1, 31, v1
	v_xor_b32_e32 v38, vcc_hi, v1
	v_xor_b32_e32 v1, vcc_lo, v1
	; wave barrier
	ds_read_b32 v86, v87 offset:8
	v_and_b32_e32 v39, v67, v38
	v_and_b32_e32 v38, v68, v1
	v_mbcnt_lo_u32_b32 v1, v38, 0
	v_mbcnt_hi_u32_b32 v88, v39, v1
	v_cmp_eq_u32_e32 vcc, 0, v88
	v_cmp_ne_u64_e64 s[4:5], 0, v[38:39]
	s_and_b64 s[18:19], s[4:5], vcc
	; wave barrier
	s_and_saveexec_b64 s[4:5], s[18:19]
	s_cbranch_execz .LBB237_50
; %bb.49:
	v_bcnt_u32_b32 v1, v38, 0
	v_bcnt_u32_b32 v1, v39, v1
	s_waitcnt lgkmcnt(0)
	v_add_u32_e32 v1, v86, v1
	ds_write_b32 v87, v1 offset:8
.LBB237_50:
	s_or_b64 exec, exec, s[4:5]
	v_cmp_ne_u16_e32 vcc, s17, v73
	v_cndmask_b32_e32 v1, v41, v73, vcc
	v_and_b32_sdwa v38, s16, v1 dst_sel:DWORD dst_unused:UNUSED_PAD src0_sel:DWORD src1_sel:WORD_0
	v_lshlrev_b32_e32 v1, 1, v38
	v_add_lshl_u32 v90, v66, v1, 2
	v_and_b32_e32 v1, 1, v38
	v_add_co_u32_e32 v39, vcc, -1, v1
	v_addc_co_u32_e64 v41, s[4:5], 0, -1, vcc
	v_cmp_ne_u32_e32 vcc, 0, v1
	v_xor_b32_e32 v1, vcc_hi, v41
	v_and_b32_e32 v41, exec_hi, v1
	v_lshlrev_b32_e32 v1, 30, v38
	v_xor_b32_e32 v39, vcc_lo, v39
	v_cmp_gt_i64_e32 vcc, 0, v[0:1]
	v_not_b32_e32 v1, v1
	v_ashrrev_i32_e32 v1, 31, v1
	v_and_b32_e32 v39, exec_lo, v39
	v_xor_b32_e32 v67, vcc_hi, v1
	v_xor_b32_e32 v1, vcc_lo, v1
	v_and_b32_e32 v39, v39, v1
	v_lshlrev_b32_e32 v1, 29, v38
	v_cmp_gt_i64_e32 vcc, 0, v[0:1]
	v_not_b32_e32 v1, v1
	v_ashrrev_i32_e32 v1, 31, v1
	v_and_b32_e32 v41, v41, v67
	v_xor_b32_e32 v67, vcc_hi, v1
	v_xor_b32_e32 v1, vcc_lo, v1
	v_and_b32_e32 v39, v39, v1
	v_lshlrev_b32_e32 v1, 28, v38
	v_cmp_gt_i64_e32 vcc, 0, v[0:1]
	v_not_b32_e32 v1, v1
	v_ashrrev_i32_e32 v1, 31, v1
	v_and_b32_e32 v41, v41, v67
	;; [unrolled: 8-line block ×5, first 2 shown]
	v_xor_b32_e32 v67, vcc_hi, v1
	v_xor_b32_e32 v1, vcc_lo, v1
	v_and_b32_e32 v39, v39, v1
	v_lshlrev_b32_e32 v1, 24, v38
	v_cmp_gt_i64_e32 vcc, 0, v[0:1]
	v_not_b32_e32 v0, v1
	v_ashrrev_i32_e32 v0, 31, v0
	v_xor_b32_e32 v1, vcc_hi, v0
	v_xor_b32_e32 v0, vcc_lo, v0
	; wave barrier
	ds_read_b32 v89, v90 offset:8
	v_and_b32_e32 v41, v41, v67
	v_and_b32_e32 v0, v39, v0
	;; [unrolled: 1-line block ×3, first 2 shown]
	v_mbcnt_lo_u32_b32 v38, v0, 0
	v_mbcnt_hi_u32_b32 v91, v1, v38
	v_cmp_eq_u32_e32 vcc, 0, v91
	v_cmp_ne_u64_e64 s[4:5], 0, v[0:1]
	s_and_b64 s[18:19], s[4:5], vcc
	; wave barrier
	s_and_saveexec_b64 s[4:5], s[18:19]
	s_cbranch_execz .LBB237_52
; %bb.51:
	v_bcnt_u32_b32 v0, v0, 0
	v_bcnt_u32_b32 v0, v1, v0
	s_waitcnt lgkmcnt(0)
	v_add_u32_e32 v0, v89, v0
	ds_write_b32 v90, v0 offset:8
.LBB237_52:
	s_or_b64 exec, exec, s[4:5]
	v_mov_b32_e32 v41, 0xffff8000
	v_cmp_ne_u16_e32 vcc, s17, v72
	v_cndmask_b32_e32 v0, v41, v72, vcc
	v_and_b32_sdwa v38, s16, v0 dst_sel:DWORD dst_unused:UNUSED_PAD src0_sel:DWORD src1_sel:WORD_0
	v_and_b32_e32 v1, 1, v38
	v_add_co_u32_e32 v39, vcc, -1, v1
	v_addc_co_u32_e64 v67, s[4:5], 0, -1, vcc
	v_cmp_ne_u32_e32 vcc, 0, v1
	v_lshlrev_b32_e32 v0, 1, v38
	v_xor_b32_e32 v1, vcc_hi, v67
	v_add_lshl_u32 v93, v66, v0, 2
	v_mov_b32_e32 v0, 0
	v_and_b32_e32 v67, exec_hi, v1
	v_lshlrev_b32_e32 v1, 30, v38
	v_xor_b32_e32 v39, vcc_lo, v39
	v_cmp_gt_i64_e32 vcc, 0, v[0:1]
	v_not_b32_e32 v1, v1
	v_ashrrev_i32_e32 v1, 31, v1
	v_and_b32_e32 v39, exec_lo, v39
	v_xor_b32_e32 v68, vcc_hi, v1
	v_xor_b32_e32 v1, vcc_lo, v1
	v_and_b32_e32 v39, v39, v1
	v_lshlrev_b32_e32 v1, 29, v38
	v_cmp_gt_i64_e32 vcc, 0, v[0:1]
	v_not_b32_e32 v1, v1
	v_ashrrev_i32_e32 v1, 31, v1
	v_and_b32_e32 v67, v67, v68
	v_xor_b32_e32 v68, vcc_hi, v1
	v_xor_b32_e32 v1, vcc_lo, v1
	v_and_b32_e32 v39, v39, v1
	v_lshlrev_b32_e32 v1, 28, v38
	v_cmp_gt_i64_e32 vcc, 0, v[0:1]
	v_not_b32_e32 v1, v1
	v_ashrrev_i32_e32 v1, 31, v1
	v_and_b32_e32 v67, v67, v68
	;; [unrolled: 8-line block ×5, first 2 shown]
	v_xor_b32_e32 v68, vcc_hi, v1
	v_xor_b32_e32 v1, vcc_lo, v1
	v_and_b32_e32 v67, v67, v68
	v_and_b32_e32 v68, v39, v1
	v_lshlrev_b32_e32 v1, 24, v38
	v_cmp_gt_i64_e32 vcc, 0, v[0:1]
	v_not_b32_e32 v1, v1
	v_ashrrev_i32_e32 v1, 31, v1
	v_xor_b32_e32 v38, vcc_hi, v1
	v_xor_b32_e32 v1, vcc_lo, v1
	; wave barrier
	ds_read_b32 v92, v93 offset:8
	v_and_b32_e32 v39, v67, v38
	v_and_b32_e32 v38, v68, v1
	v_mbcnt_lo_u32_b32 v1, v38, 0
	v_mbcnt_hi_u32_b32 v94, v39, v1
	v_cmp_eq_u32_e32 vcc, 0, v94
	v_cmp_ne_u64_e64 s[4:5], 0, v[38:39]
	s_and_b64 s[18:19], s[4:5], vcc
	; wave barrier
	s_and_saveexec_b64 s[4:5], s[18:19]
	s_cbranch_execz .LBB237_54
; %bb.53:
	v_bcnt_u32_b32 v1, v38, 0
	v_bcnt_u32_b32 v1, v39, v1
	s_waitcnt lgkmcnt(0)
	v_add_u32_e32 v1, v92, v1
	ds_write_b32 v93, v1 offset:8
.LBB237_54:
	s_or_b64 exec, exec, s[4:5]
	v_cmp_ne_u16_e32 vcc, s17, v71
	v_cndmask_b32_e32 v1, v41, v71, vcc
	v_and_b32_sdwa v38, s16, v1 dst_sel:DWORD dst_unused:UNUSED_PAD src0_sel:DWORD src1_sel:WORD_0
	v_lshlrev_b32_e32 v1, 1, v38
	v_add_lshl_u32 v96, v66, v1, 2
	v_and_b32_e32 v1, 1, v38
	v_add_co_u32_e32 v39, vcc, -1, v1
	v_addc_co_u32_e64 v41, s[4:5], 0, -1, vcc
	v_cmp_ne_u32_e32 vcc, 0, v1
	v_xor_b32_e32 v1, vcc_hi, v41
	v_and_b32_e32 v41, exec_hi, v1
	v_lshlrev_b32_e32 v1, 30, v38
	v_xor_b32_e32 v39, vcc_lo, v39
	v_cmp_gt_i64_e32 vcc, 0, v[0:1]
	v_not_b32_e32 v1, v1
	v_ashrrev_i32_e32 v1, 31, v1
	v_and_b32_e32 v39, exec_lo, v39
	v_xor_b32_e32 v67, vcc_hi, v1
	v_xor_b32_e32 v1, vcc_lo, v1
	v_and_b32_e32 v39, v39, v1
	v_lshlrev_b32_e32 v1, 29, v38
	v_cmp_gt_i64_e32 vcc, 0, v[0:1]
	v_not_b32_e32 v1, v1
	v_ashrrev_i32_e32 v1, 31, v1
	v_and_b32_e32 v41, v41, v67
	v_xor_b32_e32 v67, vcc_hi, v1
	v_xor_b32_e32 v1, vcc_lo, v1
	v_and_b32_e32 v39, v39, v1
	v_lshlrev_b32_e32 v1, 28, v38
	v_cmp_gt_i64_e32 vcc, 0, v[0:1]
	v_not_b32_e32 v1, v1
	v_ashrrev_i32_e32 v1, 31, v1
	v_and_b32_e32 v41, v41, v67
	;; [unrolled: 8-line block ×5, first 2 shown]
	v_xor_b32_e32 v67, vcc_hi, v1
	v_xor_b32_e32 v1, vcc_lo, v1
	v_and_b32_e32 v39, v39, v1
	v_lshlrev_b32_e32 v1, 24, v38
	v_cmp_gt_i64_e32 vcc, 0, v[0:1]
	v_not_b32_e32 v0, v1
	v_ashrrev_i32_e32 v0, 31, v0
	v_xor_b32_e32 v1, vcc_hi, v0
	v_xor_b32_e32 v0, vcc_lo, v0
	; wave barrier
	ds_read_b32 v95, v96 offset:8
	v_and_b32_e32 v41, v41, v67
	v_and_b32_e32 v0, v39, v0
	;; [unrolled: 1-line block ×3, first 2 shown]
	v_mbcnt_lo_u32_b32 v38, v0, 0
	v_mbcnt_hi_u32_b32 v97, v1, v38
	v_cmp_eq_u32_e32 vcc, 0, v97
	v_cmp_ne_u64_e64 s[4:5], 0, v[0:1]
	s_and_b64 s[18:19], s[4:5], vcc
	; wave barrier
	s_and_saveexec_b64 s[4:5], s[18:19]
	s_cbranch_execz .LBB237_56
; %bb.55:
	v_bcnt_u32_b32 v0, v0, 0
	v_bcnt_u32_b32 v0, v1, v0
	s_waitcnt lgkmcnt(0)
	v_add_u32_e32 v0, v95, v0
	ds_write_b32 v96, v0 offset:8
.LBB237_56:
	s_or_b64 exec, exec, s[4:5]
	v_mov_b32_e32 v41, 0xffff8000
	v_cmp_ne_u16_e32 vcc, s17, v70
	v_cndmask_b32_e32 v0, v41, v70, vcc
	v_and_b32_sdwa v38, s16, v0 dst_sel:DWORD dst_unused:UNUSED_PAD src0_sel:DWORD src1_sel:WORD_0
	v_and_b32_e32 v1, 1, v38
	v_add_co_u32_e32 v39, vcc, -1, v1
	v_addc_co_u32_e64 v67, s[4:5], 0, -1, vcc
	v_cmp_ne_u32_e32 vcc, 0, v1
	v_lshlrev_b32_e32 v0, 1, v38
	v_xor_b32_e32 v1, vcc_hi, v67
	v_add_lshl_u32 v99, v66, v0, 2
	v_mov_b32_e32 v0, 0
	v_and_b32_e32 v67, exec_hi, v1
	v_lshlrev_b32_e32 v1, 30, v38
	v_xor_b32_e32 v39, vcc_lo, v39
	v_cmp_gt_i64_e32 vcc, 0, v[0:1]
	v_not_b32_e32 v1, v1
	v_ashrrev_i32_e32 v1, 31, v1
	v_and_b32_e32 v39, exec_lo, v39
	v_xor_b32_e32 v68, vcc_hi, v1
	v_xor_b32_e32 v1, vcc_lo, v1
	v_and_b32_e32 v39, v39, v1
	v_lshlrev_b32_e32 v1, 29, v38
	v_cmp_gt_i64_e32 vcc, 0, v[0:1]
	v_not_b32_e32 v1, v1
	v_ashrrev_i32_e32 v1, 31, v1
	v_and_b32_e32 v67, v67, v68
	v_xor_b32_e32 v68, vcc_hi, v1
	v_xor_b32_e32 v1, vcc_lo, v1
	v_and_b32_e32 v39, v39, v1
	v_lshlrev_b32_e32 v1, 28, v38
	v_cmp_gt_i64_e32 vcc, 0, v[0:1]
	v_not_b32_e32 v1, v1
	v_ashrrev_i32_e32 v1, 31, v1
	v_and_b32_e32 v67, v67, v68
	;; [unrolled: 8-line block ×5, first 2 shown]
	v_xor_b32_e32 v68, vcc_hi, v1
	v_xor_b32_e32 v1, vcc_lo, v1
	v_and_b32_e32 v67, v67, v68
	v_and_b32_e32 v68, v39, v1
	v_lshlrev_b32_e32 v1, 24, v38
	v_cmp_gt_i64_e32 vcc, 0, v[0:1]
	v_not_b32_e32 v1, v1
	v_ashrrev_i32_e32 v1, 31, v1
	v_xor_b32_e32 v38, vcc_hi, v1
	v_xor_b32_e32 v1, vcc_lo, v1
	; wave barrier
	ds_read_b32 v98, v99 offset:8
	v_and_b32_e32 v39, v67, v38
	v_and_b32_e32 v38, v68, v1
	v_mbcnt_lo_u32_b32 v1, v38, 0
	v_mbcnt_hi_u32_b32 v100, v39, v1
	v_cmp_eq_u32_e32 vcc, 0, v100
	v_cmp_ne_u64_e64 s[4:5], 0, v[38:39]
	s_and_b64 s[18:19], s[4:5], vcc
	; wave barrier
	s_and_saveexec_b64 s[4:5], s[18:19]
	s_cbranch_execz .LBB237_58
; %bb.57:
	v_bcnt_u32_b32 v1, v38, 0
	v_bcnt_u32_b32 v1, v39, v1
	s_waitcnt lgkmcnt(0)
	v_add_u32_e32 v1, v98, v1
	ds_write_b32 v99, v1 offset:8
.LBB237_58:
	s_or_b64 exec, exec, s[4:5]
	v_cmp_ne_u16_e32 vcc, s17, v69
	v_cndmask_b32_e32 v1, v41, v69, vcc
	v_and_b32_sdwa v38, s16, v1 dst_sel:DWORD dst_unused:UNUSED_PAD src0_sel:DWORD src1_sel:WORD_0
	v_lshlrev_b32_e32 v1, 1, v38
	v_add_lshl_u32 v102, v66, v1, 2
	v_and_b32_e32 v1, 1, v38
	v_add_co_u32_e32 v39, vcc, -1, v1
	v_min_u32_e32 v78, 64, v40
	v_addc_co_u32_e64 v40, s[4:5], 0, -1, vcc
	v_cmp_ne_u32_e32 vcc, 0, v1
	v_xor_b32_e32 v1, vcc_hi, v40
	v_and_b32_e32 v40, exec_hi, v1
	v_lshlrev_b32_e32 v1, 30, v38
	v_xor_b32_e32 v39, vcc_lo, v39
	v_cmp_gt_i64_e32 vcc, 0, v[0:1]
	v_not_b32_e32 v1, v1
	v_ashrrev_i32_e32 v1, 31, v1
	v_and_b32_e32 v39, exec_lo, v39
	v_xor_b32_e32 v41, vcc_hi, v1
	v_xor_b32_e32 v1, vcc_lo, v1
	v_and_b32_e32 v39, v39, v1
	v_lshlrev_b32_e32 v1, 29, v38
	v_cmp_gt_i64_e32 vcc, 0, v[0:1]
	v_not_b32_e32 v1, v1
	v_ashrrev_i32_e32 v1, 31, v1
	v_and_b32_e32 v40, v40, v41
	v_xor_b32_e32 v41, vcc_hi, v1
	v_xor_b32_e32 v1, vcc_lo, v1
	v_and_b32_e32 v39, v39, v1
	v_lshlrev_b32_e32 v1, 28, v38
	v_cmp_gt_i64_e32 vcc, 0, v[0:1]
	v_not_b32_e32 v1, v1
	v_ashrrev_i32_e32 v1, 31, v1
	v_and_b32_e32 v40, v40, v41
	;; [unrolled: 8-line block ×5, first 2 shown]
	v_xor_b32_e32 v41, vcc_hi, v1
	v_xor_b32_e32 v1, vcc_lo, v1
	v_and_b32_e32 v39, v39, v1
	v_lshlrev_b32_e32 v1, 24, v38
	v_cmp_gt_i64_e32 vcc, 0, v[0:1]
	v_not_b32_e32 v0, v1
	v_ashrrev_i32_e32 v0, 31, v0
	v_xor_b32_e32 v1, vcc_hi, v0
	v_xor_b32_e32 v0, vcc_lo, v0
	; wave barrier
	ds_read_b32 v101, v102 offset:8
	v_and_b32_e32 v40, v40, v41
	v_and_b32_e32 v0, v39, v0
	v_and_b32_e32 v1, v40, v1
	v_mbcnt_lo_u32_b32 v38, v0, 0
	v_mbcnt_hi_u32_b32 v103, v1, v38
	v_cmp_eq_u32_e32 vcc, 0, v103
	v_cmp_ne_u64_e64 s[4:5], 0, v[0:1]
	v_or_b32_e32 v67, 8, v62
	v_lshrrev_b32_e32 v68, 6, v42
	s_and_b64 s[16:17], s[4:5], vcc
	; wave barrier
	s_and_saveexec_b64 s[4:5], s[16:17]
	s_cbranch_execz .LBB237_60
; %bb.59:
	v_bcnt_u32_b32 v0, v0, 0
	v_bcnt_u32_b32 v0, v1, v0
	s_waitcnt lgkmcnt(0)
	v_add_u32_e32 v0, v101, v0
	ds_write_b32 v102, v0 offset:8
.LBB237_60:
	s_or_b64 exec, exec, s[4:5]
	; wave barrier
	s_waitcnt lgkmcnt(0)
	s_barrier
	ds_read2_b32 v[38:39], v62 offset0:2 offset1:3
	ds_read2_b32 v[40:41], v67 offset0:2 offset1:3
	v_and_b32_e32 v1, 16, v74
	v_cmp_eq_u32_e32 vcc, 0, v1
	v_or_b32_e32 v1, 63, v78
	v_cmp_eq_u32_e64 s[16:17], v1, v42
	s_waitcnt lgkmcnt(1)
	v_add_u32_e32 v1, v39, v38
	v_and_b32_e32 v0, 15, v74
	s_waitcnt lgkmcnt(0)
	v_add3_u32 v1, v1, v40, v41
	v_cmp_eq_u32_e64 s[20:21], 0, v0
	v_cmp_lt_u32_e64 s[22:23], 1, v0
	v_mov_b32_dpp v41, v1 row_shr:1 row_mask:0xf bank_mask:0xf
	v_cndmask_b32_e64 v41, v41, 0, s[20:21]
	v_add_u32_e32 v1, v41, v1
	v_cmp_lt_u32_e64 s[26:27], 3, v0
	v_cmp_lt_u32_e64 s[28:29], 7, v0
	v_mov_b32_dpp v41, v1 row_shr:2 row_mask:0xf bank_mask:0xf
	v_cndmask_b32_e64 v41, 0, v41, s[22:23]
	v_add_u32_e32 v1, v1, v41
	v_bfe_i32 v79, v74, 4, 1
	v_cmp_lt_u32_e64 s[34:35], 31, v74
	v_mov_b32_dpp v41, v1 row_shr:4 row_mask:0xf bank_mask:0xf
	v_cndmask_b32_e64 v41, 0, v41, s[26:27]
	v_add_u32_e32 v1, v1, v41
	v_lshlrev_b32_e32 v68, 2, v68
	s_nop 0
	v_mov_b32_dpp v41, v1 row_shr:8 row_mask:0xf bank_mask:0xf
	v_cndmask_b32_e64 v0, 0, v41, s[28:29]
	v_add_u32_e32 v0, v1, v0
	s_nop 1
	v_mov_b32_dpp v1, v0 row_bcast:15 row_mask:0xf bank_mask:0xf
	v_and_b32_e32 v1, v79, v1
	v_add_u32_e32 v0, v0, v1
	s_nop 1
	v_mov_b32_dpp v1, v0 row_bcast:31 row_mask:0xf bank_mask:0xf
	v_cndmask_b32_e64 v1, 0, v1, s[34:35]
	v_add_u32_e32 v1, v0, v1
	s_and_saveexec_b64 s[4:5], s[16:17]
	s_cbranch_execz .LBB237_62
; %bb.61:
	ds_write_b32 v68, v1
.LBB237_62:
	s_or_b64 exec, exec, s[4:5]
	v_and_b32_e32 v0, 1, v74
	v_cmp_gt_u32_e64 s[24:25], 2, v42
	v_lshlrev_b32_e32 v41, 2, v42
	v_cmp_eq_u32_e64 s[18:19], 0, v0
	s_waitcnt lgkmcnt(0)
	s_barrier
	s_and_saveexec_b64 s[4:5], s[24:25]
	s_cbranch_execz .LBB237_64
; %bb.63:
	ds_read_b32 v0, v41
	s_waitcnt lgkmcnt(0)
	s_nop 0
	v_mov_b32_dpp v78, v0 row_shr:1 row_mask:0xf bank_mask:0xf
	v_cndmask_b32_e64 v78, v78, 0, s[18:19]
	v_add_u32_e32 v0, v78, v0
	ds_write_b32 v41, v0
.LBB237_64:
	s_or_b64 exec, exec, s[4:5]
	v_cmp_lt_u32_e64 s[30:31], 63, v42
	v_add_u32_e32 v78, -4, v68
	v_mov_b32_e32 v0, 0
	v_mov_b32_e32 v104, 0
	s_waitcnt lgkmcnt(0)
	s_barrier
	s_and_saveexec_b64 s[4:5], s[30:31]
	s_cbranch_execz .LBB237_66
; %bb.65:
	ds_read_b32 v104, v78
.LBB237_66:
	s_or_b64 exec, exec, s[4:5]
	v_add_u32_e32 v79, -1, v74
	v_and_b32_e32 v105, 64, v74
	v_cmp_lt_i32_e64 s[4:5], v79, v105
	v_cndmask_b32_e64 v79, v79, v74, s[4:5]
	v_lshlrev_b32_e32 v79, 2, v79
	s_waitcnt lgkmcnt(0)
	v_add_u32_e32 v1, v104, v1
	ds_bpermute_b32 v1, v79, v1
	v_cmp_eq_u32_e64 s[36:37], 0, v74
	v_cmp_eq_u32_e64 s[38:39], 0, v42
	v_and_or_b32 v80, v74, 63, v80
	v_lshlrev_b32_e32 v105, 1, v80
	s_waitcnt lgkmcnt(0)
	v_cndmask_b32_e64 v1, v1, v104, s[36:37]
	v_cndmask_b32_e64 v1, v1, 0, s[38:39]
	v_add_u32_e32 v38, v1, v38
	v_add_u32_e32 v39, v38, v39
	;; [unrolled: 1-line block ×3, first 2 shown]
	ds_write2_b32 v62, v1, v38 offset0:2 offset1:3
	ds_write2_b32 v67, v39, v40 offset0:2 offset1:3
	s_waitcnt lgkmcnt(0)
	s_barrier
	ds_read_b32 v1, v81 offset:8
	ds_read_b32 v38, v84 offset:8
	;; [unrolled: 1-line block ×8, first 2 shown]
	s_waitcnt lgkmcnt(7)
	v_add_u32_e32 v1, v1, v82
	s_waitcnt lgkmcnt(6)
	v_add3_u32 v38, v85, v83, v38
	s_waitcnt lgkmcnt(4)
	v_add3_u32 v82, v91, v89, v40
	v_lshlrev_b32_e32 v40, 1, v1
	v_add3_u32 v39, v88, v86, v39
	s_waitcnt lgkmcnt(0)
	s_barrier
	ds_write_b16 v40, v77
	v_lshlrev_b32_e32 v40, 1, v38
	ds_write_b16 v40, v76
	v_lshlrev_b32_e32 v40, 1, v39
	v_add3_u32 v83, v94, v92, v74
	ds_write_b16 v40, v75
	v_lshlrev_b32_e32 v40, 1, v82
	v_add3_u32 v81, v97, v95, v81
	;; [unrolled: 3-line block ×4, first 2 shown]
	ds_write_b16 v40, v71
	v_lshlrev_b32_e32 v40, 1, v84
	ds_write_b16 v40, v70
	v_lshlrev_b32_e32 v40, 1, v85
	v_lshlrev_b32_e32 v1, 3, v1
	ds_write_b16 v40, v69
	s_waitcnt lgkmcnt(0)
	s_barrier
	ds_read_u16 v75, v105
	ds_read_u16 v74, v105 offset:128
	ds_read_u16 v73, v105 offset:256
	;; [unrolled: 1-line block ×7, first 2 shown]
	s_waitcnt lgkmcnt(0)
	s_barrier
	ds_write_b64 v1, v[34:35]
	v_lshlrev_b32_e32 v1, 3, v38
	ds_write_b64 v1, v[36:37]
	v_lshlrev_b32_e32 v1, 3, v39
	;; [unrolled: 2-line block ×6, first 2 shown]
	s_min_u32 s4, s42, 8
	ds_write_b64 v1, v[22:23]
	v_lshlrev_b32_e32 v1, 3, v85
	s_lshl_b32 s4, -1, s4
	s_movk_i32 s54, 0x7fff
	ds_write_b64 v1, v[24:25]
	s_not_b32 s53, s4
	v_lshrrev_b16_e32 v1, 8, v75
	v_mov_b32_e32 v38, 0x80
	v_cmp_ne_u16_e64 s[4:5], s54, v75
	v_cndmask_b32_e64 v1, v38, v1, s[4:5]
	v_and_b32_sdwa v39, v1, s53 dst_sel:DWORD dst_unused:UNUSED_PAD src0_sel:WORD_0 src1_sel:DWORD
	v_lshlrev_b32_e32 v1, 1, v39
	v_add_lshl_u32 v76, v1, v66, 2
	v_and_b32_e32 v1, 1, v39
	v_lshlrev_b32_e32 v80, 3, v80
	v_add_co_u32_e64 v77, s[4:5], -1, v1
	s_waitcnt lgkmcnt(0)
	s_barrier
	ds_read2st64_b64 v[34:37], v80 offset1:1
	ds_read2st64_b64 v[30:33], v80 offset0:2 offset1:3
	ds_read2st64_b64 v[26:29], v80 offset0:4 offset1:5
	;; [unrolled: 1-line block ×3, first 2 shown]
	v_addc_co_u32_e64 v80, s[4:5], 0, -1, s[4:5]
	v_cmp_ne_u32_e64 s[4:5], 0, v1
	v_xor_b32_e32 v1, s5, v80
	v_and_b32_e32 v80, exec_hi, v1
	v_lshlrev_b32_e32 v1, 30, v39
	v_xor_b32_e32 v77, s4, v77
	v_cmp_gt_i64_e64 s[4:5], 0, v[0:1]
	v_not_b32_e32 v1, v1
	v_ashrrev_i32_e32 v1, 31, v1
	v_and_b32_e32 v77, exec_lo, v77
	v_xor_b32_e32 v81, s5, v1
	v_xor_b32_e32 v1, s4, v1
	v_and_b32_e32 v77, v77, v1
	v_lshlrev_b32_e32 v1, 29, v39
	v_cmp_gt_i64_e64 s[4:5], 0, v[0:1]
	v_not_b32_e32 v1, v1
	v_ashrrev_i32_e32 v1, 31, v1
	v_and_b32_e32 v80, v80, v81
	v_xor_b32_e32 v81, s5, v1
	v_xor_b32_e32 v1, s4, v1
	v_and_b32_e32 v77, v77, v1
	v_lshlrev_b32_e32 v1, 28, v39
	v_cmp_gt_i64_e64 s[4:5], 0, v[0:1]
	v_not_b32_e32 v1, v1
	v_ashrrev_i32_e32 v1, 31, v1
	v_and_b32_e32 v80, v80, v81
	;; [unrolled: 8-line block ×5, first 2 shown]
	v_xor_b32_e32 v81, s5, v1
	v_xor_b32_e32 v1, s4, v1
	v_and_b32_e32 v77, v77, v1
	v_lshlrev_b32_e32 v1, 24, v39
	s_waitcnt lgkmcnt(0)
	s_barrier
	ds_write2_b32 v62, v0, v0 offset0:2 offset1:3
	ds_write2_b32 v67, v0, v0 offset0:2 offset1:3
	v_cmp_gt_i64_e64 s[4:5], 0, v[0:1]
	v_not_b32_e32 v0, v1
	v_ashrrev_i32_e32 v0, 31, v0
	v_xor_b32_e32 v1, s5, v0
	v_xor_b32_e32 v0, s4, v0
	v_and_b32_e32 v80, v80, v81
	v_and_b32_e32 v0, v77, v0
	;; [unrolled: 1-line block ×3, first 2 shown]
	v_mbcnt_lo_u32_b32 v39, v0, 0
	v_mbcnt_hi_u32_b32 v77, v1, v39
	v_cmp_eq_u32_e64 s[4:5], 0, v77
	v_cmp_ne_u64_e64 s[42:43], 0, v[0:1]
	s_and_b64 s[42:43], s[42:43], s[4:5]
	s_waitcnt lgkmcnt(0)
	s_barrier
	s_waitcnt lgkmcnt(0)
	; wave barrier
	s_and_saveexec_b64 s[4:5], s[42:43]
	s_cbranch_execz .LBB237_68
; %bb.67:
	v_bcnt_u32_b32 v0, v0, 0
	v_bcnt_u32_b32 v0, v1, v0
	ds_write_b32 v76, v0 offset:8
.LBB237_68:
	s_or_b64 exec, exec, s[4:5]
	v_lshrrev_b16_e32 v0, 8, v74
	v_cmp_ne_u16_e64 s[4:5], s54, v74
	v_cndmask_b32_e64 v0, v38, v0, s[4:5]
	v_and_b32_e32 v38, s53, v0
	v_and_b32_e32 v1, 1, v38
	v_add_co_u32_e64 v39, s[4:5], -1, v1
	v_addc_co_u32_e64 v82, s[4:5], 0, -1, s[4:5]
	v_cmp_ne_u32_e64 s[4:5], 0, v1
	v_lshlrev_b32_e32 v0, 1, v38
	v_xor_b32_e32 v1, s5, v82
	v_add_lshl_u32 v81, v0, v66, 2
	v_mov_b32_e32 v0, 0
	v_and_b32_e32 v82, exec_hi, v1
	v_lshlrev_b32_e32 v1, 30, v38
	v_xor_b32_e32 v39, s4, v39
	v_cmp_gt_i64_e64 s[4:5], 0, v[0:1]
	v_not_b32_e32 v1, v1
	v_ashrrev_i32_e32 v1, 31, v1
	v_and_b32_e32 v39, exec_lo, v39
	v_xor_b32_e32 v83, s5, v1
	v_xor_b32_e32 v1, s4, v1
	v_and_b32_e32 v39, v39, v1
	v_lshlrev_b32_e32 v1, 29, v38
	v_cmp_gt_i64_e64 s[4:5], 0, v[0:1]
	v_not_b32_e32 v1, v1
	v_ashrrev_i32_e32 v1, 31, v1
	v_and_b32_e32 v82, v82, v83
	v_xor_b32_e32 v83, s5, v1
	v_xor_b32_e32 v1, s4, v1
	v_and_b32_e32 v39, v39, v1
	v_lshlrev_b32_e32 v1, 28, v38
	v_cmp_gt_i64_e64 s[4:5], 0, v[0:1]
	v_not_b32_e32 v1, v1
	v_ashrrev_i32_e32 v1, 31, v1
	v_and_b32_e32 v82, v82, v83
	;; [unrolled: 8-line block ×5, first 2 shown]
	v_xor_b32_e32 v83, s5, v1
	v_xor_b32_e32 v1, s4, v1
	v_and_b32_e32 v82, v82, v83
	v_and_b32_e32 v83, v39, v1
	v_lshlrev_b32_e32 v1, 24, v38
	v_cmp_gt_i64_e64 s[4:5], 0, v[0:1]
	v_not_b32_e32 v1, v1
	v_ashrrev_i32_e32 v1, 31, v1
	v_xor_b32_e32 v38, s5, v1
	v_xor_b32_e32 v1, s4, v1
	; wave barrier
	ds_read_b32 v80, v81 offset:8
	v_and_b32_e32 v39, v82, v38
	v_and_b32_e32 v38, v83, v1
	v_mbcnt_lo_u32_b32 v1, v38, 0
	v_mbcnt_hi_u32_b32 v82, v39, v1
	v_cmp_eq_u32_e64 s[4:5], 0, v82
	v_cmp_ne_u64_e64 s[42:43], 0, v[38:39]
	s_and_b64 s[42:43], s[42:43], s[4:5]
	; wave barrier
	s_and_saveexec_b64 s[4:5], s[42:43]
	s_cbranch_execz .LBB237_70
; %bb.69:
	v_bcnt_u32_b32 v1, v38, 0
	v_bcnt_u32_b32 v1, v39, v1
	s_waitcnt lgkmcnt(0)
	v_add_u32_e32 v1, v80, v1
	ds_write_b32 v81, v1 offset:8
.LBB237_70:
	s_or_b64 exec, exec, s[4:5]
	v_lshrrev_b16_e32 v1, 8, v73
	v_mov_b32_e32 v38, 0x80
	v_cmp_ne_u16_e64 s[4:5], s54, v73
	v_cndmask_b32_e64 v1, v38, v1, s[4:5]
	v_and_b32_e32 v39, s53, v1
	v_lshlrev_b32_e32 v1, 1, v39
	v_add_lshl_u32 v84, v1, v66, 2
	v_and_b32_e32 v1, 1, v39
	v_add_co_u32_e64 v85, s[4:5], -1, v1
	v_addc_co_u32_e64 v86, s[4:5], 0, -1, s[4:5]
	v_cmp_ne_u32_e64 s[4:5], 0, v1
	v_xor_b32_e32 v1, s5, v86
	v_and_b32_e32 v86, exec_hi, v1
	v_lshlrev_b32_e32 v1, 30, v39
	v_xor_b32_e32 v85, s4, v85
	v_cmp_gt_i64_e64 s[4:5], 0, v[0:1]
	v_not_b32_e32 v1, v1
	v_ashrrev_i32_e32 v1, 31, v1
	v_and_b32_e32 v85, exec_lo, v85
	v_xor_b32_e32 v87, s5, v1
	v_xor_b32_e32 v1, s4, v1
	v_and_b32_e32 v85, v85, v1
	v_lshlrev_b32_e32 v1, 29, v39
	v_cmp_gt_i64_e64 s[4:5], 0, v[0:1]
	v_not_b32_e32 v1, v1
	v_ashrrev_i32_e32 v1, 31, v1
	v_and_b32_e32 v86, v86, v87
	v_xor_b32_e32 v87, s5, v1
	v_xor_b32_e32 v1, s4, v1
	v_and_b32_e32 v85, v85, v1
	v_lshlrev_b32_e32 v1, 28, v39
	v_cmp_gt_i64_e64 s[4:5], 0, v[0:1]
	v_not_b32_e32 v1, v1
	v_ashrrev_i32_e32 v1, 31, v1
	v_and_b32_e32 v86, v86, v87
	v_xor_b32_e32 v87, s5, v1
	v_xor_b32_e32 v1, s4, v1
	v_and_b32_e32 v85, v85, v1
	v_lshlrev_b32_e32 v1, 27, v39
	v_cmp_gt_i64_e64 s[4:5], 0, v[0:1]
	v_not_b32_e32 v1, v1
	v_ashrrev_i32_e32 v1, 31, v1
	v_and_b32_e32 v86, v86, v87
	v_xor_b32_e32 v87, s5, v1
	v_xor_b32_e32 v1, s4, v1
	v_and_b32_e32 v85, v85, v1
	v_lshlrev_b32_e32 v1, 26, v39
	v_cmp_gt_i64_e64 s[4:5], 0, v[0:1]
	v_not_b32_e32 v1, v1
	v_ashrrev_i32_e32 v1, 31, v1
	v_and_b32_e32 v86, v86, v87
	v_xor_b32_e32 v87, s5, v1
	v_xor_b32_e32 v1, s4, v1
	v_and_b32_e32 v85, v85, v1
	v_lshlrev_b32_e32 v1, 25, v39
	v_cmp_gt_i64_e64 s[4:5], 0, v[0:1]
	v_not_b32_e32 v1, v1
	v_ashrrev_i32_e32 v1, 31, v1
	v_and_b32_e32 v86, v86, v87
	v_xor_b32_e32 v87, s5, v1
	v_xor_b32_e32 v1, s4, v1
	v_and_b32_e32 v85, v85, v1
	v_lshlrev_b32_e32 v1, 24, v39
	v_cmp_gt_i64_e64 s[4:5], 0, v[0:1]
	v_not_b32_e32 v0, v1
	v_ashrrev_i32_e32 v0, 31, v0
	v_xor_b32_e32 v1, s5, v0
	v_xor_b32_e32 v0, s4, v0
	; wave barrier
	ds_read_b32 v83, v84 offset:8
	v_and_b32_e32 v86, v86, v87
	v_and_b32_e32 v0, v85, v0
	;; [unrolled: 1-line block ×3, first 2 shown]
	v_mbcnt_lo_u32_b32 v39, v0, 0
	v_mbcnt_hi_u32_b32 v85, v1, v39
	v_cmp_eq_u32_e64 s[4:5], 0, v85
	v_cmp_ne_u64_e64 s[42:43], 0, v[0:1]
	s_and_b64 s[42:43], s[42:43], s[4:5]
	; wave barrier
	s_and_saveexec_b64 s[4:5], s[42:43]
	s_cbranch_execz .LBB237_72
; %bb.71:
	v_bcnt_u32_b32 v0, v0, 0
	v_bcnt_u32_b32 v0, v1, v0
	s_waitcnt lgkmcnt(0)
	v_add_u32_e32 v0, v83, v0
	ds_write_b32 v84, v0 offset:8
.LBB237_72:
	s_or_b64 exec, exec, s[4:5]
	v_lshrrev_b16_e32 v0, 8, v72
	v_cmp_ne_u16_e64 s[4:5], s54, v72
	v_cndmask_b32_e64 v0, v38, v0, s[4:5]
	v_and_b32_e32 v38, s53, v0
	v_and_b32_e32 v1, 1, v38
	v_add_co_u32_e64 v39, s[4:5], -1, v1
	v_addc_co_u32_e64 v88, s[4:5], 0, -1, s[4:5]
	v_cmp_ne_u32_e64 s[4:5], 0, v1
	v_lshlrev_b32_e32 v0, 1, v38
	v_xor_b32_e32 v1, s5, v88
	v_add_lshl_u32 v87, v0, v66, 2
	v_mov_b32_e32 v0, 0
	v_and_b32_e32 v88, exec_hi, v1
	v_lshlrev_b32_e32 v1, 30, v38
	v_xor_b32_e32 v39, s4, v39
	v_cmp_gt_i64_e64 s[4:5], 0, v[0:1]
	v_not_b32_e32 v1, v1
	v_ashrrev_i32_e32 v1, 31, v1
	v_and_b32_e32 v39, exec_lo, v39
	v_xor_b32_e32 v89, s5, v1
	v_xor_b32_e32 v1, s4, v1
	v_and_b32_e32 v39, v39, v1
	v_lshlrev_b32_e32 v1, 29, v38
	v_cmp_gt_i64_e64 s[4:5], 0, v[0:1]
	v_not_b32_e32 v1, v1
	v_ashrrev_i32_e32 v1, 31, v1
	v_and_b32_e32 v88, v88, v89
	v_xor_b32_e32 v89, s5, v1
	v_xor_b32_e32 v1, s4, v1
	v_and_b32_e32 v39, v39, v1
	v_lshlrev_b32_e32 v1, 28, v38
	v_cmp_gt_i64_e64 s[4:5], 0, v[0:1]
	v_not_b32_e32 v1, v1
	v_ashrrev_i32_e32 v1, 31, v1
	v_and_b32_e32 v88, v88, v89
	;; [unrolled: 8-line block ×5, first 2 shown]
	v_xor_b32_e32 v89, s5, v1
	v_xor_b32_e32 v1, s4, v1
	v_and_b32_e32 v88, v88, v89
	v_and_b32_e32 v89, v39, v1
	v_lshlrev_b32_e32 v1, 24, v38
	v_cmp_gt_i64_e64 s[4:5], 0, v[0:1]
	v_not_b32_e32 v1, v1
	v_ashrrev_i32_e32 v1, 31, v1
	v_xor_b32_e32 v38, s5, v1
	v_xor_b32_e32 v1, s4, v1
	; wave barrier
	ds_read_b32 v86, v87 offset:8
	v_and_b32_e32 v39, v88, v38
	v_and_b32_e32 v38, v89, v1
	v_mbcnt_lo_u32_b32 v1, v38, 0
	v_mbcnt_hi_u32_b32 v88, v39, v1
	v_cmp_eq_u32_e64 s[4:5], 0, v88
	v_cmp_ne_u64_e64 s[42:43], 0, v[38:39]
	s_and_b64 s[42:43], s[42:43], s[4:5]
	; wave barrier
	s_and_saveexec_b64 s[4:5], s[42:43]
	s_cbranch_execz .LBB237_74
; %bb.73:
	v_bcnt_u32_b32 v1, v38, 0
	v_bcnt_u32_b32 v1, v39, v1
	s_waitcnt lgkmcnt(0)
	v_add_u32_e32 v1, v86, v1
	ds_write_b32 v87, v1 offset:8
.LBB237_74:
	s_or_b64 exec, exec, s[4:5]
	v_lshrrev_b16_e32 v1, 8, v71
	v_mov_b32_e32 v38, 0x80
	v_cmp_ne_u16_e64 s[4:5], s54, v71
	v_cndmask_b32_e64 v1, v38, v1, s[4:5]
	v_and_b32_e32 v39, s53, v1
	v_lshlrev_b32_e32 v1, 1, v39
	v_add_lshl_u32 v90, v1, v66, 2
	v_and_b32_e32 v1, 1, v39
	v_add_co_u32_e64 v91, s[4:5], -1, v1
	v_addc_co_u32_e64 v92, s[4:5], 0, -1, s[4:5]
	v_cmp_ne_u32_e64 s[4:5], 0, v1
	v_xor_b32_e32 v1, s5, v92
	v_and_b32_e32 v92, exec_hi, v1
	v_lshlrev_b32_e32 v1, 30, v39
	v_xor_b32_e32 v91, s4, v91
	v_cmp_gt_i64_e64 s[4:5], 0, v[0:1]
	v_not_b32_e32 v1, v1
	v_ashrrev_i32_e32 v1, 31, v1
	v_and_b32_e32 v91, exec_lo, v91
	v_xor_b32_e32 v93, s5, v1
	v_xor_b32_e32 v1, s4, v1
	v_and_b32_e32 v91, v91, v1
	v_lshlrev_b32_e32 v1, 29, v39
	v_cmp_gt_i64_e64 s[4:5], 0, v[0:1]
	v_not_b32_e32 v1, v1
	v_ashrrev_i32_e32 v1, 31, v1
	v_and_b32_e32 v92, v92, v93
	v_xor_b32_e32 v93, s5, v1
	v_xor_b32_e32 v1, s4, v1
	v_and_b32_e32 v91, v91, v1
	v_lshlrev_b32_e32 v1, 28, v39
	v_cmp_gt_i64_e64 s[4:5], 0, v[0:1]
	v_not_b32_e32 v1, v1
	v_ashrrev_i32_e32 v1, 31, v1
	v_and_b32_e32 v92, v92, v93
	;; [unrolled: 8-line block ×5, first 2 shown]
	v_xor_b32_e32 v93, s5, v1
	v_xor_b32_e32 v1, s4, v1
	v_and_b32_e32 v91, v91, v1
	v_lshlrev_b32_e32 v1, 24, v39
	v_cmp_gt_i64_e64 s[4:5], 0, v[0:1]
	v_not_b32_e32 v0, v1
	v_ashrrev_i32_e32 v0, 31, v0
	v_xor_b32_e32 v1, s5, v0
	v_xor_b32_e32 v0, s4, v0
	; wave barrier
	ds_read_b32 v89, v90 offset:8
	v_and_b32_e32 v92, v92, v93
	v_and_b32_e32 v0, v91, v0
	;; [unrolled: 1-line block ×3, first 2 shown]
	v_mbcnt_lo_u32_b32 v39, v0, 0
	v_mbcnt_hi_u32_b32 v91, v1, v39
	v_cmp_eq_u32_e64 s[4:5], 0, v91
	v_cmp_ne_u64_e64 s[42:43], 0, v[0:1]
	s_and_b64 s[42:43], s[42:43], s[4:5]
	; wave barrier
	s_and_saveexec_b64 s[4:5], s[42:43]
	s_cbranch_execz .LBB237_76
; %bb.75:
	v_bcnt_u32_b32 v0, v0, 0
	v_bcnt_u32_b32 v0, v1, v0
	s_waitcnt lgkmcnt(0)
	v_add_u32_e32 v0, v89, v0
	ds_write_b32 v90, v0 offset:8
.LBB237_76:
	s_or_b64 exec, exec, s[4:5]
	v_lshrrev_b16_e32 v0, 8, v70
	v_cmp_ne_u16_e64 s[4:5], s54, v70
	v_cndmask_b32_e64 v0, v38, v0, s[4:5]
	v_and_b32_e32 v38, s53, v0
	v_and_b32_e32 v1, 1, v38
	v_add_co_u32_e64 v39, s[4:5], -1, v1
	v_addc_co_u32_e64 v94, s[4:5], 0, -1, s[4:5]
	v_cmp_ne_u32_e64 s[4:5], 0, v1
	v_lshlrev_b32_e32 v0, 1, v38
	v_xor_b32_e32 v1, s5, v94
	v_add_lshl_u32 v93, v0, v66, 2
	v_mov_b32_e32 v0, 0
	v_and_b32_e32 v94, exec_hi, v1
	v_lshlrev_b32_e32 v1, 30, v38
	v_xor_b32_e32 v39, s4, v39
	v_cmp_gt_i64_e64 s[4:5], 0, v[0:1]
	v_not_b32_e32 v1, v1
	v_ashrrev_i32_e32 v1, 31, v1
	v_and_b32_e32 v39, exec_lo, v39
	v_xor_b32_e32 v95, s5, v1
	v_xor_b32_e32 v1, s4, v1
	v_and_b32_e32 v39, v39, v1
	v_lshlrev_b32_e32 v1, 29, v38
	v_cmp_gt_i64_e64 s[4:5], 0, v[0:1]
	v_not_b32_e32 v1, v1
	v_ashrrev_i32_e32 v1, 31, v1
	v_and_b32_e32 v94, v94, v95
	v_xor_b32_e32 v95, s5, v1
	v_xor_b32_e32 v1, s4, v1
	v_and_b32_e32 v39, v39, v1
	v_lshlrev_b32_e32 v1, 28, v38
	v_cmp_gt_i64_e64 s[4:5], 0, v[0:1]
	v_not_b32_e32 v1, v1
	v_ashrrev_i32_e32 v1, 31, v1
	v_and_b32_e32 v94, v94, v95
	;; [unrolled: 8-line block ×5, first 2 shown]
	v_xor_b32_e32 v95, s5, v1
	v_xor_b32_e32 v1, s4, v1
	v_and_b32_e32 v94, v94, v95
	v_and_b32_e32 v95, v39, v1
	v_lshlrev_b32_e32 v1, 24, v38
	v_cmp_gt_i64_e64 s[4:5], 0, v[0:1]
	v_not_b32_e32 v1, v1
	v_ashrrev_i32_e32 v1, 31, v1
	v_xor_b32_e32 v38, s5, v1
	v_xor_b32_e32 v1, s4, v1
	; wave barrier
	ds_read_b32 v92, v93 offset:8
	v_and_b32_e32 v39, v94, v38
	v_and_b32_e32 v38, v95, v1
	v_mbcnt_lo_u32_b32 v1, v38, 0
	v_mbcnt_hi_u32_b32 v94, v39, v1
	v_cmp_eq_u32_e64 s[4:5], 0, v94
	v_cmp_ne_u64_e64 s[42:43], 0, v[38:39]
	s_and_b64 s[42:43], s[42:43], s[4:5]
	; wave barrier
	s_and_saveexec_b64 s[4:5], s[42:43]
	s_cbranch_execz .LBB237_78
; %bb.77:
	v_bcnt_u32_b32 v1, v38, 0
	v_bcnt_u32_b32 v1, v39, v1
	s_waitcnt lgkmcnt(0)
	v_add_u32_e32 v1, v92, v1
	ds_write_b32 v93, v1 offset:8
.LBB237_78:
	s_or_b64 exec, exec, s[4:5]
	v_lshrrev_b16_e32 v1, 8, v69
	v_mov_b32_e32 v38, 0x80
	v_cmp_ne_u16_e64 s[4:5], s54, v69
	v_cndmask_b32_e64 v1, v38, v1, s[4:5]
	v_and_b32_e32 v39, s53, v1
	v_lshlrev_b32_e32 v1, 1, v39
	v_add_lshl_u32 v96, v1, v66, 2
	v_and_b32_e32 v1, 1, v39
	v_add_co_u32_e64 v97, s[4:5], -1, v1
	v_addc_co_u32_e64 v98, s[4:5], 0, -1, s[4:5]
	v_cmp_ne_u32_e64 s[4:5], 0, v1
	v_xor_b32_e32 v1, s5, v98
	v_and_b32_e32 v98, exec_hi, v1
	v_lshlrev_b32_e32 v1, 30, v39
	v_xor_b32_e32 v97, s4, v97
	v_cmp_gt_i64_e64 s[4:5], 0, v[0:1]
	v_not_b32_e32 v1, v1
	v_ashrrev_i32_e32 v1, 31, v1
	v_and_b32_e32 v97, exec_lo, v97
	v_xor_b32_e32 v99, s5, v1
	v_xor_b32_e32 v1, s4, v1
	v_and_b32_e32 v97, v97, v1
	v_lshlrev_b32_e32 v1, 29, v39
	v_cmp_gt_i64_e64 s[4:5], 0, v[0:1]
	v_not_b32_e32 v1, v1
	v_ashrrev_i32_e32 v1, 31, v1
	v_and_b32_e32 v98, v98, v99
	v_xor_b32_e32 v99, s5, v1
	v_xor_b32_e32 v1, s4, v1
	v_and_b32_e32 v97, v97, v1
	v_lshlrev_b32_e32 v1, 28, v39
	v_cmp_gt_i64_e64 s[4:5], 0, v[0:1]
	v_not_b32_e32 v1, v1
	v_ashrrev_i32_e32 v1, 31, v1
	v_and_b32_e32 v98, v98, v99
	;; [unrolled: 8-line block ×5, first 2 shown]
	v_xor_b32_e32 v99, s5, v1
	v_xor_b32_e32 v1, s4, v1
	v_and_b32_e32 v97, v97, v1
	v_lshlrev_b32_e32 v1, 24, v39
	v_cmp_gt_i64_e64 s[4:5], 0, v[0:1]
	v_not_b32_e32 v0, v1
	v_ashrrev_i32_e32 v0, 31, v0
	v_xor_b32_e32 v1, s5, v0
	v_xor_b32_e32 v0, s4, v0
	; wave barrier
	ds_read_b32 v95, v96 offset:8
	v_and_b32_e32 v98, v98, v99
	v_and_b32_e32 v0, v97, v0
	;; [unrolled: 1-line block ×3, first 2 shown]
	v_mbcnt_lo_u32_b32 v39, v0, 0
	v_mbcnt_hi_u32_b32 v97, v1, v39
	v_cmp_eq_u32_e64 s[4:5], 0, v97
	v_cmp_ne_u64_e64 s[42:43], 0, v[0:1]
	s_and_b64 s[42:43], s[42:43], s[4:5]
	; wave barrier
	s_and_saveexec_b64 s[4:5], s[42:43]
	s_cbranch_execz .LBB237_80
; %bb.79:
	v_bcnt_u32_b32 v0, v0, 0
	v_bcnt_u32_b32 v0, v1, v0
	s_waitcnt lgkmcnt(0)
	v_add_u32_e32 v0, v95, v0
	ds_write_b32 v96, v0 offset:8
.LBB237_80:
	s_or_b64 exec, exec, s[4:5]
	v_lshrrev_b16_e32 v0, 8, v40
	v_cmp_ne_u16_e64 s[4:5], s54, v40
	v_cndmask_b32_e64 v0, v38, v0, s[4:5]
	v_and_b32_e32 v38, s53, v0
	v_and_b32_e32 v1, 1, v38
	v_add_co_u32_e64 v39, s[4:5], -1, v1
	v_addc_co_u32_e64 v99, s[4:5], 0, -1, s[4:5]
	v_cmp_ne_u32_e64 s[4:5], 0, v1
	v_lshlrev_b32_e32 v0, 1, v38
	v_xor_b32_e32 v1, s5, v99
	v_add_lshl_u32 v98, v0, v66, 2
	v_mov_b32_e32 v0, 0
	v_and_b32_e32 v99, exec_hi, v1
	v_lshlrev_b32_e32 v1, 30, v38
	v_xor_b32_e32 v39, s4, v39
	v_cmp_gt_i64_e64 s[4:5], 0, v[0:1]
	v_not_b32_e32 v1, v1
	v_ashrrev_i32_e32 v1, 31, v1
	v_and_b32_e32 v39, exec_lo, v39
	v_xor_b32_e32 v100, s5, v1
	v_xor_b32_e32 v1, s4, v1
	v_and_b32_e32 v39, v39, v1
	v_lshlrev_b32_e32 v1, 29, v38
	v_cmp_gt_i64_e64 s[4:5], 0, v[0:1]
	v_not_b32_e32 v1, v1
	v_ashrrev_i32_e32 v1, 31, v1
	v_and_b32_e32 v99, v99, v100
	v_xor_b32_e32 v100, s5, v1
	v_xor_b32_e32 v1, s4, v1
	v_and_b32_e32 v39, v39, v1
	v_lshlrev_b32_e32 v1, 28, v38
	v_cmp_gt_i64_e64 s[4:5], 0, v[0:1]
	v_not_b32_e32 v1, v1
	v_ashrrev_i32_e32 v1, 31, v1
	v_and_b32_e32 v99, v99, v100
	;; [unrolled: 8-line block ×5, first 2 shown]
	v_xor_b32_e32 v100, s5, v1
	v_xor_b32_e32 v1, s4, v1
	v_and_b32_e32 v39, v39, v1
	v_lshlrev_b32_e32 v1, 24, v38
	v_cmp_gt_i64_e64 s[4:5], 0, v[0:1]
	v_not_b32_e32 v0, v1
	v_ashrrev_i32_e32 v0, 31, v0
	v_xor_b32_e32 v1, s5, v0
	v_xor_b32_e32 v0, s4, v0
	; wave barrier
	ds_read_b32 v66, v98 offset:8
	v_and_b32_e32 v99, v99, v100
	v_and_b32_e32 v0, v39, v0
	v_and_b32_e32 v1, v99, v1
	v_mbcnt_lo_u32_b32 v38, v0, 0
	v_mbcnt_hi_u32_b32 v99, v1, v38
	v_cmp_eq_u32_e64 s[4:5], 0, v99
	v_cmp_ne_u64_e64 s[42:43], 0, v[0:1]
	s_and_b64 s[42:43], s[42:43], s[4:5]
	; wave barrier
	s_and_saveexec_b64 s[4:5], s[42:43]
	s_cbranch_execz .LBB237_82
; %bb.81:
	v_bcnt_u32_b32 v0, v0, 0
	v_bcnt_u32_b32 v0, v1, v0
	s_waitcnt lgkmcnt(0)
	v_add_u32_e32 v0, v66, v0
	ds_write_b32 v98, v0 offset:8
.LBB237_82:
	s_or_b64 exec, exec, s[4:5]
	; wave barrier
	s_waitcnt lgkmcnt(0)
	s_barrier
	ds_read2_b32 v[38:39], v62 offset0:2 offset1:3
	ds_read2_b32 v[0:1], v67 offset0:2 offset1:3
	s_waitcnt lgkmcnt(1)
	v_add_u32_e32 v100, v39, v38
	s_waitcnt lgkmcnt(0)
	v_add3_u32 v1, v100, v0, v1
	s_nop 1
	v_mov_b32_dpp v100, v1 row_shr:1 row_mask:0xf bank_mask:0xf
	v_cndmask_b32_e64 v100, v100, 0, s[20:21]
	v_add_u32_e32 v1, v100, v1
	s_nop 1
	v_mov_b32_dpp v100, v1 row_shr:2 row_mask:0xf bank_mask:0xf
	v_cndmask_b32_e64 v100, 0, v100, s[22:23]
	v_add_u32_e32 v1, v1, v100
	;; [unrolled: 4-line block ×4, first 2 shown]
	s_nop 1
	v_mov_b32_dpp v100, v1 row_bcast:15 row_mask:0xf bank_mask:0xf
	v_cndmask_b32_e64 v100, v100, 0, vcc
	v_add_u32_e32 v1, v1, v100
	s_nop 1
	v_mov_b32_dpp v100, v1 row_bcast:31 row_mask:0xf bank_mask:0xf
	v_cndmask_b32_e64 v100, 0, v100, s[34:35]
	v_add_u32_e32 v100, v1, v100
	s_and_saveexec_b64 s[4:5], s[16:17]
	s_cbranch_execz .LBB237_84
; %bb.83:
	ds_write_b32 v68, v100
.LBB237_84:
	s_or_b64 exec, exec, s[4:5]
	s_waitcnt lgkmcnt(0)
	s_barrier
	s_and_saveexec_b64 s[4:5], s[24:25]
	s_cbranch_execz .LBB237_86
; %bb.85:
	ds_read_b32 v1, v41
	s_waitcnt lgkmcnt(0)
	s_nop 0
	v_mov_b32_dpp v68, v1 row_shr:1 row_mask:0xf bank_mask:0xf
	v_cndmask_b32_e64 v68, v68, 0, s[18:19]
	v_add_u32_e32 v1, v68, v1
	ds_write_b32 v41, v1
.LBB237_86:
	s_or_b64 exec, exec, s[4:5]
	v_mov_b32_e32 v1, 0
	v_mov_b32_e32 v41, 0
	s_waitcnt lgkmcnt(0)
	s_barrier
	s_and_saveexec_b64 s[4:5], s[30:31]
	s_cbranch_execz .LBB237_88
; %bb.87:
	ds_read_b32 v41, v78
.LBB237_88:
	s_or_b64 exec, exec, s[4:5]
	s_waitcnt lgkmcnt(0)
	v_add_u32_e32 v68, v41, v100
	ds_bpermute_b32 v68, v79, v68
	s_mov_b32 s16, 0x5040100
	s_waitcnt lgkmcnt(0)
	v_cndmask_b32_e64 v41, v68, v41, s[36:37]
	v_cndmask_b32_e64 v41, v41, 0, s[38:39]
	v_add_u32_e32 v38, v41, v38
	v_add_u32_e32 v39, v38, v39
	;; [unrolled: 1-line block ×3, first 2 shown]
	ds_write2_b32 v62, v41, v38 offset0:2 offset1:3
	ds_write2_b32 v67, v39, v0 offset0:2 offset1:3
	s_waitcnt lgkmcnt(0)
	s_barrier
	ds_read_b32 v0, v98 offset:8
	ds_read_b32 v38, v96 offset:8
	;; [unrolled: 1-line block ×4, first 2 shown]
	s_waitcnt lgkmcnt(3)
	v_add3_u32 v0, v99, v66, v0
	ds_read_b32 v66, v87 offset:8
	ds_read_b32 v67, v84 offset:8
	;; [unrolled: 1-line block ×4, first 2 shown]
	s_waitcnt lgkmcnt(0)
	s_barrier
	v_add3_u32 v67, v85, v83, v67
	v_add3_u32 v68, v82, v80, v68
	v_add_u32_e32 v76, v76, v77
	v_lshlrev_b32_e32 v77, 1, v76
	ds_write_b16 v77, v75
	v_lshlrev_b32_e32 v75, 1, v68
	v_add3_u32 v66, v88, v86, v66
	ds_write_b16 v75, v74
	v_lshlrev_b32_e32 v74, 1, v67
	v_add3_u32 v41, v91, v89, v41
	;; [unrolled: 3-line block ×4, first 2 shown]
	ds_write_b16 v72, v71
	v_lshlrev_b32_e32 v71, 1, v39
	ds_write_b16 v71, v70
	v_lshlrev_b32_e32 v70, 1, v38
	;; [unrolled: 2-line block ×4, first 2 shown]
	s_waitcnt lgkmcnt(0)
	s_barrier
	v_lshlrev_b32_e32 v70, 3, v41
	v_lshlrev_b32_e32 v71, 3, v39
	;; [unrolled: 1-line block ×3, first 2 shown]
	ds_read_b128 v[38:41], v40
	v_mov_b32_e32 v75, 0xffff8000
	v_lshlrev_b32_e32 v69, 3, v76
	v_lshlrev_b32_e32 v73, 3, v60
	;; [unrolled: 1-line block ×3, first 2 shown]
	s_waitcnt lgkmcnt(0)
	v_cmp_lt_i16_sdwa vcc, v38, v1 src0_sel:WORD_1 src1_sel:DWORD
	v_cndmask_b32_e32 v76, -1, v75, vcc
	v_cmp_gt_i16_e32 vcc, 0, v38
	v_lshlrev_b32_e32 v67, 3, v67
	v_lshlrev_b32_e32 v66, 3, v66
	;; [unrolled: 1-line block ×3, first 2 shown]
	v_cndmask_b32_e32 v77, -1, v75, vcc
	v_cmp_lt_i16_e32 vcc, -1, v39
	s_barrier
	ds_write_b64 v69, v[34:35]
	ds_write_b64 v68, v[36:37]
	;; [unrolled: 1-line block ×8, first 2 shown]
	s_waitcnt lgkmcnt(0)
	s_barrier
	ds_read2_b64 v[22:25], v73 offset1:1
	ds_read2_b64 v[26:29], v73 offset0:2 offset1:3
	ds_read2_b64 v[30:33], v73 offset0:4 offset1:5
	;; [unrolled: 1-line block ×3, first 2 shown]
	v_mov_b32_e32 v74, -1
	v_cndmask_b32_e64 v79, v75, -1, vcc
	v_cmp_lt_i16_sdwa vcc, v40, v1 src0_sel:WORD_1 src1_sel:DWORD
	v_cmp_gt_i16_sdwa s[4:5], v39, v74 src0_sel:WORD_1 src1_sel:DWORD
	v_cndmask_b32_e32 v0, -1, v75, vcc
	v_cmp_gt_i16_e32 vcc, 0, v40
	v_cndmask_b32_e64 v78, v75, -1, s[4:5]
	v_cndmask_b32_e32 v1, -1, v75, vcc
	v_cmp_gt_i16_sdwa s[4:5], v41, v74 src0_sel:WORD_1 src1_sel:DWORD
	v_cmp_lt_i16_e32 vcc, -1, v41
	v_cndmask_b32_e64 v66, v75, -1, s[4:5]
	v_cndmask_b32_e64 v67, v75, -1, vcc
	v_xor_b32_e32 v79, v79, v39
	v_xor_b32_sdwa v39, v78, v39 dst_sel:DWORD dst_unused:UNUSED_PAD src0_sel:DWORD src1_sel:WORD_1
	v_xor_b32_e32 v77, v77, v38
	v_xor_b32_sdwa v38, v76, v38 dst_sel:DWORD dst_unused:UNUSED_PAD src0_sel:DWORD src1_sel:WORD_1
	;; [unrolled: 2-line block ×4, first 2 shown]
	v_perm_b32 v39, v39, v79, s16
	v_perm_b32 v38, v38, v77, s16
	;; [unrolled: 1-line block ×4, first 2 shown]
	s_branch .LBB237_142
.LBB237_89:
	v_mad_u64_u32 v[2:3], s[16:17], v42, s46, 0
	v_mov_b32_e32 v4, v3
	v_mad_u64_u32 v[4:5], s[16:17], v42, s47, v[4:5]
	v_mov_b32_e32 v3, v4
	v_lshlrev_b64 v[2:3], 3, v[2:3]
	v_mov_b32_e32 v4, s52
	v_add_co_u32_e32 v2, vcc, s51, v2
	v_addc_co_u32_e32 v3, vcc, v4, v3, vcc
	global_load_dwordx2 v[2:3], v[2:3], off
	v_mov_b32_e32 v4, 0
	v_mov_b32_e32 v5, v4
	;; [unrolled: 1-line block ×14, first 2 shown]
	s_or_b64 exec, exec, s[4:5]
	s_and_saveexec_b64 s[4:5], s[2:3]
	s_cbranch_execz .LBB237_36
.LBB237_90:
	v_mad_u64_u32 v[4:5], s[16:17], v33, s46, 0
	v_mov_b32_e32 v38, v5
	v_mad_u64_u32 v[38:39], s[16:17], v33, s47, v[38:39]
	v_mov_b32_e32 v5, v38
	v_lshlrev_b64 v[4:5], 3, v[4:5]
	v_mov_b32_e32 v33, s52
	v_add_co_u32_e32 v4, vcc, s51, v4
	v_addc_co_u32_e32 v5, vcc, v33, v5, vcc
	global_load_dwordx2 v[4:5], v[4:5], off
	s_or_b64 exec, exec, s[4:5]
	s_and_saveexec_b64 s[4:5], s[40:41]
	s_cbranch_execz .LBB237_37
.LBB237_91:
	v_mad_u64_u32 v[6:7], s[16:17], v31, s46, 0
	v_mov_b32_e32 v38, v7
	v_mad_u64_u32 v[38:39], s[16:17], v31, s47, v[38:39]
	v_mov_b32_e32 v7, v38
	v_lshlrev_b64 v[6:7], 3, v[6:7]
	v_mov_b32_e32 v31, s52
	v_add_co_u32_e32 v6, vcc, s51, v6
	v_addc_co_u32_e32 v7, vcc, v31, v7, vcc
	global_load_dwordx2 v[6:7], v[6:7], off
	s_or_b64 exec, exec, s[4:5]
	s_and_saveexec_b64 s[4:5], s[6:7]
	s_cbranch_execz .LBB237_38
.LBB237_92:
	v_mad_u64_u32 v[8:9], s[16:17], v28, s46, 0
	v_mov_b32_e32 v38, v9
	v_mad_u64_u32 v[38:39], s[16:17], v28, s47, v[38:39]
	v_mov_b32_e32 v9, v38
	v_lshlrev_b64 v[8:9], 3, v[8:9]
	v_mov_b32_e32 v28, s52
	v_add_co_u32_e32 v8, vcc, s51, v8
	v_addc_co_u32_e32 v9, vcc, v28, v9, vcc
	global_load_dwordx2 v[8:9], v[8:9], off
	s_or_b64 exec, exec, s[4:5]
	s_and_saveexec_b64 s[4:5], s[8:9]
	s_cbranch_execz .LBB237_39
.LBB237_93:
	v_mad_u64_u32 v[10:11], s[16:17], v25, s46, 0
	v_mov_b32_e32 v28, v11
	v_mad_u64_u32 v[38:39], s[16:17], v25, s47, v[28:29]
	v_mov_b32_e32 v11, v38
	v_lshlrev_b64 v[10:11], 3, v[10:11]
	v_mov_b32_e32 v25, s52
	v_add_co_u32_e32 v10, vcc, s51, v10
	v_addc_co_u32_e32 v11, vcc, v25, v11, vcc
	global_load_dwordx2 v[10:11], v[10:11], off
	s_or_b64 exec, exec, s[4:5]
	s_and_saveexec_b64 s[4:5], s[10:11]
	s_cbranch_execz .LBB237_40
.LBB237_94:
	v_mad_u64_u32 v[12:13], s[16:17], v23, s46, 0
	v_mov_b32_e32 v28, v13
	v_mad_u64_u32 v[38:39], s[16:17], v23, s47, v[28:29]
	v_mov_b32_e32 v13, v38
	v_lshlrev_b64 v[12:13], 3, v[12:13]
	v_mov_b32_e32 v23, s52
	v_add_co_u32_e32 v12, vcc, s51, v12
	v_addc_co_u32_e32 v13, vcc, v23, v13, vcc
	global_load_dwordx2 v[12:13], v[12:13], off
	s_or_b64 exec, exec, s[4:5]
	s_and_saveexec_b64 s[4:5], s[12:13]
	s_cbranch_execz .LBB237_41
.LBB237_95:
	v_mad_u64_u32 v[14:15], s[16:17], v22, s46, 0
	v_mov_b32_e32 v28, v15
	v_mad_u64_u32 v[22:23], s[16:17], v22, s47, v[28:29]
	v_mov_b32_e32 v15, v22
	v_lshlrev_b64 v[14:15], 3, v[14:15]
	v_mov_b32_e32 v22, s52
	v_add_co_u32_e32 v14, vcc, s51, v14
	v_addc_co_u32_e32 v15, vcc, v22, v15, vcc
	global_load_dwordx2 v[14:15], v[14:15], off
	s_or_b64 exec, exec, s[4:5]
	s_xor_b64 s[4:5], s[34:35], -1
	s_and_saveexec_b64 s[16:17], s[14:15]
	s_cbranch_execnz .LBB237_42
	s_branch .LBB237_43
.LBB237_96:
                                        ; implicit-def: $vgpr36_vgpr37
                                        ; implicit-def: $vgpr32_vgpr33
                                        ; implicit-def: $vgpr28_vgpr29
                                        ; implicit-def: $vgpr24_vgpr25
                                        ; implicit-def: $vgpr40_vgpr41
	s_cbranch_execz .LBB237_142
; %bb.97:
	s_waitcnt lgkmcnt(3)
	v_mov_b32_e32 v22, 0
	s_waitcnt lgkmcnt(0)
	v_mov_b32_e32 v35, 0x7fff
	v_cmp_gt_i16_e32 vcc, 0, v19
	v_cmp_lt_i16_sdwa s[4:5], v19, v22 src0_sel:WORD_1 src1_sel:DWORD
	v_cndmask_b32_e64 v23, v35, 0, vcc
	v_cmp_gt_i16_e32 vcc, 0, v18
	v_cndmask_b32_e64 v25, v35, 0, s[4:5]
	v_cmp_lt_i16_sdwa s[4:5], v18, v22 src0_sel:WORD_1 src1_sel:DWORD
	v_cndmask_b32_e64 v24, v35, 0, vcc
	v_cndmask_b32_e64 v27, v35, 0, s[4:5]
	v_cmp_gt_i16_e32 vcc, 0, v21
	v_cmp_lt_i16_sdwa s[4:5], v21, v22 src0_sel:WORD_1 src1_sel:DWORD
	v_xor_b32_sdwa v25, v25, v19 dst_sel:DWORD dst_unused:UNUSED_PAD src0_sel:DWORD src1_sel:WORD_1
	v_xor_b32_e32 v19, v23, v19
	v_cndmask_b32_e64 v23, v35, 0, vcc
	v_cmp_gt_i16_e32 vcc, 0, v20
	v_cndmask_b32_e64 v28, v35, 0, s[4:5]
	v_cmp_lt_i16_sdwa s[4:5], v20, v22 src0_sel:WORD_1 src1_sel:DWORD
	v_mbcnt_hi_u32_b32 v26, -1, v65
	v_and_b32_e32 v34, 0x3c0, v42
	v_xor_b32_sdwa v27, v27, v18 dst_sel:DWORD dst_unused:UNUSED_PAD src0_sel:DWORD src1_sel:WORD_1
	v_xor_b32_e32 v18, v24, v18
	v_cndmask_b32_e64 v24, v35, 0, vcc
	v_cndmask_b32_e64 v29, v35, 0, s[4:5]
	v_add_u32_e32 v0, v26, v34
	v_xor_b32_sdwa v29, v29, v20 dst_sel:DWORD dst_unused:UNUSED_PAD src0_sel:DWORD src1_sel:WORD_1
	v_xor_b32_sdwa v28, v28, v21 dst_sel:DWORD dst_unused:UNUSED_PAD src0_sel:DWORD src1_sel:WORD_1
	v_xor_b32_e32 v20, v24, v20
	v_xor_b32_e32 v21, v23, v21
	s_mov_b32 s4, 0x5040100
	v_lshlrev_b32_e32 v1, 4, v0
	v_perm_b32 v21, v28, v21, s4
	v_perm_b32 v20, v29, v20, s4
	v_perm_b32 v19, v25, v19, s4
	v_perm_b32 v18, v27, v18, s4
	v_and_b32_e32 v36, 0x1e00, v60
	ds_write_b128 v1, v[18:21]
	v_or_b32_e32 v1, v26, v36
	v_lshlrev_b32_e32 v18, 1, v1
	v_lshlrev_b32_e32 v0, 6, v0
	; wave barrier
	ds_read_u16 v33, v18
	ds_read_u16 v32, v18 offset:128
	ds_read_u16 v31, v18 offset:256
	;; [unrolled: 1-line block ×7, first 2 shown]
	s_waitcnt lgkmcnt(0)
	s_barrier
	ds_write2_b64 v0, v[14:15], v[16:17] offset1:1
	ds_write2_b64 v0, v[10:11], v[12:13] offset0:2 offset1:3
	ds_write2_b64 v0, v[6:7], v[8:9] offset0:4 offset1:5
	;; [unrolled: 1-line block ×3, first 2 shown]
	v_lshlrev_b32_e32 v0, 3, v1
	; wave barrier
	ds_read2st64_b64 v[12:15], v0 offset1:1
	ds_read2st64_b64 v[8:11], v0 offset0:2 offset1:3
	ds_read2st64_b64 v[4:7], v0 offset0:4 offset1:5
	ds_read2st64_b64 v[0:3], v0 offset0:6 offset1:7
	s_waitcnt lgkmcnt(0)
	s_barrier
	s_load_dword s16, s[48:49], 0xc
	s_getpc_b64 s[4:5]
	s_add_u32 s4, s4, _ZN7rocprim17ROCPRIM_400000_NS16block_radix_sortI6__halfLj128ELj8ElLj1ELj1ELj0ELNS0_26block_radix_rank_algorithmE1ELNS0_18block_padding_hintE2ELNS0_4arch9wavefront6targetE1EE19radix_bits_per_passE@rel32@lo+4
	s_addc_u32 s5, s5, _ZN7rocprim17ROCPRIM_400000_NS16block_radix_sortI6__halfLj128ELj8ElLj1ELj1ELj0ELNS0_26block_radix_rank_algorithmE1ELNS0_18block_padding_hintE2ELNS0_4arch9wavefront6targetE1EE19radix_bits_per_passE@rel32@hi+12
	s_load_dword s42, s[4:5], 0x0
	s_movk_i32 s17, 0x8000
	v_cmp_ne_u16_e32 vcc, s17, v33
	s_waitcnt lgkmcnt(0)
	s_lshr_b32 s4, s16, 16
	s_and_b32 s5, s16, 0xffff
	v_mad_u32_u24 v16, v64, s4, v63
	v_mad_u64_u32 v[16:17], s[4:5], v16, s5, v[42:43]
	s_min_u32 s4, s42, 16
	s_lshl_b32 s4, -1, s4
	v_lshrrev_b32_e32 v24, 6, v16
	s_not_b32 s16, s4
	v_cndmask_b32_e32 v16, v35, v33, vcc
	v_and_b32_sdwa v16, s16, v16 dst_sel:DWORD dst_unused:UNUSED_PAD src0_sel:DWORD src1_sel:WORD_0
	v_lshlrev_b32_e32 v17, 1, v16
	v_add_lshl_u32 v37, v24, v17, 2
	v_and_b32_e32 v17, 1, v16
	v_add_co_u32_e32 v18, vcc, -1, v17
	v_addc_co_u32_e64 v19, s[4:5], 0, -1, vcc
	v_cmp_ne_u32_e32 vcc, 0, v17
	v_lshlrev_b32_e32 v23, 30, v16
	v_xor_b32_e32 v17, vcc_hi, v19
	v_not_b32_e32 v19, v23
	v_xor_b32_e32 v18, vcc_lo, v18
	v_cmp_gt_i64_e32 vcc, 0, v[22:23]
	v_ashrrev_i32_e32 v19, 31, v19
	v_and_b32_e32 v18, exec_lo, v18
	v_xor_b32_e32 v20, vcc_hi, v19
	v_xor_b32_e32 v19, vcc_lo, v19
	v_lshlrev_b32_e32 v23, 29, v16
	v_and_b32_e32 v18, v18, v19
	v_not_b32_e32 v19, v23
	v_and_b32_e32 v17, exec_hi, v17
	v_cmp_gt_i64_e32 vcc, 0, v[22:23]
	v_ashrrev_i32_e32 v19, 31, v19
	v_and_b32_e32 v17, v17, v20
	v_xor_b32_e32 v20, vcc_hi, v19
	v_xor_b32_e32 v19, vcc_lo, v19
	v_lshlrev_b32_e32 v23, 28, v16
	v_and_b32_e32 v18, v18, v19
	v_not_b32_e32 v19, v23
	v_cmp_gt_i64_e32 vcc, 0, v[22:23]
	v_ashrrev_i32_e32 v19, 31, v19
	v_and_b32_e32 v17, v17, v20
	v_xor_b32_e32 v20, vcc_hi, v19
	v_xor_b32_e32 v19, vcc_lo, v19
	v_lshlrev_b32_e32 v23, 27, v16
	v_and_b32_e32 v18, v18, v19
	v_not_b32_e32 v19, v23
	;; [unrolled: 8-line block ×3, first 2 shown]
	v_cmp_gt_i64_e32 vcc, 0, v[22:23]
	v_ashrrev_i32_e32 v19, 31, v19
	v_and_b32_e32 v17, v17, v20
	v_xor_b32_e32 v20, vcc_hi, v19
	v_xor_b32_e32 v19, vcc_lo, v19
	v_lshlrev_b32_e32 v23, 25, v16
	v_and_b32_e32 v18, v18, v19
	v_cmp_gt_i64_e32 vcc, 0, v[22:23]
	v_not_b32_e32 v19, v23
	v_lshlrev_b32_e32 v23, 24, v16
	v_ashrrev_i32_e32 v19, 31, v19
	v_not_b32_e32 v16, v23
	v_and_b32_e32 v17, v17, v20
	v_xor_b32_e32 v20, vcc_hi, v19
	v_xor_b32_e32 v19, vcc_lo, v19
	v_cmp_gt_i64_e32 vcc, 0, v[22:23]
	v_ashrrev_i32_e32 v16, 31, v16
	v_and_b32_e32 v18, v18, v19
	v_xor_b32_e32 v19, vcc_hi, v16
	v_xor_b32_e32 v16, vcc_lo, v16
	v_and_b32_e32 v17, v17, v20
	v_and_b32_e32 v16, v18, v16
	;; [unrolled: 1-line block ×3, first 2 shown]
	v_mbcnt_lo_u32_b32 v18, v16, 0
	v_mbcnt_hi_u32_b32 v38, v17, v18
	v_cmp_eq_u32_e32 vcc, 0, v38
	v_cmp_ne_u64_e64 s[4:5], 0, v[16:17]
	s_and_b64 s[18:19], s[4:5], vcc
	ds_write2_b32 v62, v22, v22 offset0:2 offset1:3
	ds_write2_b32 v62, v22, v22 offset0:4 offset1:5
	s_waitcnt lgkmcnt(0)
	s_barrier
	s_waitcnt lgkmcnt(0)
	; wave barrier
	s_and_saveexec_b64 s[4:5], s[18:19]
	s_cbranch_execz .LBB237_99
; %bb.98:
	v_bcnt_u32_b32 v16, v16, 0
	v_bcnt_u32_b32 v16, v17, v16
	ds_write_b32 v37, v16 offset:8
.LBB237_99:
	s_or_b64 exec, exec, s[4:5]
	v_cmp_ne_u16_e32 vcc, s17, v32
	v_cndmask_b32_e32 v16, v35, v32, vcc
	v_and_b32_sdwa v16, s16, v16 dst_sel:DWORD dst_unused:UNUSED_PAD src0_sel:DWORD src1_sel:WORD_0
	v_lshlrev_b32_e32 v17, 1, v16
	v_add_lshl_u32 v40, v24, v17, 2
	v_and_b32_e32 v17, 1, v16
	v_add_co_u32_e32 v18, vcc, -1, v17
	v_addc_co_u32_e64 v19, s[4:5], 0, -1, vcc
	v_cmp_ne_u32_e32 vcc, 0, v17
	v_lshlrev_b32_e32 v23, 30, v16
	v_xor_b32_e32 v17, vcc_hi, v19
	v_not_b32_e32 v19, v23
	v_xor_b32_e32 v18, vcc_lo, v18
	v_cmp_gt_i64_e32 vcc, 0, v[22:23]
	v_ashrrev_i32_e32 v19, 31, v19
	v_and_b32_e32 v18, exec_lo, v18
	v_xor_b32_e32 v20, vcc_hi, v19
	v_xor_b32_e32 v19, vcc_lo, v19
	v_lshlrev_b32_e32 v23, 29, v16
	v_and_b32_e32 v18, v18, v19
	v_not_b32_e32 v19, v23
	v_and_b32_e32 v17, exec_hi, v17
	v_cmp_gt_i64_e32 vcc, 0, v[22:23]
	v_ashrrev_i32_e32 v19, 31, v19
	v_and_b32_e32 v17, v17, v20
	v_xor_b32_e32 v20, vcc_hi, v19
	v_xor_b32_e32 v19, vcc_lo, v19
	v_lshlrev_b32_e32 v23, 28, v16
	v_and_b32_e32 v18, v18, v19
	v_not_b32_e32 v19, v23
	v_cmp_gt_i64_e32 vcc, 0, v[22:23]
	v_ashrrev_i32_e32 v19, 31, v19
	v_and_b32_e32 v17, v17, v20
	v_xor_b32_e32 v20, vcc_hi, v19
	v_xor_b32_e32 v19, vcc_lo, v19
	v_lshlrev_b32_e32 v23, 27, v16
	v_and_b32_e32 v18, v18, v19
	v_not_b32_e32 v19, v23
	;; [unrolled: 8-line block ×3, first 2 shown]
	v_cmp_gt_i64_e32 vcc, 0, v[22:23]
	v_ashrrev_i32_e32 v19, 31, v19
	v_and_b32_e32 v17, v17, v20
	v_xor_b32_e32 v20, vcc_hi, v19
	v_xor_b32_e32 v19, vcc_lo, v19
	v_lshlrev_b32_e32 v23, 25, v16
	v_and_b32_e32 v18, v18, v19
	v_cmp_gt_i64_e32 vcc, 0, v[22:23]
	v_not_b32_e32 v19, v23
	v_lshlrev_b32_e32 v23, 24, v16
	v_ashrrev_i32_e32 v19, 31, v19
	v_not_b32_e32 v16, v23
	v_and_b32_e32 v17, v17, v20
	v_xor_b32_e32 v20, vcc_hi, v19
	v_xor_b32_e32 v19, vcc_lo, v19
	v_cmp_gt_i64_e32 vcc, 0, v[22:23]
	v_ashrrev_i32_e32 v16, 31, v16
	v_and_b32_e32 v18, v18, v19
	v_xor_b32_e32 v19, vcc_hi, v16
	v_xor_b32_e32 v16, vcc_lo, v16
	; wave barrier
	ds_read_b32 v39, v40 offset:8
	v_and_b32_e32 v17, v17, v20
	v_and_b32_e32 v16, v18, v16
	;; [unrolled: 1-line block ×3, first 2 shown]
	v_mbcnt_lo_u32_b32 v18, v16, 0
	v_mbcnt_hi_u32_b32 v41, v17, v18
	v_cmp_eq_u32_e32 vcc, 0, v41
	v_cmp_ne_u64_e64 s[4:5], 0, v[16:17]
	s_and_b64 s[18:19], s[4:5], vcc
	; wave barrier
	s_and_saveexec_b64 s[4:5], s[18:19]
	s_cbranch_execz .LBB237_101
; %bb.100:
	v_bcnt_u32_b32 v16, v16, 0
	v_bcnt_u32_b32 v16, v17, v16
	s_waitcnt lgkmcnt(0)
	v_add_u32_e32 v16, v39, v16
	ds_write_b32 v40, v16 offset:8
.LBB237_101:
	s_or_b64 exec, exec, s[4:5]
	v_mov_b32_e32 v20, 0x7fff
	v_cmp_ne_u16_e32 vcc, s17, v31
	v_cndmask_b32_e32 v16, v20, v31, vcc
	v_and_b32_sdwa v18, s16, v16 dst_sel:DWORD dst_unused:UNUSED_PAD src0_sel:DWORD src1_sel:WORD_0
	v_and_b32_e32 v17, 1, v18
	v_add_co_u32_e32 v19, vcc, -1, v17
	v_addc_co_u32_e64 v21, s[4:5], 0, -1, vcc
	v_cmp_ne_u32_e32 vcc, 0, v17
	v_lshlrev_b32_e32 v16, 1, v18
	v_xor_b32_e32 v17, vcc_hi, v21
	v_add_lshl_u32 v64, v24, v16, 2
	v_mov_b32_e32 v16, 0
	v_and_b32_e32 v21, exec_hi, v17
	v_lshlrev_b32_e32 v17, 30, v18
	v_xor_b32_e32 v19, vcc_lo, v19
	v_cmp_gt_i64_e32 vcc, 0, v[16:17]
	v_not_b32_e32 v17, v17
	v_ashrrev_i32_e32 v17, 31, v17
	v_and_b32_e32 v19, exec_lo, v19
	v_xor_b32_e32 v22, vcc_hi, v17
	v_xor_b32_e32 v17, vcc_lo, v17
	v_and_b32_e32 v19, v19, v17
	v_lshlrev_b32_e32 v17, 29, v18
	v_cmp_gt_i64_e32 vcc, 0, v[16:17]
	v_not_b32_e32 v17, v17
	v_ashrrev_i32_e32 v17, 31, v17
	v_and_b32_e32 v21, v21, v22
	v_xor_b32_e32 v22, vcc_hi, v17
	v_xor_b32_e32 v17, vcc_lo, v17
	v_and_b32_e32 v19, v19, v17
	v_lshlrev_b32_e32 v17, 28, v18
	v_cmp_gt_i64_e32 vcc, 0, v[16:17]
	v_not_b32_e32 v17, v17
	v_ashrrev_i32_e32 v17, 31, v17
	v_and_b32_e32 v21, v21, v22
	;; [unrolled: 8-line block ×5, first 2 shown]
	v_xor_b32_e32 v22, vcc_hi, v17
	v_xor_b32_e32 v17, vcc_lo, v17
	v_and_b32_e32 v21, v21, v22
	v_and_b32_e32 v22, v19, v17
	v_lshlrev_b32_e32 v17, 24, v18
	v_cmp_gt_i64_e32 vcc, 0, v[16:17]
	v_not_b32_e32 v17, v17
	v_ashrrev_i32_e32 v17, 31, v17
	v_xor_b32_e32 v18, vcc_hi, v17
	v_xor_b32_e32 v17, vcc_lo, v17
	; wave barrier
	ds_read_b32 v63, v64 offset:8
	v_and_b32_e32 v19, v21, v18
	v_and_b32_e32 v18, v22, v17
	v_mbcnt_lo_u32_b32 v17, v18, 0
	v_mbcnt_hi_u32_b32 v65, v19, v17
	v_cmp_eq_u32_e32 vcc, 0, v65
	v_cmp_ne_u64_e64 s[4:5], 0, v[18:19]
	s_and_b64 s[18:19], s[4:5], vcc
	; wave barrier
	s_and_saveexec_b64 s[4:5], s[18:19]
	s_cbranch_execz .LBB237_103
; %bb.102:
	v_bcnt_u32_b32 v17, v18, 0
	v_bcnt_u32_b32 v17, v19, v17
	s_waitcnt lgkmcnt(0)
	v_add_u32_e32 v17, v63, v17
	ds_write_b32 v64, v17 offset:8
.LBB237_103:
	s_or_b64 exec, exec, s[4:5]
	v_cmp_ne_u16_e32 vcc, s17, v30
	v_cndmask_b32_e32 v17, v20, v30, vcc
	v_and_b32_sdwa v18, s16, v17 dst_sel:DWORD dst_unused:UNUSED_PAD src0_sel:DWORD src1_sel:WORD_0
	v_lshlrev_b32_e32 v17, 1, v18
	v_add_lshl_u32 v67, v24, v17, 2
	v_and_b32_e32 v17, 1, v18
	v_add_co_u32_e32 v19, vcc, -1, v17
	v_addc_co_u32_e64 v20, s[4:5], 0, -1, vcc
	v_cmp_ne_u32_e32 vcc, 0, v17
	v_xor_b32_e32 v17, vcc_hi, v20
	v_and_b32_e32 v20, exec_hi, v17
	v_lshlrev_b32_e32 v17, 30, v18
	v_xor_b32_e32 v19, vcc_lo, v19
	v_cmp_gt_i64_e32 vcc, 0, v[16:17]
	v_not_b32_e32 v17, v17
	v_ashrrev_i32_e32 v17, 31, v17
	v_and_b32_e32 v19, exec_lo, v19
	v_xor_b32_e32 v21, vcc_hi, v17
	v_xor_b32_e32 v17, vcc_lo, v17
	v_and_b32_e32 v19, v19, v17
	v_lshlrev_b32_e32 v17, 29, v18
	v_cmp_gt_i64_e32 vcc, 0, v[16:17]
	v_not_b32_e32 v17, v17
	v_ashrrev_i32_e32 v17, 31, v17
	v_and_b32_e32 v20, v20, v21
	v_xor_b32_e32 v21, vcc_hi, v17
	v_xor_b32_e32 v17, vcc_lo, v17
	v_and_b32_e32 v19, v19, v17
	v_lshlrev_b32_e32 v17, 28, v18
	v_cmp_gt_i64_e32 vcc, 0, v[16:17]
	v_not_b32_e32 v17, v17
	v_ashrrev_i32_e32 v17, 31, v17
	v_and_b32_e32 v20, v20, v21
	;; [unrolled: 8-line block ×5, first 2 shown]
	v_xor_b32_e32 v21, vcc_hi, v17
	v_xor_b32_e32 v17, vcc_lo, v17
	v_and_b32_e32 v19, v19, v17
	v_lshlrev_b32_e32 v17, 24, v18
	v_cmp_gt_i64_e32 vcc, 0, v[16:17]
	v_not_b32_e32 v16, v17
	v_ashrrev_i32_e32 v16, 31, v16
	v_xor_b32_e32 v17, vcc_hi, v16
	v_xor_b32_e32 v16, vcc_lo, v16
	; wave barrier
	ds_read_b32 v66, v67 offset:8
	v_and_b32_e32 v20, v20, v21
	v_and_b32_e32 v16, v19, v16
	;; [unrolled: 1-line block ×3, first 2 shown]
	v_mbcnt_lo_u32_b32 v18, v16, 0
	v_mbcnt_hi_u32_b32 v68, v17, v18
	v_cmp_eq_u32_e32 vcc, 0, v68
	v_cmp_ne_u64_e64 s[4:5], 0, v[16:17]
	s_and_b64 s[18:19], s[4:5], vcc
	; wave barrier
	s_and_saveexec_b64 s[4:5], s[18:19]
	s_cbranch_execz .LBB237_105
; %bb.104:
	v_bcnt_u32_b32 v16, v16, 0
	v_bcnt_u32_b32 v16, v17, v16
	s_waitcnt lgkmcnt(0)
	v_add_u32_e32 v16, v66, v16
	ds_write_b32 v67, v16 offset:8
.LBB237_105:
	s_or_b64 exec, exec, s[4:5]
	v_mov_b32_e32 v20, 0x7fff
	v_cmp_ne_u16_e32 vcc, s17, v29
	v_cndmask_b32_e32 v16, v20, v29, vcc
	v_and_b32_sdwa v18, s16, v16 dst_sel:DWORD dst_unused:UNUSED_PAD src0_sel:DWORD src1_sel:WORD_0
	v_and_b32_e32 v17, 1, v18
	v_add_co_u32_e32 v19, vcc, -1, v17
	v_addc_co_u32_e64 v21, s[4:5], 0, -1, vcc
	v_cmp_ne_u32_e32 vcc, 0, v17
	v_lshlrev_b32_e32 v16, 1, v18
	v_xor_b32_e32 v17, vcc_hi, v21
	v_add_lshl_u32 v70, v24, v16, 2
	v_mov_b32_e32 v16, 0
	v_and_b32_e32 v21, exec_hi, v17
	v_lshlrev_b32_e32 v17, 30, v18
	v_xor_b32_e32 v19, vcc_lo, v19
	v_cmp_gt_i64_e32 vcc, 0, v[16:17]
	v_not_b32_e32 v17, v17
	v_ashrrev_i32_e32 v17, 31, v17
	v_and_b32_e32 v19, exec_lo, v19
	v_xor_b32_e32 v22, vcc_hi, v17
	v_xor_b32_e32 v17, vcc_lo, v17
	v_and_b32_e32 v19, v19, v17
	v_lshlrev_b32_e32 v17, 29, v18
	v_cmp_gt_i64_e32 vcc, 0, v[16:17]
	v_not_b32_e32 v17, v17
	v_ashrrev_i32_e32 v17, 31, v17
	v_and_b32_e32 v21, v21, v22
	v_xor_b32_e32 v22, vcc_hi, v17
	v_xor_b32_e32 v17, vcc_lo, v17
	v_and_b32_e32 v19, v19, v17
	v_lshlrev_b32_e32 v17, 28, v18
	v_cmp_gt_i64_e32 vcc, 0, v[16:17]
	v_not_b32_e32 v17, v17
	v_ashrrev_i32_e32 v17, 31, v17
	v_and_b32_e32 v21, v21, v22
	;; [unrolled: 8-line block ×5, first 2 shown]
	v_xor_b32_e32 v22, vcc_hi, v17
	v_xor_b32_e32 v17, vcc_lo, v17
	v_and_b32_e32 v21, v21, v22
	v_and_b32_e32 v22, v19, v17
	v_lshlrev_b32_e32 v17, 24, v18
	v_cmp_gt_i64_e32 vcc, 0, v[16:17]
	v_not_b32_e32 v17, v17
	v_ashrrev_i32_e32 v17, 31, v17
	v_xor_b32_e32 v18, vcc_hi, v17
	v_xor_b32_e32 v17, vcc_lo, v17
	; wave barrier
	ds_read_b32 v69, v70 offset:8
	v_and_b32_e32 v19, v21, v18
	v_and_b32_e32 v18, v22, v17
	v_mbcnt_lo_u32_b32 v17, v18, 0
	v_mbcnt_hi_u32_b32 v71, v19, v17
	v_cmp_eq_u32_e32 vcc, 0, v71
	v_cmp_ne_u64_e64 s[4:5], 0, v[18:19]
	s_and_b64 s[18:19], s[4:5], vcc
	; wave barrier
	s_and_saveexec_b64 s[4:5], s[18:19]
	s_cbranch_execz .LBB237_107
; %bb.106:
	v_bcnt_u32_b32 v17, v18, 0
	v_bcnt_u32_b32 v17, v19, v17
	s_waitcnt lgkmcnt(0)
	v_add_u32_e32 v17, v69, v17
	ds_write_b32 v70, v17 offset:8
.LBB237_107:
	s_or_b64 exec, exec, s[4:5]
	v_cmp_ne_u16_e32 vcc, s17, v28
	v_cndmask_b32_e32 v17, v20, v28, vcc
	v_and_b32_sdwa v18, s16, v17 dst_sel:DWORD dst_unused:UNUSED_PAD src0_sel:DWORD src1_sel:WORD_0
	v_lshlrev_b32_e32 v17, 1, v18
	v_add_lshl_u32 v73, v24, v17, 2
	v_and_b32_e32 v17, 1, v18
	v_add_co_u32_e32 v19, vcc, -1, v17
	v_addc_co_u32_e64 v20, s[4:5], 0, -1, vcc
	v_cmp_ne_u32_e32 vcc, 0, v17
	v_xor_b32_e32 v17, vcc_hi, v20
	v_and_b32_e32 v20, exec_hi, v17
	v_lshlrev_b32_e32 v17, 30, v18
	v_xor_b32_e32 v19, vcc_lo, v19
	v_cmp_gt_i64_e32 vcc, 0, v[16:17]
	v_not_b32_e32 v17, v17
	v_ashrrev_i32_e32 v17, 31, v17
	v_and_b32_e32 v19, exec_lo, v19
	v_xor_b32_e32 v21, vcc_hi, v17
	v_xor_b32_e32 v17, vcc_lo, v17
	v_and_b32_e32 v19, v19, v17
	v_lshlrev_b32_e32 v17, 29, v18
	v_cmp_gt_i64_e32 vcc, 0, v[16:17]
	v_not_b32_e32 v17, v17
	v_ashrrev_i32_e32 v17, 31, v17
	v_and_b32_e32 v20, v20, v21
	v_xor_b32_e32 v21, vcc_hi, v17
	v_xor_b32_e32 v17, vcc_lo, v17
	v_and_b32_e32 v19, v19, v17
	v_lshlrev_b32_e32 v17, 28, v18
	v_cmp_gt_i64_e32 vcc, 0, v[16:17]
	v_not_b32_e32 v17, v17
	v_ashrrev_i32_e32 v17, 31, v17
	v_and_b32_e32 v20, v20, v21
	;; [unrolled: 8-line block ×5, first 2 shown]
	v_xor_b32_e32 v21, vcc_hi, v17
	v_xor_b32_e32 v17, vcc_lo, v17
	v_and_b32_e32 v19, v19, v17
	v_lshlrev_b32_e32 v17, 24, v18
	v_cmp_gt_i64_e32 vcc, 0, v[16:17]
	v_not_b32_e32 v16, v17
	v_ashrrev_i32_e32 v16, 31, v16
	v_xor_b32_e32 v17, vcc_hi, v16
	v_xor_b32_e32 v16, vcc_lo, v16
	; wave barrier
	ds_read_b32 v72, v73 offset:8
	v_and_b32_e32 v20, v20, v21
	v_and_b32_e32 v16, v19, v16
	;; [unrolled: 1-line block ×3, first 2 shown]
	v_mbcnt_lo_u32_b32 v18, v16, 0
	v_mbcnt_hi_u32_b32 v74, v17, v18
	v_cmp_eq_u32_e32 vcc, 0, v74
	v_cmp_ne_u64_e64 s[4:5], 0, v[16:17]
	s_and_b64 s[18:19], s[4:5], vcc
	; wave barrier
	s_and_saveexec_b64 s[4:5], s[18:19]
	s_cbranch_execz .LBB237_109
; %bb.108:
	v_bcnt_u32_b32 v16, v16, 0
	v_bcnt_u32_b32 v16, v17, v16
	s_waitcnt lgkmcnt(0)
	v_add_u32_e32 v16, v72, v16
	ds_write_b32 v73, v16 offset:8
.LBB237_109:
	s_or_b64 exec, exec, s[4:5]
	v_mov_b32_e32 v20, 0x7fff
	v_cmp_ne_u16_e32 vcc, s17, v27
	v_cndmask_b32_e32 v16, v20, v27, vcc
	v_and_b32_sdwa v18, s16, v16 dst_sel:DWORD dst_unused:UNUSED_PAD src0_sel:DWORD src1_sel:WORD_0
	v_and_b32_e32 v17, 1, v18
	v_add_co_u32_e32 v19, vcc, -1, v17
	v_addc_co_u32_e64 v21, s[4:5], 0, -1, vcc
	v_cmp_ne_u32_e32 vcc, 0, v17
	v_lshlrev_b32_e32 v16, 1, v18
	v_xor_b32_e32 v17, vcc_hi, v21
	v_add_lshl_u32 v76, v24, v16, 2
	v_mov_b32_e32 v16, 0
	v_and_b32_e32 v21, exec_hi, v17
	v_lshlrev_b32_e32 v17, 30, v18
	v_xor_b32_e32 v19, vcc_lo, v19
	v_cmp_gt_i64_e32 vcc, 0, v[16:17]
	v_not_b32_e32 v17, v17
	v_ashrrev_i32_e32 v17, 31, v17
	v_and_b32_e32 v19, exec_lo, v19
	v_xor_b32_e32 v22, vcc_hi, v17
	v_xor_b32_e32 v17, vcc_lo, v17
	v_and_b32_e32 v19, v19, v17
	v_lshlrev_b32_e32 v17, 29, v18
	v_cmp_gt_i64_e32 vcc, 0, v[16:17]
	v_not_b32_e32 v17, v17
	v_ashrrev_i32_e32 v17, 31, v17
	v_and_b32_e32 v21, v21, v22
	v_xor_b32_e32 v22, vcc_hi, v17
	v_xor_b32_e32 v17, vcc_lo, v17
	v_and_b32_e32 v19, v19, v17
	v_lshlrev_b32_e32 v17, 28, v18
	v_cmp_gt_i64_e32 vcc, 0, v[16:17]
	v_not_b32_e32 v17, v17
	v_ashrrev_i32_e32 v17, 31, v17
	v_and_b32_e32 v21, v21, v22
	;; [unrolled: 8-line block ×5, first 2 shown]
	v_xor_b32_e32 v22, vcc_hi, v17
	v_xor_b32_e32 v17, vcc_lo, v17
	v_and_b32_e32 v21, v21, v22
	v_and_b32_e32 v22, v19, v17
	v_lshlrev_b32_e32 v17, 24, v18
	v_cmp_gt_i64_e32 vcc, 0, v[16:17]
	v_not_b32_e32 v17, v17
	v_ashrrev_i32_e32 v17, 31, v17
	v_xor_b32_e32 v18, vcc_hi, v17
	v_xor_b32_e32 v17, vcc_lo, v17
	; wave barrier
	ds_read_b32 v75, v76 offset:8
	v_and_b32_e32 v19, v21, v18
	v_and_b32_e32 v18, v22, v17
	v_mbcnt_lo_u32_b32 v17, v18, 0
	v_mbcnt_hi_u32_b32 v77, v19, v17
	v_cmp_eq_u32_e32 vcc, 0, v77
	v_cmp_ne_u64_e64 s[4:5], 0, v[18:19]
	s_and_b64 s[18:19], s[4:5], vcc
	; wave barrier
	s_and_saveexec_b64 s[4:5], s[18:19]
	s_cbranch_execz .LBB237_111
; %bb.110:
	v_bcnt_u32_b32 v17, v18, 0
	v_bcnt_u32_b32 v17, v19, v17
	s_waitcnt lgkmcnt(0)
	v_add_u32_e32 v17, v75, v17
	ds_write_b32 v76, v17 offset:8
.LBB237_111:
	s_or_b64 exec, exec, s[4:5]
	v_cmp_ne_u16_e32 vcc, s17, v25
	v_cndmask_b32_e32 v17, v20, v25, vcc
	v_and_b32_sdwa v18, s16, v17 dst_sel:DWORD dst_unused:UNUSED_PAD src0_sel:DWORD src1_sel:WORD_0
	v_lshlrev_b32_e32 v17, 1, v18
	v_add_lshl_u32 v79, v24, v17, 2
	v_and_b32_e32 v17, 1, v18
	v_add_co_u32_e32 v19, vcc, -1, v17
	v_addc_co_u32_e64 v20, s[4:5], 0, -1, vcc
	v_cmp_ne_u32_e32 vcc, 0, v17
	v_xor_b32_e32 v17, vcc_hi, v20
	v_and_b32_e32 v20, exec_hi, v17
	v_lshlrev_b32_e32 v17, 30, v18
	v_xor_b32_e32 v19, vcc_lo, v19
	v_cmp_gt_i64_e32 vcc, 0, v[16:17]
	v_not_b32_e32 v17, v17
	v_ashrrev_i32_e32 v17, 31, v17
	v_and_b32_e32 v19, exec_lo, v19
	v_xor_b32_e32 v21, vcc_hi, v17
	v_xor_b32_e32 v17, vcc_lo, v17
	v_and_b32_e32 v19, v19, v17
	v_lshlrev_b32_e32 v17, 29, v18
	v_cmp_gt_i64_e32 vcc, 0, v[16:17]
	v_not_b32_e32 v17, v17
	v_ashrrev_i32_e32 v17, 31, v17
	v_and_b32_e32 v20, v20, v21
	v_xor_b32_e32 v21, vcc_hi, v17
	v_xor_b32_e32 v17, vcc_lo, v17
	v_and_b32_e32 v19, v19, v17
	v_lshlrev_b32_e32 v17, 28, v18
	v_cmp_gt_i64_e32 vcc, 0, v[16:17]
	v_not_b32_e32 v17, v17
	v_ashrrev_i32_e32 v17, 31, v17
	v_and_b32_e32 v20, v20, v21
	;; [unrolled: 8-line block ×5, first 2 shown]
	v_xor_b32_e32 v21, vcc_hi, v17
	v_xor_b32_e32 v17, vcc_lo, v17
	v_and_b32_e32 v19, v19, v17
	v_lshlrev_b32_e32 v17, 24, v18
	v_cmp_gt_i64_e32 vcc, 0, v[16:17]
	v_not_b32_e32 v16, v17
	v_ashrrev_i32_e32 v16, 31, v16
	v_xor_b32_e32 v17, vcc_hi, v16
	v_xor_b32_e32 v16, vcc_lo, v16
	; wave barrier
	ds_read_b32 v78, v79 offset:8
	v_and_b32_e32 v20, v20, v21
	v_and_b32_e32 v16, v19, v16
	;; [unrolled: 1-line block ×3, first 2 shown]
	v_mbcnt_lo_u32_b32 v18, v16, 0
	v_mbcnt_hi_u32_b32 v80, v17, v18
	v_cmp_eq_u32_e32 vcc, 0, v80
	v_cmp_ne_u64_e64 s[4:5], 0, v[16:17]
	v_or_b32_e32 v22, 8, v62
	v_lshrrev_b32_e32 v23, 6, v42
	v_min_u32_e32 v34, 64, v34
	s_and_b64 s[16:17], s[4:5], vcc
	; wave barrier
	s_and_saveexec_b64 s[4:5], s[16:17]
	s_cbranch_execz .LBB237_113
; %bb.112:
	v_bcnt_u32_b32 v16, v16, 0
	v_bcnt_u32_b32 v16, v17, v16
	s_waitcnt lgkmcnt(0)
	v_add_u32_e32 v16, v78, v16
	ds_write_b32 v79, v16 offset:8
.LBB237_113:
	s_or_b64 exec, exec, s[4:5]
	; wave barrier
	s_waitcnt lgkmcnt(0)
	s_barrier
	ds_read2_b32 v[18:19], v62 offset0:2 offset1:3
	ds_read2_b32 v[20:21], v22 offset0:2 offset1:3
	v_and_b32_e32 v17, 16, v26
	v_cmp_eq_u32_e32 vcc, 0, v17
	v_or_b32_e32 v17, 63, v34
	v_cmp_eq_u32_e64 s[16:17], v17, v42
	s_waitcnt lgkmcnt(1)
	v_add_u32_e32 v17, v19, v18
	v_and_b32_e32 v16, 15, v26
	s_waitcnt lgkmcnt(0)
	v_add3_u32 v17, v17, v20, v21
	v_cmp_eq_u32_e64 s[20:21], 0, v16
	v_cmp_lt_u32_e64 s[22:23], 1, v16
	v_mov_b32_dpp v21, v17 row_shr:1 row_mask:0xf bank_mask:0xf
	v_cndmask_b32_e64 v21, v21, 0, s[20:21]
	v_add_u32_e32 v17, v21, v17
	v_cmp_lt_u32_e64 s[26:27], 3, v16
	v_cmp_lt_u32_e64 s[28:29], 7, v16
	v_mov_b32_dpp v21, v17 row_shr:2 row_mask:0xf bank_mask:0xf
	v_cndmask_b32_e64 v21, 0, v21, s[22:23]
	v_add_u32_e32 v17, v17, v21
	v_bfe_i32 v35, v26, 4, 1
	v_cmp_lt_u32_e64 s[34:35], 31, v26
	v_mov_b32_dpp v21, v17 row_shr:4 row_mask:0xf bank_mask:0xf
	v_cndmask_b32_e64 v21, 0, v21, s[26:27]
	v_add_u32_e32 v17, v17, v21
	v_lshlrev_b32_e32 v23, 2, v23
	s_nop 0
	v_mov_b32_dpp v21, v17 row_shr:8 row_mask:0xf bank_mask:0xf
	v_cndmask_b32_e64 v16, 0, v21, s[28:29]
	v_add_u32_e32 v16, v17, v16
	s_nop 1
	v_mov_b32_dpp v17, v16 row_bcast:15 row_mask:0xf bank_mask:0xf
	v_and_b32_e32 v17, v35, v17
	v_add_u32_e32 v16, v16, v17
	s_nop 1
	v_mov_b32_dpp v17, v16 row_bcast:31 row_mask:0xf bank_mask:0xf
	v_cndmask_b32_e64 v17, 0, v17, s[34:35]
	v_add_u32_e32 v17, v16, v17
	s_and_saveexec_b64 s[4:5], s[16:17]
	s_cbranch_execz .LBB237_115
; %bb.114:
	ds_write_b32 v23, v17
.LBB237_115:
	s_or_b64 exec, exec, s[4:5]
	v_and_b32_e32 v16, 1, v26
	v_cmp_gt_u32_e64 s[24:25], 2, v42
	v_lshlrev_b32_e32 v21, 2, v42
	v_cmp_eq_u32_e64 s[18:19], 0, v16
	s_waitcnt lgkmcnt(0)
	s_barrier
	s_and_saveexec_b64 s[4:5], s[24:25]
	s_cbranch_execz .LBB237_117
; %bb.116:
	ds_read_b32 v16, v21
	s_waitcnt lgkmcnt(0)
	s_nop 0
	v_mov_b32_dpp v34, v16 row_shr:1 row_mask:0xf bank_mask:0xf
	v_cndmask_b32_e64 v34, v34, 0, s[18:19]
	v_add_u32_e32 v16, v34, v16
	ds_write_b32 v21, v16
.LBB237_117:
	s_or_b64 exec, exec, s[4:5]
	v_cmp_lt_u32_e64 s[30:31], 63, v42
	v_add_u32_e32 v34, -4, v23
	v_mov_b32_e32 v16, 0
	v_mov_b32_e32 v81, 0
	s_waitcnt lgkmcnt(0)
	s_barrier
	s_and_saveexec_b64 s[4:5], s[30:31]
	s_cbranch_execz .LBB237_119
; %bb.118:
	ds_read_b32 v81, v34
.LBB237_119:
	s_or_b64 exec, exec, s[4:5]
	v_add_u32_e32 v35, -1, v26
	v_and_b32_e32 v82, 64, v26
	v_cmp_lt_i32_e64 s[4:5], v35, v82
	v_cndmask_b32_e64 v35, v35, v26, s[4:5]
	v_lshlrev_b32_e32 v35, 2, v35
	s_waitcnt lgkmcnt(0)
	v_add_u32_e32 v17, v81, v17
	ds_bpermute_b32 v17, v35, v17
	v_cmp_eq_u32_e64 s[36:37], 0, v26
	v_cmp_eq_u32_e64 s[38:39], 0, v42
	v_and_or_b32 v36, v26, 63, v36
	v_lshlrev_b32_e32 v82, 1, v36
	s_waitcnt lgkmcnt(0)
	v_cndmask_b32_e64 v17, v17, v81, s[36:37]
	v_cndmask_b32_e64 v17, v17, 0, s[38:39]
	v_add_u32_e32 v18, v17, v18
	v_add_u32_e32 v19, v18, v19
	;; [unrolled: 1-line block ×3, first 2 shown]
	ds_write2_b32 v62, v17, v18 offset0:2 offset1:3
	ds_write2_b32 v22, v19, v20 offset0:2 offset1:3
	s_waitcnt lgkmcnt(0)
	s_barrier
	ds_read_b32 v17, v37 offset:8
	ds_read_b32 v18, v40 offset:8
	ds_read_b32 v19, v64 offset:8
	ds_read_b32 v20, v67 offset:8
	ds_read_b32 v26, v70 offset:8
	ds_read_b32 v37, v73 offset:8
	ds_read_b32 v40, v76 offset:8
	ds_read_b32 v64, v79 offset:8
	s_waitcnt lgkmcnt(7)
	v_add_u32_e32 v17, v17, v38
	s_waitcnt lgkmcnt(6)
	v_add3_u32 v18, v41, v39, v18
	s_waitcnt lgkmcnt(4)
	v_add3_u32 v38, v68, v66, v20
	v_lshlrev_b32_e32 v20, 1, v17
	v_add3_u32 v19, v65, v63, v19
	s_waitcnt lgkmcnt(0)
	s_barrier
	ds_write_b16 v20, v33
	v_lshlrev_b32_e32 v20, 1, v18
	ds_write_b16 v20, v32
	v_lshlrev_b32_e32 v20, 1, v19
	v_add3_u32 v39, v71, v69, v26
	ds_write_b16 v20, v31
	v_lshlrev_b32_e32 v20, 1, v38
	v_add3_u32 v37, v74, v72, v37
	;; [unrolled: 3-line block ×4, first 2 shown]
	ds_write_b16 v20, v28
	v_lshlrev_b32_e32 v20, 1, v40
	ds_write_b16 v20, v27
	v_lshlrev_b32_e32 v20, 1, v41
	v_lshlrev_b32_e32 v17, 3, v17
	s_min_u32 s4, s42, 8
	ds_write_b16 v20, v25
	s_waitcnt lgkmcnt(0)
	s_barrier
	ds_read_u16 v31, v82
	ds_read_u16 v30, v82 offset:128
	ds_read_u16 v29, v82 offset:256
	;; [unrolled: 1-line block ×7, first 2 shown]
	s_waitcnt lgkmcnt(0)
	s_barrier
	ds_write_b64 v17, v[12:13]
	v_lshlrev_b32_e32 v12, 3, v18
	s_lshl_b32 s4, -1, s4
	s_movk_i32 s49, 0x8000
	ds_write_b64 v12, v[14:15]
	v_lshlrev_b32_e32 v12, 3, v19
	s_not_b32 s48, s4
	v_lshrrev_b16_e32 v17, 8, v31
	v_mov_b32_e32 v18, 0x7f
	v_cmp_ne_u16_e64 s[4:5], s49, v31
	ds_write_b64 v12, v[8:9]
	v_lshlrev_b32_e32 v8, 3, v38
	v_cndmask_b32_e64 v17, v18, v17, s[4:5]
	ds_write_b64 v8, v[10:11]
	v_lshlrev_b32_e32 v8, 3, v39
	v_and_b32_sdwa v19, v17, s48 dst_sel:DWORD dst_unused:UNUSED_PAD src0_sel:WORD_0 src1_sel:DWORD
	ds_write_b64 v8, v[4:5]
	v_lshlrev_b32_e32 v4, 3, v37
	v_lshlrev_b32_e32 v17, 1, v19
	ds_write_b64 v4, v[6:7]
	v_lshlrev_b32_e32 v4, 3, v40
	v_add_lshl_u32 v32, v17, v24, 2
	v_and_b32_e32 v17, 1, v19
	v_lshlrev_b32_e32 v36, 3, v36
	ds_write_b64 v4, v[0:1]
	v_lshlrev_b32_e32 v0, 3, v41
	v_add_co_u32_e64 v33, s[4:5], -1, v17
	ds_write_b64 v0, v[2:3]
	s_waitcnt lgkmcnt(0)
	s_barrier
	ds_read2st64_b64 v[12:15], v36 offset1:1
	ds_read2st64_b64 v[8:11], v36 offset0:2 offset1:3
	ds_read2st64_b64 v[4:7], v36 offset0:4 offset1:5
	;; [unrolled: 1-line block ×3, first 2 shown]
	v_addc_co_u32_e64 v36, s[4:5], 0, -1, s[4:5]
	v_cmp_ne_u32_e64 s[4:5], 0, v17
	v_xor_b32_e32 v17, s5, v36
	v_and_b32_e32 v36, exec_hi, v17
	v_lshlrev_b32_e32 v17, 30, v19
	v_xor_b32_e32 v33, s4, v33
	v_cmp_gt_i64_e64 s[4:5], 0, v[16:17]
	v_not_b32_e32 v17, v17
	v_ashrrev_i32_e32 v17, 31, v17
	v_and_b32_e32 v33, exec_lo, v33
	v_xor_b32_e32 v37, s5, v17
	v_xor_b32_e32 v17, s4, v17
	v_and_b32_e32 v33, v33, v17
	v_lshlrev_b32_e32 v17, 29, v19
	v_cmp_gt_i64_e64 s[4:5], 0, v[16:17]
	v_not_b32_e32 v17, v17
	v_ashrrev_i32_e32 v17, 31, v17
	v_and_b32_e32 v36, v36, v37
	v_xor_b32_e32 v37, s5, v17
	v_xor_b32_e32 v17, s4, v17
	v_and_b32_e32 v33, v33, v17
	v_lshlrev_b32_e32 v17, 28, v19
	v_cmp_gt_i64_e64 s[4:5], 0, v[16:17]
	v_not_b32_e32 v17, v17
	v_ashrrev_i32_e32 v17, 31, v17
	v_and_b32_e32 v36, v36, v37
	;; [unrolled: 8-line block ×5, first 2 shown]
	v_xor_b32_e32 v37, s5, v17
	v_xor_b32_e32 v17, s4, v17
	v_and_b32_e32 v33, v33, v17
	v_lshlrev_b32_e32 v17, 24, v19
	s_waitcnt lgkmcnt(0)
	s_barrier
	ds_write2_b32 v62, v16, v16 offset0:2 offset1:3
	ds_write2_b32 v22, v16, v16 offset0:2 offset1:3
	v_cmp_gt_i64_e64 s[4:5], 0, v[16:17]
	v_not_b32_e32 v16, v17
	v_ashrrev_i32_e32 v16, 31, v16
	v_xor_b32_e32 v17, s5, v16
	v_xor_b32_e32 v16, s4, v16
	v_and_b32_e32 v36, v36, v37
	v_and_b32_e32 v16, v33, v16
	v_and_b32_e32 v17, v36, v17
	v_mbcnt_lo_u32_b32 v19, v16, 0
	v_mbcnt_hi_u32_b32 v33, v17, v19
	v_cmp_eq_u32_e64 s[4:5], 0, v33
	v_cmp_ne_u64_e64 s[42:43], 0, v[16:17]
	s_and_b64 s[42:43], s[42:43], s[4:5]
	s_waitcnt lgkmcnt(0)
	s_barrier
	s_waitcnt lgkmcnt(0)
	; wave barrier
	s_and_saveexec_b64 s[4:5], s[42:43]
	s_cbranch_execz .LBB237_121
; %bb.120:
	v_bcnt_u32_b32 v16, v16, 0
	v_bcnt_u32_b32 v16, v17, v16
	ds_write_b32 v32, v16 offset:8
.LBB237_121:
	s_or_b64 exec, exec, s[4:5]
	v_lshrrev_b16_e32 v16, 8, v30
	v_cmp_ne_u16_e64 s[4:5], s49, v30
	v_cndmask_b32_e64 v16, v18, v16, s[4:5]
	v_and_b32_e32 v18, s48, v16
	v_and_b32_e32 v17, 1, v18
	v_add_co_u32_e64 v19, s[4:5], -1, v17
	v_addc_co_u32_e64 v38, s[4:5], 0, -1, s[4:5]
	v_cmp_ne_u32_e64 s[4:5], 0, v17
	v_lshlrev_b32_e32 v16, 1, v18
	v_xor_b32_e32 v17, s5, v38
	v_add_lshl_u32 v37, v16, v24, 2
	v_mov_b32_e32 v16, 0
	v_and_b32_e32 v38, exec_hi, v17
	v_lshlrev_b32_e32 v17, 30, v18
	v_xor_b32_e32 v19, s4, v19
	v_cmp_gt_i64_e64 s[4:5], 0, v[16:17]
	v_not_b32_e32 v17, v17
	v_ashrrev_i32_e32 v17, 31, v17
	v_and_b32_e32 v19, exec_lo, v19
	v_xor_b32_e32 v39, s5, v17
	v_xor_b32_e32 v17, s4, v17
	v_and_b32_e32 v19, v19, v17
	v_lshlrev_b32_e32 v17, 29, v18
	v_cmp_gt_i64_e64 s[4:5], 0, v[16:17]
	v_not_b32_e32 v17, v17
	v_ashrrev_i32_e32 v17, 31, v17
	v_and_b32_e32 v38, v38, v39
	v_xor_b32_e32 v39, s5, v17
	v_xor_b32_e32 v17, s4, v17
	v_and_b32_e32 v19, v19, v17
	v_lshlrev_b32_e32 v17, 28, v18
	v_cmp_gt_i64_e64 s[4:5], 0, v[16:17]
	v_not_b32_e32 v17, v17
	v_ashrrev_i32_e32 v17, 31, v17
	v_and_b32_e32 v38, v38, v39
	;; [unrolled: 8-line block ×5, first 2 shown]
	v_xor_b32_e32 v39, s5, v17
	v_xor_b32_e32 v17, s4, v17
	v_and_b32_e32 v38, v38, v39
	v_and_b32_e32 v39, v19, v17
	v_lshlrev_b32_e32 v17, 24, v18
	v_cmp_gt_i64_e64 s[4:5], 0, v[16:17]
	v_not_b32_e32 v17, v17
	v_ashrrev_i32_e32 v17, 31, v17
	v_xor_b32_e32 v18, s5, v17
	v_xor_b32_e32 v17, s4, v17
	; wave barrier
	ds_read_b32 v36, v37 offset:8
	v_and_b32_e32 v19, v38, v18
	v_and_b32_e32 v18, v39, v17
	v_mbcnt_lo_u32_b32 v17, v18, 0
	v_mbcnt_hi_u32_b32 v38, v19, v17
	v_cmp_eq_u32_e64 s[4:5], 0, v38
	v_cmp_ne_u64_e64 s[42:43], 0, v[18:19]
	s_and_b64 s[42:43], s[42:43], s[4:5]
	; wave barrier
	s_and_saveexec_b64 s[4:5], s[42:43]
	s_cbranch_execz .LBB237_123
; %bb.122:
	v_bcnt_u32_b32 v17, v18, 0
	v_bcnt_u32_b32 v17, v19, v17
	s_waitcnt lgkmcnt(0)
	v_add_u32_e32 v17, v36, v17
	ds_write_b32 v37, v17 offset:8
.LBB237_123:
	s_or_b64 exec, exec, s[4:5]
	v_lshrrev_b16_e32 v17, 8, v29
	v_mov_b32_e32 v18, 0x7f
	v_cmp_ne_u16_e64 s[4:5], s49, v29
	v_cndmask_b32_e64 v17, v18, v17, s[4:5]
	v_and_b32_e32 v19, s48, v17
	v_lshlrev_b32_e32 v17, 1, v19
	v_add_lshl_u32 v40, v17, v24, 2
	v_and_b32_e32 v17, 1, v19
	v_add_co_u32_e64 v41, s[4:5], -1, v17
	v_addc_co_u32_e64 v63, s[4:5], 0, -1, s[4:5]
	v_cmp_ne_u32_e64 s[4:5], 0, v17
	v_xor_b32_e32 v17, s5, v63
	v_and_b32_e32 v63, exec_hi, v17
	v_lshlrev_b32_e32 v17, 30, v19
	v_xor_b32_e32 v41, s4, v41
	v_cmp_gt_i64_e64 s[4:5], 0, v[16:17]
	v_not_b32_e32 v17, v17
	v_ashrrev_i32_e32 v17, 31, v17
	v_and_b32_e32 v41, exec_lo, v41
	v_xor_b32_e32 v64, s5, v17
	v_xor_b32_e32 v17, s4, v17
	v_and_b32_e32 v41, v41, v17
	v_lshlrev_b32_e32 v17, 29, v19
	v_cmp_gt_i64_e64 s[4:5], 0, v[16:17]
	v_not_b32_e32 v17, v17
	v_ashrrev_i32_e32 v17, 31, v17
	v_and_b32_e32 v63, v63, v64
	v_xor_b32_e32 v64, s5, v17
	v_xor_b32_e32 v17, s4, v17
	v_and_b32_e32 v41, v41, v17
	v_lshlrev_b32_e32 v17, 28, v19
	v_cmp_gt_i64_e64 s[4:5], 0, v[16:17]
	v_not_b32_e32 v17, v17
	v_ashrrev_i32_e32 v17, 31, v17
	v_and_b32_e32 v63, v63, v64
	;; [unrolled: 8-line block ×5, first 2 shown]
	v_xor_b32_e32 v64, s5, v17
	v_xor_b32_e32 v17, s4, v17
	v_and_b32_e32 v41, v41, v17
	v_lshlrev_b32_e32 v17, 24, v19
	v_cmp_gt_i64_e64 s[4:5], 0, v[16:17]
	v_not_b32_e32 v16, v17
	v_ashrrev_i32_e32 v16, 31, v16
	v_xor_b32_e32 v17, s5, v16
	v_xor_b32_e32 v16, s4, v16
	; wave barrier
	ds_read_b32 v39, v40 offset:8
	v_and_b32_e32 v63, v63, v64
	v_and_b32_e32 v16, v41, v16
	;; [unrolled: 1-line block ×3, first 2 shown]
	v_mbcnt_lo_u32_b32 v19, v16, 0
	v_mbcnt_hi_u32_b32 v41, v17, v19
	v_cmp_eq_u32_e64 s[4:5], 0, v41
	v_cmp_ne_u64_e64 s[42:43], 0, v[16:17]
	s_and_b64 s[42:43], s[42:43], s[4:5]
	; wave barrier
	s_and_saveexec_b64 s[4:5], s[42:43]
	s_cbranch_execz .LBB237_125
; %bb.124:
	v_bcnt_u32_b32 v16, v16, 0
	v_bcnt_u32_b32 v16, v17, v16
	s_waitcnt lgkmcnt(0)
	v_add_u32_e32 v16, v39, v16
	ds_write_b32 v40, v16 offset:8
.LBB237_125:
	s_or_b64 exec, exec, s[4:5]
	v_lshrrev_b16_e32 v16, 8, v28
	v_cmp_ne_u16_e64 s[4:5], s49, v28
	v_cndmask_b32_e64 v16, v18, v16, s[4:5]
	v_and_b32_e32 v18, s48, v16
	v_and_b32_e32 v17, 1, v18
	v_add_co_u32_e64 v19, s[4:5], -1, v17
	v_addc_co_u32_e64 v65, s[4:5], 0, -1, s[4:5]
	v_cmp_ne_u32_e64 s[4:5], 0, v17
	v_lshlrev_b32_e32 v16, 1, v18
	v_xor_b32_e32 v17, s5, v65
	v_add_lshl_u32 v64, v16, v24, 2
	v_mov_b32_e32 v16, 0
	v_and_b32_e32 v65, exec_hi, v17
	v_lshlrev_b32_e32 v17, 30, v18
	v_xor_b32_e32 v19, s4, v19
	v_cmp_gt_i64_e64 s[4:5], 0, v[16:17]
	v_not_b32_e32 v17, v17
	v_ashrrev_i32_e32 v17, 31, v17
	v_and_b32_e32 v19, exec_lo, v19
	v_xor_b32_e32 v66, s5, v17
	v_xor_b32_e32 v17, s4, v17
	v_and_b32_e32 v19, v19, v17
	v_lshlrev_b32_e32 v17, 29, v18
	v_cmp_gt_i64_e64 s[4:5], 0, v[16:17]
	v_not_b32_e32 v17, v17
	v_ashrrev_i32_e32 v17, 31, v17
	v_and_b32_e32 v65, v65, v66
	v_xor_b32_e32 v66, s5, v17
	v_xor_b32_e32 v17, s4, v17
	v_and_b32_e32 v19, v19, v17
	v_lshlrev_b32_e32 v17, 28, v18
	v_cmp_gt_i64_e64 s[4:5], 0, v[16:17]
	v_not_b32_e32 v17, v17
	v_ashrrev_i32_e32 v17, 31, v17
	v_and_b32_e32 v65, v65, v66
	;; [unrolled: 8-line block ×5, first 2 shown]
	v_xor_b32_e32 v66, s5, v17
	v_xor_b32_e32 v17, s4, v17
	v_and_b32_e32 v65, v65, v66
	v_and_b32_e32 v66, v19, v17
	v_lshlrev_b32_e32 v17, 24, v18
	v_cmp_gt_i64_e64 s[4:5], 0, v[16:17]
	v_not_b32_e32 v17, v17
	v_ashrrev_i32_e32 v17, 31, v17
	v_xor_b32_e32 v18, s5, v17
	v_xor_b32_e32 v17, s4, v17
	; wave barrier
	ds_read_b32 v63, v64 offset:8
	v_and_b32_e32 v19, v65, v18
	v_and_b32_e32 v18, v66, v17
	v_mbcnt_lo_u32_b32 v17, v18, 0
	v_mbcnt_hi_u32_b32 v65, v19, v17
	v_cmp_eq_u32_e64 s[4:5], 0, v65
	v_cmp_ne_u64_e64 s[42:43], 0, v[18:19]
	s_and_b64 s[42:43], s[42:43], s[4:5]
	; wave barrier
	s_and_saveexec_b64 s[4:5], s[42:43]
	s_cbranch_execz .LBB237_127
; %bb.126:
	v_bcnt_u32_b32 v17, v18, 0
	v_bcnt_u32_b32 v17, v19, v17
	s_waitcnt lgkmcnt(0)
	v_add_u32_e32 v17, v63, v17
	ds_write_b32 v64, v17 offset:8
.LBB237_127:
	s_or_b64 exec, exec, s[4:5]
	v_lshrrev_b16_e32 v17, 8, v27
	v_mov_b32_e32 v18, 0x7f
	v_cmp_ne_u16_e64 s[4:5], s49, v27
	v_cndmask_b32_e64 v17, v18, v17, s[4:5]
	v_and_b32_e32 v19, s48, v17
	v_lshlrev_b32_e32 v17, 1, v19
	v_add_lshl_u32 v67, v17, v24, 2
	v_and_b32_e32 v17, 1, v19
	v_add_co_u32_e64 v68, s[4:5], -1, v17
	v_addc_co_u32_e64 v69, s[4:5], 0, -1, s[4:5]
	v_cmp_ne_u32_e64 s[4:5], 0, v17
	v_xor_b32_e32 v17, s5, v69
	v_and_b32_e32 v69, exec_hi, v17
	v_lshlrev_b32_e32 v17, 30, v19
	v_xor_b32_e32 v68, s4, v68
	v_cmp_gt_i64_e64 s[4:5], 0, v[16:17]
	v_not_b32_e32 v17, v17
	v_ashrrev_i32_e32 v17, 31, v17
	v_and_b32_e32 v68, exec_lo, v68
	v_xor_b32_e32 v70, s5, v17
	v_xor_b32_e32 v17, s4, v17
	v_and_b32_e32 v68, v68, v17
	v_lshlrev_b32_e32 v17, 29, v19
	v_cmp_gt_i64_e64 s[4:5], 0, v[16:17]
	v_not_b32_e32 v17, v17
	v_ashrrev_i32_e32 v17, 31, v17
	v_and_b32_e32 v69, v69, v70
	v_xor_b32_e32 v70, s5, v17
	v_xor_b32_e32 v17, s4, v17
	v_and_b32_e32 v68, v68, v17
	v_lshlrev_b32_e32 v17, 28, v19
	v_cmp_gt_i64_e64 s[4:5], 0, v[16:17]
	v_not_b32_e32 v17, v17
	v_ashrrev_i32_e32 v17, 31, v17
	v_and_b32_e32 v69, v69, v70
	;; [unrolled: 8-line block ×5, first 2 shown]
	v_xor_b32_e32 v70, s5, v17
	v_xor_b32_e32 v17, s4, v17
	v_and_b32_e32 v68, v68, v17
	v_lshlrev_b32_e32 v17, 24, v19
	v_cmp_gt_i64_e64 s[4:5], 0, v[16:17]
	v_not_b32_e32 v16, v17
	v_ashrrev_i32_e32 v16, 31, v16
	v_xor_b32_e32 v17, s5, v16
	v_xor_b32_e32 v16, s4, v16
	; wave barrier
	ds_read_b32 v66, v67 offset:8
	v_and_b32_e32 v69, v69, v70
	v_and_b32_e32 v16, v68, v16
	;; [unrolled: 1-line block ×3, first 2 shown]
	v_mbcnt_lo_u32_b32 v19, v16, 0
	v_mbcnt_hi_u32_b32 v68, v17, v19
	v_cmp_eq_u32_e64 s[4:5], 0, v68
	v_cmp_ne_u64_e64 s[42:43], 0, v[16:17]
	s_and_b64 s[42:43], s[42:43], s[4:5]
	; wave barrier
	s_and_saveexec_b64 s[4:5], s[42:43]
	s_cbranch_execz .LBB237_129
; %bb.128:
	v_bcnt_u32_b32 v16, v16, 0
	v_bcnt_u32_b32 v16, v17, v16
	s_waitcnt lgkmcnt(0)
	v_add_u32_e32 v16, v66, v16
	ds_write_b32 v67, v16 offset:8
.LBB237_129:
	s_or_b64 exec, exec, s[4:5]
	v_lshrrev_b16_e32 v16, 8, v26
	v_cmp_ne_u16_e64 s[4:5], s49, v26
	v_cndmask_b32_e64 v16, v18, v16, s[4:5]
	v_and_b32_e32 v18, s48, v16
	v_and_b32_e32 v17, 1, v18
	v_add_co_u32_e64 v19, s[4:5], -1, v17
	v_addc_co_u32_e64 v71, s[4:5], 0, -1, s[4:5]
	v_cmp_ne_u32_e64 s[4:5], 0, v17
	v_lshlrev_b32_e32 v16, 1, v18
	v_xor_b32_e32 v17, s5, v71
	v_add_lshl_u32 v70, v16, v24, 2
	v_mov_b32_e32 v16, 0
	v_and_b32_e32 v71, exec_hi, v17
	v_lshlrev_b32_e32 v17, 30, v18
	v_xor_b32_e32 v19, s4, v19
	v_cmp_gt_i64_e64 s[4:5], 0, v[16:17]
	v_not_b32_e32 v17, v17
	v_ashrrev_i32_e32 v17, 31, v17
	v_and_b32_e32 v19, exec_lo, v19
	v_xor_b32_e32 v72, s5, v17
	v_xor_b32_e32 v17, s4, v17
	v_and_b32_e32 v19, v19, v17
	v_lshlrev_b32_e32 v17, 29, v18
	v_cmp_gt_i64_e64 s[4:5], 0, v[16:17]
	v_not_b32_e32 v17, v17
	v_ashrrev_i32_e32 v17, 31, v17
	v_and_b32_e32 v71, v71, v72
	v_xor_b32_e32 v72, s5, v17
	v_xor_b32_e32 v17, s4, v17
	v_and_b32_e32 v19, v19, v17
	v_lshlrev_b32_e32 v17, 28, v18
	v_cmp_gt_i64_e64 s[4:5], 0, v[16:17]
	v_not_b32_e32 v17, v17
	v_ashrrev_i32_e32 v17, 31, v17
	v_and_b32_e32 v71, v71, v72
	;; [unrolled: 8-line block ×5, first 2 shown]
	v_xor_b32_e32 v72, s5, v17
	v_xor_b32_e32 v17, s4, v17
	v_and_b32_e32 v71, v71, v72
	v_and_b32_e32 v72, v19, v17
	v_lshlrev_b32_e32 v17, 24, v18
	v_cmp_gt_i64_e64 s[4:5], 0, v[16:17]
	v_not_b32_e32 v17, v17
	v_ashrrev_i32_e32 v17, 31, v17
	v_xor_b32_e32 v18, s5, v17
	v_xor_b32_e32 v17, s4, v17
	; wave barrier
	ds_read_b32 v69, v70 offset:8
	v_and_b32_e32 v19, v71, v18
	v_and_b32_e32 v18, v72, v17
	v_mbcnt_lo_u32_b32 v17, v18, 0
	v_mbcnt_hi_u32_b32 v71, v19, v17
	v_cmp_eq_u32_e64 s[4:5], 0, v71
	v_cmp_ne_u64_e64 s[42:43], 0, v[18:19]
	s_and_b64 s[42:43], s[42:43], s[4:5]
	; wave barrier
	s_and_saveexec_b64 s[4:5], s[42:43]
	s_cbranch_execz .LBB237_131
; %bb.130:
	v_bcnt_u32_b32 v17, v18, 0
	v_bcnt_u32_b32 v17, v19, v17
	s_waitcnt lgkmcnt(0)
	v_add_u32_e32 v17, v69, v17
	ds_write_b32 v70, v17 offset:8
.LBB237_131:
	s_or_b64 exec, exec, s[4:5]
	v_lshrrev_b16_e32 v17, 8, v25
	v_mov_b32_e32 v18, 0x7f
	v_cmp_ne_u16_e64 s[4:5], s49, v25
	v_cndmask_b32_e64 v17, v18, v17, s[4:5]
	v_and_b32_e32 v19, s48, v17
	v_lshlrev_b32_e32 v17, 1, v19
	v_add_lshl_u32 v73, v17, v24, 2
	v_and_b32_e32 v17, 1, v19
	v_add_co_u32_e64 v74, s[4:5], -1, v17
	v_addc_co_u32_e64 v75, s[4:5], 0, -1, s[4:5]
	v_cmp_ne_u32_e64 s[4:5], 0, v17
	v_xor_b32_e32 v17, s5, v75
	v_and_b32_e32 v75, exec_hi, v17
	v_lshlrev_b32_e32 v17, 30, v19
	v_xor_b32_e32 v74, s4, v74
	v_cmp_gt_i64_e64 s[4:5], 0, v[16:17]
	v_not_b32_e32 v17, v17
	v_ashrrev_i32_e32 v17, 31, v17
	v_and_b32_e32 v74, exec_lo, v74
	v_xor_b32_e32 v76, s5, v17
	v_xor_b32_e32 v17, s4, v17
	v_and_b32_e32 v74, v74, v17
	v_lshlrev_b32_e32 v17, 29, v19
	v_cmp_gt_i64_e64 s[4:5], 0, v[16:17]
	v_not_b32_e32 v17, v17
	v_ashrrev_i32_e32 v17, 31, v17
	v_and_b32_e32 v75, v75, v76
	v_xor_b32_e32 v76, s5, v17
	v_xor_b32_e32 v17, s4, v17
	v_and_b32_e32 v74, v74, v17
	v_lshlrev_b32_e32 v17, 28, v19
	v_cmp_gt_i64_e64 s[4:5], 0, v[16:17]
	v_not_b32_e32 v17, v17
	v_ashrrev_i32_e32 v17, 31, v17
	v_and_b32_e32 v75, v75, v76
	;; [unrolled: 8-line block ×5, first 2 shown]
	v_xor_b32_e32 v76, s5, v17
	v_xor_b32_e32 v17, s4, v17
	v_and_b32_e32 v74, v74, v17
	v_lshlrev_b32_e32 v17, 24, v19
	v_cmp_gt_i64_e64 s[4:5], 0, v[16:17]
	v_not_b32_e32 v16, v17
	v_ashrrev_i32_e32 v16, 31, v16
	v_xor_b32_e32 v17, s5, v16
	v_xor_b32_e32 v16, s4, v16
	; wave barrier
	ds_read_b32 v72, v73 offset:8
	v_and_b32_e32 v75, v75, v76
	v_and_b32_e32 v16, v74, v16
	;; [unrolled: 1-line block ×3, first 2 shown]
	v_mbcnt_lo_u32_b32 v19, v16, 0
	v_mbcnt_hi_u32_b32 v74, v17, v19
	v_cmp_eq_u32_e64 s[4:5], 0, v74
	v_cmp_ne_u64_e64 s[42:43], 0, v[16:17]
	s_and_b64 s[42:43], s[42:43], s[4:5]
	; wave barrier
	s_and_saveexec_b64 s[4:5], s[42:43]
	s_cbranch_execz .LBB237_133
; %bb.132:
	v_bcnt_u32_b32 v16, v16, 0
	v_bcnt_u32_b32 v16, v17, v16
	s_waitcnt lgkmcnt(0)
	v_add_u32_e32 v16, v72, v16
	ds_write_b32 v73, v16 offset:8
.LBB237_133:
	s_or_b64 exec, exec, s[4:5]
	v_lshrrev_b16_e32 v16, 8, v20
	v_cmp_ne_u16_e64 s[4:5], s49, v20
	v_cndmask_b32_e64 v16, v18, v16, s[4:5]
	v_and_b32_e32 v18, s48, v16
	v_and_b32_e32 v17, 1, v18
	v_add_co_u32_e64 v19, s[4:5], -1, v17
	v_addc_co_u32_e64 v76, s[4:5], 0, -1, s[4:5]
	v_cmp_ne_u32_e64 s[4:5], 0, v17
	v_lshlrev_b32_e32 v16, 1, v18
	v_xor_b32_e32 v17, s5, v76
	v_add_lshl_u32 v75, v16, v24, 2
	v_mov_b32_e32 v16, 0
	v_and_b32_e32 v76, exec_hi, v17
	v_lshlrev_b32_e32 v17, 30, v18
	v_xor_b32_e32 v19, s4, v19
	v_cmp_gt_i64_e64 s[4:5], 0, v[16:17]
	v_not_b32_e32 v17, v17
	v_ashrrev_i32_e32 v17, 31, v17
	v_and_b32_e32 v19, exec_lo, v19
	v_xor_b32_e32 v77, s5, v17
	v_xor_b32_e32 v17, s4, v17
	v_and_b32_e32 v19, v19, v17
	v_lshlrev_b32_e32 v17, 29, v18
	v_cmp_gt_i64_e64 s[4:5], 0, v[16:17]
	v_not_b32_e32 v17, v17
	v_ashrrev_i32_e32 v17, 31, v17
	v_and_b32_e32 v76, v76, v77
	v_xor_b32_e32 v77, s5, v17
	v_xor_b32_e32 v17, s4, v17
	v_and_b32_e32 v19, v19, v17
	v_lshlrev_b32_e32 v17, 28, v18
	v_cmp_gt_i64_e64 s[4:5], 0, v[16:17]
	v_not_b32_e32 v17, v17
	v_ashrrev_i32_e32 v17, 31, v17
	v_and_b32_e32 v76, v76, v77
	;; [unrolled: 8-line block ×5, first 2 shown]
	v_xor_b32_e32 v77, s5, v17
	v_xor_b32_e32 v17, s4, v17
	v_and_b32_e32 v19, v19, v17
	v_lshlrev_b32_e32 v17, 24, v18
	v_cmp_gt_i64_e64 s[4:5], 0, v[16:17]
	v_not_b32_e32 v16, v17
	v_ashrrev_i32_e32 v16, 31, v16
	v_xor_b32_e32 v17, s5, v16
	v_xor_b32_e32 v16, s4, v16
	; wave barrier
	ds_read_b32 v24, v75 offset:8
	v_and_b32_e32 v76, v76, v77
	v_and_b32_e32 v16, v19, v16
	;; [unrolled: 1-line block ×3, first 2 shown]
	v_mbcnt_lo_u32_b32 v18, v16, 0
	v_mbcnt_hi_u32_b32 v76, v17, v18
	v_cmp_eq_u32_e64 s[4:5], 0, v76
	v_cmp_ne_u64_e64 s[42:43], 0, v[16:17]
	s_and_b64 s[42:43], s[42:43], s[4:5]
	; wave barrier
	s_and_saveexec_b64 s[4:5], s[42:43]
	s_cbranch_execz .LBB237_135
; %bb.134:
	v_bcnt_u32_b32 v16, v16, 0
	v_bcnt_u32_b32 v16, v17, v16
	s_waitcnt lgkmcnt(0)
	v_add_u32_e32 v16, v24, v16
	ds_write_b32 v75, v16 offset:8
.LBB237_135:
	s_or_b64 exec, exec, s[4:5]
	; wave barrier
	s_waitcnt lgkmcnt(0)
	s_barrier
	ds_read2_b32 v[18:19], v62 offset0:2 offset1:3
	ds_read2_b32 v[16:17], v22 offset0:2 offset1:3
	s_waitcnt lgkmcnt(1)
	v_add_u32_e32 v77, v19, v18
	s_waitcnt lgkmcnt(0)
	v_add3_u32 v17, v77, v16, v17
	s_nop 1
	v_mov_b32_dpp v77, v17 row_shr:1 row_mask:0xf bank_mask:0xf
	v_cndmask_b32_e64 v77, v77, 0, s[20:21]
	v_add_u32_e32 v17, v77, v17
	s_nop 1
	v_mov_b32_dpp v77, v17 row_shr:2 row_mask:0xf bank_mask:0xf
	v_cndmask_b32_e64 v77, 0, v77, s[22:23]
	v_add_u32_e32 v17, v17, v77
	;; [unrolled: 4-line block ×4, first 2 shown]
	s_nop 1
	v_mov_b32_dpp v77, v17 row_bcast:15 row_mask:0xf bank_mask:0xf
	v_cndmask_b32_e64 v77, v77, 0, vcc
	v_add_u32_e32 v17, v17, v77
	s_nop 1
	v_mov_b32_dpp v77, v17 row_bcast:31 row_mask:0xf bank_mask:0xf
	v_cndmask_b32_e64 v77, 0, v77, s[34:35]
	v_add_u32_e32 v77, v17, v77
	s_and_saveexec_b64 s[4:5], s[16:17]
	s_cbranch_execz .LBB237_137
; %bb.136:
	ds_write_b32 v23, v77
.LBB237_137:
	s_or_b64 exec, exec, s[4:5]
	s_waitcnt lgkmcnt(0)
	s_barrier
	s_and_saveexec_b64 s[4:5], s[24:25]
	s_cbranch_execz .LBB237_139
; %bb.138:
	ds_read_b32 v17, v21
	s_waitcnt lgkmcnt(0)
	s_nop 0
	v_mov_b32_dpp v23, v17 row_shr:1 row_mask:0xf bank_mask:0xf
	v_cndmask_b32_e64 v23, v23, 0, s[18:19]
	v_add_u32_e32 v17, v23, v17
	ds_write_b32 v21, v17
.LBB237_139:
	s_or_b64 exec, exec, s[4:5]
	v_mov_b32_e32 v17, 0
	v_mov_b32_e32 v21, 0
	s_waitcnt lgkmcnt(0)
	s_barrier
	s_and_saveexec_b64 s[4:5], s[30:31]
	s_cbranch_execz .LBB237_141
; %bb.140:
	ds_read_b32 v21, v34
.LBB237_141:
	s_or_b64 exec, exec, s[4:5]
	s_waitcnt lgkmcnt(0)
	v_add_u32_e32 v23, v21, v77
	ds_bpermute_b32 v23, v35, v23
	v_lshlrev_b32_e32 v34, 3, v60
	s_mov_b32 s16, 0x5040100
	s_waitcnt lgkmcnt(0)
	v_cndmask_b32_e64 v21, v23, v21, s[36:37]
	v_cndmask_b32_e64 v21, v21, 0, s[38:39]
	v_add_u32_e32 v18, v21, v18
	v_add_u32_e32 v19, v18, v19
	;; [unrolled: 1-line block ×3, first 2 shown]
	ds_write2_b32 v62, v21, v18 offset0:2 offset1:3
	ds_write2_b32 v22, v19, v16 offset0:2 offset1:3
	s_waitcnt lgkmcnt(0)
	s_barrier
	ds_read_b32 v16, v75 offset:8
	ds_read_b32 v18, v73 offset:8
	ds_read_b32 v19, v70 offset:8
	ds_read_b32 v21, v67 offset:8
	s_waitcnt lgkmcnt(3)
	v_add3_u32 v16, v76, v24, v16
	ds_read_b32 v22, v64 offset:8
	ds_read_b32 v23, v40 offset:8
	;; [unrolled: 1-line block ×4, first 2 shown]
	s_waitcnt lgkmcnt(0)
	s_barrier
	v_add3_u32 v23, v41, v39, v23
	v_add3_u32 v24, v38, v36, v24
	v_add_u32_e32 v32, v32, v33
	v_lshlrev_b32_e32 v33, 1, v32
	ds_write_b16 v33, v31
	v_lshlrev_b32_e32 v31, 1, v24
	v_add3_u32 v22, v65, v63, v22
	ds_write_b16 v31, v30
	v_lshlrev_b32_e32 v30, 1, v23
	v_add3_u32 v21, v68, v66, v21
	;; [unrolled: 3-line block ×4, first 2 shown]
	ds_write_b16 v28, v27
	v_lshlrev_b32_e32 v27, 1, v19
	ds_write_b16 v27, v26
	v_lshlrev_b32_e32 v26, 1, v18
	;; [unrolled: 2-line block ×4, first 2 shown]
	s_waitcnt lgkmcnt(0)
	s_barrier
	v_lshlrev_b32_e32 v26, 3, v21
	v_lshlrev_b32_e32 v27, 3, v19
	;; [unrolled: 1-line block ×3, first 2 shown]
	ds_read_b128 v[18:21], v20
	v_mov_b32_e32 v40, -1
	v_mov_b32_e32 v41, 0x7fff
	v_lshlrev_b32_e32 v25, 3, v32
	v_lshlrev_b32_e32 v24, 3, v24
	s_waitcnt lgkmcnt(0)
	v_cmp_gt_i16_sdwa vcc, v18, v40 src0_sel:WORD_1 src1_sel:DWORD
	v_cndmask_b32_e32 v29, 0, v41, vcc
	v_cmp_lt_i16_e32 vcc, -1, v18
	v_cndmask_b32_e32 v30, 0, v41, vcc
	v_cmp_lt_i16_sdwa s[4:5], v19, v17 src0_sel:WORD_1 src1_sel:DWORD
	v_cmp_gt_i16_e32 vcc, 0, v19
	v_cndmask_b32_e64 v31, v41, 0, s[4:5]
	v_cndmask_b32_e64 v32, v41, 0, vcc
	v_lshlrev_b32_e32 v23, 3, v23
	v_lshlrev_b32_e32 v22, 3, v22
	v_xor_b32_e32 v32, v32, v19
	v_xor_b32_sdwa v19, v31, v19 dst_sel:DWORD dst_unused:UNUSED_PAD src0_sel:DWORD src1_sel:WORD_1
	v_lshlrev_b32_e32 v16, 3, v16
	v_perm_b32 v39, v19, v32, s16
	v_xor_b32_e32 v19, v30, v18
	v_xor_b32_sdwa v18, v29, v18 dst_sel:DWORD dst_unused:UNUSED_PAD src0_sel:DWORD src1_sel:WORD_1
	s_barrier
	ds_write_b64 v25, v[12:13]
	ds_write_b64 v24, v[14:15]
	;; [unrolled: 1-line block ×8, first 2 shown]
	s_waitcnt lgkmcnt(0)
	s_barrier
	ds_read2_b64 v[22:25], v34 offset1:1
	ds_read2_b64 v[26:29], v34 offset0:2 offset1:3
	ds_read2_b64 v[30:33], v34 offset0:4 offset1:5
	;; [unrolled: 1-line block ×3, first 2 shown]
	v_cmp_gt_i16_sdwa vcc, v20, v40 src0_sel:WORD_1 src1_sel:DWORD
	v_cndmask_b32_e32 v0, 0, v41, vcc
	v_cmp_lt_i16_e32 vcc, -1, v20
	v_cndmask_b32_e32 v1, 0, v41, vcc
	v_cmp_lt_i16_sdwa s[4:5], v21, v17 src0_sel:WORD_1 src1_sel:DWORD
	v_cmp_gt_i16_e32 vcc, 0, v21
	v_cndmask_b32_e64 v2, v41, 0, s[4:5]
	v_cndmask_b32_e64 v3, v41, 0, vcc
	v_xor_b32_e32 v3, v3, v21
	v_xor_b32_sdwa v2, v2, v21 dst_sel:DWORD dst_unused:UNUSED_PAD src0_sel:DWORD src1_sel:WORD_1
	v_xor_b32_e32 v1, v1, v20
	v_xor_b32_sdwa v0, v0, v20 dst_sel:DWORD dst_unused:UNUSED_PAD src0_sel:DWORD src1_sel:WORD_1
	v_perm_b32 v38, v18, v19, s16
	v_perm_b32 v41, v2, v3, s16
	;; [unrolled: 1-line block ×3, first 2 shown]
.LBB237_142:
	s_waitcnt lgkmcnt(0)
	s_barrier
	ds_write_b128 v51, v[38:41]
	s_waitcnt lgkmcnt(0)
	s_barrier
	ds_read_u16 v8, v44 offset:256
	ds_read_u16 v7, v45 offset:512
	;; [unrolled: 1-line block ×7, first 2 shown]
	v_mad_u64_u32 v[0:1], s[4:5], v42, s44, 0
	v_mov_b32_e32 v10, v1
	v_mad_u64_u32 v[10:11], s[4:5], v42, s45, v[10:11]
	v_mov_b32_e32 v1, v10
	v_lshlrev_b64 v[0:1], 1, v[0:1]
	v_mov_b32_e32 v9, s50
	v_add_co_u32_e32 v0, vcc, s33, v0
	v_addc_co_u32_e32 v1, vcc, v9, v1, vcc
	s_and_saveexec_b64 s[4:5], s[0:1]
	s_cbranch_execnz .LBB237_161
; %bb.143:
	s_or_b64 exec, exec, s[4:5]
	s_and_saveexec_b64 s[4:5], s[2:3]
	s_cbranch_execnz .LBB237_162
.LBB237_144:
	s_or_b64 exec, exec, s[4:5]
	s_and_saveexec_b64 s[4:5], s[40:41]
	s_cbranch_execnz .LBB237_163
.LBB237_145:
	s_or_b64 exec, exec, s[4:5]
	s_and_saveexec_b64 s[4:5], s[6:7]
	s_cbranch_execnz .LBB237_164
.LBB237_146:
	s_or_b64 exec, exec, s[4:5]
	s_and_saveexec_b64 s[4:5], s[8:9]
	s_cbranch_execnz .LBB237_165
.LBB237_147:
	s_or_b64 exec, exec, s[4:5]
	s_and_saveexec_b64 s[4:5], s[10:11]
	s_cbranch_execnz .LBB237_166
.LBB237_148:
	s_or_b64 exec, exec, s[4:5]
	s_and_saveexec_b64 s[4:5], s[12:13]
	s_cbranch_execnz .LBB237_167
.LBB237_149:
	s_or_b64 exec, exec, s[4:5]
	s_and_saveexec_b64 s[4:5], s[14:15]
	s_cbranch_execz .LBB237_151
.LBB237_150:
	s_waitcnt lgkmcnt(1)
	v_mov_b32_e32 v3, 0x700
	v_mad_u64_u32 v[0:1], s[16:17], s44, v3, v[0:1]
	s_mul_i32 s16, s45, 0x700
	v_add_u32_e32 v1, s16, v1
	s_waitcnt lgkmcnt(0)
	global_store_short v[0:1], v2, off
.LBB237_151:
	s_or_b64 exec, exec, s[4:5]
	s_waitcnt lgkmcnt(0)
	s_barrier
	ds_write2_b64 v61, v[22:23], v[24:25] offset1:1
	ds_write2_b64 v61, v[26:27], v[28:29] offset0:2 offset1:3
	ds_write2_b64 v61, v[30:31], v[32:33] offset0:4 offset1:5
	;; [unrolled: 1-line block ×3, first 2 shown]
	s_waitcnt lgkmcnt(0)
	s_barrier
	ds_read_b64 v[14:15], v53 offset:1024
	ds_read_b64 v[12:13], v54 offset:2048
	;; [unrolled: 1-line block ×7, first 2 shown]
	v_mad_u64_u32 v[4:5], s[4:5], v42, s46, 0
	v_mov_b32_e32 v16, v5
	v_mad_u64_u32 v[16:17], s[4:5], v42, s47, v[16:17]
	v_mov_b32_e32 v5, v16
	v_lshlrev_b64 v[4:5], 3, v[4:5]
	v_mov_b32_e32 v16, s52
	v_add_co_u32_e32 v4, vcc, s51, v4
	v_addc_co_u32_e32 v5, vcc, v16, v5, vcc
	s_and_saveexec_b64 s[4:5], s[0:1]
	s_cbranch_execnz .LBB237_168
; %bb.152:
	s_or_b64 exec, exec, s[4:5]
	s_and_saveexec_b64 s[0:1], s[2:3]
	s_cbranch_execnz .LBB237_169
.LBB237_153:
	s_or_b64 exec, exec, s[0:1]
	s_and_saveexec_b64 s[0:1], s[40:41]
	s_cbranch_execnz .LBB237_170
.LBB237_154:
	s_or_b64 exec, exec, s[0:1]
	s_and_saveexec_b64 s[0:1], s[6:7]
	s_cbranch_execnz .LBB237_171
.LBB237_155:
	s_or_b64 exec, exec, s[0:1]
	s_and_saveexec_b64 s[0:1], s[8:9]
	s_cbranch_execnz .LBB237_172
.LBB237_156:
	s_or_b64 exec, exec, s[0:1]
	s_and_saveexec_b64 s[0:1], s[10:11]
	s_cbranch_execnz .LBB237_173
.LBB237_157:
	s_or_b64 exec, exec, s[0:1]
	s_and_saveexec_b64 s[0:1], s[12:13]
	s_cbranch_execnz .LBB237_174
.LBB237_158:
	s_or_b64 exec, exec, s[0:1]
	s_and_saveexec_b64 s[0:1], s[14:15]
	s_cbranch_execz .LBB237_160
.LBB237_159:
	s_waitcnt lgkmcnt(1)
	v_mov_b32_e32 v2, 0x1c00
	v_mad_u64_u32 v[2:3], s[0:1], s46, v2, v[4:5]
	s_mul_i32 s0, s47, 0x1c00
	v_add_u32_e32 v3, s0, v3
	s_waitcnt lgkmcnt(0)
	global_store_dwordx2 v[2:3], v[0:1], off
.LBB237_160:
	s_endpgm
.LBB237_161:
	ds_read_u16 v9, v43
	s_waitcnt lgkmcnt(0)
	global_store_short v[0:1], v9, off
	s_or_b64 exec, exec, s[4:5]
	s_and_saveexec_b64 s[4:5], s[2:3]
	s_cbranch_execz .LBB237_144
.LBB237_162:
	s_lshl_b64 s[16:17], s[44:45], 8
	v_mov_b32_e32 v9, s17
	v_add_co_u32_e32 v10, vcc, s16, v0
	v_addc_co_u32_e32 v11, vcc, v1, v9, vcc
	s_waitcnt lgkmcnt(6)
	global_store_short v[10:11], v8, off
	s_or_b64 exec, exec, s[4:5]
	s_and_saveexec_b64 s[4:5], s[40:41]
	s_cbranch_execz .LBB237_145
.LBB237_163:
	s_lshl_b64 s[16:17], s[44:45], 9
	v_mov_b32_e32 v9, s17
	s_waitcnt lgkmcnt(6)
	v_add_co_u32_e32 v8, vcc, s16, v0
	v_addc_co_u32_e32 v9, vcc, v1, v9, vcc
	s_waitcnt lgkmcnt(5)
	global_store_short v[8:9], v7, off
	s_or_b64 exec, exec, s[4:5]
	s_and_saveexec_b64 s[4:5], s[6:7]
	s_cbranch_execz .LBB237_146
.LBB237_164:
	s_waitcnt lgkmcnt(5)
	v_mov_b32_e32 v7, 0x300
	v_mad_u64_u32 v[8:9], s[16:17], s44, v7, v[0:1]
	s_mul_i32 s16, s45, 0x300
	v_add_u32_e32 v9, s16, v9
	s_waitcnt lgkmcnt(4)
	global_store_short v[8:9], v6, off
	s_or_b64 exec, exec, s[4:5]
	s_and_saveexec_b64 s[4:5], s[8:9]
	s_cbranch_execz .LBB237_147
.LBB237_165:
	s_lshl_b64 s[16:17], s[44:45], 10
	s_waitcnt lgkmcnt(5)
	v_mov_b32_e32 v7, s17
	s_waitcnt lgkmcnt(4)
	v_add_co_u32_e32 v6, vcc, s16, v0
	v_addc_co_u32_e32 v7, vcc, v1, v7, vcc
	s_waitcnt lgkmcnt(3)
	global_store_short v[6:7], v5, off
	s_or_b64 exec, exec, s[4:5]
	s_and_saveexec_b64 s[4:5], s[10:11]
	s_cbranch_execz .LBB237_148
.LBB237_166:
	s_waitcnt lgkmcnt(3)
	v_mov_b32_e32 v5, 0x500
	v_mad_u64_u32 v[6:7], s[16:17], s44, v5, v[0:1]
	s_mul_i32 s16, s45, 0x500
	v_add_u32_e32 v7, s16, v7
	s_waitcnt lgkmcnt(2)
	global_store_short v[6:7], v4, off
	s_or_b64 exec, exec, s[4:5]
	s_and_saveexec_b64 s[4:5], s[12:13]
	s_cbranch_execz .LBB237_149
.LBB237_167:
	s_waitcnt lgkmcnt(2)
	v_mov_b32_e32 v4, 0x600
	v_mad_u64_u32 v[4:5], s[16:17], s44, v4, v[0:1]
	s_mul_i32 s16, s45, 0x600
	v_add_u32_e32 v5, s16, v5
	s_waitcnt lgkmcnt(1)
	global_store_short v[4:5], v3, off
	s_or_b64 exec, exec, s[4:5]
	s_and_saveexec_b64 s[4:5], s[14:15]
	s_cbranch_execnz .LBB237_150
	s_branch .LBB237_151
.LBB237_168:
	ds_read_b64 v[16:17], v52
	s_waitcnt lgkmcnt(0)
	global_store_dwordx2 v[4:5], v[16:17], off
	s_or_b64 exec, exec, s[4:5]
	s_and_saveexec_b64 s[0:1], s[2:3]
	s_cbranch_execz .LBB237_153
.LBB237_169:
	s_lshl_b64 s[2:3], s[46:47], 10
	v_mov_b32_e32 v17, s3
	v_add_co_u32_e32 v16, vcc, s2, v4
	v_addc_co_u32_e32 v17, vcc, v5, v17, vcc
	s_waitcnt lgkmcnt(6)
	global_store_dwordx2 v[16:17], v[14:15], off
	s_or_b64 exec, exec, s[0:1]
	s_and_saveexec_b64 s[0:1], s[40:41]
	s_cbranch_execz .LBB237_154
.LBB237_170:
	s_lshl_b64 s[2:3], s[46:47], 11
	s_waitcnt lgkmcnt(6)
	v_mov_b32_e32 v15, s3
	v_add_co_u32_e32 v14, vcc, s2, v4
	v_addc_co_u32_e32 v15, vcc, v5, v15, vcc
	s_waitcnt lgkmcnt(5)
	global_store_dwordx2 v[14:15], v[12:13], off
	s_or_b64 exec, exec, s[0:1]
	s_and_saveexec_b64 s[0:1], s[6:7]
	s_cbranch_execz .LBB237_155
.LBB237_171:
	s_waitcnt lgkmcnt(5)
	v_mov_b32_e32 v12, 0xc00
	v_mad_u64_u32 v[12:13], s[2:3], s46, v12, v[4:5]
	s_mul_i32 s2, s47, 0xc00
	v_add_u32_e32 v13, s2, v13
	s_waitcnt lgkmcnt(4)
	global_store_dwordx2 v[12:13], v[10:11], off
	s_or_b64 exec, exec, s[0:1]
	s_and_saveexec_b64 s[0:1], s[8:9]
	s_cbranch_execz .LBB237_156
.LBB237_172:
	s_lshl_b64 s[2:3], s[46:47], 12
	s_waitcnt lgkmcnt(4)
	v_mov_b32_e32 v11, s3
	v_add_co_u32_e32 v10, vcc, s2, v4
	v_addc_co_u32_e32 v11, vcc, v5, v11, vcc
	s_waitcnt lgkmcnt(3)
	global_store_dwordx2 v[10:11], v[8:9], off
	s_or_b64 exec, exec, s[0:1]
	s_and_saveexec_b64 s[0:1], s[10:11]
	s_cbranch_execz .LBB237_157
.LBB237_173:
	s_waitcnt lgkmcnt(3)
	v_mov_b32_e32 v8, 0x1400
	v_mad_u64_u32 v[8:9], s[2:3], s46, v8, v[4:5]
	s_mul_i32 s2, s47, 0x1400
	v_add_u32_e32 v9, s2, v9
	s_waitcnt lgkmcnt(2)
	global_store_dwordx2 v[8:9], v[6:7], off
	s_or_b64 exec, exec, s[0:1]
	s_and_saveexec_b64 s[0:1], s[12:13]
	s_cbranch_execz .LBB237_158
.LBB237_174:
	s_waitcnt lgkmcnt(2)
	v_mov_b32_e32 v6, 0x1800
	v_mad_u64_u32 v[6:7], s[2:3], s46, v6, v[4:5]
	s_mul_i32 s2, s47, 0x1800
	v_add_u32_e32 v7, s2, v7
	s_waitcnt lgkmcnt(1)
	global_store_dwordx2 v[6:7], v[2:3], off
	s_or_b64 exec, exec, s[0:1]
	s_and_saveexec_b64 s[0:1], s[14:15]
	s_cbranch_execnz .LBB237_159
	s_branch .LBB237_160
	.section	.rodata,"a",@progbits
	.p2align	6, 0x0
	.amdhsa_kernel _ZN2at6native18radixSortKVInPlaceILin1ELin1ELi128ELi8EN3c104HalfElmEEvNS_4cuda6detail10TensorInfoIT3_T5_EES8_S8_S8_NS6_IT4_S8_EES8_b
		.amdhsa_group_segment_fixed_size 8448
		.amdhsa_private_segment_fixed_size 0
		.amdhsa_kernarg_size 1128
		.amdhsa_user_sgpr_count 6
		.amdhsa_user_sgpr_private_segment_buffer 1
		.amdhsa_user_sgpr_dispatch_ptr 0
		.amdhsa_user_sgpr_queue_ptr 0
		.amdhsa_user_sgpr_kernarg_segment_ptr 1
		.amdhsa_user_sgpr_dispatch_id 0
		.amdhsa_user_sgpr_flat_scratch_init 0
		.amdhsa_user_sgpr_kernarg_preload_length 0
		.amdhsa_user_sgpr_kernarg_preload_offset 0
		.amdhsa_user_sgpr_private_segment_size 0
		.amdhsa_uses_dynamic_stack 0
		.amdhsa_system_sgpr_private_segment_wavefront_offset 0
		.amdhsa_system_sgpr_workgroup_id_x 1
		.amdhsa_system_sgpr_workgroup_id_y 1
		.amdhsa_system_sgpr_workgroup_id_z 1
		.amdhsa_system_sgpr_workgroup_info 0
		.amdhsa_system_vgpr_workitem_id 2
		.amdhsa_next_free_vgpr 106
		.amdhsa_next_free_sgpr 55
		.amdhsa_accum_offset 108
		.amdhsa_reserve_vcc 1
		.amdhsa_reserve_flat_scratch 0
		.amdhsa_float_round_mode_32 0
		.amdhsa_float_round_mode_16_64 0
		.amdhsa_float_denorm_mode_32 3
		.amdhsa_float_denorm_mode_16_64 3
		.amdhsa_dx10_clamp 1
		.amdhsa_ieee_mode 1
		.amdhsa_fp16_overflow 0
		.amdhsa_tg_split 0
		.amdhsa_exception_fp_ieee_invalid_op 0
		.amdhsa_exception_fp_denorm_src 0
		.amdhsa_exception_fp_ieee_div_zero 0
		.amdhsa_exception_fp_ieee_overflow 0
		.amdhsa_exception_fp_ieee_underflow 0
		.amdhsa_exception_fp_ieee_inexact 0
		.amdhsa_exception_int_div_zero 0
	.end_amdhsa_kernel
	.section	.text._ZN2at6native18radixSortKVInPlaceILin1ELin1ELi128ELi8EN3c104HalfElmEEvNS_4cuda6detail10TensorInfoIT3_T5_EES8_S8_S8_NS6_IT4_S8_EES8_b,"axG",@progbits,_ZN2at6native18radixSortKVInPlaceILin1ELin1ELi128ELi8EN3c104HalfElmEEvNS_4cuda6detail10TensorInfoIT3_T5_EES8_S8_S8_NS6_IT4_S8_EES8_b,comdat
.Lfunc_end237:
	.size	_ZN2at6native18radixSortKVInPlaceILin1ELin1ELi128ELi8EN3c104HalfElmEEvNS_4cuda6detail10TensorInfoIT3_T5_EES8_S8_S8_NS6_IT4_S8_EES8_b, .Lfunc_end237-_ZN2at6native18radixSortKVInPlaceILin1ELin1ELi128ELi8EN3c104HalfElmEEvNS_4cuda6detail10TensorInfoIT3_T5_EES8_S8_S8_NS6_IT4_S8_EES8_b
                                        ; -- End function
	.section	.AMDGPU.csdata,"",@progbits
; Kernel info:
; codeLenInByte = 22884
; NumSgprs: 59
; NumVgprs: 106
; NumAgprs: 0
; TotalNumVgprs: 106
; ScratchSize: 0
; MemoryBound: 0
; FloatMode: 240
; IeeeMode: 1
; LDSByteSize: 8448 bytes/workgroup (compile time only)
; SGPRBlocks: 7
; VGPRBlocks: 13
; NumSGPRsForWavesPerEU: 59
; NumVGPRsForWavesPerEU: 106
; AccumOffset: 108
; Occupancy: 4
; WaveLimiterHint : 1
; COMPUTE_PGM_RSRC2:SCRATCH_EN: 0
; COMPUTE_PGM_RSRC2:USER_SGPR: 6
; COMPUTE_PGM_RSRC2:TRAP_HANDLER: 0
; COMPUTE_PGM_RSRC2:TGID_X_EN: 1
; COMPUTE_PGM_RSRC2:TGID_Y_EN: 1
; COMPUTE_PGM_RSRC2:TGID_Z_EN: 1
; COMPUTE_PGM_RSRC2:TIDIG_COMP_CNT: 2
; COMPUTE_PGM_RSRC3_GFX90A:ACCUM_OFFSET: 26
; COMPUTE_PGM_RSRC3_GFX90A:TG_SPLIT: 0
	.section	.text._ZN2at6native18radixSortKVInPlaceILin1ELin1ELi32ELi4EN3c104HalfElmEEvNS_4cuda6detail10TensorInfoIT3_T5_EES8_S8_S8_NS6_IT4_S8_EES8_b,"axG",@progbits,_ZN2at6native18radixSortKVInPlaceILin1ELin1ELi32ELi4EN3c104HalfElmEEvNS_4cuda6detail10TensorInfoIT3_T5_EES8_S8_S8_NS6_IT4_S8_EES8_b,comdat
	.protected	_ZN2at6native18radixSortKVInPlaceILin1ELin1ELi32ELi4EN3c104HalfElmEEvNS_4cuda6detail10TensorInfoIT3_T5_EES8_S8_S8_NS6_IT4_S8_EES8_b ; -- Begin function _ZN2at6native18radixSortKVInPlaceILin1ELin1ELi32ELi4EN3c104HalfElmEEvNS_4cuda6detail10TensorInfoIT3_T5_EES8_S8_S8_NS6_IT4_S8_EES8_b
	.globl	_ZN2at6native18radixSortKVInPlaceILin1ELin1ELi32ELi4EN3c104HalfElmEEvNS_4cuda6detail10TensorInfoIT3_T5_EES8_S8_S8_NS6_IT4_S8_EES8_b
	.p2align	8
	.type	_ZN2at6native18radixSortKVInPlaceILin1ELin1ELi32ELi4EN3c104HalfElmEEvNS_4cuda6detail10TensorInfoIT3_T5_EES8_S8_S8_NS6_IT4_S8_EES8_b,@function
_ZN2at6native18radixSortKVInPlaceILin1ELin1ELi32ELi4EN3c104HalfElmEEvNS_4cuda6detail10TensorInfoIT3_T5_EES8_S8_S8_NS6_IT4_S8_EES8_b: ; @_ZN2at6native18radixSortKVInPlaceILin1ELin1ELi32ELi4EN3c104HalfElmEEvNS_4cuda6detail10TensorInfoIT3_T5_EES8_S8_S8_NS6_IT4_S8_EES8_b
; %bb.0:
	s_load_dwordx4 s[12:15], s[4:5], 0x1a0
	s_load_dwordx2 s[0:1], s[4:5], 0x368
	s_waitcnt lgkmcnt(0)
	v_mov_b32_e32 v2, s12
	s_mul_i32 s1, s1, s8
	s_add_i32 s1, s1, s7
	s_mul_i32 s0, s1, s0
	v_mov_b32_e32 v3, s13
	s_add_i32 s6, s0, s6
	s_mov_b32 s7, 0
	v_cmp_ge_u64_e32 vcc, s[6:7], v[2:3]
	s_cbranch_vccnz .LBB238_74
; %bb.1:
	s_load_dword s0, s[4:5], 0x198
	s_load_dwordx2 s[26:27], s[4:5], 0x1b0
	s_mov_b64 s[2:3], 0
	s_mov_b64 s[10:11], s[6:7]
	s_waitcnt lgkmcnt(0)
	s_cmp_lt_i32 s0, 2
	s_cbranch_scc1 .LBB238_9
; %bb.2:
	s_mov_b32 s8, 0
	s_add_i32 s15, s0, 1
	s_add_i32 s0, s0, -1
	s_mov_b32 s1, s8
	s_lshl_b64 s[0:1], s[0:1], 3
	s_add_u32 s0, s0, s4
	s_addc_u32 s1, s1, s5
	s_add_u32 s12, s0, 8
	s_addc_u32 s13, s1, 0
	s_mov_b64 s[16:17], s[6:7]
.LBB238_3:                              ; =>This Inner Loop Header: Depth=1
	s_load_dwordx2 s[18:19], s[12:13], 0x0
	s_waitcnt lgkmcnt(0)
	s_or_b64 s[0:1], s[16:17], s[18:19]
	s_mov_b32 s9, s1
	s_cmp_lg_u64 s[8:9], 0
	s_cbranch_scc0 .LBB238_8
; %bb.4:                                ;   in Loop: Header=BB238_3 Depth=1
	v_cvt_f32_u32_e32 v1, s18
	v_cvt_f32_u32_e32 v2, s19
	s_sub_u32 s0, 0, s18
	s_subb_u32 s1, 0, s19
	v_mac_f32_e32 v1, 0x4f800000, v2
	v_rcp_f32_e32 v1, v1
	v_mul_f32_e32 v1, 0x5f7ffffc, v1
	v_mul_f32_e32 v2, 0x2f800000, v1
	v_trunc_f32_e32 v2, v2
	v_mac_f32_e32 v1, 0xcf800000, v2
	v_cvt_u32_f32_e32 v2, v2
	v_cvt_u32_f32_e32 v1, v1
	v_readfirstlane_b32 s9, v2
	v_readfirstlane_b32 s10, v1
	s_mul_i32 s11, s0, s9
	s_mul_hi_u32 s21, s0, s10
	s_mul_i32 s20, s1, s10
	s_add_i32 s11, s21, s11
	s_mul_i32 s22, s0, s10
	s_add_i32 s11, s11, s20
	s_mul_hi_u32 s20, s10, s11
	s_mul_i32 s21, s10, s11
	s_mul_hi_u32 s10, s10, s22
	s_add_u32 s10, s10, s21
	s_addc_u32 s20, 0, s20
	s_mul_hi_u32 s23, s9, s22
	s_mul_i32 s22, s9, s22
	s_add_u32 s10, s10, s22
	s_mul_hi_u32 s21, s9, s11
	s_addc_u32 s10, s20, s23
	s_addc_u32 s20, s21, 0
	s_mul_i32 s11, s9, s11
	s_add_u32 s10, s10, s11
	s_addc_u32 s11, 0, s20
	v_add_co_u32_e32 v1, vcc, s10, v1
	s_cmp_lg_u64 vcc, 0
	s_addc_u32 s9, s9, s11
	v_readfirstlane_b32 s11, v1
	s_mul_i32 s10, s0, s9
	s_mul_hi_u32 s20, s0, s11
	s_add_i32 s10, s20, s10
	s_mul_i32 s1, s1, s11
	s_add_i32 s10, s10, s1
	s_mul_i32 s0, s0, s11
	s_mul_hi_u32 s20, s9, s0
	s_mul_i32 s21, s9, s0
	s_mul_i32 s23, s11, s10
	s_mul_hi_u32 s0, s11, s0
	s_mul_hi_u32 s22, s11, s10
	s_add_u32 s0, s0, s23
	s_addc_u32 s11, 0, s22
	s_add_u32 s0, s0, s21
	s_mul_hi_u32 s1, s9, s10
	s_addc_u32 s0, s11, s20
	s_addc_u32 s1, s1, 0
	s_mul_i32 s10, s9, s10
	s_add_u32 s0, s0, s10
	s_addc_u32 s1, 0, s1
	v_add_co_u32_e32 v1, vcc, s0, v1
	s_cmp_lg_u64 vcc, 0
	s_addc_u32 s0, s9, s1
	v_readfirstlane_b32 s10, v1
	s_mul_i32 s9, s16, s0
	s_mul_hi_u32 s11, s16, s10
	s_mul_hi_u32 s1, s16, s0
	s_add_u32 s9, s11, s9
	s_addc_u32 s1, 0, s1
	s_mul_hi_u32 s20, s17, s10
	s_mul_i32 s10, s17, s10
	s_add_u32 s9, s9, s10
	s_mul_hi_u32 s11, s17, s0
	s_addc_u32 s1, s1, s20
	s_addc_u32 s9, s11, 0
	s_mul_i32 s0, s17, s0
	s_add_u32 s10, s1, s0
	s_addc_u32 s9, 0, s9
	s_mul_i32 s0, s18, s9
	s_mul_hi_u32 s1, s18, s10
	s_add_i32 s0, s1, s0
	s_mul_i32 s1, s19, s10
	s_add_i32 s11, s0, s1
	s_mul_i32 s1, s18, s10
	v_mov_b32_e32 v1, s1
	s_sub_i32 s0, s17, s11
	v_sub_co_u32_e32 v1, vcc, s16, v1
	s_cmp_lg_u64 vcc, 0
	s_subb_u32 s20, s0, s19
	v_subrev_co_u32_e64 v2, s[0:1], s18, v1
	s_cmp_lg_u64 s[0:1], 0
	s_subb_u32 s0, s20, 0
	s_cmp_ge_u32 s0, s19
	v_readfirstlane_b32 s20, v2
	s_cselect_b32 s1, -1, 0
	s_cmp_ge_u32 s20, s18
	s_cselect_b32 s20, -1, 0
	s_cmp_eq_u32 s0, s19
	s_cselect_b32 s0, s20, s1
	s_add_u32 s1, s10, 1
	s_addc_u32 s20, s9, 0
	s_add_u32 s21, s10, 2
	s_addc_u32 s22, s9, 0
	s_cmp_lg_u32 s0, 0
	s_cselect_b32 s0, s21, s1
	s_cselect_b32 s1, s22, s20
	s_cmp_lg_u64 vcc, 0
	s_subb_u32 s11, s17, s11
	s_cmp_ge_u32 s11, s19
	v_readfirstlane_b32 s21, v1
	s_cselect_b32 s20, -1, 0
	s_cmp_ge_u32 s21, s18
	s_cselect_b32 s21, -1, 0
	s_cmp_eq_u32 s11, s19
	s_cselect_b32 s11, s21, s20
	s_cmp_lg_u32 s11, 0
	s_cselect_b32 s11, s1, s9
	s_cselect_b32 s10, s0, s10
	s_cbranch_execnz .LBB238_6
.LBB238_5:                              ;   in Loop: Header=BB238_3 Depth=1
	v_cvt_f32_u32_e32 v1, s18
	s_sub_i32 s0, 0, s18
	s_mov_b32 s11, s8
	v_rcp_iflag_f32_e32 v1, v1
	v_mul_f32_e32 v1, 0x4f7ffffe, v1
	v_cvt_u32_f32_e32 v1, v1
	v_readfirstlane_b32 s1, v1
	s_mul_i32 s0, s0, s1
	s_mul_hi_u32 s0, s1, s0
	s_add_i32 s1, s1, s0
	s_mul_hi_u32 s0, s16, s1
	s_mul_i32 s9, s0, s18
	s_sub_i32 s9, s16, s9
	s_add_i32 s1, s0, 1
	s_sub_i32 s10, s9, s18
	s_cmp_ge_u32 s9, s18
	s_cselect_b32 s0, s1, s0
	s_cselect_b32 s9, s10, s9
	s_add_i32 s1, s0, 1
	s_cmp_ge_u32 s9, s18
	s_cselect_b32 s10, s1, s0
.LBB238_6:                              ;   in Loop: Header=BB238_3 Depth=1
	s_mul_i32 s0, s10, s19
	s_mul_hi_u32 s1, s10, s18
	s_add_i32 s9, s1, s0
	s_load_dwordx2 s[0:1], s[12:13], 0xc8
	s_mul_i32 s19, s11, s18
	s_add_i32 s9, s9, s19
	s_mul_i32 s18, s10, s18
	s_sub_u32 s16, s16, s18
	s_subb_u32 s9, s17, s9
	s_waitcnt lgkmcnt(0)
	s_mul_i32 s9, s0, s9
	s_mul_hi_u32 s17, s0, s16
	s_add_i32 s9, s17, s9
	s_mul_i32 s1, s1, s16
	s_add_i32 s9, s9, s1
	s_mul_i32 s0, s0, s16
	s_add_u32 s2, s0, s2
	s_addc_u32 s3, s9, s3
	s_add_i32 s15, s15, -1
	s_add_u32 s12, s12, -8
	s_addc_u32 s13, s13, -1
	s_cmp_gt_u32 s15, 2
	s_cbranch_scc0 .LBB238_9
; %bb.7:                                ;   in Loop: Header=BB238_3 Depth=1
	s_mov_b64 s[16:17], s[10:11]
	s_branch .LBB238_3
.LBB238_8:                              ;   in Loop: Header=BB238_3 Depth=1
                                        ; implicit-def: $sgpr10_sgpr11
	s_branch .LBB238_5
.LBB238_9:
	s_load_dword s0, s[4:5], 0x350
	s_load_dwordx2 s[12:13], s[4:5], 0xd0
	s_mov_b64 s[8:9], 0
	s_waitcnt lgkmcnt(0)
	s_cmp_lt_i32 s0, 2
	s_cbranch_scc1 .LBB238_17
; %bb.10:
	s_mov_b32 s16, 0
	s_add_i32 s15, s0, 1
	s_add_i32 s0, s0, -1
	s_mov_b32 s1, s16
	s_lshl_b64 s[0:1], s[0:1], 3
	s_add_u32 s0, s0, s4
	s_addc_u32 s1, s1, s5
	s_add_u32 s18, s0, 0x1c0
	s_addc_u32 s19, s1, 0
.LBB238_11:                             ; =>This Inner Loop Header: Depth=1
	s_load_dwordx2 s[22:23], s[18:19], 0x0
	s_waitcnt lgkmcnt(0)
	s_or_b64 s[0:1], s[6:7], s[22:23]
	s_mov_b32 s17, s1
	s_cmp_lg_u64 s[16:17], 0
	s_cbranch_scc0 .LBB238_16
; %bb.12:                               ;   in Loop: Header=BB238_11 Depth=1
	v_cvt_f32_u32_e32 v1, s22
	v_cvt_f32_u32_e32 v2, s23
	s_sub_u32 s0, 0, s22
	s_subb_u32 s1, 0, s23
	v_mac_f32_e32 v1, 0x4f800000, v2
	v_rcp_f32_e32 v1, v1
	v_mul_f32_e32 v1, 0x5f7ffffc, v1
	v_mul_f32_e32 v2, 0x2f800000, v1
	v_trunc_f32_e32 v2, v2
	v_mac_f32_e32 v1, 0xcf800000, v2
	v_cvt_u32_f32_e32 v2, v2
	v_cvt_u32_f32_e32 v1, v1
	v_readfirstlane_b32 s17, v2
	v_readfirstlane_b32 s20, v1
	s_mul_i32 s21, s0, s17
	s_mul_hi_u32 s25, s0, s20
	s_mul_i32 s24, s1, s20
	s_add_i32 s21, s25, s21
	s_mul_i32 s28, s0, s20
	s_add_i32 s21, s21, s24
	s_mul_hi_u32 s24, s20, s21
	s_mul_i32 s25, s20, s21
	s_mul_hi_u32 s20, s20, s28
	s_add_u32 s20, s20, s25
	s_addc_u32 s24, 0, s24
	s_mul_hi_u32 s29, s17, s28
	s_mul_i32 s28, s17, s28
	s_add_u32 s20, s20, s28
	s_mul_hi_u32 s25, s17, s21
	s_addc_u32 s20, s24, s29
	s_addc_u32 s24, s25, 0
	s_mul_i32 s21, s17, s21
	s_add_u32 s20, s20, s21
	s_addc_u32 s21, 0, s24
	v_add_co_u32_e32 v1, vcc, s20, v1
	s_cmp_lg_u64 vcc, 0
	s_addc_u32 s17, s17, s21
	v_readfirstlane_b32 s21, v1
	s_mul_i32 s20, s0, s17
	s_mul_hi_u32 s24, s0, s21
	s_add_i32 s20, s24, s20
	s_mul_i32 s1, s1, s21
	s_add_i32 s20, s20, s1
	s_mul_i32 s0, s0, s21
	s_mul_hi_u32 s24, s17, s0
	s_mul_i32 s25, s17, s0
	s_mul_i32 s29, s21, s20
	s_mul_hi_u32 s0, s21, s0
	s_mul_hi_u32 s28, s21, s20
	s_add_u32 s0, s0, s29
	s_addc_u32 s21, 0, s28
	s_add_u32 s0, s0, s25
	s_mul_hi_u32 s1, s17, s20
	s_addc_u32 s0, s21, s24
	s_addc_u32 s1, s1, 0
	s_mul_i32 s20, s17, s20
	s_add_u32 s0, s0, s20
	s_addc_u32 s1, 0, s1
	v_add_co_u32_e32 v1, vcc, s0, v1
	s_cmp_lg_u64 vcc, 0
	s_addc_u32 s0, s17, s1
	v_readfirstlane_b32 s20, v1
	s_mul_i32 s17, s6, s0
	s_mul_hi_u32 s21, s6, s20
	s_mul_hi_u32 s1, s6, s0
	s_add_u32 s17, s21, s17
	s_addc_u32 s1, 0, s1
	s_mul_hi_u32 s24, s7, s20
	s_mul_i32 s20, s7, s20
	s_add_u32 s17, s17, s20
	s_mul_hi_u32 s21, s7, s0
	s_addc_u32 s1, s1, s24
	s_addc_u32 s17, s21, 0
	s_mul_i32 s0, s7, s0
	s_add_u32 s20, s1, s0
	s_addc_u32 s17, 0, s17
	s_mul_i32 s0, s22, s17
	s_mul_hi_u32 s1, s22, s20
	s_add_i32 s0, s1, s0
	s_mul_i32 s1, s23, s20
	s_add_i32 s21, s0, s1
	s_mul_i32 s1, s22, s20
	v_mov_b32_e32 v1, s1
	s_sub_i32 s0, s7, s21
	v_sub_co_u32_e32 v1, vcc, s6, v1
	s_cmp_lg_u64 vcc, 0
	s_subb_u32 s24, s0, s23
	v_subrev_co_u32_e64 v2, s[0:1], s22, v1
	s_cmp_lg_u64 s[0:1], 0
	s_subb_u32 s0, s24, 0
	s_cmp_ge_u32 s0, s23
	v_readfirstlane_b32 s24, v2
	s_cselect_b32 s1, -1, 0
	s_cmp_ge_u32 s24, s22
	s_cselect_b32 s24, -1, 0
	s_cmp_eq_u32 s0, s23
	s_cselect_b32 s0, s24, s1
	s_add_u32 s1, s20, 1
	s_addc_u32 s24, s17, 0
	s_add_u32 s25, s20, 2
	s_addc_u32 s28, s17, 0
	s_cmp_lg_u32 s0, 0
	s_cselect_b32 s0, s25, s1
	s_cselect_b32 s1, s28, s24
	s_cmp_lg_u64 vcc, 0
	s_subb_u32 s21, s7, s21
	s_cmp_ge_u32 s21, s23
	v_readfirstlane_b32 s25, v1
	s_cselect_b32 s24, -1, 0
	s_cmp_ge_u32 s25, s22
	s_cselect_b32 s25, -1, 0
	s_cmp_eq_u32 s21, s23
	s_cselect_b32 s21, s25, s24
	s_cmp_lg_u32 s21, 0
	s_cselect_b32 s21, s1, s17
	s_cselect_b32 s20, s0, s20
	s_cbranch_execnz .LBB238_14
.LBB238_13:                             ;   in Loop: Header=BB238_11 Depth=1
	v_cvt_f32_u32_e32 v1, s22
	s_sub_i32 s0, 0, s22
	s_mov_b32 s21, s16
	v_rcp_iflag_f32_e32 v1, v1
	v_mul_f32_e32 v1, 0x4f7ffffe, v1
	v_cvt_u32_f32_e32 v1, v1
	v_readfirstlane_b32 s1, v1
	s_mul_i32 s0, s0, s1
	s_mul_hi_u32 s0, s1, s0
	s_add_i32 s1, s1, s0
	s_mul_hi_u32 s0, s6, s1
	s_mul_i32 s17, s0, s22
	s_sub_i32 s17, s6, s17
	s_add_i32 s1, s0, 1
	s_sub_i32 s20, s17, s22
	s_cmp_ge_u32 s17, s22
	s_cselect_b32 s0, s1, s0
	s_cselect_b32 s17, s20, s17
	s_add_i32 s1, s0, 1
	s_cmp_ge_u32 s17, s22
	s_cselect_b32 s20, s1, s0
.LBB238_14:                             ;   in Loop: Header=BB238_11 Depth=1
	s_mul_i32 s0, s20, s23
	s_mul_hi_u32 s1, s20, s22
	s_add_i32 s17, s1, s0
	s_load_dwordx2 s[0:1], s[18:19], 0xc8
	s_mul_i32 s23, s21, s22
	s_add_i32 s17, s17, s23
	s_mul_i32 s22, s20, s22
	s_sub_u32 s6, s6, s22
	s_subb_u32 s7, s7, s17
	s_waitcnt lgkmcnt(0)
	s_mul_i32 s7, s0, s7
	s_mul_hi_u32 s17, s0, s6
	s_add_i32 s7, s17, s7
	s_mul_i32 s1, s1, s6
	s_add_i32 s7, s7, s1
	s_mul_i32 s0, s0, s6
	s_add_u32 s8, s0, s8
	s_addc_u32 s9, s7, s9
	s_add_i32 s15, s15, -1
	s_add_u32 s18, s18, -8
	s_addc_u32 s19, s19, -1
	s_cmp_gt_u32 s15, 2
	s_cbranch_scc0 .LBB238_18
; %bb.15:                               ;   in Loop: Header=BB238_11 Depth=1
	s_mov_b64 s[6:7], s[20:21]
	s_branch .LBB238_11
.LBB238_16:                             ;   in Loop: Header=BB238_11 Depth=1
                                        ; implicit-def: $sgpr20_sgpr21
	s_branch .LBB238_13
.LBB238_17:
	s_mov_b64 s[20:21], s[6:7]
.LBB238_18:
	s_mul_i32 s0, s12, s11
	s_load_dword s11, s[4:5], 0x360
	s_load_dwordx2 s[6:7], s[4:5], 0x0
	s_mul_hi_u32 s1, s12, s10
	s_add_i32 s0, s1, s0
	s_mul_i32 s1, s13, s10
	s_add_i32 s1, s0, s1
	s_waitcnt lgkmcnt(0)
	s_bitcmp1_b32 s11, 0
	s_mul_i32 s0, s12, s10
	s_cselect_b64 s[10:11], -1, 0
	s_mov_b32 s15, 0xffff
	s_and_b64 s[12:13], s[10:11], exec
	s_cselect_b32 s15, s15, 0x7fff
	s_lshl_b64 s[0:1], s[0:1], 1
	s_add_u32 s6, s6, s0
	s_addc_u32 s7, s7, s1
	s_lshl_b64 s[0:1], s[2:3], 1
	s_add_u32 s33, s6, s0
	s_addc_u32 s38, s7, s1
	v_cmp_gt_u32_e64 s[0:1], s14, v0
	v_mov_b32_e32 v2, s15
	s_and_saveexec_b64 s[2:3], s[0:1]
	s_cbranch_execz .LBB238_20
; %bb.19:
	v_mad_u64_u32 v[2:3], s[6:7], v0, s26, 0
	v_mov_b32_e32 v4, v3
	v_mad_u64_u32 v[4:5], s[6:7], v0, s27, v[4:5]
	v_mov_b32_e32 v3, v4
	v_lshlrev_b64 v[2:3], 1, v[2:3]
	v_mov_b32_e32 v1, s38
	v_add_co_u32_e32 v2, vcc, s33, v2
	v_addc_co_u32_e32 v3, vcc, v1, v3, vcc
	global_load_ushort v2, v[2:3], off
.LBB238_20:
	s_or_b64 exec, exec, s[2:3]
	v_or_b32_e32 v1, 32, v0
	v_cmp_gt_u32_e64 s[2:3], s14, v1
	v_mov_b32_e32 v3, s15
	s_and_saveexec_b64 s[6:7], s[2:3]
	s_cbranch_execz .LBB238_22
; %bb.21:
	v_mad_u64_u32 v[4:5], s[12:13], v1, s26, 0
	v_mov_b32_e32 v6, v5
	v_mad_u64_u32 v[6:7], s[12:13], v1, s27, v[6:7]
	v_mov_b32_e32 v5, v6
	v_lshlrev_b64 v[4:5], 1, v[4:5]
	v_mov_b32_e32 v3, s38
	v_add_co_u32_e32 v4, vcc, s33, v4
	v_addc_co_u32_e32 v5, vcc, v3, v5, vcc
	global_load_ushort v3, v[4:5], off
.LBB238_22:
	s_or_b64 exec, exec, s[6:7]
	s_load_dwordx2 s[16:17], s[4:5], 0x288
	s_load_dwordx2 s[12:13], s[4:5], 0x1b8
	v_or_b32_e32 v12, 64, v0
	v_cmp_gt_u32_e64 s[24:25], s14, v12
	v_mov_b32_e32 v4, s15
	s_and_saveexec_b64 s[6:7], s[24:25]
	s_cbranch_execz .LBB238_24
; %bb.23:
	v_mad_u64_u32 v[4:5], s[18:19], v12, s26, 0
	v_mov_b32_e32 v6, v5
	v_mad_u64_u32 v[6:7], s[18:19], v12, s27, v[6:7]
	v_mov_b32_e32 v5, v6
	v_lshlrev_b64 v[4:5], 1, v[4:5]
	v_mov_b32_e32 v6, s38
	v_add_co_u32_e32 v4, vcc, s33, v4
	v_addc_co_u32_e32 v5, vcc, v6, v5, vcc
	global_load_ushort v4, v[4:5], off
.LBB238_24:
	s_or_b64 exec, exec, s[6:7]
	v_or_b32_e32 v11, 0x60, v0
	v_cmp_gt_u32_e64 s[6:7], s14, v11
	v_mov_b32_e32 v5, s15
	s_and_saveexec_b64 s[14:15], s[6:7]
	s_cbranch_execz .LBB238_26
; %bb.25:
	v_mad_u64_u32 v[6:7], s[18:19], v11, s26, 0
	v_mov_b32_e32 v8, v7
	v_mad_u64_u32 v[8:9], s[18:19], v11, s27, v[8:9]
	v_mov_b32_e32 v7, v8
	v_lshlrev_b64 v[6:7], 1, v[6:7]
	v_mov_b32_e32 v5, s38
	v_add_co_u32_e32 v6, vcc, s33, v6
	v_addc_co_u32_e32 v7, vcc, v5, v7, vcc
	global_load_ushort v5, v[6:7], off
.LBB238_26:
	s_or_b64 exec, exec, s[14:15]
	s_waitcnt lgkmcnt(0)
	s_mul_i32 s14, s16, s21
	s_mul_hi_u32 s15, s16, s20
	v_lshlrev_b32_e32 v30, 1, v0
	v_lshrrev_b32_e32 v14, 5, v12
	s_add_i32 s14, s15, s14
	s_mul_i32 s15, s17, s20
	s_waitcnt vmcnt(0)
	ds_write_b16 v30, v2
	ds_write_b16 v30, v3 offset:64
	v_and_b32_e32 v2, 2, v14
	v_lshrrev_b32_e32 v13, 5, v11
	s_add_i32 s15, s14, s15
	s_mul_i32 s14, s16, s20
	v_add_lshl_u32 v31, v2, v0, 1
	v_and_b32_e32 v2, 2, v13
	v_lshlrev_b32_e32 v10, 2, v0
	v_lshrrev_b32_e32 v15, 3, v0
	s_lshl_b64 s[14:15], s[14:15], 3
	v_add_lshl_u32 v32, v2, v0, 1
	v_and_or_b32 v2, v15, 2, v10
	s_add_u32 s12, s12, s14
	v_lshlrev_b32_e32 v33, 1, v2
	s_addc_u32 s13, s13, s15
	s_lshl_b64 s[8:9], s[8:9], 3
	s_load_dwordx2 s[4:5], s[4:5], 0x358
	ds_write_b16 v31, v4 offset:128
	ds_write_b16 v32, v5 offset:192
	s_waitcnt lgkmcnt(0)
	; wave barrier
	s_waitcnt lgkmcnt(0)
	ds_read_b64 v[18:19], v33
	s_add_u32 s39, s12, s8
	s_mov_b32 s12, 0
	s_addc_u32 s40, s13, s9
	s_mov_b32 s13, s12
	s_mov_b32 s14, s12
	;; [unrolled: 1-line block ×7, first 2 shown]
	v_pk_mov_b32 v[2:3], s[12:13], s[12:13] op_sel:[0,1]
	v_pk_mov_b32 v[4:5], s[14:15], s[14:15] op_sel:[0,1]
	;; [unrolled: 1-line block ×4, first 2 shown]
	v_pk_mov_b32 v[2:3], 0, 0
	s_waitcnt lgkmcnt(0)
	; wave barrier
	s_waitcnt lgkmcnt(0)
	s_and_saveexec_b64 s[8:9], s[0:1]
	s_cbranch_execnz .LBB238_47
; %bb.27:
	s_or_b64 exec, exec, s[8:9]
	s_and_saveexec_b64 s[8:9], s[2:3]
	s_cbranch_execnz .LBB238_48
.LBB238_28:
	s_or_b64 exec, exec, s[8:9]
	s_and_saveexec_b64 s[8:9], s[24:25]
	s_cbranch_execz .LBB238_30
.LBB238_29:
	v_mad_u64_u32 v[6:7], s[12:13], v12, s4, 0
	v_mov_b32_e32 v16, v7
	v_mad_u64_u32 v[16:17], s[12:13], v12, s5, v[16:17]
	v_mov_b32_e32 v7, v16
	v_lshlrev_b64 v[6:7], 3, v[6:7]
	v_mov_b32_e32 v12, s40
	v_add_co_u32_e32 v6, vcc, s39, v6
	v_addc_co_u32_e32 v7, vcc, v12, v7, vcc
	global_load_dwordx2 v[6:7], v[6:7], off
.LBB238_30:
	s_or_b64 exec, exec, s[8:9]
	s_xor_b64 s[28:29], s[10:11], -1
	v_lshrrev_b32_e32 v12, 5, v1
	s_and_saveexec_b64 s[8:9], s[6:7]
	s_cbranch_execz .LBB238_32
; %bb.31:
	v_mad_u64_u32 v[8:9], s[10:11], v11, s4, 0
	v_mov_b32_e32 v16, v9
	v_mad_u64_u32 v[16:17], s[10:11], v11, s5, v[16:17]
	v_mov_b32_e32 v9, v16
	v_lshlrev_b64 v[8:9], 3, v[8:9]
	v_mov_b32_e32 v11, s40
	v_add_co_u32_e32 v8, vcc, s39, v8
	v_addc_co_u32_e32 v9, vcc, v11, v9, vcc
	global_load_dwordx2 v[8:9], v[8:9], off
.LBB238_32:
	s_or_b64 exec, exec, s[8:9]
	v_mbcnt_lo_u32_b32 v11, -1, 0
	v_mbcnt_hi_u32_b32 v11, -1, v11
	v_lshlrev_b32_e32 v34, 3, v0
	v_add_lshl_u32 v35, v12, v0, 3
	v_add_lshl_u32 v36, v14, v0, 3
	;; [unrolled: 1-line block ×4, first 2 shown]
	s_getpc_b64 s[8:9]
	s_add_u32 s8, s8, _ZN7rocprim17ROCPRIM_400000_NS16block_radix_sortI6__halfLj32ELj4ElLj1ELj1ELj0ELNS0_26block_radix_rank_algorithmE1ELNS0_18block_padding_hintE2ELNS0_4arch9wavefront6targetE1EE19radix_bits_per_passE@rel32@lo+4
	s_addc_u32 s9, s9, _ZN7rocprim17ROCPRIM_400000_NS16block_radix_sortI6__halfLj32ELj4ElLj1ELj1ELj0ELNS0_26block_radix_rank_algorithmE1ELNS0_18block_padding_hintE2ELNS0_4arch9wavefront6targetE1EE19radix_bits_per_passE@rel32@hi+12
	v_and_b32_e32 v12, 15, v11
	s_waitcnt vmcnt(0)
	ds_write_b64 v34, v[2:3]
	ds_write_b64 v35, v[4:5] offset:256
	ds_write_b64 v36, v[6:7] offset:512
	;; [unrolled: 1-line block ×3, first 2 shown]
	s_waitcnt lgkmcnt(0)
	; wave barrier
	s_waitcnt lgkmcnt(0)
	ds_read2_b64 v[2:5], v38 offset1:1
	ds_read2_b64 v[6:9], v38 offset0:2 offset1:3
	s_load_dword s41, s[8:9], 0x0
	v_cmp_eq_u32_e64 s[10:11], 0, v12
	v_cmp_lt_u32_e64 s[12:13], 1, v12
	v_cmp_lt_u32_e64 s[14:15], 3, v12
	;; [unrolled: 1-line block ×3, first 2 shown]
	v_and_b32_e32 v12, 16, v11
	v_cmp_eq_u32_e64 s[18:19], 0, v12
	v_add_u32_e32 v12, -1, v11
	v_and_b32_e32 v13, 0x60, v11
	v_cmp_lt_i32_e32 vcc, v12, v13
	s_movk_i32 s8, 0x100
	v_cndmask_b32_e32 v12, v12, v11, vcc
	v_cmp_gt_u32_e64 s[8:9], s8, v0
	v_lshlrev_b32_e32 v41, 5, v0
	s_mov_b32 s42, 0
	v_cmp_eq_u32_e64 s[20:21], 31, v0
	v_lshlrev_b32_e32 v42, 2, v12
	v_cmp_eq_u32_e64 s[22:23], 0, v11
	v_lshlrev_b32_e32 v40, 1, v10
	v_lshlrev_b32_e32 v39, 3, v10
	s_and_b64 vcc, exec, s[28:29]
	v_add_u32_e64 v43, 7, 2
	s_waitcnt lgkmcnt(0)
	; wave barrier
	s_waitcnt lgkmcnt(0)
	s_cbranch_vccz .LBB238_49
; %bb.33:
	v_mov_b32_e32 v44, 0xffff8000
	v_cmp_lt_i16_e32 vcc, -1, v18
	v_cndmask_b32_e32 v10, -1, v44, vcc
	v_xor_b32_e32 v28, v10, v18
	v_mov_b32_e32 v10, -1
	v_cmp_gt_i16_sdwa vcc, v18, v10 src0_sel:WORD_1 src1_sel:DWORD
	v_cndmask_b32_e32 v11, -1, v44, vcc
	v_cmp_lt_i16_e32 vcc, -1, v19
	v_xor_b32_sdwa v55, v11, v18 dst_sel:DWORD dst_unused:UNUSED_PAD src0_sel:DWORD src1_sel:WORD_1
	v_cndmask_b32_e32 v11, -1, v44, vcc
	v_cmp_gt_i16_sdwa vcc, v19, v10 src0_sel:WORD_1 src1_sel:DWORD
	v_cndmask_b32_e32 v10, -1, v44, vcc
	v_xor_b32_e32 v29, v11, v19
	v_xor_b32_sdwa v56, v10, v19 dst_sel:DWORD dst_unused:UNUSED_PAD src0_sel:DWORD src1_sel:WORD_1
	v_and_b32_e32 v45, 14, v43
	v_mov_b32_e32 v46, 0
	s_movk_i32 s43, 0x7fff
	s_movk_i32 s44, 0xe0
	v_pk_mov_b32 v[10:11], v[2:3], v[2:3] op_sel:[0,1]
	v_pk_mov_b32 v[12:13], v[4:5], v[4:5] op_sel:[0,1]
	;; [unrolled: 1-line block ×4, first 2 shown]
	s_branch .LBB238_35
.LBB238_34:                             ;   in Loop: Header=BB238_35 Depth=1
	v_lshlrev_b32_e32 v10, 1, v51
	s_waitcnt lgkmcnt(0)
	; wave barrier
	ds_write_b16 v10, v50
	v_lshlrev_b32_e32 v10, 1, v52
	ds_write_b16 v10, v49
	v_lshlrev_b32_e32 v10, 1, v53
	ds_write_b16 v10, v48
	v_lshlrev_b32_e32 v10, 1, v54
	ds_write_b16 v10, v47
	v_lshlrev_b32_e32 v10, 3, v51
	s_waitcnt lgkmcnt(0)
	; wave barrier
	s_waitcnt lgkmcnt(0)
	ds_read_b64 v[28:29], v40
	s_waitcnt lgkmcnt(0)
	; wave barrier
	s_waitcnt lgkmcnt(0)
	ds_write_b64 v10, v[26:27]
	v_lshlrev_b32_e32 v10, 3, v52
	ds_write_b64 v10, v[24:25]
	v_lshlrev_b32_e32 v10, 3, v53
	ds_write_b64 v10, v[22:23]
	v_lshlrev_b32_e32 v10, 3, v54
	ds_write_b64 v10, v[20:21]
	s_waitcnt lgkmcnt(0)
	; wave barrier
	s_waitcnt lgkmcnt(0)
	ds_read2_b64 v[10:13], v39 offset1:1
	ds_read2_b64 v[14:17], v39 offset0:2 offset1:3
	s_add_i32 s42, s42, 4
	v_lshrrev_b32_e32 v55, 16, v28
	v_lshrrev_b32_e32 v56, 16, v29
	s_waitcnt lgkmcnt(0)
	; wave barrier
	s_waitcnt lgkmcnt(0)
	s_cbranch_execz .LBB238_46
.LBB238_35:                             ; =>This Loop Header: Depth=1
                                        ;     Child Loop BB238_38 Depth 2
	v_pk_mov_b32 v[20:21], v[16:17], v[16:17] op_sel:[0,1]
	v_pk_mov_b32 v[22:23], v[14:15], v[14:15] op_sel:[0,1]
	;; [unrolled: 1-line block ×4, first 2 shown]
	v_mov_b32_e32 v47, v56
	v_mov_b32_e32 v48, v29
	;; [unrolled: 1-line block ×4, first 2 shown]
	s_and_saveexec_b64 s[28:29], s[8:9]
	s_cbranch_execz .LBB238_42
; %bb.36:                               ;   in Loop: Header=BB238_35 Depth=1
	s_mov_b32 s45, 0
	s_mov_b64 s[30:31], 0
	v_pk_mov_b32 v[10:11], v[0:1], v[0:1] op_sel:[0,1]
	s_branch .LBB238_38
.LBB238_37:                             ;   in Loop: Header=BB238_38 Depth=2
	s_or_b64 exec, exec, s[36:37]
	s_add_i32 s45, s45, 2
	v_cmp_eq_u32_e32 vcc, s45, v45
	v_add_u32_e32 v11, 64, v11
	s_or_b64 s[30:31], vcc, s[30:31]
	v_add_u32_e32 v10, 64, v10
	s_andn2_b64 exec, exec, s[30:31]
	s_cbranch_execz .LBB238_42
.LBB238_38:                             ;   Parent Loop BB238_35 Depth=1
                                        ; =>  This Inner Loop Header: Depth=2
	s_or_b32 s34, s45, 1
	v_cmp_le_u32_e64 s[34:35], s34, 7
	v_cmp_le_u32_e64 s[46:47], s45, 7
	s_and_saveexec_b64 s[36:37], s[46:47]
	s_cbranch_execz .LBB238_40
; %bb.39:                               ;   in Loop: Header=BB238_38 Depth=2
	v_lshlrev_b32_e32 v12, 2, v10
	ds_write_b32 v12, v46
.LBB238_40:                             ;   in Loop: Header=BB238_38 Depth=2
	s_or_b64 exec, exec, s[36:37]
	s_and_saveexec_b64 s[36:37], s[34:35]
	s_cbranch_execz .LBB238_37
; %bb.41:                               ;   in Loop: Header=BB238_38 Depth=2
	v_lshlrev_b32_e32 v12, 2, v11
	ds_write_b32 v12, v46
	s_branch .LBB238_37
.LBB238_42:                             ;   in Loop: Header=BB238_35 Depth=1
	s_or_b64 exec, exec, s[28:29]
	s_sub_i32 s28, 16, s42
	s_min_u32 s28, s41, s28
	v_cmp_ne_u16_e32 vcc, s43, v50
	s_lshl_b32 s28, -1, s28
	v_cndmask_b32_e32 v10, v44, v50, vcc
	s_not_b32 s28, s28
	v_lshrrev_b32_sdwa v10, s42, v10 dst_sel:DWORD dst_unused:UNUSED_PAD src0_sel:DWORD src1_sel:WORD_0
	v_and_b32_e32 v10, s28, v10
	v_lshrrev_b32_e32 v11, 3, v10
	v_lshlrev_b32_e32 v10, 5, v10
	v_and_or_b32 v10, v10, s44, v0
	v_lshlrev_b32_e32 v10, 1, v10
	v_add_lshl_u32 v29, v10, v11, 1
	ds_read_u16 v28, v29
	v_cmp_ne_u16_e32 vcc, s43, v49
	s_waitcnt lgkmcnt(0)
	v_add_u16_e32 v10, 1, v28
	ds_write_b16 v29, v10
	v_cndmask_b32_e32 v10, v44, v49, vcc
	v_lshrrev_b32_sdwa v10, s42, v10 dst_sel:DWORD dst_unused:UNUSED_PAD src0_sel:DWORD src1_sel:WORD_0
	v_and_b32_e32 v10, s28, v10
	v_lshrrev_b32_e32 v11, 3, v10
	v_lshlrev_b32_e32 v10, 5, v10
	v_and_or_b32 v10, v10, s44, v0
	v_lshlrev_b32_e32 v10, 1, v10
	v_add_lshl_u32 v51, v10, v11, 1
	ds_read_u16 v52, v51
	v_cmp_ne_u16_e32 vcc, s43, v48
	s_waitcnt lgkmcnt(0)
	v_add_u16_e32 v10, 1, v52
	ds_write_b16 v51, v10
	v_cndmask_b32_e32 v10, v44, v48, vcc
	;; [unrolled: 13-line block ×3, first 2 shown]
	v_lshrrev_b32_sdwa v10, s42, v10 dst_sel:DWORD dst_unused:UNUSED_PAD src0_sel:DWORD src1_sel:WORD_0
	v_and_b32_e32 v10, s28, v10
	v_lshrrev_b32_e32 v11, 3, v10
	v_lshlrev_b32_e32 v10, 5, v10
	v_and_or_b32 v10, v10, s44, v0
	v_lshlrev_b32_e32 v10, 1, v10
	v_add_lshl_u32 v56, v10, v11, 1
	ds_read_u16 v55, v56
	s_waitcnt lgkmcnt(0)
	v_add_u16_e32 v10, 1, v55
	ds_write_b16 v56, v10
	s_waitcnt lgkmcnt(0)
	; wave barrier
	s_waitcnt lgkmcnt(0)
	ds_read2_b32 v[16:17], v41 offset1:1
	ds_read2_b32 v[14:15], v41 offset0:2 offset1:3
	ds_read2_b32 v[10:11], v41 offset0:4 offset1:5
	;; [unrolled: 1-line block ×3, first 2 shown]
	s_waitcnt lgkmcnt(3)
	v_add_u32_e32 v57, v17, v16
	s_waitcnt lgkmcnt(2)
	v_add3_u32 v57, v57, v14, v15
	s_waitcnt lgkmcnt(1)
	v_add3_u32 v57, v57, v10, v11
	s_waitcnt lgkmcnt(0)
	v_add3_u32 v13, v57, v12, v13
	s_nop 1
	v_mov_b32_dpp v57, v13 row_shr:1 row_mask:0xf bank_mask:0xf
	v_cndmask_b32_e64 v57, v57, 0, s[10:11]
	v_add_u32_e32 v13, v57, v13
	s_nop 1
	v_mov_b32_dpp v57, v13 row_shr:2 row_mask:0xf bank_mask:0xf
	v_cndmask_b32_e64 v57, 0, v57, s[12:13]
	v_add_u32_e32 v13, v13, v57
	;; [unrolled: 4-line block ×4, first 2 shown]
	s_nop 1
	v_mov_b32_dpp v57, v13 row_bcast:15 row_mask:0xf bank_mask:0xf
	v_cndmask_b32_e64 v57, v57, 0, s[18:19]
	v_add_u32_e32 v13, v13, v57
	s_and_saveexec_b64 s[28:29], s[20:21]
	s_cbranch_execz .LBB238_44
; %bb.43:                               ;   in Loop: Header=BB238_35 Depth=1
	ds_write_b32 v46, v13 offset:1024
.LBB238_44:                             ;   in Loop: Header=BB238_35 Depth=1
	s_or_b64 exec, exec, s[28:29]
	ds_bpermute_b32 v13, v42, v13
	s_waitcnt lgkmcnt(0)
	; wave barrier
	s_waitcnt lgkmcnt(0)
	ds_read_b32 v57, v46 offset:1024
	s_cmp_gt_u32 s42, 11
	v_cndmask_b32_e64 v13, v13, 0, s[22:23]
	s_waitcnt lgkmcnt(0)
	v_lshl_add_u32 v13, v57, 16, v13
	v_add_u32_e32 v16, v13, v16
	v_add_u32_e32 v17, v16, v17
	ds_write2_b32 v41, v13, v16 offset1:1
	v_add_u32_e32 v13, v17, v14
	v_add_u32_e32 v14, v13, v15
	;; [unrolled: 1-line block ×5, first 2 shown]
	ds_write2_b32 v41, v17, v13 offset0:2 offset1:3
	ds_write2_b32 v41, v14, v10 offset0:4 offset1:5
	;; [unrolled: 1-line block ×3, first 2 shown]
	s_waitcnt lgkmcnt(0)
	; wave barrier
	s_waitcnt lgkmcnt(0)
	ds_read_u16 v10, v29
	ds_read_u16 v11, v51
	;; [unrolled: 1-line block ×4, first 2 shown]
	s_waitcnt lgkmcnt(3)
	v_add_u32_sdwa v51, v10, v28 dst_sel:DWORD dst_unused:UNUSED_PAD src0_sel:DWORD src1_sel:WORD_0
	s_waitcnt lgkmcnt(2)
	v_add_u32_sdwa v52, v11, v52 dst_sel:DWORD dst_unused:UNUSED_PAD src0_sel:DWORD src1_sel:WORD_0
	s_waitcnt lgkmcnt(1)
	v_add_u32_sdwa v53, v12, v53 dst_sel:DWORD dst_unused:UNUSED_PAD src0_sel:DWORD src1_sel:WORD_0
	s_waitcnt lgkmcnt(0)
	v_add_u32_sdwa v54, v13, v55 dst_sel:DWORD dst_unused:UNUSED_PAD src0_sel:DWORD src1_sel:WORD_0
	s_cbranch_scc0 .LBB238_34
; %bb.45:
                                        ; implicit-def: $vgpr16_vgpr17
                                        ; implicit-def: $vgpr12_vgpr13
                                        ; implicit-def: $sgpr42
                                        ; implicit-def: $vgpr56
                                        ; implicit-def: $vgpr29
                                        ; implicit-def: $vgpr55
.LBB238_46:
	v_lshlrev_b32_e32 v10, 1, v51
	s_waitcnt lgkmcnt(0)
	; wave barrier
	ds_write_b16 v10, v50
	v_lshlrev_b32_e32 v10, 1, v52
	ds_write_b16 v10, v49
	v_lshlrev_b32_e32 v10, 1, v53
	ds_write_b16 v10, v48
	v_lshlrev_b32_e32 v10, 1, v54
	ds_write_b16 v10, v47
	s_waitcnt lgkmcnt(0)
	; wave barrier
	s_waitcnt lgkmcnt(0)
	ds_read_b64 v[28:29], v40
	v_lshlrev_b32_e32 v10, 3, v51
	v_lshlrev_b32_e32 v11, 3, v52
	;; [unrolled: 1-line block ×4, first 2 shown]
	s_waitcnt lgkmcnt(0)
	; wave barrier
	s_waitcnt lgkmcnt(0)
	ds_write_b64 v10, v[26:27]
	ds_write_b64 v11, v[24:25]
	;; [unrolled: 1-line block ×4, first 2 shown]
	v_mov_b32_e32 v21, 0xffff8000
	v_cmp_gt_i16_e32 vcc, 0, v28
	v_mov_b32_e32 v23, 0
	s_waitcnt lgkmcnt(0)
	; wave barrier
	s_waitcnt lgkmcnt(0)
	ds_read2_b64 v[10:13], v39 offset1:1
	ds_read2_b64 v[14:17], v39 offset0:2 offset1:3
	v_mov_b32_e32 v20, -1
	v_cndmask_b32_e32 v22, -1, v21, vcc
	v_cmp_lt_i16_sdwa vcc, v28, v23 src0_sel:WORD_1 src1_sel:DWORD
	v_cndmask_b32_e32 v23, -1, v21, vcc
	v_cmp_lt_i16_e32 vcc, -1, v29
	v_cmp_gt_i16_sdwa s[28:29], v29, v20 src0_sel:WORD_1 src1_sel:DWORD
	v_cndmask_b32_e64 v24, v21, -1, vcc
	v_cndmask_b32_e64 v20, v21, -1, s[28:29]
	v_xor_b32_sdwa v20, v20, v29 dst_sel:DWORD dst_unused:UNUSED_PAD src0_sel:DWORD src1_sel:WORD_1
	v_xor_b32_e32 v21, v24, v29
	s_mov_b32 s28, 0x5040100
	v_perm_b32 v21, v20, v21, s28
	v_xor_b32_sdwa v20, v23, v28 dst_sel:DWORD dst_unused:UNUSED_PAD src0_sel:DWORD src1_sel:WORD_1
	v_xor_b32_e32 v22, v22, v28
	v_perm_b32 v20, v20, v22, s28
	s_branch .LBB238_64
.LBB238_47:
	v_mad_u64_u32 v[2:3], s[12:13], v0, s4, 0
	v_mov_b32_e32 v4, v3
	v_mad_u64_u32 v[4:5], s[12:13], v0, s5, v[4:5]
	v_mov_b32_e32 v3, v4
	v_lshlrev_b64 v[2:3], 3, v[2:3]
	v_mov_b32_e32 v4, s40
	v_add_co_u32_e32 v2, vcc, s39, v2
	v_addc_co_u32_e32 v3, vcc, v4, v3, vcc
	global_load_dwordx2 v[2:3], v[2:3], off
	v_mov_b32_e32 v4, 0
	v_mov_b32_e32 v5, v4
	;; [unrolled: 1-line block ×6, first 2 shown]
	s_or_b64 exec, exec, s[8:9]
	s_and_saveexec_b64 s[8:9], s[2:3]
	s_cbranch_execz .LBB238_28
.LBB238_48:
	v_mad_u64_u32 v[4:5], s[12:13], v1, s4, 0
	v_mov_b32_e32 v16, v5
	v_mad_u64_u32 v[16:17], s[12:13], v1, s5, v[16:17]
	v_mov_b32_e32 v5, v16
	v_lshlrev_b64 v[4:5], 3, v[4:5]
	v_mov_b32_e32 v16, s40
	v_add_co_u32_e32 v4, vcc, s39, v4
	v_addc_co_u32_e32 v5, vcc, v16, v5, vcc
	global_load_dwordx2 v[4:5], v[4:5], off
	s_or_b64 exec, exec, s[8:9]
	s_and_saveexec_b64 s[8:9], s[24:25]
	s_cbranch_execnz .LBB238_29
	s_branch .LBB238_30
.LBB238_49:
                                        ; implicit-def: $vgpr16_vgpr17
                                        ; implicit-def: $vgpr12_vgpr13
                                        ; implicit-def: $vgpr20_vgpr21
	s_cbranch_execz .LBB238_64
; %bb.50:
	v_mov_b32_e32 v22, 0x7fff
	v_cmp_gt_i16_e32 vcc, 0, v18
	v_mov_b32_e32 v23, 0
	s_waitcnt lgkmcnt(1)
	v_cndmask_b32_e64 v10, v22, 0, vcc
	v_cmp_lt_i16_sdwa s[28:29], v18, v23 src0_sel:WORD_1 src1_sel:DWORD
	v_xor_b32_e32 v20, v10, v18
	v_cndmask_b32_e64 v10, v22, 0, s[28:29]
	v_cmp_gt_i16_e32 vcc, 0, v19
	v_cmp_lt_i16_sdwa s[28:29], v19, v23 src0_sel:WORD_1 src1_sel:DWORD
	v_xor_b32_sdwa v44, v10, v18 dst_sel:DWORD dst_unused:UNUSED_PAD src0_sel:DWORD src1_sel:WORD_1
	v_cndmask_b32_e64 v10, v22, 0, vcc
	v_cndmask_b32_e64 v11, v22, 0, s[28:29]
	s_mov_b32 s28, 0x5040100
	v_perm_b32 v10, v11, v10, s28
	s_mov_b32 s42, 0
	v_xor_b32_e32 v21, v10, v19
	v_and_b32_e32 v18, 14, v43
	s_movk_i32 s43, 0x8000
	s_movk_i32 s44, 0xe0
	s_branch .LBB238_52
.LBB238_51:                             ;   in Loop: Header=BB238_52 Depth=1
	v_lshlrev_b32_e32 v2, 1, v26
	s_waitcnt lgkmcnt(0)
	; wave barrier
	ds_write_b16 v2, v24
	v_lshlrev_b32_e32 v2, 1, v27
	ds_write_b16 v2, v19
	v_lshlrev_b32_e32 v2, 1, v28
	;; [unrolled: 2-line block ×4, first 2 shown]
	s_waitcnt lgkmcnt(0)
	; wave barrier
	s_waitcnt lgkmcnt(0)
	ds_read_b64 v[20:21], v40
	s_waitcnt lgkmcnt(0)
	; wave barrier
	s_waitcnt lgkmcnt(0)
	ds_write_b64 v2, v[16:17]
	v_lshlrev_b32_e32 v2, 3, v27
	ds_write_b64 v2, v[14:15]
	v_lshlrev_b32_e32 v2, 3, v28
	;; [unrolled: 2-line block ×3, first 2 shown]
	ds_write_b64 v2, v[10:11]
	s_waitcnt lgkmcnt(0)
	; wave barrier
	s_waitcnt lgkmcnt(0)
	ds_read2_b64 v[2:5], v39 offset1:1
	ds_read2_b64 v[6:9], v39 offset0:2 offset1:3
	s_add_i32 s42, s42, 4
	v_lshrrev_b32_e32 v44, 16, v20
	s_waitcnt lgkmcnt(0)
	; wave barrier
	s_waitcnt lgkmcnt(0)
	s_cbranch_execz .LBB238_63
.LBB238_52:                             ; =>This Loop Header: Depth=1
                                        ;     Child Loop BB238_55 Depth 2
	v_pk_mov_b32 v[10:11], v[8:9], v[8:9] op_sel:[0,1]
	v_pk_mov_b32 v[12:13], v[6:7], v[6:7] op_sel:[0,1]
	s_waitcnt lgkmcnt(0)
	v_pk_mov_b32 v[14:15], v[4:5], v[4:5] op_sel:[0,1]
	v_pk_mov_b32 v[16:17], v[2:3], v[2:3] op_sel:[0,1]
	v_mov_b32_e32 v19, v44
	v_mov_b32_e32 v24, v20
	s_and_saveexec_b64 s[28:29], s[8:9]
	s_cbranch_execz .LBB238_59
; %bb.53:                               ;   in Loop: Header=BB238_52 Depth=1
	s_mov_b32 s45, 0
	s_mov_b64 s[30:31], 0
	v_pk_mov_b32 v[2:3], v[0:1], v[0:1] op_sel:[0,1]
	s_branch .LBB238_55
.LBB238_54:                             ;   in Loop: Header=BB238_55 Depth=2
	s_or_b64 exec, exec, s[36:37]
	s_add_i32 s45, s45, 2
	v_cmp_eq_u32_e32 vcc, s45, v18
	v_add_u32_e32 v3, 64, v3
	s_or_b64 s[30:31], vcc, s[30:31]
	v_add_u32_e32 v2, 64, v2
	s_andn2_b64 exec, exec, s[30:31]
	s_cbranch_execz .LBB238_59
.LBB238_55:                             ;   Parent Loop BB238_52 Depth=1
                                        ; =>  This Inner Loop Header: Depth=2
	s_or_b32 s34, s45, 1
	v_cmp_le_u32_e64 s[34:35], s34, 7
	v_cmp_le_u32_e64 s[46:47], s45, 7
	s_and_saveexec_b64 s[36:37], s[46:47]
	s_cbranch_execz .LBB238_57
; %bb.56:                               ;   in Loop: Header=BB238_55 Depth=2
	v_lshlrev_b32_e32 v4, 2, v2
	ds_write_b32 v4, v23
.LBB238_57:                             ;   in Loop: Header=BB238_55 Depth=2
	s_or_b64 exec, exec, s[36:37]
	s_and_saveexec_b64 s[36:37], s[34:35]
	s_cbranch_execz .LBB238_54
; %bb.58:                               ;   in Loop: Header=BB238_55 Depth=2
	v_lshlrev_b32_e32 v4, 2, v3
	ds_write_b32 v4, v23
	s_branch .LBB238_54
.LBB238_59:                             ;   in Loop: Header=BB238_52 Depth=1
	s_or_b64 exec, exec, s[28:29]
	s_sub_i32 s28, 16, s42
	s_min_u32 s28, s41, s28
	v_cmp_ne_u16_e32 vcc, s43, v24
	s_lshl_b32 s28, -1, s28
	v_cndmask_b32_e32 v2, v22, v24, vcc
	s_not_b32 s28, s28
	v_lshrrev_b32_sdwa v2, s42, v2 dst_sel:DWORD dst_unused:UNUSED_PAD src0_sel:DWORD src1_sel:WORD_0
	v_and_b32_e32 v2, s28, v2
	v_lshrrev_b32_e32 v3, 3, v2
	v_lshlrev_b32_e32 v2, 5, v2
	v_and_or_b32 v2, v2, s44, v0
	v_lshlrev_b32_e32 v2, 1, v2
	v_add_lshl_u32 v26, v2, v3, 1
	ds_read_u16 v20, v26
	v_cmp_ne_u16_e32 vcc, s43, v19
	v_lshrrev_b32_e32 v25, 16, v21
	s_waitcnt lgkmcnt(0)
	v_add_u16_e32 v2, 1, v20
	ds_write_b16 v26, v2
	v_cndmask_b32_e32 v2, v22, v19, vcc
	v_lshrrev_b32_sdwa v2, s42, v2 dst_sel:DWORD dst_unused:UNUSED_PAD src0_sel:DWORD src1_sel:WORD_0
	v_and_b32_e32 v2, s28, v2
	v_lshrrev_b32_e32 v3, 3, v2
	v_lshlrev_b32_e32 v2, 5, v2
	v_and_or_b32 v2, v2, s44, v0
	v_lshlrev_b32_e32 v2, 1, v2
	v_add_lshl_u32 v28, v2, v3, 1
	ds_read_u16 v27, v28
	v_cmp_ne_u16_e32 vcc, s43, v21
	s_waitcnt lgkmcnt(0)
	v_add_u16_e32 v2, 1, v27
	ds_write_b16 v28, v2
	v_cndmask_b32_e32 v2, v22, v21, vcc
	v_lshrrev_b32_sdwa v2, s42, v2 dst_sel:DWORD dst_unused:UNUSED_PAD src0_sel:DWORD src1_sel:WORD_0
	v_and_b32_e32 v2, s28, v2
	v_lshrrev_b32_e32 v3, 3, v2
	v_lshlrev_b32_e32 v2, 5, v2
	v_and_or_b32 v2, v2, s44, v0
	v_lshlrev_b32_e32 v2, 1, v2
	v_add_lshl_u32 v43, v2, v3, 1
	ds_read_u16 v29, v43
	v_cmp_ne_u16_e32 vcc, s43, v25
	s_waitcnt lgkmcnt(0)
	v_add_u16_e32 v2, 1, v29
	ds_write_b16 v43, v2
	v_cndmask_b32_e32 v2, v22, v25, vcc
	v_lshrrev_b32_sdwa v2, s42, v2 dst_sel:DWORD dst_unused:UNUSED_PAD src0_sel:DWORD src1_sel:WORD_0
	v_and_b32_e32 v2, s28, v2
	v_lshrrev_b32_e32 v3, 3, v2
	v_lshlrev_b32_e32 v2, 5, v2
	v_and_or_b32 v2, v2, s44, v0
	v_lshlrev_b32_e32 v2, 1, v2
	v_add_lshl_u32 v45, v2, v3, 1
	ds_read_u16 v44, v45
	s_waitcnt lgkmcnt(0)
	v_add_u16_e32 v2, 1, v44
	ds_write_b16 v45, v2
	s_waitcnt lgkmcnt(0)
	; wave barrier
	s_waitcnt lgkmcnt(0)
	ds_read2_b32 v[8:9], v41 offset1:1
	ds_read2_b32 v[6:7], v41 offset0:2 offset1:3
	ds_read2_b32 v[2:3], v41 offset0:4 offset1:5
	;; [unrolled: 1-line block ×3, first 2 shown]
	s_waitcnt lgkmcnt(3)
	v_add_u32_e32 v46, v9, v8
	s_waitcnt lgkmcnt(2)
	v_add3_u32 v46, v46, v6, v7
	s_waitcnt lgkmcnt(1)
	v_add3_u32 v46, v46, v2, v3
	;; [unrolled: 2-line block ×3, first 2 shown]
	s_nop 1
	v_mov_b32_dpp v46, v5 row_shr:1 row_mask:0xf bank_mask:0xf
	v_cndmask_b32_e64 v46, v46, 0, s[10:11]
	v_add_u32_e32 v5, v46, v5
	s_nop 1
	v_mov_b32_dpp v46, v5 row_shr:2 row_mask:0xf bank_mask:0xf
	v_cndmask_b32_e64 v46, 0, v46, s[12:13]
	v_add_u32_e32 v5, v5, v46
	;; [unrolled: 4-line block ×4, first 2 shown]
	s_nop 1
	v_mov_b32_dpp v46, v5 row_bcast:15 row_mask:0xf bank_mask:0xf
	v_cndmask_b32_e64 v46, v46, 0, s[18:19]
	v_add_u32_e32 v5, v5, v46
	s_and_saveexec_b64 s[28:29], s[20:21]
	s_cbranch_execz .LBB238_61
; %bb.60:                               ;   in Loop: Header=BB238_52 Depth=1
	ds_write_b32 v23, v5 offset:1024
.LBB238_61:                             ;   in Loop: Header=BB238_52 Depth=1
	s_or_b64 exec, exec, s[28:29]
	ds_bpermute_b32 v5, v42, v5
	s_waitcnt lgkmcnt(0)
	; wave barrier
	s_waitcnt lgkmcnt(0)
	ds_read_b32 v46, v23 offset:1024
	s_cmp_gt_u32 s42, 11
	v_cndmask_b32_e64 v5, v5, 0, s[22:23]
	s_waitcnt lgkmcnt(0)
	v_lshl_add_u32 v5, v46, 16, v5
	v_add_u32_e32 v8, v5, v8
	v_add_u32_e32 v9, v8, v9
	ds_write2_b32 v41, v5, v8 offset1:1
	v_add_u32_e32 v5, v9, v6
	v_add_u32_e32 v6, v5, v7
	;; [unrolled: 1-line block ×5, first 2 shown]
	ds_write2_b32 v41, v9, v5 offset0:2 offset1:3
	ds_write2_b32 v41, v6, v2 offset0:4 offset1:5
	;; [unrolled: 1-line block ×3, first 2 shown]
	s_waitcnt lgkmcnt(0)
	; wave barrier
	s_waitcnt lgkmcnt(0)
	ds_read_u16 v2, v26
	ds_read_u16 v3, v28
	;; [unrolled: 1-line block ×4, first 2 shown]
	v_mov_b32_e32 v43, v21
	s_waitcnt lgkmcnt(3)
	v_add_u32_sdwa v26, v2, v20 dst_sel:DWORD dst_unused:UNUSED_PAD src0_sel:DWORD src1_sel:WORD_0
	s_waitcnt lgkmcnt(2)
	v_add_u32_sdwa v27, v3, v27 dst_sel:DWORD dst_unused:UNUSED_PAD src0_sel:DWORD src1_sel:WORD_0
	;; [unrolled: 2-line block ×4, first 2 shown]
	s_cbranch_scc0 .LBB238_51
; %bb.62:
                                        ; implicit-def: $vgpr8_vgpr9
                                        ; implicit-def: $vgpr4_vgpr5
                                        ; implicit-def: $vgpr21
                                        ; implicit-def: $sgpr42
                                        ; implicit-def: $vgpr44
.LBB238_63:
	v_lshlrev_b32_e32 v1, 1, v26
	s_waitcnt lgkmcnt(0)
	; wave barrier
	ds_write_b16 v1, v24
	v_lshlrev_b32_e32 v1, 1, v27
	ds_write_b16 v1, v19
	v_lshlrev_b32_e32 v1, 1, v28
	;; [unrolled: 2-line block ×3, first 2 shown]
	ds_write_b16 v1, v25
	s_waitcnt lgkmcnt(0)
	; wave barrier
	s_waitcnt lgkmcnt(0)
	ds_read_b64 v[2:3], v40
	v_lshlrev_b32_e32 v1, 3, v26
	v_lshlrev_b32_e32 v4, 3, v27
	;; [unrolled: 1-line block ×4, first 2 shown]
	s_waitcnt lgkmcnt(0)
	; wave barrier
	s_waitcnt lgkmcnt(0)
	ds_write_b64 v1, v[16:17]
	ds_write_b64 v4, v[14:15]
	;; [unrolled: 1-line block ×4, first 2 shown]
	v_mov_b32_e32 v4, 0x7fff
	v_cmp_lt_i16_e32 vcc, -1, v2
	v_mov_b32_e32 v6, -1
	s_waitcnt lgkmcnt(0)
	; wave barrier
	s_waitcnt lgkmcnt(0)
	ds_read2_b64 v[10:13], v39 offset1:1
	ds_read2_b64 v[14:17], v39 offset0:2 offset1:3
	v_mov_b32_e32 v1, 0
	v_cndmask_b32_e32 v5, 0, v4, vcc
	v_cmp_gt_i16_sdwa vcc, v2, v6 src0_sel:WORD_1 src1_sel:DWORD
	v_cndmask_b32_e32 v6, 0, v4, vcc
	v_cmp_gt_i16_e32 vcc, 0, v3
	v_cmp_lt_i16_sdwa s[8:9], v3, v1 src0_sel:WORD_1 src1_sel:DWORD
	v_cndmask_b32_e64 v7, v4, 0, vcc
	v_cndmask_b32_e64 v1, v4, 0, s[8:9]
	v_xor_b32_sdwa v1, v1, v3 dst_sel:DWORD dst_unused:UNUSED_PAD src0_sel:DWORD src1_sel:WORD_1
	v_xor_b32_e32 v3, v7, v3
	s_mov_b32 s8, 0x5040100
	v_perm_b32 v21, v1, v3, s8
	v_xor_b32_sdwa v1, v6, v2 dst_sel:DWORD dst_unused:UNUSED_PAD src0_sel:DWORD src1_sel:WORD_1
	v_xor_b32_e32 v2, v5, v2
	v_perm_b32 v20, v1, v2, s8
.LBB238_64:
	v_mad_u64_u32 v[2:3], s[8:9], v0, s26, 0
	s_waitcnt lgkmcnt(0)
	; wave barrier
	s_waitcnt lgkmcnt(0)
	ds_write_b64 v33, v[20:21]
	s_waitcnt lgkmcnt(0)
	; wave barrier
	s_waitcnt lgkmcnt(0)
	ds_read_u16 v5, v30 offset:64
	ds_read_u16 v4, v31 offset:128
	;; [unrolled: 1-line block ×3, first 2 shown]
	v_mov_b32_e32 v6, v3
	v_mad_u64_u32 v[6:7], s[8:9], v0, s27, v[6:7]
	v_mov_b32_e32 v3, v6
	v_lshlrev_b64 v[2:3], 1, v[2:3]
	v_mov_b32_e32 v6, s38
	v_add_co_u32_e32 v2, vcc, s33, v2
	v_addc_co_u32_e32 v3, vcc, v6, v3, vcc
	s_and_saveexec_b64 s[8:9], s[0:1]
	s_cbranch_execnz .LBB238_75
; %bb.65:
	s_or_b64 exec, exec, s[8:9]
	s_and_saveexec_b64 s[8:9], s[2:3]
	s_cbranch_execnz .LBB238_76
.LBB238_66:
	s_or_b64 exec, exec, s[8:9]
	s_and_saveexec_b64 s[8:9], s[24:25]
	s_cbranch_execnz .LBB238_77
.LBB238_67:
	s_or_b64 exec, exec, s[8:9]
	s_and_saveexec_b64 s[8:9], s[6:7]
	s_cbranch_execz .LBB238_69
.LBB238_68:
	s_waitcnt lgkmcnt(1)
	v_mov_b32_e32 v4, 0xc0
	v_mad_u64_u32 v[2:3], s[10:11], s26, v4, v[2:3]
	s_mul_i32 s10, s27, 0xc0
	v_add_u32_e32 v3, s10, v3
	s_waitcnt lgkmcnt(0)
	global_store_short v[2:3], v1, off
.LBB238_69:
	s_or_b64 exec, exec, s[8:9]
	v_mad_u64_u32 v[8:9], s[8:9], v0, s4, 0
	s_waitcnt lgkmcnt(0)
	; wave barrier
	s_waitcnt lgkmcnt(0)
	ds_write2_b64 v38, v[10:11], v[12:13] offset1:1
	ds_write2_b64 v38, v[14:15], v[16:17] offset0:2 offset1:3
	s_waitcnt lgkmcnt(0)
	; wave barrier
	s_waitcnt lgkmcnt(0)
	ds_read_b64 v[6:7], v35 offset:256
	ds_read_b64 v[4:5], v36 offset:512
	;; [unrolled: 1-line block ×3, first 2 shown]
	v_mov_b32_e32 v10, v9
	v_mad_u64_u32 v[0:1], s[8:9], v0, s5, v[10:11]
	v_mov_b32_e32 v9, v0
	v_lshlrev_b64 v[0:1], 3, v[8:9]
	v_mov_b32_e32 v8, s40
	v_add_co_u32_e32 v0, vcc, s39, v0
	v_addc_co_u32_e32 v1, vcc, v8, v1, vcc
	s_and_saveexec_b64 s[8:9], s[0:1]
	s_cbranch_execnz .LBB238_78
; %bb.70:
	s_or_b64 exec, exec, s[8:9]
	s_and_saveexec_b64 s[0:1], s[2:3]
	s_cbranch_execnz .LBB238_79
.LBB238_71:
	s_or_b64 exec, exec, s[0:1]
	s_and_saveexec_b64 s[0:1], s[24:25]
	s_cbranch_execnz .LBB238_80
.LBB238_72:
	s_or_b64 exec, exec, s[0:1]
	s_and_saveexec_b64 s[0:1], s[6:7]
	s_cbranch_execz .LBB238_74
.LBB238_73:
	s_waitcnt lgkmcnt(1)
	v_mov_b32_e32 v4, 0x300
	v_mad_u64_u32 v[0:1], s[0:1], s4, v4, v[0:1]
	s_mul_i32 s0, s5, 0x300
	v_add_u32_e32 v1, s0, v1
	s_waitcnt lgkmcnt(0)
	global_store_dwordx2 v[0:1], v[2:3], off
.LBB238_74:
	s_endpgm
.LBB238_75:
	ds_read_u16 v6, v30
	s_waitcnt lgkmcnt(0)
	global_store_short v[2:3], v6, off
	s_or_b64 exec, exec, s[8:9]
	s_and_saveexec_b64 s[8:9], s[2:3]
	s_cbranch_execz .LBB238_66
.LBB238_76:
	s_lshl_b64 s[10:11], s[26:27], 6
	v_mov_b32_e32 v7, s11
	v_add_co_u32_e32 v6, vcc, s10, v2
	v_addc_co_u32_e32 v7, vcc, v3, v7, vcc
	s_waitcnt lgkmcnt(2)
	global_store_short v[6:7], v5, off
	s_or_b64 exec, exec, s[8:9]
	s_and_saveexec_b64 s[8:9], s[24:25]
	s_cbranch_execz .LBB238_67
.LBB238_77:
	s_lshl_b64 s[10:11], s[26:27], 7
	s_waitcnt lgkmcnt(2)
	v_mov_b32_e32 v5, s11
	v_add_co_u32_e32 v6, vcc, s10, v2
	v_addc_co_u32_e32 v7, vcc, v3, v5, vcc
	s_waitcnt lgkmcnt(1)
	global_store_short v[6:7], v4, off
	s_or_b64 exec, exec, s[8:9]
	s_and_saveexec_b64 s[8:9], s[6:7]
	s_cbranch_execnz .LBB238_68
	s_branch .LBB238_69
.LBB238_78:
	ds_read_b64 v[8:9], v34
	s_waitcnt lgkmcnt(0)
	global_store_dwordx2 v[0:1], v[8:9], off
	s_or_b64 exec, exec, s[8:9]
	s_and_saveexec_b64 s[0:1], s[2:3]
	s_cbranch_execz .LBB238_71
.LBB238_79:
	s_lshl_b64 s[2:3], s[4:5], 8
	v_mov_b32_e32 v9, s3
	v_add_co_u32_e32 v8, vcc, s2, v0
	v_addc_co_u32_e32 v9, vcc, v1, v9, vcc
	s_waitcnt lgkmcnt(2)
	global_store_dwordx2 v[8:9], v[6:7], off
	s_or_b64 exec, exec, s[0:1]
	s_and_saveexec_b64 s[0:1], s[24:25]
	s_cbranch_execz .LBB238_72
.LBB238_80:
	s_lshl_b64 s[2:3], s[4:5], 9
	s_waitcnt lgkmcnt(2)
	v_mov_b32_e32 v7, s3
	v_add_co_u32_e32 v6, vcc, s2, v0
	v_addc_co_u32_e32 v7, vcc, v1, v7, vcc
	s_waitcnt lgkmcnt(1)
	global_store_dwordx2 v[6:7], v[4:5], off
	s_or_b64 exec, exec, s[0:1]
	s_and_saveexec_b64 s[0:1], s[6:7]
	s_cbranch_execnz .LBB238_73
	s_branch .LBB238_74
	.section	.rodata,"a",@progbits
	.p2align	6, 0x0
	.amdhsa_kernel _ZN2at6native18radixSortKVInPlaceILin1ELin1ELi32ELi4EN3c104HalfElmEEvNS_4cuda6detail10TensorInfoIT3_T5_EES8_S8_S8_NS6_IT4_S8_EES8_b
		.amdhsa_group_segment_fixed_size 1056
		.amdhsa_private_segment_fixed_size 0
		.amdhsa_kernarg_size 1128
		.amdhsa_user_sgpr_count 6
		.amdhsa_user_sgpr_private_segment_buffer 1
		.amdhsa_user_sgpr_dispatch_ptr 0
		.amdhsa_user_sgpr_queue_ptr 0
		.amdhsa_user_sgpr_kernarg_segment_ptr 1
		.amdhsa_user_sgpr_dispatch_id 0
		.amdhsa_user_sgpr_flat_scratch_init 0
		.amdhsa_user_sgpr_kernarg_preload_length 0
		.amdhsa_user_sgpr_kernarg_preload_offset 0
		.amdhsa_user_sgpr_private_segment_size 0
		.amdhsa_uses_dynamic_stack 0
		.amdhsa_system_sgpr_private_segment_wavefront_offset 0
		.amdhsa_system_sgpr_workgroup_id_x 1
		.amdhsa_system_sgpr_workgroup_id_y 1
		.amdhsa_system_sgpr_workgroup_id_z 1
		.amdhsa_system_sgpr_workgroup_info 0
		.amdhsa_system_vgpr_workitem_id 0
		.amdhsa_next_free_vgpr 58
		.amdhsa_next_free_sgpr 48
		.amdhsa_accum_offset 60
		.amdhsa_reserve_vcc 1
		.amdhsa_reserve_flat_scratch 0
		.amdhsa_float_round_mode_32 0
		.amdhsa_float_round_mode_16_64 0
		.amdhsa_float_denorm_mode_32 3
		.amdhsa_float_denorm_mode_16_64 3
		.amdhsa_dx10_clamp 1
		.amdhsa_ieee_mode 1
		.amdhsa_fp16_overflow 0
		.amdhsa_tg_split 0
		.amdhsa_exception_fp_ieee_invalid_op 0
		.amdhsa_exception_fp_denorm_src 0
		.amdhsa_exception_fp_ieee_div_zero 0
		.amdhsa_exception_fp_ieee_overflow 0
		.amdhsa_exception_fp_ieee_underflow 0
		.amdhsa_exception_fp_ieee_inexact 0
		.amdhsa_exception_int_div_zero 0
	.end_amdhsa_kernel
	.section	.text._ZN2at6native18radixSortKVInPlaceILin1ELin1ELi32ELi4EN3c104HalfElmEEvNS_4cuda6detail10TensorInfoIT3_T5_EES8_S8_S8_NS6_IT4_S8_EES8_b,"axG",@progbits,_ZN2at6native18radixSortKVInPlaceILin1ELin1ELi32ELi4EN3c104HalfElmEEvNS_4cuda6detail10TensorInfoIT3_T5_EES8_S8_S8_NS6_IT4_S8_EES8_b,comdat
.Lfunc_end238:
	.size	_ZN2at6native18radixSortKVInPlaceILin1ELin1ELi32ELi4EN3c104HalfElmEEvNS_4cuda6detail10TensorInfoIT3_T5_EES8_S8_S8_NS6_IT4_S8_EES8_b, .Lfunc_end238-_ZN2at6native18radixSortKVInPlaceILin1ELin1ELi32ELi4EN3c104HalfElmEEvNS_4cuda6detail10TensorInfoIT3_T5_EES8_S8_S8_NS6_IT4_S8_EES8_b
                                        ; -- End function
	.section	.AMDGPU.csdata,"",@progbits
; Kernel info:
; codeLenInByte = 6464
; NumSgprs: 52
; NumVgprs: 58
; NumAgprs: 0
; TotalNumVgprs: 58
; ScratchSize: 0
; MemoryBound: 0
; FloatMode: 240
; IeeeMode: 1
; LDSByteSize: 1056 bytes/workgroup (compile time only)
; SGPRBlocks: 6
; VGPRBlocks: 7
; NumSGPRsForWavesPerEU: 52
; NumVGPRsForWavesPerEU: 58
; AccumOffset: 60
; Occupancy: 8
; WaveLimiterHint : 1
; COMPUTE_PGM_RSRC2:SCRATCH_EN: 0
; COMPUTE_PGM_RSRC2:USER_SGPR: 6
; COMPUTE_PGM_RSRC2:TRAP_HANDLER: 0
; COMPUTE_PGM_RSRC2:TGID_X_EN: 1
; COMPUTE_PGM_RSRC2:TGID_Y_EN: 1
; COMPUTE_PGM_RSRC2:TGID_Z_EN: 1
; COMPUTE_PGM_RSRC2:TIDIG_COMP_CNT: 0
; COMPUTE_PGM_RSRC3_GFX90A:ACCUM_OFFSET: 14
; COMPUTE_PGM_RSRC3_GFX90A:TG_SPLIT: 0
	.section	.text._ZN2at6native18radixSortKVInPlaceILin1ELin1ELi16ELi2EN3c104HalfElmEEvNS_4cuda6detail10TensorInfoIT3_T5_EES8_S8_S8_NS6_IT4_S8_EES8_b,"axG",@progbits,_ZN2at6native18radixSortKVInPlaceILin1ELin1ELi16ELi2EN3c104HalfElmEEvNS_4cuda6detail10TensorInfoIT3_T5_EES8_S8_S8_NS6_IT4_S8_EES8_b,comdat
	.protected	_ZN2at6native18radixSortKVInPlaceILin1ELin1ELi16ELi2EN3c104HalfElmEEvNS_4cuda6detail10TensorInfoIT3_T5_EES8_S8_S8_NS6_IT4_S8_EES8_b ; -- Begin function _ZN2at6native18radixSortKVInPlaceILin1ELin1ELi16ELi2EN3c104HalfElmEEvNS_4cuda6detail10TensorInfoIT3_T5_EES8_S8_S8_NS6_IT4_S8_EES8_b
	.globl	_ZN2at6native18radixSortKVInPlaceILin1ELin1ELi16ELi2EN3c104HalfElmEEvNS_4cuda6detail10TensorInfoIT3_T5_EES8_S8_S8_NS6_IT4_S8_EES8_b
	.p2align	8
	.type	_ZN2at6native18radixSortKVInPlaceILin1ELin1ELi16ELi2EN3c104HalfElmEEvNS_4cuda6detail10TensorInfoIT3_T5_EES8_S8_S8_NS6_IT4_S8_EES8_b,@function
_ZN2at6native18radixSortKVInPlaceILin1ELin1ELi16ELi2EN3c104HalfElmEEvNS_4cuda6detail10TensorInfoIT3_T5_EES8_S8_S8_NS6_IT4_S8_EES8_b: ; @_ZN2at6native18radixSortKVInPlaceILin1ELin1ELi16ELi2EN3c104HalfElmEEvNS_4cuda6detail10TensorInfoIT3_T5_EES8_S8_S8_NS6_IT4_S8_EES8_b
; %bb.0:
	s_load_dwordx4 s[0:3], s[4:5], 0x1a0
	s_load_dwordx2 s[10:11], s[4:5], 0x368
	s_mov_b32 s9, 0
	s_waitcnt lgkmcnt(0)
	v_mov_b32_e32 v2, s0
	s_mul_i32 s0, s11, s8
	s_add_i32 s0, s0, s7
	s_mul_i32 s0, s0, s10
	v_mov_b32_e32 v3, s1
	s_add_i32 s8, s0, s6
	v_cmp_ge_u64_e32 vcc, s[8:9], v[2:3]
	s_cbranch_vccnz .LBB239_64
; %bb.1:
	s_load_dword s0, s[4:5], 0x198
	s_load_dwordx2 s[18:19], s[4:5], 0x1b0
	s_mov_b64 s[6:7], 0
	s_mov_b64 s[10:11], s[8:9]
	s_waitcnt lgkmcnt(0)
	s_cmp_lt_i32 s0, 2
	s_cbranch_scc1 .LBB239_9
; %bb.2:
	s_mov_b32 s12, 0
	s_add_i32 s3, s0, 1
	s_add_i32 s0, s0, -1
	s_mov_b32 s1, s12
	s_lshl_b64 s[0:1], s[0:1], 3
	s_add_u32 s0, s0, s4
	s_addc_u32 s1, s1, s5
	s_add_u32 s14, s0, 8
	s_addc_u32 s15, s1, 0
	s_mov_b64 s[16:17], s[8:9]
.LBB239_3:                              ; =>This Inner Loop Header: Depth=1
	s_load_dwordx2 s[20:21], s[14:15], 0x0
	s_waitcnt lgkmcnt(0)
	s_or_b64 s[0:1], s[16:17], s[20:21]
	s_mov_b32 s13, s1
	s_cmp_lg_u64 s[12:13], 0
	s_cbranch_scc0 .LBB239_8
; %bb.4:                                ;   in Loop: Header=BB239_3 Depth=1
	v_cvt_f32_u32_e32 v1, s20
	v_cvt_f32_u32_e32 v2, s21
	s_sub_u32 s0, 0, s20
	s_subb_u32 s1, 0, s21
	v_mac_f32_e32 v1, 0x4f800000, v2
	v_rcp_f32_e32 v1, v1
	v_mul_f32_e32 v1, 0x5f7ffffc, v1
	v_mul_f32_e32 v2, 0x2f800000, v1
	v_trunc_f32_e32 v2, v2
	v_mac_f32_e32 v1, 0xcf800000, v2
	v_cvt_u32_f32_e32 v2, v2
	v_cvt_u32_f32_e32 v1, v1
	v_readfirstlane_b32 s10, v2
	v_readfirstlane_b32 s11, v1
	s_mul_i32 s13, s0, s10
	s_mul_hi_u32 s23, s0, s11
	s_mul_i32 s22, s1, s11
	s_add_i32 s13, s23, s13
	s_mul_i32 s24, s0, s11
	s_add_i32 s13, s13, s22
	s_mul_hi_u32 s22, s11, s13
	s_mul_i32 s23, s11, s13
	s_mul_hi_u32 s11, s11, s24
	s_add_u32 s11, s11, s23
	s_addc_u32 s22, 0, s22
	s_mul_hi_u32 s25, s10, s24
	s_mul_i32 s24, s10, s24
	s_add_u32 s11, s11, s24
	s_mul_hi_u32 s23, s10, s13
	s_addc_u32 s11, s22, s25
	s_addc_u32 s22, s23, 0
	s_mul_i32 s13, s10, s13
	s_add_u32 s11, s11, s13
	s_addc_u32 s13, 0, s22
	v_add_co_u32_e32 v1, vcc, s11, v1
	s_cmp_lg_u64 vcc, 0
	s_addc_u32 s10, s10, s13
	v_readfirstlane_b32 s13, v1
	s_mul_i32 s11, s0, s10
	s_mul_hi_u32 s22, s0, s13
	s_add_i32 s11, s22, s11
	s_mul_i32 s1, s1, s13
	s_add_i32 s11, s11, s1
	s_mul_i32 s0, s0, s13
	s_mul_hi_u32 s22, s10, s0
	s_mul_i32 s23, s10, s0
	s_mul_i32 s25, s13, s11
	s_mul_hi_u32 s0, s13, s0
	s_mul_hi_u32 s24, s13, s11
	s_add_u32 s0, s0, s25
	s_addc_u32 s13, 0, s24
	s_add_u32 s0, s0, s23
	s_mul_hi_u32 s1, s10, s11
	s_addc_u32 s0, s13, s22
	s_addc_u32 s1, s1, 0
	s_mul_i32 s11, s10, s11
	s_add_u32 s0, s0, s11
	s_addc_u32 s1, 0, s1
	v_add_co_u32_e32 v1, vcc, s0, v1
	s_cmp_lg_u64 vcc, 0
	s_addc_u32 s0, s10, s1
	v_readfirstlane_b32 s11, v1
	s_mul_i32 s10, s16, s0
	s_mul_hi_u32 s13, s16, s11
	s_mul_hi_u32 s1, s16, s0
	s_add_u32 s10, s13, s10
	s_addc_u32 s1, 0, s1
	s_mul_hi_u32 s22, s17, s11
	s_mul_i32 s11, s17, s11
	s_add_u32 s10, s10, s11
	s_mul_hi_u32 s13, s17, s0
	s_addc_u32 s1, s1, s22
	s_addc_u32 s10, s13, 0
	s_mul_i32 s0, s17, s0
	s_add_u32 s13, s1, s0
	s_addc_u32 s10, 0, s10
	s_mul_i32 s0, s20, s10
	s_mul_hi_u32 s1, s20, s13
	s_add_i32 s0, s1, s0
	s_mul_i32 s1, s21, s13
	s_add_i32 s11, s0, s1
	s_mul_i32 s1, s20, s13
	v_mov_b32_e32 v1, s1
	s_sub_i32 s0, s17, s11
	v_sub_co_u32_e32 v1, vcc, s16, v1
	s_cmp_lg_u64 vcc, 0
	s_subb_u32 s22, s0, s21
	v_subrev_co_u32_e64 v2, s[0:1], s20, v1
	s_cmp_lg_u64 s[0:1], 0
	s_subb_u32 s0, s22, 0
	s_cmp_ge_u32 s0, s21
	v_readfirstlane_b32 s22, v2
	s_cselect_b32 s1, -1, 0
	s_cmp_ge_u32 s22, s20
	s_cselect_b32 s22, -1, 0
	s_cmp_eq_u32 s0, s21
	s_cselect_b32 s0, s22, s1
	s_add_u32 s1, s13, 1
	s_addc_u32 s22, s10, 0
	s_add_u32 s23, s13, 2
	s_addc_u32 s24, s10, 0
	s_cmp_lg_u32 s0, 0
	s_cselect_b32 s0, s23, s1
	s_cselect_b32 s1, s24, s22
	s_cmp_lg_u64 vcc, 0
	s_subb_u32 s11, s17, s11
	s_cmp_ge_u32 s11, s21
	v_readfirstlane_b32 s23, v1
	s_cselect_b32 s22, -1, 0
	s_cmp_ge_u32 s23, s20
	s_cselect_b32 s23, -1, 0
	s_cmp_eq_u32 s11, s21
	s_cselect_b32 s11, s23, s22
	s_cmp_lg_u32 s11, 0
	s_cselect_b32 s11, s1, s10
	s_cselect_b32 s10, s0, s13
	s_cbranch_execnz .LBB239_6
.LBB239_5:                              ;   in Loop: Header=BB239_3 Depth=1
	v_cvt_f32_u32_e32 v1, s20
	s_sub_i32 s0, 0, s20
	v_rcp_iflag_f32_e32 v1, v1
	v_mul_f32_e32 v1, 0x4f7ffffe, v1
	v_cvt_u32_f32_e32 v1, v1
	v_readfirstlane_b32 s1, v1
	s_mul_i32 s0, s0, s1
	s_mul_hi_u32 s0, s1, s0
	s_add_i32 s1, s1, s0
	s_mul_hi_u32 s0, s16, s1
	s_mul_i32 s10, s0, s20
	s_sub_i32 s10, s16, s10
	s_add_i32 s1, s0, 1
	s_sub_i32 s11, s10, s20
	s_cmp_ge_u32 s10, s20
	s_cselect_b32 s0, s1, s0
	s_cselect_b32 s10, s11, s10
	s_add_i32 s1, s0, 1
	s_cmp_ge_u32 s10, s20
	s_cselect_b32 s10, s1, s0
	s_mov_b32 s11, s12
.LBB239_6:                              ;   in Loop: Header=BB239_3 Depth=1
	s_mul_i32 s0, s10, s21
	s_mul_hi_u32 s1, s10, s20
	s_add_i32 s13, s1, s0
	s_load_dwordx2 s[0:1], s[14:15], 0xc8
	s_mul_i32 s21, s11, s20
	s_add_i32 s13, s13, s21
	s_mul_i32 s20, s10, s20
	s_sub_u32 s16, s16, s20
	s_subb_u32 s13, s17, s13
	s_waitcnt lgkmcnt(0)
	s_mul_i32 s13, s0, s13
	s_mul_hi_u32 s17, s0, s16
	s_add_i32 s13, s17, s13
	s_mul_i32 s1, s1, s16
	s_add_i32 s13, s13, s1
	s_mul_i32 s0, s0, s16
	s_add_u32 s6, s0, s6
	s_addc_u32 s7, s13, s7
	s_add_i32 s3, s3, -1
	s_add_u32 s14, s14, -8
	s_addc_u32 s15, s15, -1
	s_cmp_gt_u32 s3, 2
	s_cbranch_scc0 .LBB239_9
; %bb.7:                                ;   in Loop: Header=BB239_3 Depth=1
	s_mov_b64 s[16:17], s[10:11]
	s_branch .LBB239_3
.LBB239_8:                              ;   in Loop: Header=BB239_3 Depth=1
                                        ; implicit-def: $sgpr10_sgpr11
	s_branch .LBB239_5
.LBB239_9:
	s_load_dword s0, s[4:5], 0x350
	s_load_dwordx2 s[14:15], s[4:5], 0xd0
	s_mov_b64 s[12:13], 0
	s_waitcnt lgkmcnt(0)
	s_cmp_lt_i32 s0, 2
	s_cbranch_scc1 .LBB239_17
; %bb.10:
	s_mov_b32 s16, 0
	s_add_i32 s3, s0, 1
	s_add_i32 s0, s0, -1
	s_mov_b32 s1, s16
	s_lshl_b64 s[0:1], s[0:1], 3
	s_add_u32 s0, s0, s4
	s_addc_u32 s1, s1, s5
	s_add_u32 s20, s0, 0x1c0
	s_addc_u32 s21, s1, 0
.LBB239_11:                             ; =>This Inner Loop Header: Depth=1
	s_load_dwordx2 s[22:23], s[20:21], 0x0
	s_waitcnt lgkmcnt(0)
	s_or_b64 s[0:1], s[8:9], s[22:23]
	s_mov_b32 s17, s1
	s_cmp_lg_u64 s[16:17], 0
	s_cbranch_scc0 .LBB239_16
; %bb.12:                               ;   in Loop: Header=BB239_11 Depth=1
	v_cvt_f32_u32_e32 v1, s22
	v_cvt_f32_u32_e32 v2, s23
	s_sub_u32 s0, 0, s22
	s_subb_u32 s1, 0, s23
	v_mac_f32_e32 v1, 0x4f800000, v2
	v_rcp_f32_e32 v1, v1
	v_mul_f32_e32 v1, 0x5f7ffffc, v1
	v_mul_f32_e32 v2, 0x2f800000, v1
	v_trunc_f32_e32 v2, v2
	v_mac_f32_e32 v1, 0xcf800000, v2
	v_cvt_u32_f32_e32 v2, v2
	v_cvt_u32_f32_e32 v1, v1
	v_readfirstlane_b32 s17, v2
	v_readfirstlane_b32 s24, v1
	s_mul_i32 s25, s0, s17
	s_mul_hi_u32 s27, s0, s24
	s_mul_i32 s26, s1, s24
	s_add_i32 s25, s27, s25
	s_mul_i32 s28, s0, s24
	s_add_i32 s25, s25, s26
	s_mul_hi_u32 s26, s24, s25
	s_mul_i32 s27, s24, s25
	s_mul_hi_u32 s24, s24, s28
	s_add_u32 s24, s24, s27
	s_addc_u32 s26, 0, s26
	s_mul_hi_u32 s29, s17, s28
	s_mul_i32 s28, s17, s28
	s_add_u32 s24, s24, s28
	s_mul_hi_u32 s27, s17, s25
	s_addc_u32 s24, s26, s29
	s_addc_u32 s26, s27, 0
	s_mul_i32 s25, s17, s25
	s_add_u32 s24, s24, s25
	s_addc_u32 s25, 0, s26
	v_add_co_u32_e32 v1, vcc, s24, v1
	s_cmp_lg_u64 vcc, 0
	s_addc_u32 s17, s17, s25
	v_readfirstlane_b32 s25, v1
	s_mul_i32 s24, s0, s17
	s_mul_hi_u32 s26, s0, s25
	s_add_i32 s24, s26, s24
	s_mul_i32 s1, s1, s25
	s_add_i32 s24, s24, s1
	s_mul_i32 s0, s0, s25
	s_mul_hi_u32 s26, s17, s0
	s_mul_i32 s27, s17, s0
	s_mul_i32 s29, s25, s24
	s_mul_hi_u32 s0, s25, s0
	s_mul_hi_u32 s28, s25, s24
	s_add_u32 s0, s0, s29
	s_addc_u32 s25, 0, s28
	s_add_u32 s0, s0, s27
	s_mul_hi_u32 s1, s17, s24
	s_addc_u32 s0, s25, s26
	s_addc_u32 s1, s1, 0
	s_mul_i32 s24, s17, s24
	s_add_u32 s0, s0, s24
	s_addc_u32 s1, 0, s1
	v_add_co_u32_e32 v1, vcc, s0, v1
	s_cmp_lg_u64 vcc, 0
	s_addc_u32 s0, s17, s1
	v_readfirstlane_b32 s24, v1
	s_mul_i32 s17, s8, s0
	s_mul_hi_u32 s25, s8, s24
	s_mul_hi_u32 s1, s8, s0
	s_add_u32 s17, s25, s17
	s_addc_u32 s1, 0, s1
	s_mul_hi_u32 s26, s9, s24
	s_mul_i32 s24, s9, s24
	s_add_u32 s17, s17, s24
	s_mul_hi_u32 s25, s9, s0
	s_addc_u32 s1, s1, s26
	s_addc_u32 s17, s25, 0
	s_mul_i32 s0, s9, s0
	s_add_u32 s24, s1, s0
	s_addc_u32 s17, 0, s17
	s_mul_i32 s0, s22, s17
	s_mul_hi_u32 s1, s22, s24
	s_add_i32 s0, s1, s0
	s_mul_i32 s1, s23, s24
	s_add_i32 s25, s0, s1
	s_mul_i32 s1, s22, s24
	v_mov_b32_e32 v1, s1
	s_sub_i32 s0, s9, s25
	v_sub_co_u32_e32 v1, vcc, s8, v1
	s_cmp_lg_u64 vcc, 0
	s_subb_u32 s26, s0, s23
	v_subrev_co_u32_e64 v2, s[0:1], s22, v1
	s_cmp_lg_u64 s[0:1], 0
	s_subb_u32 s0, s26, 0
	s_cmp_ge_u32 s0, s23
	v_readfirstlane_b32 s26, v2
	s_cselect_b32 s1, -1, 0
	s_cmp_ge_u32 s26, s22
	s_cselect_b32 s26, -1, 0
	s_cmp_eq_u32 s0, s23
	s_cselect_b32 s0, s26, s1
	s_add_u32 s1, s24, 1
	s_addc_u32 s26, s17, 0
	s_add_u32 s27, s24, 2
	s_addc_u32 s28, s17, 0
	s_cmp_lg_u32 s0, 0
	s_cselect_b32 s0, s27, s1
	s_cselect_b32 s1, s28, s26
	s_cmp_lg_u64 vcc, 0
	s_subb_u32 s25, s9, s25
	s_cmp_ge_u32 s25, s23
	v_readfirstlane_b32 s27, v1
	s_cselect_b32 s26, -1, 0
	s_cmp_ge_u32 s27, s22
	s_cselect_b32 s27, -1, 0
	s_cmp_eq_u32 s25, s23
	s_cselect_b32 s25, s27, s26
	s_cmp_lg_u32 s25, 0
	s_cselect_b32 s25, s1, s17
	s_cselect_b32 s24, s0, s24
	s_cbranch_execnz .LBB239_14
.LBB239_13:                             ;   in Loop: Header=BB239_11 Depth=1
	v_cvt_f32_u32_e32 v1, s22
	s_sub_i32 s0, 0, s22
	s_mov_b32 s25, s16
	v_rcp_iflag_f32_e32 v1, v1
	v_mul_f32_e32 v1, 0x4f7ffffe, v1
	v_cvt_u32_f32_e32 v1, v1
	v_readfirstlane_b32 s1, v1
	s_mul_i32 s0, s0, s1
	s_mul_hi_u32 s0, s1, s0
	s_add_i32 s1, s1, s0
	s_mul_hi_u32 s0, s8, s1
	s_mul_i32 s17, s0, s22
	s_sub_i32 s17, s8, s17
	s_add_i32 s1, s0, 1
	s_sub_i32 s24, s17, s22
	s_cmp_ge_u32 s17, s22
	s_cselect_b32 s0, s1, s0
	s_cselect_b32 s17, s24, s17
	s_add_i32 s1, s0, 1
	s_cmp_ge_u32 s17, s22
	s_cselect_b32 s24, s1, s0
.LBB239_14:                             ;   in Loop: Header=BB239_11 Depth=1
	s_mul_i32 s0, s24, s23
	s_mul_hi_u32 s1, s24, s22
	s_add_i32 s17, s1, s0
	s_load_dwordx2 s[0:1], s[20:21], 0xc8
	s_mul_i32 s23, s25, s22
	s_add_i32 s17, s17, s23
	s_mul_i32 s22, s24, s22
	s_sub_u32 s8, s8, s22
	s_subb_u32 s9, s9, s17
	s_waitcnt lgkmcnt(0)
	s_mul_i32 s9, s0, s9
	s_mul_hi_u32 s17, s0, s8
	s_add_i32 s9, s17, s9
	s_mul_i32 s1, s1, s8
	s_add_i32 s9, s9, s1
	s_mul_i32 s0, s0, s8
	s_add_u32 s12, s0, s12
	s_addc_u32 s13, s9, s13
	s_add_i32 s3, s3, -1
	s_add_u32 s20, s20, -8
	s_addc_u32 s21, s21, -1
	s_cmp_gt_u32 s3, 2
	s_cbranch_scc0 .LBB239_18
; %bb.15:                               ;   in Loop: Header=BB239_11 Depth=1
	s_mov_b64 s[8:9], s[24:25]
	s_branch .LBB239_11
.LBB239_16:                             ;   in Loop: Header=BB239_11 Depth=1
                                        ; implicit-def: $sgpr24_sgpr25
	s_branch .LBB239_13
.LBB239_17:
	s_mov_b64 s[24:25], s[8:9]
.LBB239_18:
	s_load_dword s3, s[4:5], 0x360
	s_mul_i32 s0, s14, s11
	s_mul_hi_u32 s1, s14, s10
	s_add_i32 s0, s1, s0
	s_mul_i32 s1, s15, s10
	s_add_i32 s1, s0, s1
	s_load_dwordx2 s[20:21], s[4:5], 0x0
	s_mul_i32 s0, s14, s10
	s_load_dwordx2 s[10:11], s[4:5], 0x288
	s_waitcnt lgkmcnt(0)
	s_bitcmp1_b32 s3, 0
	s_cselect_b64 s[8:9], -1, 0
	s_mov_b32 s3, 0xffff
	s_and_b64 s[14:15], s[8:9], exec
	s_load_dwordx2 s[14:15], s[4:5], 0x1b8
	s_cselect_b32 s16, s3, 0x7fff
	s_lshl_b64 s[0:1], s[0:1], 1
	s_add_u32 s3, s20, s0
	s_addc_u32 s17, s21, s1
	s_lshl_b64 s[0:1], s[6:7], 1
	s_add_u32 s30, s3, s0
	s_addc_u32 s31, s17, s1
	v_cmp_gt_u32_e64 s[0:1], s2, v0
	v_mov_b32_e32 v2, s16
	s_and_saveexec_b64 s[6:7], s[0:1]
	s_cbranch_execz .LBB239_20
; %bb.19:
	v_mad_u64_u32 v[2:3], s[20:21], v0, s18, 0
	v_mov_b32_e32 v4, v3
	v_mad_u64_u32 v[4:5], s[20:21], v0, s19, v[4:5]
	v_mov_b32_e32 v3, v4
	v_lshlrev_b64 v[2:3], 1, v[2:3]
	v_mov_b32_e32 v1, s31
	v_add_co_u32_e32 v2, vcc, s30, v2
	v_addc_co_u32_e32 v3, vcc, v1, v3, vcc
	global_load_ushort v2, v[2:3], off
.LBB239_20:
	s_or_b64 exec, exec, s[6:7]
	v_or_b32_e32 v1, 16, v0
	v_cmp_gt_u32_e64 s[2:3], s2, v1
	v_mov_b32_e32 v3, s16
	s_and_saveexec_b64 s[6:7], s[2:3]
	s_cbranch_execz .LBB239_22
; %bb.21:
	v_mad_u64_u32 v[4:5], s[16:17], v1, s18, 0
	v_mov_b32_e32 v6, v5
	v_mad_u64_u32 v[6:7], s[16:17], v1, s19, v[6:7]
	v_mov_b32_e32 v5, v6
	v_lshlrev_b64 v[4:5], 1, v[4:5]
	v_mov_b32_e32 v3, s31
	v_add_co_u32_e32 v4, vcc, s30, v4
	v_addc_co_u32_e32 v5, vcc, v3, v5, vcc
	global_load_ushort v3, v[4:5], off
.LBB239_22:
	s_or_b64 exec, exec, s[6:7]
	s_mul_i32 s6, s10, s25
	s_mul_hi_u32 s7, s10, s24
	s_add_i32 s6, s7, s6
	s_mul_i32 s7, s11, s24
	s_add_i32 s7, s6, s7
	s_mul_i32 s6, s10, s24
	s_lshl_b64 s[6:7], s[6:7], 3
	v_lshlrev_b32_e32 v18, 1, v0
	v_lshlrev_b32_e32 v20, 2, v0
	s_waitcnt lgkmcnt(0)
	s_add_u32 s10, s14, s6
	s_load_dwordx2 s[20:21], s[4:5], 0x358
	s_waitcnt vmcnt(0)
	ds_write_b16 v18, v2
	ds_write_b16 v18, v3 offset:32
	s_waitcnt lgkmcnt(0)
	; wave barrier
	s_waitcnt lgkmcnt(0)
	ds_read_u16 v26, v20
	ds_read_u16 v25, v20 offset:2
	s_addc_u32 s11, s15, s7
	s_lshl_b64 s[6:7], s[12:13], 3
	s_mov_b32 s4, 0
	s_add_u32 s33, s10, s6
	s_mov_b32 s5, s4
	s_addc_u32 s34, s11, s7
	s_mov_b32 s6, s4
	s_mov_b32 s7, s4
	v_pk_mov_b32 v[2:3], s[4:5], s[4:5] op_sel:[0,1]
	v_pk_mov_b32 v[4:5], s[6:7], s[6:7] op_sel:[0,1]
	v_pk_mov_b32 v[2:3], 0, 0
	s_waitcnt lgkmcnt(0)
	; wave barrier
	s_waitcnt lgkmcnt(0)
	s_and_saveexec_b64 s[4:5], s[0:1]
	s_cbranch_execz .LBB239_24
; %bb.23:
	v_mad_u64_u32 v[2:3], s[6:7], v0, s20, 0
	v_mov_b32_e32 v4, v3
	v_mad_u64_u32 v[4:5], s[6:7], v0, s21, v[4:5]
	v_mov_b32_e32 v3, v4
	v_lshlrev_b64 v[2:3], 3, v[2:3]
	v_mov_b32_e32 v4, s34
	v_add_co_u32_e32 v2, vcc, s33, v2
	v_addc_co_u32_e32 v3, vcc, v4, v3, vcc
	global_load_dwordx2 v[2:3], v[2:3], off
	v_mov_b32_e32 v4, 0
	v_mov_b32_e32 v5, v4
.LBB239_24:
	s_or_b64 exec, exec, s[4:5]
	s_xor_b64 s[22:23], s[8:9], -1
	s_and_saveexec_b64 s[4:5], s[2:3]
	s_cbranch_execz .LBB239_26
; %bb.25:
	v_mad_u64_u32 v[4:5], s[6:7], v1, s20, 0
	v_mov_b32_e32 v6, v5
	v_mad_u64_u32 v[6:7], s[6:7], v1, s21, v[6:7]
	v_mov_b32_e32 v5, v6
	v_lshlrev_b64 v[4:5], 3, v[4:5]
	v_mov_b32_e32 v6, s34
	v_add_co_u32_e32 v4, vcc, s33, v4
	v_addc_co_u32_e32 v5, vcc, v6, v5, vcc
	global_load_dwordx2 v[4:5], v[4:5], off
.LBB239_26:
	s_or_b64 exec, exec, s[4:5]
	v_mbcnt_lo_u32_b32 v6, -1, 0
	v_lshlrev_b32_e32 v19, 3, v0
	v_lshlrev_b32_e32 v21, 3, v18
	s_getpc_b64 s[4:5]
	s_add_u32 s4, s4, _ZN7rocprim17ROCPRIM_400000_NS16block_radix_sortI6__halfLj16ELj2ElLj1ELj1ELj0ELNS0_26block_radix_rank_algorithmE1ELNS0_18block_padding_hintE2ELNS0_4arch9wavefront6targetE1EE19radix_bits_per_passE@rel32@lo+4
	s_addc_u32 s5, s5, _ZN7rocprim17ROCPRIM_400000_NS16block_radix_sortI6__halfLj16ELj2ElLj1ELj1ELj0ELNS0_26block_radix_rank_algorithmE1ELNS0_18block_padding_hintE2ELNS0_4arch9wavefront6targetE1EE19radix_bits_per_passE@rel32@hi+12
	v_mbcnt_hi_u32_b32 v6, -1, v6
	s_waitcnt vmcnt(0)
	ds_write2_b64 v19, v[2:3], v[4:5] offset1:16
	s_waitcnt lgkmcnt(0)
	; wave barrier
	s_waitcnt lgkmcnt(0)
	ds_read2_b64 v[2:5], v21 offset1:1
	s_load_dword s35, s[4:5], 0x0
	v_and_b32_e32 v7, 15, v6
	v_cmp_eq_u32_e64 s[6:7], 0, v7
	v_cmp_lt_u32_e64 s[8:9], 1, v7
	v_cmp_lt_u32_e64 s[10:11], 3, v7
	;; [unrolled: 1-line block ×3, first 2 shown]
	v_add_u32_e32 v7, -1, v6
	v_and_b32_e32 v8, 0x70, v6
	v_cmp_lt_i32_e32 vcc, v7, v8
	s_movk_i32 s4, 0x80
	v_cndmask_b32_e32 v7, v7, v6, vcc
	v_cmp_gt_u32_e64 s[4:5], s4, v0
	v_lshlrev_b32_e32 v22, 5, v0
	s_mov_b32 s36, 0
	v_cmp_eq_u32_e64 s[14:15], 15, v0
	s_movk_i32 s37, 0x70
	v_lshlrev_b32_e32 v24, 2, v7
	v_cmp_eq_u32_e64 s[16:17], 0, v6
	v_lshlrev_b32_e32 v23, 1, v18
	s_and_b64 vcc, exec, s[22:23]
	v_add_u32_e64 v27, 7, 2
	s_waitcnt lgkmcnt(0)
	; wave barrier
	s_waitcnt lgkmcnt(0)
	s_cbranch_vccz .LBB239_41
; %bb.27:
	v_mov_b32_e32 v28, 0xffff8000
	v_cmp_lt_i16_e32 vcc, -1, v26
	v_cndmask_b32_e32 v6, -1, v28, vcc
	v_cmp_lt_i16_e32 vcc, -1, v25
	v_xor_b32_e32 v16, v6, v26
	v_cndmask_b32_e32 v6, -1, v28, vcc
	v_xor_b32_e32 v17, v6, v25
	v_and_b32_e32 v29, 14, v27
	v_mov_b32_e32 v30, 0
	s_movk_i32 s38, 0x7fff
	v_pk_mov_b32 v[6:7], v[2:3], v[2:3] op_sel:[0,1]
	v_pk_mov_b32 v[8:9], v[4:5], v[4:5] op_sel:[0,1]
	s_branch .LBB239_29
.LBB239_28:                             ;   in Loop: Header=BB239_29 Depth=1
	v_lshlrev_b32_e32 v6, 1, v14
	s_waitcnt lgkmcnt(0)
	; wave barrier
	ds_write_b16 v6, v32
	v_lshlrev_b32_e32 v6, 1, v15
	ds_write_b16 v6, v31
	v_lshlrev_b32_e32 v6, 3, v14
	s_waitcnt lgkmcnt(0)
	; wave barrier
	s_waitcnt lgkmcnt(0)
	ds_read_u16 v16, v23
	ds_read_u16 v17, v23 offset:2
	s_waitcnt lgkmcnt(0)
	; wave barrier
	s_waitcnt lgkmcnt(0)
	ds_write_b64 v6, v[12:13]
	v_lshlrev_b32_e32 v6, 3, v15
	ds_write_b64 v6, v[10:11]
	s_waitcnt lgkmcnt(0)
	; wave barrier
	s_waitcnt lgkmcnt(0)
	ds_read2_b64 v[6:9], v21 offset1:1
	s_add_i32 s36, s36, 4
	s_waitcnt lgkmcnt(0)
	; wave barrier
	s_waitcnt lgkmcnt(0)
	s_cbranch_execz .LBB239_40
.LBB239_29:                             ; =>This Loop Header: Depth=1
                                        ;     Child Loop BB239_32 Depth 2
	v_pk_mov_b32 v[10:11], v[8:9], v[8:9] op_sel:[0,1]
	v_pk_mov_b32 v[12:13], v[6:7], v[6:7] op_sel:[0,1]
	v_mov_b32_e32 v31, v17
	v_mov_b32_e32 v32, v16
	s_and_saveexec_b64 s[22:23], s[4:5]
	s_cbranch_execz .LBB239_36
; %bb.30:                               ;   in Loop: Header=BB239_29 Depth=1
	s_mov_b32 s39, 0
	s_mov_b64 s[24:25], 0
	v_pk_mov_b32 v[6:7], v[0:1], v[0:1] op_sel:[0,1]
	s_branch .LBB239_32
.LBB239_31:                             ;   in Loop: Header=BB239_32 Depth=2
	s_or_b64 exec, exec, s[28:29]
	s_add_i32 s39, s39, 2
	v_cmp_eq_u32_e32 vcc, s39, v29
	v_add_u32_e32 v7, 32, v7
	s_or_b64 s[24:25], vcc, s[24:25]
	v_add_u32_e32 v6, 32, v6
	s_andn2_b64 exec, exec, s[24:25]
	s_cbranch_execz .LBB239_36
.LBB239_32:                             ;   Parent Loop BB239_29 Depth=1
                                        ; =>  This Inner Loop Header: Depth=2
	s_or_b32 s26, s39, 1
	v_cmp_le_u32_e64 s[26:27], s26, 7
	v_cmp_le_u32_e64 s[40:41], s39, 7
	s_and_saveexec_b64 s[28:29], s[40:41]
	s_cbranch_execz .LBB239_34
; %bb.33:                               ;   in Loop: Header=BB239_32 Depth=2
	v_lshlrev_b32_e32 v8, 2, v6
	ds_write_b32 v8, v30
.LBB239_34:                             ;   in Loop: Header=BB239_32 Depth=2
	s_or_b64 exec, exec, s[28:29]
	s_and_saveexec_b64 s[28:29], s[26:27]
	s_cbranch_execz .LBB239_31
; %bb.35:                               ;   in Loop: Header=BB239_32 Depth=2
	v_lshlrev_b32_e32 v8, 2, v7
	ds_write_b32 v8, v30
	s_branch .LBB239_31
.LBB239_36:                             ;   in Loop: Header=BB239_29 Depth=1
	s_or_b64 exec, exec, s[22:23]
	s_sub_i32 s22, 16, s36
	s_min_u32 s22, s35, s22
	v_cmp_ne_u16_e32 vcc, s38, v32
	s_lshl_b32 s22, -1, s22
	v_cndmask_b32_e32 v6, v28, v32, vcc
	s_not_b32 s22, s22
	v_lshrrev_b32_sdwa v6, s36, v6 dst_sel:DWORD dst_unused:UNUSED_PAD src0_sel:DWORD src1_sel:WORD_0
	v_and_b32_e32 v6, s22, v6
	v_lshrrev_b32_e32 v7, 3, v6
	v_lshlrev_b32_e32 v6, 4, v6
	v_and_or_b32 v6, v6, s37, v0
	v_lshlrev_b32_e32 v6, 1, v6
	v_add_lshl_u32 v34, v6, v7, 1
	ds_read_u16 v33, v34
	v_cmp_ne_u16_e32 vcc, s38, v31
	s_waitcnt lgkmcnt(0)
	v_add_u16_e32 v6, 1, v33
	ds_write_b16 v34, v6
	v_cndmask_b32_e32 v6, v28, v31, vcc
	v_lshrrev_b32_sdwa v6, s36, v6 dst_sel:DWORD dst_unused:UNUSED_PAD src0_sel:DWORD src1_sel:WORD_0
	v_and_b32_e32 v6, s22, v6
	v_lshrrev_b32_e32 v7, 3, v6
	v_lshlrev_b32_e32 v6, 4, v6
	v_and_or_b32 v6, v6, s37, v0
	v_lshlrev_b32_e32 v6, 1, v6
	v_add_lshl_u32 v36, v6, v7, 1
	ds_read_u16 v35, v36
	s_waitcnt lgkmcnt(0)
	v_add_u16_e32 v6, 1, v35
	ds_write_b16 v36, v6
	s_waitcnt lgkmcnt(0)
	; wave barrier
	s_waitcnt lgkmcnt(0)
	ds_read2_b32 v[16:17], v22 offset1:1
	ds_read2_b32 v[14:15], v22 offset0:2 offset1:3
	ds_read2_b32 v[6:7], v22 offset0:4 offset1:5
	;; [unrolled: 1-line block ×3, first 2 shown]
	s_waitcnt lgkmcnt(3)
	v_add_u32_e32 v37, v17, v16
	s_waitcnt lgkmcnt(2)
	v_add3_u32 v37, v37, v14, v15
	s_waitcnt lgkmcnt(1)
	v_add3_u32 v37, v37, v6, v7
	;; [unrolled: 2-line block ×3, first 2 shown]
	s_nop 1
	v_mov_b32_dpp v37, v9 row_shr:1 row_mask:0xf bank_mask:0xf
	v_cndmask_b32_e64 v37, v37, 0, s[6:7]
	v_add_u32_e32 v9, v37, v9
	s_nop 1
	v_mov_b32_dpp v37, v9 row_shr:2 row_mask:0xf bank_mask:0xf
	v_cndmask_b32_e64 v37, 0, v37, s[8:9]
	v_add_u32_e32 v9, v9, v37
	;; [unrolled: 4-line block ×4, first 2 shown]
	s_and_saveexec_b64 s[22:23], s[14:15]
	s_cbranch_execz .LBB239_38
; %bb.37:                               ;   in Loop: Header=BB239_29 Depth=1
	ds_write_b32 v30, v9 offset:512
.LBB239_38:                             ;   in Loop: Header=BB239_29 Depth=1
	s_or_b64 exec, exec, s[22:23]
	ds_bpermute_b32 v9, v24, v9
	s_waitcnt lgkmcnt(0)
	; wave barrier
	s_waitcnt lgkmcnt(0)
	ds_read_b32 v37, v30 offset:512
	s_cmp_gt_u32 s36, 11
	v_cndmask_b32_e64 v9, v9, 0, s[16:17]
	s_waitcnt lgkmcnt(0)
	v_lshl_add_u32 v9, v37, 16, v9
	v_add_u32_e32 v16, v9, v16
	v_add_u32_e32 v17, v16, v17
	ds_write2_b32 v22, v9, v16 offset1:1
	v_add_u32_e32 v9, v17, v14
	v_add_u32_e32 v14, v9, v15
	;; [unrolled: 1-line block ×5, first 2 shown]
	ds_write2_b32 v22, v17, v9 offset0:2 offset1:3
	ds_write2_b32 v22, v14, v6 offset0:4 offset1:5
	;; [unrolled: 1-line block ×3, first 2 shown]
	s_waitcnt lgkmcnt(0)
	; wave barrier
	s_waitcnt lgkmcnt(0)
	ds_read_u16 v6, v34
	ds_read_u16 v7, v36
	s_waitcnt lgkmcnt(1)
	v_add_u32_sdwa v14, v6, v33 dst_sel:DWORD dst_unused:UNUSED_PAD src0_sel:DWORD src1_sel:WORD_0
	s_waitcnt lgkmcnt(0)
	v_add_u32_sdwa v15, v7, v35 dst_sel:DWORD dst_unused:UNUSED_PAD src0_sel:DWORD src1_sel:WORD_0
	s_cbranch_scc0 .LBB239_28
; %bb.39:
                                        ; implicit-def: $vgpr8_vgpr9
                                        ; implicit-def: $sgpr36
                                        ; implicit-def: $vgpr17
                                        ; implicit-def: $vgpr16
.LBB239_40:
	v_lshlrev_b32_e32 v6, 1, v14
	s_waitcnt lgkmcnt(0)
	; wave barrier
	ds_write_b16 v6, v32
	v_lshlrev_b32_e32 v6, 1, v15
	ds_write_b16 v6, v31
	s_waitcnt lgkmcnt(0)
	; wave barrier
	s_waitcnt lgkmcnt(0)
	v_lshlrev_b32_e32 v6, 3, v14
	ds_read_b32 v14, v23
	v_lshlrev_b32_e32 v7, 3, v15
	s_waitcnt lgkmcnt(0)
	; wave barrier
	s_waitcnt lgkmcnt(0)
	ds_write_b64 v6, v[12:13]
	ds_write_b64 v7, v[10:11]
	s_waitcnt lgkmcnt(0)
	; wave barrier
	s_waitcnt lgkmcnt(0)
	ds_read2_b64 v[6:9], v21 offset1:1
	v_mov_b32_e32 v10, -1
	v_mov_b32_e32 v11, 0xffff8000
	v_cmp_lt_i16_e32 vcc, -1, v14
	v_cmp_gt_i16_sdwa s[22:23], v14, v10 src0_sel:WORD_1 src1_sel:DWORD
	v_cndmask_b32_e64 v12, v11, -1, vcc
	v_cndmask_b32_e64 v10, v11, -1, s[22:23]
	s_mov_b32 s22, 0x5040100
	v_perm_b32 v10, v10, v12, s22
	v_xor_b32_e32 v10, v10, v14
	s_branch .LBB239_56
.LBB239_41:
                                        ; implicit-def: $vgpr8_vgpr9
                                        ; implicit-def: $vgpr10
	s_cbranch_execz .LBB239_56
; %bb.42:
	v_mov_b32_e32 v14, 0x7fff
	v_cmp_gt_i16_e32 vcc, 0, v26
	s_waitcnt lgkmcnt(0)
	v_cndmask_b32_e64 v6, v14, 0, vcc
	v_cmp_gt_i16_e32 vcc, 0, v25
	v_xor_b32_e32 v12, v6, v26
	v_cndmask_b32_e64 v6, v14, 0, vcc
	s_mov_b32 s36, 0
	v_xor_b32_e32 v13, v6, v25
	v_and_b32_e32 v15, 14, v27
	v_mov_b32_e32 v16, 0
	s_movk_i32 s37, 0x8000
	s_movk_i32 s38, 0x70
	s_branch .LBB239_44
.LBB239_43:                             ;   in Loop: Header=BB239_44 Depth=1
	v_lshlrev_b32_e32 v2, 1, v10
	s_waitcnt lgkmcnt(0)
	; wave barrier
	ds_write_b16 v2, v25
	v_lshlrev_b32_e32 v2, 1, v11
	ds_write_b16 v2, v17
	v_lshlrev_b32_e32 v2, 3, v10
	s_waitcnt lgkmcnt(0)
	; wave barrier
	s_waitcnt lgkmcnt(0)
	ds_read_u16 v12, v23
	ds_read_u16 v13, v23 offset:2
	s_waitcnt lgkmcnt(0)
	; wave barrier
	s_waitcnt lgkmcnt(0)
	ds_write_b64 v2, v[8:9]
	v_lshlrev_b32_e32 v2, 3, v11
	ds_write_b64 v2, v[6:7]
	s_waitcnt lgkmcnt(0)
	; wave barrier
	s_waitcnt lgkmcnt(0)
	ds_read2_b64 v[2:5], v21 offset1:1
	s_add_i32 s36, s36, 4
	s_waitcnt lgkmcnt(0)
	; wave barrier
	s_waitcnt lgkmcnt(0)
	s_cbranch_execz .LBB239_55
.LBB239_44:                             ; =>This Loop Header: Depth=1
                                        ;     Child Loop BB239_47 Depth 2
	v_pk_mov_b32 v[6:7], v[4:5], v[4:5] op_sel:[0,1]
	v_pk_mov_b32 v[8:9], v[2:3], v[2:3] op_sel:[0,1]
	v_mov_b32_e32 v17, v13
	v_mov_b32_e32 v25, v12
	s_and_saveexec_b64 s[22:23], s[4:5]
	s_cbranch_execz .LBB239_51
; %bb.45:                               ;   in Loop: Header=BB239_44 Depth=1
	s_mov_b32 s39, 0
	s_mov_b64 s[24:25], 0
	v_pk_mov_b32 v[2:3], v[0:1], v[0:1] op_sel:[0,1]
	s_branch .LBB239_47
.LBB239_46:                             ;   in Loop: Header=BB239_47 Depth=2
	s_or_b64 exec, exec, s[28:29]
	s_add_i32 s39, s39, 2
	v_cmp_eq_u32_e32 vcc, s39, v15
	v_add_u32_e32 v3, 32, v3
	s_or_b64 s[24:25], vcc, s[24:25]
	v_add_u32_e32 v2, 32, v2
	s_andn2_b64 exec, exec, s[24:25]
	s_cbranch_execz .LBB239_51
.LBB239_47:                             ;   Parent Loop BB239_44 Depth=1
                                        ; =>  This Inner Loop Header: Depth=2
	s_or_b32 s26, s39, 1
	v_cmp_le_u32_e64 s[26:27], s26, 7
	v_cmp_le_u32_e64 s[40:41], s39, 7
	s_and_saveexec_b64 s[28:29], s[40:41]
	s_cbranch_execz .LBB239_49
; %bb.48:                               ;   in Loop: Header=BB239_47 Depth=2
	v_lshlrev_b32_e32 v4, 2, v2
	ds_write_b32 v4, v16
.LBB239_49:                             ;   in Loop: Header=BB239_47 Depth=2
	s_or_b64 exec, exec, s[28:29]
	s_and_saveexec_b64 s[28:29], s[26:27]
	s_cbranch_execz .LBB239_46
; %bb.50:                               ;   in Loop: Header=BB239_47 Depth=2
	v_lshlrev_b32_e32 v4, 2, v3
	ds_write_b32 v4, v16
	s_branch .LBB239_46
.LBB239_51:                             ;   in Loop: Header=BB239_44 Depth=1
	s_or_b64 exec, exec, s[22:23]
	s_sub_i32 s22, 16, s36
	s_min_u32 s22, s35, s22
	v_cmp_ne_u16_e32 vcc, s37, v25
	s_lshl_b32 s22, -1, s22
	v_cndmask_b32_e32 v2, v14, v25, vcc
	s_not_b32 s22, s22
	v_lshrrev_b32_sdwa v2, s36, v2 dst_sel:DWORD dst_unused:UNUSED_PAD src0_sel:DWORD src1_sel:WORD_0
	v_and_b32_e32 v2, s22, v2
	v_lshrrev_b32_e32 v3, 3, v2
	v_lshlrev_b32_e32 v2, 4, v2
	v_and_or_b32 v2, v2, s38, v0
	v_lshlrev_b32_e32 v2, 1, v2
	v_add_lshl_u32 v27, v2, v3, 1
	ds_read_u16 v26, v27
	v_cmp_ne_u16_e32 vcc, s37, v17
	s_waitcnt lgkmcnt(0)
	v_add_u16_e32 v2, 1, v26
	ds_write_b16 v27, v2
	v_cndmask_b32_e32 v2, v14, v17, vcc
	v_lshrrev_b32_sdwa v2, s36, v2 dst_sel:DWORD dst_unused:UNUSED_PAD src0_sel:DWORD src1_sel:WORD_0
	v_and_b32_e32 v2, s22, v2
	v_lshrrev_b32_e32 v3, 3, v2
	v_lshlrev_b32_e32 v2, 4, v2
	v_and_or_b32 v2, v2, s38, v0
	v_lshlrev_b32_e32 v2, 1, v2
	v_add_lshl_u32 v29, v2, v3, 1
	ds_read_u16 v28, v29
	s_waitcnt lgkmcnt(0)
	v_add_u16_e32 v2, 1, v28
	ds_write_b16 v29, v2
	s_waitcnt lgkmcnt(0)
	; wave barrier
	s_waitcnt lgkmcnt(0)
	ds_read2_b32 v[12:13], v22 offset1:1
	ds_read2_b32 v[10:11], v22 offset0:2 offset1:3
	ds_read2_b32 v[2:3], v22 offset0:4 offset1:5
	;; [unrolled: 1-line block ×3, first 2 shown]
	s_waitcnt lgkmcnt(3)
	v_add_u32_e32 v30, v13, v12
	s_waitcnt lgkmcnt(2)
	v_add3_u32 v30, v30, v10, v11
	s_waitcnt lgkmcnt(1)
	v_add3_u32 v30, v30, v2, v3
	;; [unrolled: 2-line block ×3, first 2 shown]
	s_nop 1
	v_mov_b32_dpp v30, v5 row_shr:1 row_mask:0xf bank_mask:0xf
	v_cndmask_b32_e64 v30, v30, 0, s[6:7]
	v_add_u32_e32 v5, v30, v5
	s_nop 1
	v_mov_b32_dpp v30, v5 row_shr:2 row_mask:0xf bank_mask:0xf
	v_cndmask_b32_e64 v30, 0, v30, s[8:9]
	v_add_u32_e32 v5, v5, v30
	;; [unrolled: 4-line block ×4, first 2 shown]
	s_and_saveexec_b64 s[22:23], s[14:15]
	s_cbranch_execz .LBB239_53
; %bb.52:                               ;   in Loop: Header=BB239_44 Depth=1
	ds_write_b32 v16, v5 offset:512
.LBB239_53:                             ;   in Loop: Header=BB239_44 Depth=1
	s_or_b64 exec, exec, s[22:23]
	ds_bpermute_b32 v5, v24, v5
	s_waitcnt lgkmcnt(0)
	; wave barrier
	s_waitcnt lgkmcnt(0)
	ds_read_b32 v30, v16 offset:512
	s_cmp_gt_u32 s36, 11
	v_cndmask_b32_e64 v5, v5, 0, s[16:17]
	s_waitcnt lgkmcnt(0)
	v_lshl_add_u32 v5, v30, 16, v5
	v_add_u32_e32 v12, v5, v12
	v_add_u32_e32 v13, v12, v13
	ds_write2_b32 v22, v5, v12 offset1:1
	v_add_u32_e32 v5, v13, v10
	v_add_u32_e32 v10, v5, v11
	;; [unrolled: 1-line block ×5, first 2 shown]
	ds_write2_b32 v22, v13, v5 offset0:2 offset1:3
	ds_write2_b32 v22, v10, v2 offset0:4 offset1:5
	;; [unrolled: 1-line block ×3, first 2 shown]
	s_waitcnt lgkmcnt(0)
	; wave barrier
	s_waitcnt lgkmcnt(0)
	ds_read_u16 v2, v27
	ds_read_u16 v3, v29
	s_waitcnt lgkmcnt(1)
	v_add_u32_sdwa v10, v2, v26 dst_sel:DWORD dst_unused:UNUSED_PAD src0_sel:DWORD src1_sel:WORD_0
	s_waitcnt lgkmcnt(0)
	v_add_u32_sdwa v11, v3, v28 dst_sel:DWORD dst_unused:UNUSED_PAD src0_sel:DWORD src1_sel:WORD_0
	s_cbranch_scc0 .LBB239_43
; %bb.54:
                                        ; implicit-def: $vgpr4_vgpr5
                                        ; implicit-def: $sgpr36
                                        ; implicit-def: $vgpr13
                                        ; implicit-def: $vgpr12
.LBB239_55:
	v_lshlrev_b32_e32 v1, 1, v10
	s_waitcnt lgkmcnt(0)
	; wave barrier
	ds_write_b16 v1, v25
	v_lshlrev_b32_e32 v1, 1, v11
	ds_write_b16 v1, v17
	s_waitcnt lgkmcnt(0)
	; wave barrier
	s_waitcnt lgkmcnt(0)
	ds_read_b32 v3, v23
	v_lshlrev_b32_e32 v1, 3, v10
	v_lshlrev_b32_e32 v2, 3, v11
	s_waitcnt lgkmcnt(0)
	; wave barrier
	s_waitcnt lgkmcnt(0)
	ds_write_b64 v1, v[8:9]
	ds_write_b64 v2, v[6:7]
	s_waitcnt lgkmcnt(0)
	; wave barrier
	s_waitcnt lgkmcnt(0)
	ds_read2_b64 v[6:9], v21 offset1:1
	v_mov_b32_e32 v1, 0
	v_mov_b32_e32 v2, 0x7fff
	v_cmp_gt_i16_e32 vcc, 0, v3
	v_cmp_lt_i16_sdwa s[4:5], v3, v1 src0_sel:WORD_1 src1_sel:DWORD
	v_cndmask_b32_e64 v4, v2, 0, vcc
	v_cndmask_b32_e64 v1, v2, 0, s[4:5]
	s_mov_b32 s4, 0x5040100
	v_perm_b32 v1, v1, v4, s4
	v_xor_b32_e32 v10, v1, v3
.LBB239_56:
	v_mad_u64_u32 v[2:3], s[4:5], v0, s18, 0
	v_mov_b32_e32 v4, v3
	s_waitcnt lgkmcnt(0)
	; wave barrier
	s_waitcnt lgkmcnt(0)
	ds_write_b32 v20, v10
	s_waitcnt lgkmcnt(0)
	; wave barrier
	s_waitcnt lgkmcnt(0)
	ds_read_u16 v1, v18 offset:32
	v_mad_u64_u32 v[4:5], s[4:5], v0, s19, v[4:5]
	v_mov_b32_e32 v3, v4
	v_lshlrev_b64 v[2:3], 1, v[2:3]
	v_mov_b32_e32 v4, s31
	v_add_co_u32_e32 v2, vcc, s30, v2
	v_addc_co_u32_e32 v3, vcc, v4, v3, vcc
	s_and_saveexec_b64 s[4:5], s[0:1]
	s_cbranch_execz .LBB239_58
; %bb.57:
	ds_read_u16 v4, v18
	s_waitcnt lgkmcnt(0)
	global_store_short v[2:3], v4, off
.LBB239_58:
	s_or_b64 exec, exec, s[4:5]
	s_and_saveexec_b64 s[4:5], s[2:3]
	s_cbranch_execz .LBB239_60
; %bb.59:
	s_lshl_b64 s[6:7], s[18:19], 5
	v_mov_b32_e32 v4, s7
	v_add_co_u32_e32 v2, vcc, s6, v2
	v_addc_co_u32_e32 v3, vcc, v3, v4, vcc
	s_waitcnt lgkmcnt(0)
	global_store_short v[2:3], v1, off
.LBB239_60:
	s_or_b64 exec, exec, s[4:5]
	v_mad_u64_u32 v[4:5], s[4:5], v0, s20, 0
	s_waitcnt lgkmcnt(0)
	; wave barrier
	s_waitcnt lgkmcnt(0)
	ds_write2_b64 v21, v[6:7], v[8:9] offset1:1
	v_mov_b32_e32 v6, v5
	s_waitcnt lgkmcnt(0)
	; wave barrier
	s_waitcnt lgkmcnt(0)
	ds_read_b64 v[2:3], v19 offset:128
	v_mad_u64_u32 v[0:1], s[4:5], v0, s21, v[6:7]
	v_mov_b32_e32 v5, v0
	v_lshlrev_b64 v[0:1], 3, v[4:5]
	v_mov_b32_e32 v4, s34
	v_add_co_u32_e32 v0, vcc, s33, v0
	v_addc_co_u32_e32 v1, vcc, v4, v1, vcc
	s_and_saveexec_b64 s[4:5], s[0:1]
	s_cbranch_execz .LBB239_62
; %bb.61:
	ds_read_b64 v[4:5], v19
	s_waitcnt lgkmcnt(0)
	global_store_dwordx2 v[0:1], v[4:5], off
.LBB239_62:
	s_or_b64 exec, exec, s[4:5]
	s_and_saveexec_b64 s[0:1], s[2:3]
	s_cbranch_execz .LBB239_64
; %bb.63:
	s_lshl_b64 s[0:1], s[20:21], 7
	v_mov_b32_e32 v4, s1
	v_add_co_u32_e32 v0, vcc, s0, v0
	v_addc_co_u32_e32 v1, vcc, v1, v4, vcc
	s_waitcnt lgkmcnt(0)
	global_store_dwordx2 v[0:1], v[2:3], off
.LBB239_64:
	s_endpgm
	.section	.rodata,"a",@progbits
	.p2align	6, 0x0
	.amdhsa_kernel _ZN2at6native18radixSortKVInPlaceILin1ELin1ELi16ELi2EN3c104HalfElmEEvNS_4cuda6detail10TensorInfoIT3_T5_EES8_S8_S8_NS6_IT4_S8_EES8_b
		.amdhsa_group_segment_fixed_size 528
		.amdhsa_private_segment_fixed_size 0
		.amdhsa_kernarg_size 1128
		.amdhsa_user_sgpr_count 6
		.amdhsa_user_sgpr_private_segment_buffer 1
		.amdhsa_user_sgpr_dispatch_ptr 0
		.amdhsa_user_sgpr_queue_ptr 0
		.amdhsa_user_sgpr_kernarg_segment_ptr 1
		.amdhsa_user_sgpr_dispatch_id 0
		.amdhsa_user_sgpr_flat_scratch_init 0
		.amdhsa_user_sgpr_kernarg_preload_length 0
		.amdhsa_user_sgpr_kernarg_preload_offset 0
		.amdhsa_user_sgpr_private_segment_size 0
		.amdhsa_uses_dynamic_stack 0
		.amdhsa_system_sgpr_private_segment_wavefront_offset 0
		.amdhsa_system_sgpr_workgroup_id_x 1
		.amdhsa_system_sgpr_workgroup_id_y 1
		.amdhsa_system_sgpr_workgroup_id_z 1
		.amdhsa_system_sgpr_workgroup_info 0
		.amdhsa_system_vgpr_workitem_id 0
		.amdhsa_next_free_vgpr 38
		.amdhsa_next_free_sgpr 42
		.amdhsa_accum_offset 40
		.amdhsa_reserve_vcc 1
		.amdhsa_reserve_flat_scratch 0
		.amdhsa_float_round_mode_32 0
		.amdhsa_float_round_mode_16_64 0
		.amdhsa_float_denorm_mode_32 3
		.amdhsa_float_denorm_mode_16_64 3
		.amdhsa_dx10_clamp 1
		.amdhsa_ieee_mode 1
		.amdhsa_fp16_overflow 0
		.amdhsa_tg_split 0
		.amdhsa_exception_fp_ieee_invalid_op 0
		.amdhsa_exception_fp_denorm_src 0
		.amdhsa_exception_fp_ieee_div_zero 0
		.amdhsa_exception_fp_ieee_overflow 0
		.amdhsa_exception_fp_ieee_underflow 0
		.amdhsa_exception_fp_ieee_inexact 0
		.amdhsa_exception_int_div_zero 0
	.end_amdhsa_kernel
	.section	.text._ZN2at6native18radixSortKVInPlaceILin1ELin1ELi16ELi2EN3c104HalfElmEEvNS_4cuda6detail10TensorInfoIT3_T5_EES8_S8_S8_NS6_IT4_S8_EES8_b,"axG",@progbits,_ZN2at6native18radixSortKVInPlaceILin1ELin1ELi16ELi2EN3c104HalfElmEEvNS_4cuda6detail10TensorInfoIT3_T5_EES8_S8_S8_NS6_IT4_S8_EES8_b,comdat
.Lfunc_end239:
	.size	_ZN2at6native18radixSortKVInPlaceILin1ELin1ELi16ELi2EN3c104HalfElmEEvNS_4cuda6detail10TensorInfoIT3_T5_EES8_S8_S8_NS6_IT4_S8_EES8_b, .Lfunc_end239-_ZN2at6native18radixSortKVInPlaceILin1ELin1ELi16ELi2EN3c104HalfElmEEvNS_4cuda6detail10TensorInfoIT3_T5_EES8_S8_S8_NS6_IT4_S8_EES8_b
                                        ; -- End function
	.section	.AMDGPU.csdata,"",@progbits
; Kernel info:
; codeLenInByte = 4732
; NumSgprs: 46
; NumVgprs: 38
; NumAgprs: 0
; TotalNumVgprs: 38
; ScratchSize: 0
; MemoryBound: 0
; FloatMode: 240
; IeeeMode: 1
; LDSByteSize: 528 bytes/workgroup (compile time only)
; SGPRBlocks: 5
; VGPRBlocks: 4
; NumSGPRsForWavesPerEU: 46
; NumVGPRsForWavesPerEU: 38
; AccumOffset: 40
; Occupancy: 8
; WaveLimiterHint : 1
; COMPUTE_PGM_RSRC2:SCRATCH_EN: 0
; COMPUTE_PGM_RSRC2:USER_SGPR: 6
; COMPUTE_PGM_RSRC2:TRAP_HANDLER: 0
; COMPUTE_PGM_RSRC2:TGID_X_EN: 1
; COMPUTE_PGM_RSRC2:TGID_Y_EN: 1
; COMPUTE_PGM_RSRC2:TGID_Z_EN: 1
; COMPUTE_PGM_RSRC2:TIDIG_COMP_CNT: 0
; COMPUTE_PGM_RSRC3_GFX90A:ACCUM_OFFSET: 9
; COMPUTE_PGM_RSRC3_GFX90A:TG_SPLIT: 0
	.section	.text._ZN2at6native18radixSortKVInPlaceILin2ELin1ELi512ELi8EN3c108BFloat16EljEEvNS_4cuda6detail10TensorInfoIT3_T5_EES8_S8_S8_NS6_IT4_S8_EES8_b,"axG",@progbits,_ZN2at6native18radixSortKVInPlaceILin2ELin1ELi512ELi8EN3c108BFloat16EljEEvNS_4cuda6detail10TensorInfoIT3_T5_EES8_S8_S8_NS6_IT4_S8_EES8_b,comdat
	.protected	_ZN2at6native18radixSortKVInPlaceILin2ELin1ELi512ELi8EN3c108BFloat16EljEEvNS_4cuda6detail10TensorInfoIT3_T5_EES8_S8_S8_NS6_IT4_S8_EES8_b ; -- Begin function _ZN2at6native18radixSortKVInPlaceILin2ELin1ELi512ELi8EN3c108BFloat16EljEEvNS_4cuda6detail10TensorInfoIT3_T5_EES8_S8_S8_NS6_IT4_S8_EES8_b
	.globl	_ZN2at6native18radixSortKVInPlaceILin2ELin1ELi512ELi8EN3c108BFloat16EljEEvNS_4cuda6detail10TensorInfoIT3_T5_EES8_S8_S8_NS6_IT4_S8_EES8_b
	.p2align	8
	.type	_ZN2at6native18radixSortKVInPlaceILin2ELin1ELi512ELi8EN3c108BFloat16EljEEvNS_4cuda6detail10TensorInfoIT3_T5_EES8_S8_S8_NS6_IT4_S8_EES8_b,@function
_ZN2at6native18radixSortKVInPlaceILin2ELin1ELi512ELi8EN3c108BFloat16EljEEvNS_4cuda6detail10TensorInfoIT3_T5_EES8_S8_S8_NS6_IT4_S8_EES8_b: ; @_ZN2at6native18radixSortKVInPlaceILin2ELin1ELi512ELi8EN3c108BFloat16EljEEvNS_4cuda6detail10TensorInfoIT3_T5_EES8_S8_S8_NS6_IT4_S8_EES8_b
; %bb.0:
	s_load_dwordx2 s[0:1], s[4:5], 0x1c8
	s_load_dwordx4 s[48:51], s[4:5], 0xd8
	s_add_u32 s54, s4, 0x1c8
	s_addc_u32 s55, s5, 0
	s_waitcnt lgkmcnt(0)
	s_mul_i32 s1, s1, s8
	s_add_i32 s1, s1, s7
	s_mul_i32 s0, s1, s0
	s_add_i32 s6, s0, s6
	s_cmp_ge_u32 s6, s48
	s_cbranch_scc1 .LBB240_146
; %bb.1:
	s_load_dword s2, s[4:5], 0x1b8
	s_load_dwordx2 s[0:1], s[4:5], 0x0
	s_add_u32 s14, s4, 0xe8
	s_addc_u32 s15, s5, 0
	s_mov_b32 s17, 0
	s_waitcnt lgkmcnt(0)
	s_cmp_lt_i32 s2, 2
	s_mov_b32 s16, s6
	s_cbranch_scc1 .LBB240_4
; %bb.2:
	s_add_i32 s16, s2, -1
	s_add_i32 s7, s2, 1
	s_lshl_b64 s[2:3], s[16:17], 2
	s_add_u32 s2, s2, s14
	s_addc_u32 s3, s3, s15
	s_add_u32 s2, s2, 8
	s_addc_u32 s3, s3, 0
	s_mov_b32 s16, s6
.LBB240_3:                              ; =>This Inner Loop Header: Depth=1
	s_load_dword s8, s[2:3], 0x0
	s_load_dword s10, s[2:3], 0x64
	s_mov_b32 s9, s16
	s_waitcnt lgkmcnt(0)
	v_cvt_f32_u32_e32 v1, s8
	s_sub_i32 s11, 0, s8
	v_rcp_iflag_f32_e32 v1, v1
	v_mul_f32_e32 v1, 0x4f7ffffe, v1
	v_cvt_u32_f32_e32 v1, v1
	v_readfirstlane_b32 s12, v1
	s_mul_i32 s11, s11, s12
	s_mul_hi_u32 s11, s12, s11
	s_add_i32 s12, s12, s11
	s_mul_hi_u32 s11, s16, s12
	s_mul_i32 s12, s11, s8
	s_sub_i32 s12, s16, s12
	s_add_i32 s13, s11, 1
	s_sub_i32 s16, s12, s8
	s_cmp_ge_u32 s12, s8
	s_cselect_b32 s11, s13, s11
	s_cselect_b32 s12, s16, s12
	s_add_i32 s13, s11, 1
	s_cmp_ge_u32 s12, s8
	s_cselect_b32 s16, s13, s11
	s_mul_i32 s8, s16, s8
	s_sub_i32 s8, s9, s8
	s_mul_i32 s8, s10, s8
	s_add_i32 s7, s7, -1
	s_add_i32 s17, s8, s17
	s_add_u32 s2, s2, -4
	s_addc_u32 s3, s3, -1
	s_cmp_gt_u32 s7, 2
	s_cbranch_scc1 .LBB240_3
.LBB240_4:
	s_load_dword s2, s[4:5], 0x6c
	s_load_dwordx2 s[52:53], s[4:5], 0x1c0
	s_mov_b32 s3, 0
	v_and_b32_e32 v46, 0x3ff, v0
	v_mul_lo_u32 v42, v46, s50
	s_waitcnt lgkmcnt(0)
	s_mul_i32 s2, s2, s6
	s_bitcmp1_b32 s53, 0
	s_cselect_b64 s[34:35], -1, 0
	s_mov_b32 s6, 0xffff
	s_and_b64 s[4:5], s[34:35], exec
	s_cselect_b32 s22, s6, 0x7fff
	s_lshl_b64 s[2:3], s[2:3], 1
	s_add_u32 s33, s0, s2
	s_addc_u32 s48, s1, s3
	v_cmp_gt_u32_e64 s[0:1], s49, v46
	v_mov_b32_e32 v1, s22
	s_and_saveexec_b64 s[2:3], s[0:1]
	s_cbranch_execz .LBB240_6
; %bb.5:
	v_mov_b32_e32 v43, 0
	v_lshlrev_b64 v[2:3], 1, v[42:43]
	v_mov_b32_e32 v1, s48
	v_add_co_u32_e32 v2, vcc, s33, v2
	v_addc_co_u32_e32 v3, vcc, v1, v3, vcc
	global_load_ushort v1, v[2:3], off
.LBB240_6:
	s_or_b64 exec, exec, s[2:3]
	v_add_u32_e32 v36, 0x200, v46
	v_cmp_gt_u32_e64 s[2:3], s49, v36
	v_mov_b32_e32 v2, s22
	s_and_saveexec_b64 s[4:5], s[2:3]
	s_cbranch_execz .LBB240_8
; %bb.7:
	v_mul_lo_u32 v2, v36, s50
	v_mov_b32_e32 v3, 0
	v_lshlrev_b64 v[2:3], 1, v[2:3]
	v_mov_b32_e32 v4, s48
	v_add_co_u32_e32 v2, vcc, s33, v2
	v_addc_co_u32_e32 v3, vcc, v4, v3, vcc
	global_load_ushort v2, v[2:3], off
.LBB240_8:
	s_or_b64 exec, exec, s[4:5]
	v_or_b32_e32 v35, 0x400, v46
	v_cmp_gt_u32_e64 s[4:5], s49, v35
	v_mov_b32_e32 v3, s22
	s_and_saveexec_b64 s[6:7], s[4:5]
	s_cbranch_execz .LBB240_10
; %bb.9:
	v_mul_lo_u32 v4, v35, s50
	v_mov_b32_e32 v5, 0
	v_lshlrev_b64 v[4:5], 1, v[4:5]
	v_mov_b32_e32 v3, s48
	v_add_co_u32_e32 v4, vcc, s33, v4
	v_addc_co_u32_e32 v5, vcc, v3, v5, vcc
	global_load_ushort v3, v[4:5], off
.LBB240_10:
	s_or_b64 exec, exec, s[6:7]
	v_add_u32_e32 v33, 0x600, v46
	v_cmp_gt_u32_e64 s[6:7], s49, v33
	v_mov_b32_e32 v4, s22
	s_and_saveexec_b64 s[8:9], s[6:7]
	s_cbranch_execz .LBB240_12
; %bb.11:
	v_mul_lo_u32 v4, v33, s50
	v_mov_b32_e32 v5, 0
	v_lshlrev_b64 v[4:5], 1, v[4:5]
	v_mov_b32_e32 v6, s48
	v_add_co_u32_e32 v4, vcc, s33, v4
	v_addc_co_u32_e32 v5, vcc, v6, v5, vcc
	global_load_ushort v4, v[4:5], off
.LBB240_12:
	s_or_b64 exec, exec, s[8:9]
	v_or_b32_e32 v30, 0x800, v46
	v_cmp_gt_u32_e64 s[8:9], s49, v30
	v_mov_b32_e32 v5, s22
	s_and_saveexec_b64 s[10:11], s[8:9]
	s_cbranch_execz .LBB240_14
; %bb.13:
	v_mul_lo_u32 v6, v30, s50
	v_mov_b32_e32 v7, 0
	v_lshlrev_b64 v[6:7], 1, v[6:7]
	v_mov_b32_e32 v5, s48
	v_add_co_u32_e32 v6, vcc, s33, v6
	v_addc_co_u32_e32 v7, vcc, v5, v7, vcc
	global_load_ushort v5, v[6:7], off
.LBB240_14:
	s_or_b64 exec, exec, s[10:11]
	v_add_u32_e32 v28, 0xa00, v46
	v_cmp_gt_u32_e64 s[10:11], s49, v28
	v_mov_b32_e32 v6, s22
	s_and_saveexec_b64 s[12:13], s[10:11]
	s_cbranch_execz .LBB240_16
; %bb.15:
	v_mul_lo_u32 v6, v28, s50
	v_mov_b32_e32 v7, 0
	v_lshlrev_b64 v[6:7], 1, v[6:7]
	v_mov_b32_e32 v8, s48
	v_add_co_u32_e32 v6, vcc, s33, v6
	v_addc_co_u32_e32 v7, vcc, v8, v7, vcc
	global_load_ushort v6, v[6:7], off
.LBB240_16:
	s_or_b64 exec, exec, s[12:13]
	s_load_dwordx2 s[18:19], s[14:15], 0x0
	v_or_b32_e32 v26, 0xc00, v46
	v_cmp_gt_u32_e64 s[12:13], s49, v26
	v_mov_b32_e32 v7, s22
	s_and_saveexec_b64 s[20:21], s[12:13]
	s_cbranch_execz .LBB240_18
; %bb.17:
	v_mul_lo_u32 v8, v26, s50
	v_mov_b32_e32 v9, 0
	v_lshlrev_b64 v[8:9], 1, v[8:9]
	v_mov_b32_e32 v7, s48
	v_add_co_u32_e32 v8, vcc, s33, v8
	v_addc_co_u32_e32 v9, vcc, v7, v9, vcc
	global_load_ushort v7, v[8:9], off
.LBB240_18:
	s_or_b64 exec, exec, s[20:21]
	s_load_dword s23, s[14:15], 0x6c
	v_add_u32_e32 v22, 0xe00, v46
	v_cmp_gt_u32_e64 s[14:15], s49, v22
	v_mov_b32_e32 v8, s22
	s_and_saveexec_b64 s[20:21], s[14:15]
	s_cbranch_execz .LBB240_20
; %bb.19:
	v_mul_lo_u32 v8, v22, s50
	v_mov_b32_e32 v9, 0
	v_lshlrev_b64 v[8:9], 1, v[8:9]
	v_mov_b32_e32 v10, s48
	v_add_co_u32_e32 v8, vcc, s33, v8
	v_addc_co_u32_e32 v9, vcc, v10, v9, vcc
	global_load_ushort v8, v[8:9], off
.LBB240_20:
	s_or_b64 exec, exec, s[20:21]
	v_lshrrev_b32_e32 v34, 5, v46
	v_and_b32_e32 v9, 30, v34
	v_add_lshl_u32 v47, v9, v46, 1
	v_lshrrev_b32_e32 v32, 5, v36
	s_waitcnt vmcnt(0)
	ds_write_b16 v47, v1
	v_and_b32_e32 v1, 62, v32
	v_lshrrev_b32_e32 v31, 5, v35
	v_add_lshl_u32 v43, v1, v46, 1
	v_and_b32_e32 v1, 62, v31
	v_lshrrev_b32_e32 v29, 5, v33
	v_add_lshl_u32 v48, v1, v46, 1
	;; [unrolled: 3-line block ×5, first 2 shown]
	v_and_b32_e32 v1, 0x7e, v23
	v_add_lshl_u32 v52, v1, v46, 1
	v_lshrrev_b32_e32 v1, 5, v22
	ds_write_b16 v43, v2 offset:1024
	v_and_b32_e32 v2, 0xfe, v1
	v_lshrrev_b32_e32 v24, 2, v46
	v_add_lshl_u32 v53, v2, v46, 1
	v_lshlrev_b32_e32 v63, 3, v46
	v_and_b32_e32 v2, 0xfe, v24
	s_waitcnt lgkmcnt(0)
	s_mul_i32 s16, s23, s16
	v_add_lshl_u32 v54, v2, v63, 1
	s_add_i32 s16, s16, s17
	s_mov_b32 s17, 0
	ds_write_b16 v48, v3 offset:2048
	ds_write_b16 v49, v4 offset:3072
	;; [unrolled: 1-line block ×6, first 2 shown]
	s_waitcnt lgkmcnt(0)
	s_barrier
	ds_read_b128 v[18:21], v54
	s_lshl_b64 s[20:21], s[16:17], 3
	s_add_u32 s49, s18, s20
	s_mov_b32 s16, s17
	s_addc_u32 s51, s19, s21
	s_mov_b32 s18, s17
	s_mov_b32 s19, s17
	;; [unrolled: 1-line block ×14, first 2 shown]
	v_pk_mov_b32 v[2:3], s[16:17], s[16:17] op_sel:[0,1]
	v_pk_mov_b32 v[4:5], s[18:19], s[18:19] op_sel:[0,1]
	;; [unrolled: 1-line block ×8, first 2 shown]
	v_pk_mov_b32 v[2:3], 0, 0
	v_mul_lo_u32 v44, v46, s52
	s_waitcnt lgkmcnt(0)
	s_barrier
	s_and_saveexec_b64 s[16:17], s[0:1]
	s_cbranch_execnz .LBB240_75
; %bb.21:
	s_or_b64 exec, exec, s[16:17]
	s_and_saveexec_b64 s[16:17], s[2:3]
	s_cbranch_execnz .LBB240_76
.LBB240_22:
	s_or_b64 exec, exec, s[16:17]
	s_and_saveexec_b64 s[16:17], s[4:5]
	s_cbranch_execnz .LBB240_77
.LBB240_23:
	s_or_b64 exec, exec, s[16:17]
	s_and_saveexec_b64 s[16:17], s[6:7]
	s_cbranch_execnz .LBB240_78
.LBB240_24:
	s_or_b64 exec, exec, s[16:17]
	s_and_saveexec_b64 s[16:17], s[8:9]
	s_cbranch_execnz .LBB240_79
.LBB240_25:
	s_or_b64 exec, exec, s[16:17]
	s_and_saveexec_b64 s[16:17], s[10:11]
	s_cbranch_execnz .LBB240_80
.LBB240_26:
	s_or_b64 exec, exec, s[16:17]
	s_and_saveexec_b64 s[16:17], s[12:13]
	s_cbranch_execnz .LBB240_81
.LBB240_27:
	s_or_b64 exec, exec, s[16:17]
	s_xor_b64 s[16:17], s[34:35], -1
	s_and_saveexec_b64 s[18:19], s[14:15]
	s_cbranch_execz .LBB240_29
.LBB240_28:
	v_mul_lo_u32 v16, v22, s52
	v_mov_b32_e32 v17, 0
	v_lshlrev_b64 v[16:17], 3, v[16:17]
	v_mov_b32_e32 v22, s51
	v_add_co_u32_e32 v16, vcc, s49, v16
	v_addc_co_u32_e32 v17, vcc, v22, v17, vcc
	global_load_dwordx2 v[16:17], v[16:17], off
.LBB240_29:
	s_or_b64 exec, exec, s[18:19]
	v_add_lshl_u32 v55, v34, v46, 3
	v_add_lshl_u32 v45, v32, v46, 3
	;; [unrolled: 1-line block ×9, first 2 shown]
	s_waitcnt vmcnt(0)
	ds_write_b64 v55, v[2:3]
	ds_write_b64 v45, v[4:5] offset:4096
	ds_write_b64 v56, v[6:7] offset:8192
	ds_write_b64 v57, v[8:9] offset:12288
	ds_write_b64 v58, v[10:11] offset:16384
	ds_write_b64 v59, v[12:13] offset:20480
	ds_write_b64 v60, v[14:15] offset:24576
	ds_write_b64 v61, v[16:17] offset:28672
	s_waitcnt lgkmcnt(0)
	s_barrier
	ds_read2_b64 v[14:17], v62 offset1:1
	ds_read2_b64 v[10:13], v62 offset0:2 offset1:3
	ds_read2_b64 v[6:9], v62 offset0:4 offset1:5
	;; [unrolled: 1-line block ×3, first 2 shown]
	s_and_b64 vcc, exec, s[16:17]
	v_bfe_u32 v65, v0, 10, 10
	v_bfe_u32 v66, v0, 20, 10
	v_mbcnt_lo_u32_b32 v67, -1, 0
	v_lshlrev_b32_e32 v64, 4, v46
	s_waitcnt lgkmcnt(0)
	s_barrier
	s_cbranch_vccz .LBB240_82
; %bb.30:
	s_movk_i32 s16, 0x8000
	v_pk_ashrrev_i16 v24, 15, v18 op_sel_hi:[0,1]
	v_or_b32_e32 v25, 0xffff8000, v24
	v_or_b32_sdwa v24, v24, s16 dst_sel:DWORD dst_unused:UNUSED_PAD src0_sel:WORD_1 src1_sel:DWORD
	v_pk_ashrrev_i16 v22, 15, v19 op_sel_hi:[0,1]
	v_xor_b32_sdwa v26, v24, v18 dst_sel:DWORD dst_unused:UNUSED_PAD src0_sel:DWORD src1_sel:WORD_1
	v_pk_ashrrev_i16 v24, 15, v21 op_sel_hi:[0,1]
	v_pk_ashrrev_i16 v28, 15, v20 op_sel_hi:[0,1]
	v_mbcnt_hi_u32_b32 v76, -1, v67
	v_and_b32_e32 v40, 0x3c0, v46
	v_or_b32_e32 v23, 0xffff8000, v22
	v_or_b32_sdwa v22, v22, s16 dst_sel:DWORD dst_unused:UNUSED_PAD src0_sel:WORD_1 src1_sel:DWORD
	v_xor_b32_e32 v27, v25, v18
	v_or_b32_e32 v25, 0xffff8000, v24
	v_or_b32_e32 v29, 0xffff8000, v28
	v_or_b32_sdwa v24, v24, s16 dst_sel:DWORD dst_unused:UNUSED_PAD src0_sel:WORD_1 src1_sel:DWORD
	v_or_b32_sdwa v28, v28, s16 dst_sel:DWORD dst_unused:UNUSED_PAD src0_sel:WORD_1 src1_sel:DWORD
	v_add_u32_e32 v0, v76, v40
	v_xor_b32_sdwa v22, v22, v19 dst_sel:DWORD dst_unused:UNUSED_PAD src0_sel:DWORD src1_sel:WORD_1
	v_xor_b32_e32 v23, v23, v19
	v_xor_b32_sdwa v28, v28, v20 dst_sel:DWORD dst_unused:UNUSED_PAD src0_sel:DWORD src1_sel:WORD_1
	v_xor_b32_sdwa v24, v24, v21 dst_sel:DWORD dst_unused:UNUSED_PAD src0_sel:DWORD src1_sel:WORD_1
	v_xor_b32_e32 v29, v29, v20
	v_xor_b32_e32 v25, v25, v21
	s_mov_b32 s16, 0x5040100
	v_lshlrev_b32_e32 v1, 4, v0
	v_perm_b32 v25, v24, v25, s16
	v_perm_b32 v24, v28, v29, s16
	;; [unrolled: 1-line block ×4, first 2 shown]
	v_and_b32_e32 v82, 0x1e00, v63
	ds_write_b128 v1, v[22:25]
	v_or_b32_e32 v1, v76, v82
	v_lshlrev_b32_e32 v22, 1, v1
	v_lshlrev_b32_e32 v0, 6, v0
	; wave barrier
	ds_read_u16 v79, v22
	ds_read_u16 v78, v22 offset:128
	ds_read_u16 v77, v22 offset:256
	;; [unrolled: 1-line block ×7, first 2 shown]
	s_waitcnt lgkmcnt(0)
	s_barrier
	ds_write2_b64 v0, v[14:15], v[16:17] offset1:1
	ds_write2_b64 v0, v[10:11], v[12:13] offset0:2 offset1:3
	ds_write2_b64 v0, v[6:7], v[8:9] offset0:4 offset1:5
	;; [unrolled: 1-line block ×3, first 2 shown]
	v_lshlrev_b32_e32 v0, 3, v1
	; wave barrier
	ds_read2st64_b64 v[34:37], v0 offset1:1
	ds_read2st64_b64 v[30:33], v0 offset0:2 offset1:3
	ds_read2st64_b64 v[26:29], v0 offset0:4 offset1:5
	;; [unrolled: 1-line block ×3, first 2 shown]
	s_waitcnt lgkmcnt(0)
	s_barrier
	s_load_dword s18, s[54:55], 0xc
	s_getpc_b64 s[16:17]
	s_add_u32 s16, s16, _ZN7rocprim17ROCPRIM_400000_NS16block_radix_sortI12hip_bfloat16Lj512ELj8ElLj1ELj1ELj0ELNS0_26block_radix_rank_algorithmE1ELNS0_18block_padding_hintE2ELNS0_4arch9wavefront6targetE1EE19radix_bits_per_passE@rel32@lo+4
	s_addc_u32 s17, s17, _ZN7rocprim17ROCPRIM_400000_NS16block_radix_sortI12hip_bfloat16Lj512ELj8ElLj1ELj1ELj0ELNS0_26block_radix_rank_algorithmE1ELNS0_18block_padding_hintE2ELNS0_4arch9wavefront6targetE1EE19radix_bits_per_passE@rel32@hi+12
	s_load_dword s44, s[16:17], 0x0
	s_movk_i32 s19, 0x7fff
	v_mov_b32_e32 v41, 0xffff8000
	s_waitcnt lgkmcnt(0)
	s_lshr_b32 s16, s18, 16
	s_and_b32 s17, s18, 0xffff
	v_mad_u32_u24 v1, v66, s16, v65
	v_mad_u64_u32 v[38:39], s[16:17], v1, s17, v[46:47]
	s_min_u32 s16, s44, 16
	s_lshl_b32 s16, -1, s16
	v_cmp_ne_u16_e32 vcc, s19, v79
	s_not_b32 s18, s16
	v_cndmask_b32_e32 v1, v41, v79, vcc
	v_lshrrev_b32_e32 v68, 6, v38
	v_and_b32_sdwa v38, s18, v1 dst_sel:DWORD dst_unused:UNUSED_PAD src0_sel:DWORD src1_sel:WORD_0
	v_lshlrev_b32_e32 v1, 3, v38
	v_add_lshl_u32 v83, v68, v1, 2
	v_and_b32_e32 v1, 1, v38
	v_add_co_u32_e32 v39, vcc, -1, v1
	v_addc_co_u32_e64 v69, s[16:17], 0, -1, vcc
	v_cmp_ne_u32_e32 vcc, 0, v1
	v_xor_b32_e32 v1, vcc_hi, v69
	v_mov_b32_e32 v0, 0
	v_and_b32_e32 v69, exec_hi, v1
	v_lshlrev_b32_e32 v1, 30, v38
	v_xor_b32_e32 v39, vcc_lo, v39
	v_cmp_gt_i64_e32 vcc, 0, v[0:1]
	v_not_b32_e32 v1, v1
	v_ashrrev_i32_e32 v1, 31, v1
	v_and_b32_e32 v39, exec_lo, v39
	v_xor_b32_e32 v70, vcc_hi, v1
	v_xor_b32_e32 v1, vcc_lo, v1
	v_and_b32_e32 v39, v39, v1
	v_lshlrev_b32_e32 v1, 29, v38
	v_cmp_gt_i64_e32 vcc, 0, v[0:1]
	v_not_b32_e32 v1, v1
	v_ashrrev_i32_e32 v1, 31, v1
	v_and_b32_e32 v69, v69, v70
	v_xor_b32_e32 v70, vcc_hi, v1
	v_xor_b32_e32 v1, vcc_lo, v1
	v_and_b32_e32 v39, v39, v1
	v_lshlrev_b32_e32 v1, 28, v38
	v_cmp_gt_i64_e32 vcc, 0, v[0:1]
	v_not_b32_e32 v1, v1
	v_ashrrev_i32_e32 v1, 31, v1
	v_and_b32_e32 v69, v69, v70
	v_xor_b32_e32 v70, vcc_hi, v1
	v_xor_b32_e32 v1, vcc_lo, v1
	v_and_b32_e32 v39, v39, v1
	v_lshlrev_b32_e32 v1, 27, v38
	v_cmp_gt_i64_e32 vcc, 0, v[0:1]
	v_not_b32_e32 v1, v1
	v_ashrrev_i32_e32 v1, 31, v1
	v_and_b32_e32 v69, v69, v70
	v_xor_b32_e32 v70, vcc_hi, v1
	v_xor_b32_e32 v1, vcc_lo, v1
	v_and_b32_e32 v39, v39, v1
	v_lshlrev_b32_e32 v1, 26, v38
	v_cmp_gt_i64_e32 vcc, 0, v[0:1]
	v_not_b32_e32 v1, v1
	v_ashrrev_i32_e32 v1, 31, v1
	v_and_b32_e32 v69, v69, v70
	v_xor_b32_e32 v70, vcc_hi, v1
	v_xor_b32_e32 v1, vcc_lo, v1
	v_and_b32_e32 v39, v39, v1
	v_lshlrev_b32_e32 v1, 25, v38
	v_cmp_gt_i64_e32 vcc, 0, v[0:1]
	v_not_b32_e32 v1, v1
	v_ashrrev_i32_e32 v1, 31, v1
	v_and_b32_e32 v69, v69, v70
	v_xor_b32_e32 v70, vcc_hi, v1
	v_xor_b32_e32 v1, vcc_lo, v1
	v_and_b32_e32 v69, v69, v70
	v_and_b32_e32 v70, v39, v1
	v_lshlrev_b32_e32 v1, 24, v38
	v_cmp_gt_i64_e32 vcc, 0, v[0:1]
	v_not_b32_e32 v1, v1
	v_ashrrev_i32_e32 v1, 31, v1
	v_xor_b32_e32 v38, vcc_hi, v1
	v_xor_b32_e32 v1, vcc_lo, v1
	v_and_b32_e32 v39, v69, v38
	v_and_b32_e32 v38, v70, v1
	v_mbcnt_lo_u32_b32 v1, v38, 0
	v_mbcnt_hi_u32_b32 v84, v39, v1
	v_cmp_eq_u32_e32 vcc, 0, v84
	v_cmp_ne_u64_e64 s[16:17], 0, v[38:39]
	s_and_b64 s[20:21], s[16:17], vcc
	ds_write2_b32 v64, v0, v0 offset0:8 offset1:9
	ds_write2_b32 v64, v0, v0 offset0:10 offset1:11
	s_waitcnt lgkmcnt(0)
	s_barrier
	s_waitcnt lgkmcnt(0)
	; wave barrier
	s_and_saveexec_b64 s[16:17], s[20:21]
	s_cbranch_execz .LBB240_32
; %bb.31:
	v_bcnt_u32_b32 v1, v38, 0
	v_bcnt_u32_b32 v1, v39, v1
	ds_write_b32 v83, v1 offset:32
.LBB240_32:
	s_or_b64 exec, exec, s[16:17]
	v_cmp_ne_u16_e32 vcc, s19, v78
	v_cndmask_b32_e32 v1, v41, v78, vcc
	v_and_b32_sdwa v38, s18, v1 dst_sel:DWORD dst_unused:UNUSED_PAD src0_sel:DWORD src1_sel:WORD_0
	v_lshlrev_b32_e32 v1, 3, v38
	v_add_lshl_u32 v86, v68, v1, 2
	v_and_b32_e32 v1, 1, v38
	v_add_co_u32_e32 v39, vcc, -1, v1
	v_addc_co_u32_e64 v41, s[16:17], 0, -1, vcc
	v_cmp_ne_u32_e32 vcc, 0, v1
	v_xor_b32_e32 v1, vcc_hi, v41
	v_and_b32_e32 v41, exec_hi, v1
	v_lshlrev_b32_e32 v1, 30, v38
	v_xor_b32_e32 v39, vcc_lo, v39
	v_cmp_gt_i64_e32 vcc, 0, v[0:1]
	v_not_b32_e32 v1, v1
	v_ashrrev_i32_e32 v1, 31, v1
	v_and_b32_e32 v39, exec_lo, v39
	v_xor_b32_e32 v69, vcc_hi, v1
	v_xor_b32_e32 v1, vcc_lo, v1
	v_and_b32_e32 v39, v39, v1
	v_lshlrev_b32_e32 v1, 29, v38
	v_cmp_gt_i64_e32 vcc, 0, v[0:1]
	v_not_b32_e32 v1, v1
	v_ashrrev_i32_e32 v1, 31, v1
	v_and_b32_e32 v41, v41, v69
	v_xor_b32_e32 v69, vcc_hi, v1
	v_xor_b32_e32 v1, vcc_lo, v1
	v_and_b32_e32 v39, v39, v1
	v_lshlrev_b32_e32 v1, 28, v38
	v_cmp_gt_i64_e32 vcc, 0, v[0:1]
	v_not_b32_e32 v1, v1
	v_ashrrev_i32_e32 v1, 31, v1
	v_and_b32_e32 v41, v41, v69
	;; [unrolled: 8-line block ×5, first 2 shown]
	v_xor_b32_e32 v69, vcc_hi, v1
	v_xor_b32_e32 v1, vcc_lo, v1
	v_and_b32_e32 v39, v39, v1
	v_lshlrev_b32_e32 v1, 24, v38
	v_cmp_gt_i64_e32 vcc, 0, v[0:1]
	v_not_b32_e32 v0, v1
	v_ashrrev_i32_e32 v0, 31, v0
	v_xor_b32_e32 v1, vcc_hi, v0
	v_xor_b32_e32 v0, vcc_lo, v0
	; wave barrier
	ds_read_b32 v85, v86 offset:32
	v_and_b32_e32 v41, v41, v69
	v_and_b32_e32 v0, v39, v0
	;; [unrolled: 1-line block ×3, first 2 shown]
	v_mbcnt_lo_u32_b32 v38, v0, 0
	v_mbcnt_hi_u32_b32 v87, v1, v38
	v_cmp_eq_u32_e32 vcc, 0, v87
	v_cmp_ne_u64_e64 s[16:17], 0, v[0:1]
	s_and_b64 s[20:21], s[16:17], vcc
	; wave barrier
	s_and_saveexec_b64 s[16:17], s[20:21]
	s_cbranch_execz .LBB240_34
; %bb.33:
	v_bcnt_u32_b32 v0, v0, 0
	v_bcnt_u32_b32 v0, v1, v0
	s_waitcnt lgkmcnt(0)
	v_add_u32_e32 v0, v85, v0
	ds_write_b32 v86, v0 offset:32
.LBB240_34:
	s_or_b64 exec, exec, s[16:17]
	v_mov_b32_e32 v41, 0xffff8000
	v_cmp_ne_u16_e32 vcc, s19, v77
	v_cndmask_b32_e32 v0, v41, v77, vcc
	v_and_b32_sdwa v38, s18, v0 dst_sel:DWORD dst_unused:UNUSED_PAD src0_sel:DWORD src1_sel:WORD_0
	v_and_b32_e32 v1, 1, v38
	v_add_co_u32_e32 v39, vcc, -1, v1
	v_addc_co_u32_e64 v69, s[16:17], 0, -1, vcc
	v_cmp_ne_u32_e32 vcc, 0, v1
	v_lshlrev_b32_e32 v0, 3, v38
	v_xor_b32_e32 v1, vcc_hi, v69
	v_add_lshl_u32 v89, v68, v0, 2
	v_mov_b32_e32 v0, 0
	v_and_b32_e32 v69, exec_hi, v1
	v_lshlrev_b32_e32 v1, 30, v38
	v_xor_b32_e32 v39, vcc_lo, v39
	v_cmp_gt_i64_e32 vcc, 0, v[0:1]
	v_not_b32_e32 v1, v1
	v_ashrrev_i32_e32 v1, 31, v1
	v_and_b32_e32 v39, exec_lo, v39
	v_xor_b32_e32 v70, vcc_hi, v1
	v_xor_b32_e32 v1, vcc_lo, v1
	v_and_b32_e32 v39, v39, v1
	v_lshlrev_b32_e32 v1, 29, v38
	v_cmp_gt_i64_e32 vcc, 0, v[0:1]
	v_not_b32_e32 v1, v1
	v_ashrrev_i32_e32 v1, 31, v1
	v_and_b32_e32 v69, v69, v70
	v_xor_b32_e32 v70, vcc_hi, v1
	v_xor_b32_e32 v1, vcc_lo, v1
	v_and_b32_e32 v39, v39, v1
	v_lshlrev_b32_e32 v1, 28, v38
	v_cmp_gt_i64_e32 vcc, 0, v[0:1]
	v_not_b32_e32 v1, v1
	v_ashrrev_i32_e32 v1, 31, v1
	v_and_b32_e32 v69, v69, v70
	;; [unrolled: 8-line block ×5, first 2 shown]
	v_xor_b32_e32 v70, vcc_hi, v1
	v_xor_b32_e32 v1, vcc_lo, v1
	v_and_b32_e32 v69, v69, v70
	v_and_b32_e32 v70, v39, v1
	v_lshlrev_b32_e32 v1, 24, v38
	v_cmp_gt_i64_e32 vcc, 0, v[0:1]
	v_not_b32_e32 v1, v1
	v_ashrrev_i32_e32 v1, 31, v1
	v_xor_b32_e32 v38, vcc_hi, v1
	v_xor_b32_e32 v1, vcc_lo, v1
	; wave barrier
	ds_read_b32 v88, v89 offset:32
	v_and_b32_e32 v39, v69, v38
	v_and_b32_e32 v38, v70, v1
	v_mbcnt_lo_u32_b32 v1, v38, 0
	v_mbcnt_hi_u32_b32 v90, v39, v1
	v_cmp_eq_u32_e32 vcc, 0, v90
	v_cmp_ne_u64_e64 s[16:17], 0, v[38:39]
	s_and_b64 s[20:21], s[16:17], vcc
	; wave barrier
	s_and_saveexec_b64 s[16:17], s[20:21]
	s_cbranch_execz .LBB240_36
; %bb.35:
	v_bcnt_u32_b32 v1, v38, 0
	v_bcnt_u32_b32 v1, v39, v1
	s_waitcnt lgkmcnt(0)
	v_add_u32_e32 v1, v88, v1
	ds_write_b32 v89, v1 offset:32
.LBB240_36:
	s_or_b64 exec, exec, s[16:17]
	v_cmp_ne_u16_e32 vcc, s19, v75
	v_cndmask_b32_e32 v1, v41, v75, vcc
	v_and_b32_sdwa v38, s18, v1 dst_sel:DWORD dst_unused:UNUSED_PAD src0_sel:DWORD src1_sel:WORD_0
	v_lshlrev_b32_e32 v1, 3, v38
	v_add_lshl_u32 v92, v68, v1, 2
	v_and_b32_e32 v1, 1, v38
	v_add_co_u32_e32 v39, vcc, -1, v1
	v_addc_co_u32_e64 v41, s[16:17], 0, -1, vcc
	v_cmp_ne_u32_e32 vcc, 0, v1
	v_xor_b32_e32 v1, vcc_hi, v41
	v_and_b32_e32 v41, exec_hi, v1
	v_lshlrev_b32_e32 v1, 30, v38
	v_xor_b32_e32 v39, vcc_lo, v39
	v_cmp_gt_i64_e32 vcc, 0, v[0:1]
	v_not_b32_e32 v1, v1
	v_ashrrev_i32_e32 v1, 31, v1
	v_and_b32_e32 v39, exec_lo, v39
	v_xor_b32_e32 v69, vcc_hi, v1
	v_xor_b32_e32 v1, vcc_lo, v1
	v_and_b32_e32 v39, v39, v1
	v_lshlrev_b32_e32 v1, 29, v38
	v_cmp_gt_i64_e32 vcc, 0, v[0:1]
	v_not_b32_e32 v1, v1
	v_ashrrev_i32_e32 v1, 31, v1
	v_and_b32_e32 v41, v41, v69
	v_xor_b32_e32 v69, vcc_hi, v1
	v_xor_b32_e32 v1, vcc_lo, v1
	v_and_b32_e32 v39, v39, v1
	v_lshlrev_b32_e32 v1, 28, v38
	v_cmp_gt_i64_e32 vcc, 0, v[0:1]
	v_not_b32_e32 v1, v1
	v_ashrrev_i32_e32 v1, 31, v1
	v_and_b32_e32 v41, v41, v69
	;; [unrolled: 8-line block ×5, first 2 shown]
	v_xor_b32_e32 v69, vcc_hi, v1
	v_xor_b32_e32 v1, vcc_lo, v1
	v_and_b32_e32 v39, v39, v1
	v_lshlrev_b32_e32 v1, 24, v38
	v_cmp_gt_i64_e32 vcc, 0, v[0:1]
	v_not_b32_e32 v0, v1
	v_ashrrev_i32_e32 v0, 31, v0
	v_xor_b32_e32 v1, vcc_hi, v0
	v_xor_b32_e32 v0, vcc_lo, v0
	; wave barrier
	ds_read_b32 v91, v92 offset:32
	v_and_b32_e32 v41, v41, v69
	v_and_b32_e32 v0, v39, v0
	;; [unrolled: 1-line block ×3, first 2 shown]
	v_mbcnt_lo_u32_b32 v38, v0, 0
	v_mbcnt_hi_u32_b32 v93, v1, v38
	v_cmp_eq_u32_e32 vcc, 0, v93
	v_cmp_ne_u64_e64 s[16:17], 0, v[0:1]
	s_and_b64 s[20:21], s[16:17], vcc
	; wave barrier
	s_and_saveexec_b64 s[16:17], s[20:21]
	s_cbranch_execz .LBB240_38
; %bb.37:
	v_bcnt_u32_b32 v0, v0, 0
	v_bcnt_u32_b32 v0, v1, v0
	s_waitcnt lgkmcnt(0)
	v_add_u32_e32 v0, v91, v0
	ds_write_b32 v92, v0 offset:32
.LBB240_38:
	s_or_b64 exec, exec, s[16:17]
	v_mov_b32_e32 v41, 0xffff8000
	v_cmp_ne_u16_e32 vcc, s19, v74
	v_cndmask_b32_e32 v0, v41, v74, vcc
	v_and_b32_sdwa v38, s18, v0 dst_sel:DWORD dst_unused:UNUSED_PAD src0_sel:DWORD src1_sel:WORD_0
	v_and_b32_e32 v1, 1, v38
	v_add_co_u32_e32 v39, vcc, -1, v1
	v_addc_co_u32_e64 v69, s[16:17], 0, -1, vcc
	v_cmp_ne_u32_e32 vcc, 0, v1
	v_lshlrev_b32_e32 v0, 3, v38
	v_xor_b32_e32 v1, vcc_hi, v69
	v_add_lshl_u32 v95, v68, v0, 2
	v_mov_b32_e32 v0, 0
	v_and_b32_e32 v69, exec_hi, v1
	v_lshlrev_b32_e32 v1, 30, v38
	v_xor_b32_e32 v39, vcc_lo, v39
	v_cmp_gt_i64_e32 vcc, 0, v[0:1]
	v_not_b32_e32 v1, v1
	v_ashrrev_i32_e32 v1, 31, v1
	v_and_b32_e32 v39, exec_lo, v39
	v_xor_b32_e32 v70, vcc_hi, v1
	v_xor_b32_e32 v1, vcc_lo, v1
	v_and_b32_e32 v39, v39, v1
	v_lshlrev_b32_e32 v1, 29, v38
	v_cmp_gt_i64_e32 vcc, 0, v[0:1]
	v_not_b32_e32 v1, v1
	v_ashrrev_i32_e32 v1, 31, v1
	v_and_b32_e32 v69, v69, v70
	v_xor_b32_e32 v70, vcc_hi, v1
	v_xor_b32_e32 v1, vcc_lo, v1
	v_and_b32_e32 v39, v39, v1
	v_lshlrev_b32_e32 v1, 28, v38
	v_cmp_gt_i64_e32 vcc, 0, v[0:1]
	v_not_b32_e32 v1, v1
	v_ashrrev_i32_e32 v1, 31, v1
	v_and_b32_e32 v69, v69, v70
	;; [unrolled: 8-line block ×5, first 2 shown]
	v_xor_b32_e32 v70, vcc_hi, v1
	v_xor_b32_e32 v1, vcc_lo, v1
	v_and_b32_e32 v69, v69, v70
	v_and_b32_e32 v70, v39, v1
	v_lshlrev_b32_e32 v1, 24, v38
	v_cmp_gt_i64_e32 vcc, 0, v[0:1]
	v_not_b32_e32 v1, v1
	v_ashrrev_i32_e32 v1, 31, v1
	v_xor_b32_e32 v38, vcc_hi, v1
	v_xor_b32_e32 v1, vcc_lo, v1
	; wave barrier
	ds_read_b32 v94, v95 offset:32
	v_and_b32_e32 v39, v69, v38
	v_and_b32_e32 v38, v70, v1
	v_mbcnt_lo_u32_b32 v1, v38, 0
	v_mbcnt_hi_u32_b32 v96, v39, v1
	v_cmp_eq_u32_e32 vcc, 0, v96
	v_cmp_ne_u64_e64 s[16:17], 0, v[38:39]
	s_and_b64 s[20:21], s[16:17], vcc
	; wave barrier
	s_and_saveexec_b64 s[16:17], s[20:21]
	s_cbranch_execz .LBB240_40
; %bb.39:
	v_bcnt_u32_b32 v1, v38, 0
	v_bcnt_u32_b32 v1, v39, v1
	s_waitcnt lgkmcnt(0)
	v_add_u32_e32 v1, v94, v1
	ds_write_b32 v95, v1 offset:32
.LBB240_40:
	s_or_b64 exec, exec, s[16:17]
	v_cmp_ne_u16_e32 vcc, s19, v73
	v_cndmask_b32_e32 v1, v41, v73, vcc
	v_and_b32_sdwa v38, s18, v1 dst_sel:DWORD dst_unused:UNUSED_PAD src0_sel:DWORD src1_sel:WORD_0
	v_lshlrev_b32_e32 v1, 3, v38
	v_add_lshl_u32 v98, v68, v1, 2
	v_and_b32_e32 v1, 1, v38
	v_add_co_u32_e32 v39, vcc, -1, v1
	v_addc_co_u32_e64 v41, s[16:17], 0, -1, vcc
	v_cmp_ne_u32_e32 vcc, 0, v1
	v_xor_b32_e32 v1, vcc_hi, v41
	v_and_b32_e32 v41, exec_hi, v1
	v_lshlrev_b32_e32 v1, 30, v38
	v_xor_b32_e32 v39, vcc_lo, v39
	v_cmp_gt_i64_e32 vcc, 0, v[0:1]
	v_not_b32_e32 v1, v1
	v_ashrrev_i32_e32 v1, 31, v1
	v_and_b32_e32 v39, exec_lo, v39
	v_xor_b32_e32 v69, vcc_hi, v1
	v_xor_b32_e32 v1, vcc_lo, v1
	v_and_b32_e32 v39, v39, v1
	v_lshlrev_b32_e32 v1, 29, v38
	v_cmp_gt_i64_e32 vcc, 0, v[0:1]
	v_not_b32_e32 v1, v1
	v_ashrrev_i32_e32 v1, 31, v1
	v_and_b32_e32 v41, v41, v69
	v_xor_b32_e32 v69, vcc_hi, v1
	v_xor_b32_e32 v1, vcc_lo, v1
	v_and_b32_e32 v39, v39, v1
	v_lshlrev_b32_e32 v1, 28, v38
	v_cmp_gt_i64_e32 vcc, 0, v[0:1]
	v_not_b32_e32 v1, v1
	v_ashrrev_i32_e32 v1, 31, v1
	v_and_b32_e32 v41, v41, v69
	;; [unrolled: 8-line block ×5, first 2 shown]
	v_xor_b32_e32 v69, vcc_hi, v1
	v_xor_b32_e32 v1, vcc_lo, v1
	v_and_b32_e32 v39, v39, v1
	v_lshlrev_b32_e32 v1, 24, v38
	v_cmp_gt_i64_e32 vcc, 0, v[0:1]
	v_not_b32_e32 v0, v1
	v_ashrrev_i32_e32 v0, 31, v0
	v_xor_b32_e32 v1, vcc_hi, v0
	v_xor_b32_e32 v0, vcc_lo, v0
	; wave barrier
	ds_read_b32 v97, v98 offset:32
	v_and_b32_e32 v41, v41, v69
	v_and_b32_e32 v0, v39, v0
	;; [unrolled: 1-line block ×3, first 2 shown]
	v_mbcnt_lo_u32_b32 v38, v0, 0
	v_mbcnt_hi_u32_b32 v99, v1, v38
	v_cmp_eq_u32_e32 vcc, 0, v99
	v_cmp_ne_u64_e64 s[16:17], 0, v[0:1]
	s_and_b64 s[20:21], s[16:17], vcc
	; wave barrier
	s_and_saveexec_b64 s[16:17], s[20:21]
	s_cbranch_execz .LBB240_42
; %bb.41:
	v_bcnt_u32_b32 v0, v0, 0
	v_bcnt_u32_b32 v0, v1, v0
	s_waitcnt lgkmcnt(0)
	v_add_u32_e32 v0, v97, v0
	ds_write_b32 v98, v0 offset:32
.LBB240_42:
	s_or_b64 exec, exec, s[16:17]
	v_mov_b32_e32 v41, 0xffff8000
	v_cmp_ne_u16_e32 vcc, s19, v72
	v_cndmask_b32_e32 v0, v41, v72, vcc
	v_and_b32_sdwa v38, s18, v0 dst_sel:DWORD dst_unused:UNUSED_PAD src0_sel:DWORD src1_sel:WORD_0
	v_and_b32_e32 v1, 1, v38
	v_add_co_u32_e32 v39, vcc, -1, v1
	v_addc_co_u32_e64 v69, s[16:17], 0, -1, vcc
	v_cmp_ne_u32_e32 vcc, 0, v1
	v_lshlrev_b32_e32 v0, 3, v38
	v_xor_b32_e32 v1, vcc_hi, v69
	v_add_lshl_u32 v101, v68, v0, 2
	v_mov_b32_e32 v0, 0
	v_and_b32_e32 v69, exec_hi, v1
	v_lshlrev_b32_e32 v1, 30, v38
	v_xor_b32_e32 v39, vcc_lo, v39
	v_cmp_gt_i64_e32 vcc, 0, v[0:1]
	v_not_b32_e32 v1, v1
	v_ashrrev_i32_e32 v1, 31, v1
	v_and_b32_e32 v39, exec_lo, v39
	v_xor_b32_e32 v70, vcc_hi, v1
	v_xor_b32_e32 v1, vcc_lo, v1
	v_and_b32_e32 v39, v39, v1
	v_lshlrev_b32_e32 v1, 29, v38
	v_cmp_gt_i64_e32 vcc, 0, v[0:1]
	v_not_b32_e32 v1, v1
	v_ashrrev_i32_e32 v1, 31, v1
	v_and_b32_e32 v69, v69, v70
	v_xor_b32_e32 v70, vcc_hi, v1
	v_xor_b32_e32 v1, vcc_lo, v1
	v_and_b32_e32 v39, v39, v1
	v_lshlrev_b32_e32 v1, 28, v38
	v_cmp_gt_i64_e32 vcc, 0, v[0:1]
	v_not_b32_e32 v1, v1
	v_ashrrev_i32_e32 v1, 31, v1
	v_and_b32_e32 v69, v69, v70
	;; [unrolled: 8-line block ×5, first 2 shown]
	v_xor_b32_e32 v70, vcc_hi, v1
	v_xor_b32_e32 v1, vcc_lo, v1
	v_and_b32_e32 v69, v69, v70
	v_and_b32_e32 v70, v39, v1
	v_lshlrev_b32_e32 v1, 24, v38
	v_cmp_gt_i64_e32 vcc, 0, v[0:1]
	v_not_b32_e32 v1, v1
	v_ashrrev_i32_e32 v1, 31, v1
	v_xor_b32_e32 v38, vcc_hi, v1
	v_xor_b32_e32 v1, vcc_lo, v1
	; wave barrier
	ds_read_b32 v100, v101 offset:32
	v_and_b32_e32 v39, v69, v38
	v_and_b32_e32 v38, v70, v1
	v_mbcnt_lo_u32_b32 v1, v38, 0
	v_mbcnt_hi_u32_b32 v102, v39, v1
	v_cmp_eq_u32_e32 vcc, 0, v102
	v_cmp_ne_u64_e64 s[16:17], 0, v[38:39]
	s_and_b64 s[20:21], s[16:17], vcc
	; wave barrier
	s_and_saveexec_b64 s[16:17], s[20:21]
	s_cbranch_execz .LBB240_44
; %bb.43:
	v_bcnt_u32_b32 v1, v38, 0
	v_bcnt_u32_b32 v1, v39, v1
	s_waitcnt lgkmcnt(0)
	v_add_u32_e32 v1, v100, v1
	ds_write_b32 v101, v1 offset:32
.LBB240_44:
	s_or_b64 exec, exec, s[16:17]
	v_cmp_ne_u16_e32 vcc, s19, v71
	v_cndmask_b32_e32 v1, v41, v71, vcc
	v_and_b32_sdwa v38, s18, v1 dst_sel:DWORD dst_unused:UNUSED_PAD src0_sel:DWORD src1_sel:WORD_0
	v_lshlrev_b32_e32 v1, 3, v38
	v_add_lshl_u32 v104, v68, v1, 2
	v_and_b32_e32 v1, 1, v38
	v_add_co_u32_e32 v39, vcc, -1, v1
	v_min_u32_e32 v80, 0x1c0, v40
	v_addc_co_u32_e64 v40, s[16:17], 0, -1, vcc
	v_cmp_ne_u32_e32 vcc, 0, v1
	v_xor_b32_e32 v1, vcc_hi, v40
	v_and_b32_e32 v40, exec_hi, v1
	v_lshlrev_b32_e32 v1, 30, v38
	v_xor_b32_e32 v39, vcc_lo, v39
	v_cmp_gt_i64_e32 vcc, 0, v[0:1]
	v_not_b32_e32 v1, v1
	v_ashrrev_i32_e32 v1, 31, v1
	v_and_b32_e32 v39, exec_lo, v39
	v_xor_b32_e32 v41, vcc_hi, v1
	v_xor_b32_e32 v1, vcc_lo, v1
	v_and_b32_e32 v39, v39, v1
	v_lshlrev_b32_e32 v1, 29, v38
	v_cmp_gt_i64_e32 vcc, 0, v[0:1]
	v_not_b32_e32 v1, v1
	v_ashrrev_i32_e32 v1, 31, v1
	v_and_b32_e32 v40, v40, v41
	v_xor_b32_e32 v41, vcc_hi, v1
	v_xor_b32_e32 v1, vcc_lo, v1
	v_and_b32_e32 v39, v39, v1
	v_lshlrev_b32_e32 v1, 28, v38
	v_cmp_gt_i64_e32 vcc, 0, v[0:1]
	v_not_b32_e32 v1, v1
	v_ashrrev_i32_e32 v1, 31, v1
	v_and_b32_e32 v40, v40, v41
	;; [unrolled: 8-line block ×5, first 2 shown]
	v_xor_b32_e32 v41, vcc_hi, v1
	v_xor_b32_e32 v1, vcc_lo, v1
	v_and_b32_e32 v39, v39, v1
	v_lshlrev_b32_e32 v1, 24, v38
	v_cmp_gt_i64_e32 vcc, 0, v[0:1]
	v_not_b32_e32 v0, v1
	v_ashrrev_i32_e32 v0, 31, v0
	v_xor_b32_e32 v1, vcc_hi, v0
	v_xor_b32_e32 v0, vcc_lo, v0
	; wave barrier
	ds_read_b32 v103, v104 offset:32
	v_and_b32_e32 v40, v40, v41
	v_and_b32_e32 v0, v39, v0
	v_and_b32_e32 v1, v40, v1
	v_mbcnt_lo_u32_b32 v38, v0, 0
	v_mbcnt_hi_u32_b32 v105, v1, v38
	v_cmp_eq_u32_e32 vcc, 0, v105
	v_cmp_ne_u64_e64 s[16:17], 0, v[0:1]
	v_add_u32_e32 v69, 32, v64
	v_lshrrev_b32_e32 v70, 6, v46
	s_and_b64 s[18:19], s[16:17], vcc
	; wave barrier
	s_and_saveexec_b64 s[16:17], s[18:19]
	s_cbranch_execz .LBB240_46
; %bb.45:
	v_bcnt_u32_b32 v0, v0, 0
	v_bcnt_u32_b32 v0, v1, v0
	s_waitcnt lgkmcnt(0)
	v_add_u32_e32 v0, v103, v0
	ds_write_b32 v104, v0 offset:32
.LBB240_46:
	s_or_b64 exec, exec, s[16:17]
	; wave barrier
	s_waitcnt lgkmcnt(0)
	s_barrier
	ds_read2_b32 v[38:39], v64 offset0:8 offset1:9
	ds_read2_b32 v[40:41], v69 offset0:2 offset1:3
	v_and_b32_e32 v1, 16, v76
	v_cmp_eq_u32_e32 vcc, 0, v1
	v_or_b32_e32 v1, 63, v80
	v_cmp_eq_u32_e64 s[16:17], v1, v46
	s_waitcnt lgkmcnt(1)
	v_add_u32_e32 v1, v39, v38
	v_and_b32_e32 v0, 15, v76
	s_waitcnt lgkmcnt(0)
	v_add3_u32 v1, v1, v40, v41
	v_cmp_eq_u32_e64 s[24:25], 0, v0
	v_cmp_lt_u32_e64 s[26:27], 1, v0
	v_mov_b32_dpp v41, v1 row_shr:1 row_mask:0xf bank_mask:0xf
	v_cndmask_b32_e64 v41, v41, 0, s[24:25]
	v_add_u32_e32 v1, v41, v1
	v_cmp_lt_u32_e64 s[30:31], 3, v0
	v_cmp_lt_u32_e64 s[34:35], 7, v0
	v_mov_b32_dpp v41, v1 row_shr:2 row_mask:0xf bank_mask:0xf
	v_cndmask_b32_e64 v41, 0, v41, s[26:27]
	v_add_u32_e32 v1, v1, v41
	v_bfe_i32 v81, v76, 4, 1
	v_cmp_lt_u32_e64 s[36:37], 31, v76
	v_mov_b32_dpp v41, v1 row_shr:4 row_mask:0xf bank_mask:0xf
	v_cndmask_b32_e64 v41, 0, v41, s[30:31]
	v_add_u32_e32 v1, v1, v41
	v_lshlrev_b32_e32 v70, 2, v70
	s_nop 0
	v_mov_b32_dpp v41, v1 row_shr:8 row_mask:0xf bank_mask:0xf
	v_cndmask_b32_e64 v0, 0, v41, s[34:35]
	v_add_u32_e32 v0, v1, v0
	s_nop 1
	v_mov_b32_dpp v1, v0 row_bcast:15 row_mask:0xf bank_mask:0xf
	v_and_b32_e32 v1, v81, v1
	v_add_u32_e32 v0, v0, v1
	s_nop 1
	v_mov_b32_dpp v1, v0 row_bcast:31 row_mask:0xf bank_mask:0xf
	v_cndmask_b32_e64 v1, 0, v1, s[36:37]
	v_add_u32_e32 v1, v0, v1
	s_and_saveexec_b64 s[18:19], s[16:17]
	s_cbranch_execz .LBB240_48
; %bb.47:
	ds_write_b32 v70, v1
.LBB240_48:
	s_or_b64 exec, exec, s[18:19]
	v_and_b32_e32 v0, 7, v76
	v_cmp_gt_u32_e64 s[28:29], 8, v46
	v_lshlrev_b32_e32 v41, 2, v46
	v_cmp_eq_u32_e64 s[22:23], 0, v0
	v_cmp_lt_u32_e64 s[20:21], 1, v0
	v_cmp_lt_u32_e64 s[18:19], 3, v0
	s_waitcnt lgkmcnt(0)
	s_barrier
	s_and_saveexec_b64 s[38:39], s[28:29]
	s_cbranch_execz .LBB240_50
; %bb.49:
	ds_read_b32 v0, v41
	s_waitcnt lgkmcnt(0)
	s_nop 0
	v_mov_b32_dpp v80, v0 row_shr:1 row_mask:0xf bank_mask:0xf
	v_cndmask_b32_e64 v80, v80, 0, s[22:23]
	v_add_u32_e32 v0, v80, v0
	s_nop 1
	v_mov_b32_dpp v80, v0 row_shr:2 row_mask:0xf bank_mask:0xf
	v_cndmask_b32_e64 v80, 0, v80, s[20:21]
	v_add_u32_e32 v0, v0, v80
	;; [unrolled: 4-line block ×3, first 2 shown]
	ds_write_b32 v41, v0
.LBB240_50:
	s_or_b64 exec, exec, s[38:39]
	v_cmp_lt_u32_e64 s[38:39], 63, v46
	v_add_u32_e32 v80, -4, v70
	v_mov_b32_e32 v0, 0
	v_mov_b32_e32 v106, 0
	s_waitcnt lgkmcnt(0)
	s_barrier
	s_and_saveexec_b64 s[40:41], s[38:39]
	s_cbranch_execz .LBB240_52
; %bb.51:
	ds_read_b32 v106, v80
.LBB240_52:
	s_or_b64 exec, exec, s[40:41]
	v_add_u32_e32 v81, -1, v76
	v_and_b32_e32 v107, 64, v76
	v_cmp_lt_i32_e64 s[40:41], v81, v107
	v_cndmask_b32_e64 v81, v81, v76, s[40:41]
	v_lshlrev_b32_e32 v81, 2, v81
	s_waitcnt lgkmcnt(0)
	v_add_u32_e32 v1, v106, v1
	ds_bpermute_b32 v1, v81, v1
	v_cmp_eq_u32_e64 s[40:41], 0, v76
	v_cmp_eq_u32_e64 s[42:43], 0, v46
	v_and_or_b32 v82, v76, 63, v82
	v_lshlrev_b32_e32 v107, 1, v82
	s_waitcnt lgkmcnt(0)
	v_cndmask_b32_e64 v1, v1, v106, s[40:41]
	v_cndmask_b32_e64 v1, v1, 0, s[42:43]
	v_add_u32_e32 v38, v1, v38
	v_add_u32_e32 v39, v38, v39
	;; [unrolled: 1-line block ×3, first 2 shown]
	ds_write2_b32 v64, v1, v38 offset0:8 offset1:9
	ds_write2_b32 v69, v39, v40 offset0:2 offset1:3
	s_waitcnt lgkmcnt(0)
	s_barrier
	ds_read_b32 v1, v83 offset:32
	ds_read_b32 v38, v86 offset:32
	;; [unrolled: 1-line block ×8, first 2 shown]
	s_waitcnt lgkmcnt(7)
	v_add_u32_e32 v1, v1, v84
	s_waitcnt lgkmcnt(6)
	v_add3_u32 v38, v87, v85, v38
	s_waitcnt lgkmcnt(4)
	v_add3_u32 v84, v93, v91, v40
	v_lshlrev_b32_e32 v40, 1, v1
	v_add3_u32 v39, v90, v88, v39
	s_waitcnt lgkmcnt(0)
	s_barrier
	ds_write_b16 v40, v79
	v_lshlrev_b32_e32 v40, 1, v38
	ds_write_b16 v40, v78
	v_lshlrev_b32_e32 v40, 1, v39
	v_add3_u32 v85, v96, v94, v76
	ds_write_b16 v40, v77
	v_lshlrev_b32_e32 v40, 1, v84
	v_add3_u32 v83, v99, v97, v83
	;; [unrolled: 3-line block ×4, first 2 shown]
	ds_write_b16 v40, v73
	v_lshlrev_b32_e32 v40, 1, v86
	ds_write_b16 v40, v72
	v_lshlrev_b32_e32 v40, 1, v87
	v_lshlrev_b32_e32 v1, 3, v1
	ds_write_b16 v40, v71
	s_waitcnt lgkmcnt(0)
	s_barrier
	ds_read_u16 v77, v107
	ds_read_u16 v76, v107 offset:128
	ds_read_u16 v75, v107 offset:256
	;; [unrolled: 1-line block ×7, first 2 shown]
	s_waitcnt lgkmcnt(0)
	s_barrier
	ds_write_b64 v1, v[34:35]
	v_lshlrev_b32_e32 v1, 3, v38
	ds_write_b64 v1, v[36:37]
	v_lshlrev_b32_e32 v1, 3, v39
	;; [unrolled: 2-line block ×6, first 2 shown]
	s_min_u32 s44, s44, 8
	ds_write_b64 v1, v[22:23]
	v_lshlrev_b32_e32 v1, 3, v87
	s_lshl_b32 s44, -1, s44
	s_movk_i32 s56, 0x7fff
	ds_write_b64 v1, v[24:25]
	s_not_b32 s53, s44
	v_lshrrev_b16_e32 v1, 8, v77
	v_mov_b32_e32 v38, 0x80
	v_cmp_ne_u16_e64 s[44:45], s56, v77
	v_cndmask_b32_e64 v1, v38, v1, s[44:45]
	v_and_b32_sdwa v39, v1, s53 dst_sel:DWORD dst_unused:UNUSED_PAD src0_sel:WORD_0 src1_sel:DWORD
	v_lshlrev_b32_e32 v1, 3, v39
	v_add_lshl_u32 v78, v1, v68, 2
	v_and_b32_e32 v1, 1, v39
	v_lshlrev_b32_e32 v82, 3, v82
	v_add_co_u32_e64 v79, s[44:45], -1, v1
	s_waitcnt lgkmcnt(0)
	s_barrier
	ds_read2st64_b64 v[34:37], v82 offset1:1
	ds_read2st64_b64 v[30:33], v82 offset0:2 offset1:3
	ds_read2st64_b64 v[26:29], v82 offset0:4 offset1:5
	;; [unrolled: 1-line block ×3, first 2 shown]
	v_addc_co_u32_e64 v82, s[44:45], 0, -1, s[44:45]
	v_cmp_ne_u32_e64 s[44:45], 0, v1
	v_xor_b32_e32 v1, s45, v82
	v_and_b32_e32 v82, exec_hi, v1
	v_lshlrev_b32_e32 v1, 30, v39
	v_xor_b32_e32 v79, s44, v79
	v_cmp_gt_i64_e64 s[44:45], 0, v[0:1]
	v_not_b32_e32 v1, v1
	v_ashrrev_i32_e32 v1, 31, v1
	v_and_b32_e32 v79, exec_lo, v79
	v_xor_b32_e32 v83, s45, v1
	v_xor_b32_e32 v1, s44, v1
	v_and_b32_e32 v79, v79, v1
	v_lshlrev_b32_e32 v1, 29, v39
	v_cmp_gt_i64_e64 s[44:45], 0, v[0:1]
	v_not_b32_e32 v1, v1
	v_ashrrev_i32_e32 v1, 31, v1
	v_and_b32_e32 v82, v82, v83
	v_xor_b32_e32 v83, s45, v1
	v_xor_b32_e32 v1, s44, v1
	v_and_b32_e32 v79, v79, v1
	v_lshlrev_b32_e32 v1, 28, v39
	v_cmp_gt_i64_e64 s[44:45], 0, v[0:1]
	v_not_b32_e32 v1, v1
	v_ashrrev_i32_e32 v1, 31, v1
	v_and_b32_e32 v82, v82, v83
	;; [unrolled: 8-line block ×5, first 2 shown]
	v_xor_b32_e32 v83, s45, v1
	v_xor_b32_e32 v1, s44, v1
	v_and_b32_e32 v79, v79, v1
	v_lshlrev_b32_e32 v1, 24, v39
	s_waitcnt lgkmcnt(0)
	s_barrier
	ds_write2_b32 v64, v0, v0 offset0:8 offset1:9
	ds_write2_b32 v69, v0, v0 offset0:2 offset1:3
	v_cmp_gt_i64_e64 s[44:45], 0, v[0:1]
	v_not_b32_e32 v0, v1
	v_ashrrev_i32_e32 v0, 31, v0
	v_xor_b32_e32 v1, s45, v0
	v_xor_b32_e32 v0, s44, v0
	v_and_b32_e32 v82, v82, v83
	v_and_b32_e32 v0, v79, v0
	;; [unrolled: 1-line block ×3, first 2 shown]
	v_mbcnt_lo_u32_b32 v39, v0, 0
	v_mbcnt_hi_u32_b32 v79, v1, v39
	v_cmp_eq_u32_e64 s[44:45], 0, v79
	v_cmp_ne_u64_e64 s[46:47], 0, v[0:1]
	s_and_b64 s[46:47], s[46:47], s[44:45]
	s_waitcnt lgkmcnt(0)
	s_barrier
	s_waitcnt lgkmcnt(0)
	; wave barrier
	s_and_saveexec_b64 s[44:45], s[46:47]
	s_cbranch_execz .LBB240_54
; %bb.53:
	v_bcnt_u32_b32 v0, v0, 0
	v_bcnt_u32_b32 v0, v1, v0
	ds_write_b32 v78, v0 offset:32
.LBB240_54:
	s_or_b64 exec, exec, s[44:45]
	v_lshrrev_b16_e32 v0, 8, v76
	v_cmp_ne_u16_e64 s[44:45], s56, v76
	v_cndmask_b32_e64 v0, v38, v0, s[44:45]
	v_and_b32_e32 v38, s53, v0
	v_and_b32_e32 v1, 1, v38
	v_add_co_u32_e64 v39, s[44:45], -1, v1
	v_addc_co_u32_e64 v84, s[44:45], 0, -1, s[44:45]
	v_cmp_ne_u32_e64 s[44:45], 0, v1
	v_lshlrev_b32_e32 v0, 3, v38
	v_xor_b32_e32 v1, s45, v84
	v_add_lshl_u32 v83, v0, v68, 2
	v_mov_b32_e32 v0, 0
	v_and_b32_e32 v84, exec_hi, v1
	v_lshlrev_b32_e32 v1, 30, v38
	v_xor_b32_e32 v39, s44, v39
	v_cmp_gt_i64_e64 s[44:45], 0, v[0:1]
	v_not_b32_e32 v1, v1
	v_ashrrev_i32_e32 v1, 31, v1
	v_and_b32_e32 v39, exec_lo, v39
	v_xor_b32_e32 v85, s45, v1
	v_xor_b32_e32 v1, s44, v1
	v_and_b32_e32 v39, v39, v1
	v_lshlrev_b32_e32 v1, 29, v38
	v_cmp_gt_i64_e64 s[44:45], 0, v[0:1]
	v_not_b32_e32 v1, v1
	v_ashrrev_i32_e32 v1, 31, v1
	v_and_b32_e32 v84, v84, v85
	v_xor_b32_e32 v85, s45, v1
	v_xor_b32_e32 v1, s44, v1
	v_and_b32_e32 v39, v39, v1
	v_lshlrev_b32_e32 v1, 28, v38
	v_cmp_gt_i64_e64 s[44:45], 0, v[0:1]
	v_not_b32_e32 v1, v1
	v_ashrrev_i32_e32 v1, 31, v1
	v_and_b32_e32 v84, v84, v85
	;; [unrolled: 8-line block ×5, first 2 shown]
	v_xor_b32_e32 v85, s45, v1
	v_xor_b32_e32 v1, s44, v1
	v_and_b32_e32 v84, v84, v85
	v_and_b32_e32 v85, v39, v1
	v_lshlrev_b32_e32 v1, 24, v38
	v_cmp_gt_i64_e64 s[44:45], 0, v[0:1]
	v_not_b32_e32 v1, v1
	v_ashrrev_i32_e32 v1, 31, v1
	v_xor_b32_e32 v38, s45, v1
	v_xor_b32_e32 v1, s44, v1
	; wave barrier
	ds_read_b32 v82, v83 offset:32
	v_and_b32_e32 v39, v84, v38
	v_and_b32_e32 v38, v85, v1
	v_mbcnt_lo_u32_b32 v1, v38, 0
	v_mbcnt_hi_u32_b32 v84, v39, v1
	v_cmp_eq_u32_e64 s[44:45], 0, v84
	v_cmp_ne_u64_e64 s[46:47], 0, v[38:39]
	s_and_b64 s[46:47], s[46:47], s[44:45]
	; wave barrier
	s_and_saveexec_b64 s[44:45], s[46:47]
	s_cbranch_execz .LBB240_56
; %bb.55:
	v_bcnt_u32_b32 v1, v38, 0
	v_bcnt_u32_b32 v1, v39, v1
	s_waitcnt lgkmcnt(0)
	v_add_u32_e32 v1, v82, v1
	ds_write_b32 v83, v1 offset:32
.LBB240_56:
	s_or_b64 exec, exec, s[44:45]
	v_lshrrev_b16_e32 v1, 8, v75
	v_mov_b32_e32 v38, 0x80
	v_cmp_ne_u16_e64 s[44:45], s56, v75
	v_cndmask_b32_e64 v1, v38, v1, s[44:45]
	v_and_b32_e32 v39, s53, v1
	v_lshlrev_b32_e32 v1, 3, v39
	v_add_lshl_u32 v86, v1, v68, 2
	v_and_b32_e32 v1, 1, v39
	v_add_co_u32_e64 v87, s[44:45], -1, v1
	v_addc_co_u32_e64 v88, s[44:45], 0, -1, s[44:45]
	v_cmp_ne_u32_e64 s[44:45], 0, v1
	v_xor_b32_e32 v1, s45, v88
	v_and_b32_e32 v88, exec_hi, v1
	v_lshlrev_b32_e32 v1, 30, v39
	v_xor_b32_e32 v87, s44, v87
	v_cmp_gt_i64_e64 s[44:45], 0, v[0:1]
	v_not_b32_e32 v1, v1
	v_ashrrev_i32_e32 v1, 31, v1
	v_and_b32_e32 v87, exec_lo, v87
	v_xor_b32_e32 v89, s45, v1
	v_xor_b32_e32 v1, s44, v1
	v_and_b32_e32 v87, v87, v1
	v_lshlrev_b32_e32 v1, 29, v39
	v_cmp_gt_i64_e64 s[44:45], 0, v[0:1]
	v_not_b32_e32 v1, v1
	v_ashrrev_i32_e32 v1, 31, v1
	v_and_b32_e32 v88, v88, v89
	v_xor_b32_e32 v89, s45, v1
	v_xor_b32_e32 v1, s44, v1
	v_and_b32_e32 v87, v87, v1
	v_lshlrev_b32_e32 v1, 28, v39
	v_cmp_gt_i64_e64 s[44:45], 0, v[0:1]
	v_not_b32_e32 v1, v1
	v_ashrrev_i32_e32 v1, 31, v1
	v_and_b32_e32 v88, v88, v89
	;; [unrolled: 8-line block ×5, first 2 shown]
	v_xor_b32_e32 v89, s45, v1
	v_xor_b32_e32 v1, s44, v1
	v_and_b32_e32 v87, v87, v1
	v_lshlrev_b32_e32 v1, 24, v39
	v_cmp_gt_i64_e64 s[44:45], 0, v[0:1]
	v_not_b32_e32 v0, v1
	v_ashrrev_i32_e32 v0, 31, v0
	v_xor_b32_e32 v1, s45, v0
	v_xor_b32_e32 v0, s44, v0
	; wave barrier
	ds_read_b32 v85, v86 offset:32
	v_and_b32_e32 v88, v88, v89
	v_and_b32_e32 v0, v87, v0
	;; [unrolled: 1-line block ×3, first 2 shown]
	v_mbcnt_lo_u32_b32 v39, v0, 0
	v_mbcnt_hi_u32_b32 v87, v1, v39
	v_cmp_eq_u32_e64 s[44:45], 0, v87
	v_cmp_ne_u64_e64 s[46:47], 0, v[0:1]
	s_and_b64 s[46:47], s[46:47], s[44:45]
	; wave barrier
	s_and_saveexec_b64 s[44:45], s[46:47]
	s_cbranch_execz .LBB240_58
; %bb.57:
	v_bcnt_u32_b32 v0, v0, 0
	v_bcnt_u32_b32 v0, v1, v0
	s_waitcnt lgkmcnt(0)
	v_add_u32_e32 v0, v85, v0
	ds_write_b32 v86, v0 offset:32
.LBB240_58:
	s_or_b64 exec, exec, s[44:45]
	v_lshrrev_b16_e32 v0, 8, v74
	v_cmp_ne_u16_e64 s[44:45], s56, v74
	v_cndmask_b32_e64 v0, v38, v0, s[44:45]
	v_and_b32_e32 v38, s53, v0
	v_and_b32_e32 v1, 1, v38
	v_add_co_u32_e64 v39, s[44:45], -1, v1
	v_addc_co_u32_e64 v90, s[44:45], 0, -1, s[44:45]
	v_cmp_ne_u32_e64 s[44:45], 0, v1
	v_lshlrev_b32_e32 v0, 3, v38
	v_xor_b32_e32 v1, s45, v90
	v_add_lshl_u32 v89, v0, v68, 2
	v_mov_b32_e32 v0, 0
	v_and_b32_e32 v90, exec_hi, v1
	v_lshlrev_b32_e32 v1, 30, v38
	v_xor_b32_e32 v39, s44, v39
	v_cmp_gt_i64_e64 s[44:45], 0, v[0:1]
	v_not_b32_e32 v1, v1
	v_ashrrev_i32_e32 v1, 31, v1
	v_and_b32_e32 v39, exec_lo, v39
	v_xor_b32_e32 v91, s45, v1
	v_xor_b32_e32 v1, s44, v1
	v_and_b32_e32 v39, v39, v1
	v_lshlrev_b32_e32 v1, 29, v38
	v_cmp_gt_i64_e64 s[44:45], 0, v[0:1]
	v_not_b32_e32 v1, v1
	v_ashrrev_i32_e32 v1, 31, v1
	v_and_b32_e32 v90, v90, v91
	v_xor_b32_e32 v91, s45, v1
	v_xor_b32_e32 v1, s44, v1
	v_and_b32_e32 v39, v39, v1
	v_lshlrev_b32_e32 v1, 28, v38
	v_cmp_gt_i64_e64 s[44:45], 0, v[0:1]
	v_not_b32_e32 v1, v1
	v_ashrrev_i32_e32 v1, 31, v1
	v_and_b32_e32 v90, v90, v91
	;; [unrolled: 8-line block ×5, first 2 shown]
	v_xor_b32_e32 v91, s45, v1
	v_xor_b32_e32 v1, s44, v1
	v_and_b32_e32 v90, v90, v91
	v_and_b32_e32 v91, v39, v1
	v_lshlrev_b32_e32 v1, 24, v38
	v_cmp_gt_i64_e64 s[44:45], 0, v[0:1]
	v_not_b32_e32 v1, v1
	v_ashrrev_i32_e32 v1, 31, v1
	v_xor_b32_e32 v38, s45, v1
	v_xor_b32_e32 v1, s44, v1
	; wave barrier
	ds_read_b32 v88, v89 offset:32
	v_and_b32_e32 v39, v90, v38
	v_and_b32_e32 v38, v91, v1
	v_mbcnt_lo_u32_b32 v1, v38, 0
	v_mbcnt_hi_u32_b32 v90, v39, v1
	v_cmp_eq_u32_e64 s[44:45], 0, v90
	v_cmp_ne_u64_e64 s[46:47], 0, v[38:39]
	s_and_b64 s[46:47], s[46:47], s[44:45]
	; wave barrier
	s_and_saveexec_b64 s[44:45], s[46:47]
	s_cbranch_execz .LBB240_60
; %bb.59:
	v_bcnt_u32_b32 v1, v38, 0
	v_bcnt_u32_b32 v1, v39, v1
	s_waitcnt lgkmcnt(0)
	v_add_u32_e32 v1, v88, v1
	ds_write_b32 v89, v1 offset:32
.LBB240_60:
	s_or_b64 exec, exec, s[44:45]
	v_lshrrev_b16_e32 v1, 8, v73
	v_mov_b32_e32 v38, 0x80
	v_cmp_ne_u16_e64 s[44:45], s56, v73
	v_cndmask_b32_e64 v1, v38, v1, s[44:45]
	v_and_b32_e32 v39, s53, v1
	v_lshlrev_b32_e32 v1, 3, v39
	v_add_lshl_u32 v92, v1, v68, 2
	v_and_b32_e32 v1, 1, v39
	v_add_co_u32_e64 v93, s[44:45], -1, v1
	v_addc_co_u32_e64 v94, s[44:45], 0, -1, s[44:45]
	v_cmp_ne_u32_e64 s[44:45], 0, v1
	v_xor_b32_e32 v1, s45, v94
	v_and_b32_e32 v94, exec_hi, v1
	v_lshlrev_b32_e32 v1, 30, v39
	v_xor_b32_e32 v93, s44, v93
	v_cmp_gt_i64_e64 s[44:45], 0, v[0:1]
	v_not_b32_e32 v1, v1
	v_ashrrev_i32_e32 v1, 31, v1
	v_and_b32_e32 v93, exec_lo, v93
	v_xor_b32_e32 v95, s45, v1
	v_xor_b32_e32 v1, s44, v1
	v_and_b32_e32 v93, v93, v1
	v_lshlrev_b32_e32 v1, 29, v39
	v_cmp_gt_i64_e64 s[44:45], 0, v[0:1]
	v_not_b32_e32 v1, v1
	v_ashrrev_i32_e32 v1, 31, v1
	v_and_b32_e32 v94, v94, v95
	v_xor_b32_e32 v95, s45, v1
	v_xor_b32_e32 v1, s44, v1
	v_and_b32_e32 v93, v93, v1
	v_lshlrev_b32_e32 v1, 28, v39
	v_cmp_gt_i64_e64 s[44:45], 0, v[0:1]
	v_not_b32_e32 v1, v1
	v_ashrrev_i32_e32 v1, 31, v1
	v_and_b32_e32 v94, v94, v95
	;; [unrolled: 8-line block ×5, first 2 shown]
	v_xor_b32_e32 v95, s45, v1
	v_xor_b32_e32 v1, s44, v1
	v_and_b32_e32 v93, v93, v1
	v_lshlrev_b32_e32 v1, 24, v39
	v_cmp_gt_i64_e64 s[44:45], 0, v[0:1]
	v_not_b32_e32 v0, v1
	v_ashrrev_i32_e32 v0, 31, v0
	v_xor_b32_e32 v1, s45, v0
	v_xor_b32_e32 v0, s44, v0
	; wave barrier
	ds_read_b32 v91, v92 offset:32
	v_and_b32_e32 v94, v94, v95
	v_and_b32_e32 v0, v93, v0
	;; [unrolled: 1-line block ×3, first 2 shown]
	v_mbcnt_lo_u32_b32 v39, v0, 0
	v_mbcnt_hi_u32_b32 v93, v1, v39
	v_cmp_eq_u32_e64 s[44:45], 0, v93
	v_cmp_ne_u64_e64 s[46:47], 0, v[0:1]
	s_and_b64 s[46:47], s[46:47], s[44:45]
	; wave barrier
	s_and_saveexec_b64 s[44:45], s[46:47]
	s_cbranch_execz .LBB240_62
; %bb.61:
	v_bcnt_u32_b32 v0, v0, 0
	v_bcnt_u32_b32 v0, v1, v0
	s_waitcnt lgkmcnt(0)
	v_add_u32_e32 v0, v91, v0
	ds_write_b32 v92, v0 offset:32
.LBB240_62:
	s_or_b64 exec, exec, s[44:45]
	v_lshrrev_b16_e32 v0, 8, v72
	v_cmp_ne_u16_e64 s[44:45], s56, v72
	v_cndmask_b32_e64 v0, v38, v0, s[44:45]
	v_and_b32_e32 v38, s53, v0
	v_and_b32_e32 v1, 1, v38
	v_add_co_u32_e64 v39, s[44:45], -1, v1
	v_addc_co_u32_e64 v96, s[44:45], 0, -1, s[44:45]
	v_cmp_ne_u32_e64 s[44:45], 0, v1
	v_lshlrev_b32_e32 v0, 3, v38
	v_xor_b32_e32 v1, s45, v96
	v_add_lshl_u32 v95, v0, v68, 2
	v_mov_b32_e32 v0, 0
	v_and_b32_e32 v96, exec_hi, v1
	v_lshlrev_b32_e32 v1, 30, v38
	v_xor_b32_e32 v39, s44, v39
	v_cmp_gt_i64_e64 s[44:45], 0, v[0:1]
	v_not_b32_e32 v1, v1
	v_ashrrev_i32_e32 v1, 31, v1
	v_and_b32_e32 v39, exec_lo, v39
	v_xor_b32_e32 v97, s45, v1
	v_xor_b32_e32 v1, s44, v1
	v_and_b32_e32 v39, v39, v1
	v_lshlrev_b32_e32 v1, 29, v38
	v_cmp_gt_i64_e64 s[44:45], 0, v[0:1]
	v_not_b32_e32 v1, v1
	v_ashrrev_i32_e32 v1, 31, v1
	v_and_b32_e32 v96, v96, v97
	v_xor_b32_e32 v97, s45, v1
	v_xor_b32_e32 v1, s44, v1
	v_and_b32_e32 v39, v39, v1
	v_lshlrev_b32_e32 v1, 28, v38
	v_cmp_gt_i64_e64 s[44:45], 0, v[0:1]
	v_not_b32_e32 v1, v1
	v_ashrrev_i32_e32 v1, 31, v1
	v_and_b32_e32 v96, v96, v97
	;; [unrolled: 8-line block ×5, first 2 shown]
	v_xor_b32_e32 v97, s45, v1
	v_xor_b32_e32 v1, s44, v1
	v_and_b32_e32 v96, v96, v97
	v_and_b32_e32 v97, v39, v1
	v_lshlrev_b32_e32 v1, 24, v38
	v_cmp_gt_i64_e64 s[44:45], 0, v[0:1]
	v_not_b32_e32 v1, v1
	v_ashrrev_i32_e32 v1, 31, v1
	v_xor_b32_e32 v38, s45, v1
	v_xor_b32_e32 v1, s44, v1
	; wave barrier
	ds_read_b32 v94, v95 offset:32
	v_and_b32_e32 v39, v96, v38
	v_and_b32_e32 v38, v97, v1
	v_mbcnt_lo_u32_b32 v1, v38, 0
	v_mbcnt_hi_u32_b32 v96, v39, v1
	v_cmp_eq_u32_e64 s[44:45], 0, v96
	v_cmp_ne_u64_e64 s[46:47], 0, v[38:39]
	s_and_b64 s[46:47], s[46:47], s[44:45]
	; wave barrier
	s_and_saveexec_b64 s[44:45], s[46:47]
	s_cbranch_execz .LBB240_64
; %bb.63:
	v_bcnt_u32_b32 v1, v38, 0
	v_bcnt_u32_b32 v1, v39, v1
	s_waitcnt lgkmcnt(0)
	v_add_u32_e32 v1, v94, v1
	ds_write_b32 v95, v1 offset:32
.LBB240_64:
	s_or_b64 exec, exec, s[44:45]
	v_lshrrev_b16_e32 v1, 8, v71
	v_mov_b32_e32 v38, 0x80
	v_cmp_ne_u16_e64 s[44:45], s56, v71
	v_cndmask_b32_e64 v1, v38, v1, s[44:45]
	v_and_b32_e32 v39, s53, v1
	v_lshlrev_b32_e32 v1, 3, v39
	v_add_lshl_u32 v98, v1, v68, 2
	v_and_b32_e32 v1, 1, v39
	v_add_co_u32_e64 v99, s[44:45], -1, v1
	v_addc_co_u32_e64 v100, s[44:45], 0, -1, s[44:45]
	v_cmp_ne_u32_e64 s[44:45], 0, v1
	v_xor_b32_e32 v1, s45, v100
	v_and_b32_e32 v100, exec_hi, v1
	v_lshlrev_b32_e32 v1, 30, v39
	v_xor_b32_e32 v99, s44, v99
	v_cmp_gt_i64_e64 s[44:45], 0, v[0:1]
	v_not_b32_e32 v1, v1
	v_ashrrev_i32_e32 v1, 31, v1
	v_and_b32_e32 v99, exec_lo, v99
	v_xor_b32_e32 v101, s45, v1
	v_xor_b32_e32 v1, s44, v1
	v_and_b32_e32 v99, v99, v1
	v_lshlrev_b32_e32 v1, 29, v39
	v_cmp_gt_i64_e64 s[44:45], 0, v[0:1]
	v_not_b32_e32 v1, v1
	v_ashrrev_i32_e32 v1, 31, v1
	v_and_b32_e32 v100, v100, v101
	v_xor_b32_e32 v101, s45, v1
	v_xor_b32_e32 v1, s44, v1
	v_and_b32_e32 v99, v99, v1
	v_lshlrev_b32_e32 v1, 28, v39
	v_cmp_gt_i64_e64 s[44:45], 0, v[0:1]
	v_not_b32_e32 v1, v1
	v_ashrrev_i32_e32 v1, 31, v1
	v_and_b32_e32 v100, v100, v101
	;; [unrolled: 8-line block ×5, first 2 shown]
	v_xor_b32_e32 v101, s45, v1
	v_xor_b32_e32 v1, s44, v1
	v_and_b32_e32 v99, v99, v1
	v_lshlrev_b32_e32 v1, 24, v39
	v_cmp_gt_i64_e64 s[44:45], 0, v[0:1]
	v_not_b32_e32 v0, v1
	v_ashrrev_i32_e32 v0, 31, v0
	v_xor_b32_e32 v1, s45, v0
	v_xor_b32_e32 v0, s44, v0
	; wave barrier
	ds_read_b32 v97, v98 offset:32
	v_and_b32_e32 v100, v100, v101
	v_and_b32_e32 v0, v99, v0
	;; [unrolled: 1-line block ×3, first 2 shown]
	v_mbcnt_lo_u32_b32 v39, v0, 0
	v_mbcnt_hi_u32_b32 v99, v1, v39
	v_cmp_eq_u32_e64 s[44:45], 0, v99
	v_cmp_ne_u64_e64 s[46:47], 0, v[0:1]
	s_and_b64 s[46:47], s[46:47], s[44:45]
	; wave barrier
	s_and_saveexec_b64 s[44:45], s[46:47]
	s_cbranch_execz .LBB240_66
; %bb.65:
	v_bcnt_u32_b32 v0, v0, 0
	v_bcnt_u32_b32 v0, v1, v0
	s_waitcnt lgkmcnt(0)
	v_add_u32_e32 v0, v97, v0
	ds_write_b32 v98, v0 offset:32
.LBB240_66:
	s_or_b64 exec, exec, s[44:45]
	v_lshrrev_b16_e32 v0, 8, v40
	v_cmp_ne_u16_e64 s[44:45], s56, v40
	v_cndmask_b32_e64 v0, v38, v0, s[44:45]
	v_and_b32_e32 v38, s53, v0
	v_and_b32_e32 v1, 1, v38
	v_add_co_u32_e64 v39, s[44:45], -1, v1
	v_addc_co_u32_e64 v101, s[44:45], 0, -1, s[44:45]
	v_cmp_ne_u32_e64 s[44:45], 0, v1
	v_lshlrev_b32_e32 v0, 3, v38
	v_xor_b32_e32 v1, s45, v101
	v_add_lshl_u32 v100, v0, v68, 2
	v_mov_b32_e32 v0, 0
	v_and_b32_e32 v101, exec_hi, v1
	v_lshlrev_b32_e32 v1, 30, v38
	v_xor_b32_e32 v39, s44, v39
	v_cmp_gt_i64_e64 s[44:45], 0, v[0:1]
	v_not_b32_e32 v1, v1
	v_ashrrev_i32_e32 v1, 31, v1
	v_and_b32_e32 v39, exec_lo, v39
	v_xor_b32_e32 v102, s45, v1
	v_xor_b32_e32 v1, s44, v1
	v_and_b32_e32 v39, v39, v1
	v_lshlrev_b32_e32 v1, 29, v38
	v_cmp_gt_i64_e64 s[44:45], 0, v[0:1]
	v_not_b32_e32 v1, v1
	v_ashrrev_i32_e32 v1, 31, v1
	v_and_b32_e32 v101, v101, v102
	v_xor_b32_e32 v102, s45, v1
	v_xor_b32_e32 v1, s44, v1
	v_and_b32_e32 v39, v39, v1
	v_lshlrev_b32_e32 v1, 28, v38
	v_cmp_gt_i64_e64 s[44:45], 0, v[0:1]
	v_not_b32_e32 v1, v1
	v_ashrrev_i32_e32 v1, 31, v1
	v_and_b32_e32 v101, v101, v102
	;; [unrolled: 8-line block ×5, first 2 shown]
	v_xor_b32_e32 v102, s45, v1
	v_xor_b32_e32 v1, s44, v1
	v_and_b32_e32 v39, v39, v1
	v_lshlrev_b32_e32 v1, 24, v38
	v_cmp_gt_i64_e64 s[44:45], 0, v[0:1]
	v_not_b32_e32 v0, v1
	v_ashrrev_i32_e32 v0, 31, v0
	v_xor_b32_e32 v1, s45, v0
	v_xor_b32_e32 v0, s44, v0
	; wave barrier
	ds_read_b32 v68, v100 offset:32
	v_and_b32_e32 v101, v101, v102
	v_and_b32_e32 v0, v39, v0
	v_and_b32_e32 v1, v101, v1
	v_mbcnt_lo_u32_b32 v38, v0, 0
	v_mbcnt_hi_u32_b32 v101, v1, v38
	v_cmp_eq_u32_e64 s[44:45], 0, v101
	v_cmp_ne_u64_e64 s[46:47], 0, v[0:1]
	s_and_b64 s[46:47], s[46:47], s[44:45]
	; wave barrier
	s_and_saveexec_b64 s[44:45], s[46:47]
	s_cbranch_execz .LBB240_68
; %bb.67:
	v_bcnt_u32_b32 v0, v0, 0
	v_bcnt_u32_b32 v0, v1, v0
	s_waitcnt lgkmcnt(0)
	v_add_u32_e32 v0, v68, v0
	ds_write_b32 v100, v0 offset:32
.LBB240_68:
	s_or_b64 exec, exec, s[44:45]
	; wave barrier
	s_waitcnt lgkmcnt(0)
	s_barrier
	ds_read2_b32 v[38:39], v64 offset0:8 offset1:9
	ds_read2_b32 v[0:1], v69 offset0:2 offset1:3
	s_waitcnt lgkmcnt(1)
	v_add_u32_e32 v102, v39, v38
	s_waitcnt lgkmcnt(0)
	v_add3_u32 v1, v102, v0, v1
	s_nop 1
	v_mov_b32_dpp v102, v1 row_shr:1 row_mask:0xf bank_mask:0xf
	v_cndmask_b32_e64 v102, v102, 0, s[24:25]
	v_add_u32_e32 v1, v102, v1
	s_nop 1
	v_mov_b32_dpp v102, v1 row_shr:2 row_mask:0xf bank_mask:0xf
	v_cndmask_b32_e64 v102, 0, v102, s[26:27]
	v_add_u32_e32 v1, v1, v102
	;; [unrolled: 4-line block ×4, first 2 shown]
	s_nop 1
	v_mov_b32_dpp v102, v1 row_bcast:15 row_mask:0xf bank_mask:0xf
	v_cndmask_b32_e64 v102, v102, 0, vcc
	v_add_u32_e32 v1, v1, v102
	s_nop 1
	v_mov_b32_dpp v102, v1 row_bcast:31 row_mask:0xf bank_mask:0xf
	v_cndmask_b32_e64 v102, 0, v102, s[36:37]
	v_add_u32_e32 v102, v1, v102
	s_and_saveexec_b64 s[24:25], s[16:17]
	s_cbranch_execz .LBB240_70
; %bb.69:
	ds_write_b32 v70, v102
.LBB240_70:
	s_or_b64 exec, exec, s[24:25]
	s_waitcnt lgkmcnt(0)
	s_barrier
	s_and_saveexec_b64 s[16:17], s[28:29]
	s_cbranch_execz .LBB240_72
; %bb.71:
	ds_read_b32 v1, v41
	s_waitcnt lgkmcnt(0)
	s_nop 0
	v_mov_b32_dpp v70, v1 row_shr:1 row_mask:0xf bank_mask:0xf
	v_cndmask_b32_e64 v70, v70, 0, s[22:23]
	v_add_u32_e32 v1, v70, v1
	s_nop 1
	v_mov_b32_dpp v70, v1 row_shr:2 row_mask:0xf bank_mask:0xf
	v_cndmask_b32_e64 v70, 0, v70, s[20:21]
	v_add_u32_e32 v1, v1, v70
	;; [unrolled: 4-line block ×3, first 2 shown]
	ds_write_b32 v41, v1
.LBB240_72:
	s_or_b64 exec, exec, s[16:17]
	v_mov_b32_e32 v1, 0
	v_mov_b32_e32 v41, 0
	s_waitcnt lgkmcnt(0)
	s_barrier
	s_and_saveexec_b64 s[16:17], s[38:39]
	s_cbranch_execz .LBB240_74
; %bb.73:
	ds_read_b32 v41, v80
.LBB240_74:
	s_or_b64 exec, exec, s[16:17]
	s_waitcnt lgkmcnt(0)
	v_add_u32_e32 v70, v41, v102
	ds_bpermute_b32 v70, v81, v70
	s_mov_b32 s18, 0x5040100
	s_waitcnt lgkmcnt(0)
	v_cndmask_b32_e64 v41, v70, v41, s[40:41]
	v_cndmask_b32_e64 v41, v41, 0, s[42:43]
	v_add_u32_e32 v38, v41, v38
	v_add_u32_e32 v39, v38, v39
	;; [unrolled: 1-line block ×3, first 2 shown]
	ds_write2_b32 v64, v41, v38 offset0:8 offset1:9
	ds_write2_b32 v69, v39, v0 offset0:2 offset1:3
	s_waitcnt lgkmcnt(0)
	s_barrier
	ds_read_b32 v0, v100 offset:32
	ds_read_b32 v38, v98 offset:32
	;; [unrolled: 1-line block ×4, first 2 shown]
	s_waitcnt lgkmcnt(3)
	v_add3_u32 v0, v101, v68, v0
	ds_read_b32 v68, v89 offset:32
	ds_read_b32 v69, v86 offset:32
	;; [unrolled: 1-line block ×4, first 2 shown]
	s_waitcnt lgkmcnt(0)
	s_barrier
	v_add3_u32 v69, v87, v85, v69
	v_add3_u32 v70, v84, v82, v70
	v_add_u32_e32 v78, v78, v79
	v_lshlrev_b32_e32 v79, 1, v78
	ds_write_b16 v79, v77
	v_lshlrev_b32_e32 v77, 1, v70
	v_add3_u32 v68, v90, v88, v68
	ds_write_b16 v77, v76
	v_lshlrev_b32_e32 v76, 1, v69
	v_add3_u32 v41, v93, v91, v41
	;; [unrolled: 3-line block ×4, first 2 shown]
	ds_write_b16 v74, v73
	v_lshlrev_b32_e32 v73, 1, v39
	ds_write_b16 v73, v72
	v_lshlrev_b32_e32 v72, 1, v38
	;; [unrolled: 2-line block ×4, first 2 shown]
	s_waitcnt lgkmcnt(0)
	s_barrier
	v_lshlrev_b32_e32 v72, 3, v41
	v_lshlrev_b32_e32 v73, 3, v39
	;; [unrolled: 1-line block ×3, first 2 shown]
	ds_read_b128 v[38:41], v40
	v_mov_b32_e32 v77, 0xffff8000
	v_lshlrev_b32_e32 v71, 3, v78
	v_lshlrev_b32_e32 v75, 3, v63
	;; [unrolled: 1-line block ×3, first 2 shown]
	s_waitcnt lgkmcnt(0)
	v_cmp_lt_i16_sdwa vcc, v38, v1 src0_sel:WORD_1 src1_sel:DWORD
	v_cndmask_b32_e32 v78, -1, v77, vcc
	v_cmp_gt_i16_e32 vcc, 0, v38
	v_lshlrev_b32_e32 v69, 3, v69
	v_lshlrev_b32_e32 v68, 3, v68
	v_lshlrev_b32_e32 v0, 3, v0
	v_cndmask_b32_e32 v79, -1, v77, vcc
	v_cmp_lt_i16_e32 vcc, -1, v39
	s_barrier
	ds_write_b64 v71, v[34:35]
	ds_write_b64 v70, v[36:37]
	ds_write_b64 v69, v[30:31]
	ds_write_b64 v68, v[32:33]
	ds_write_b64 v72, v[26:27]
	ds_write_b64 v73, v[28:29]
	ds_write_b64 v74, v[22:23]
	ds_write_b64 v0, v[24:25]
	s_waitcnt lgkmcnt(0)
	s_barrier
	ds_read2_b64 v[22:25], v75 offset1:1
	ds_read2_b64 v[26:29], v75 offset0:2 offset1:3
	ds_read2_b64 v[30:33], v75 offset0:4 offset1:5
	;; [unrolled: 1-line block ×3, first 2 shown]
	v_mov_b32_e32 v76, -1
	v_cndmask_b32_e64 v81, v77, -1, vcc
	v_cmp_lt_i16_sdwa vcc, v40, v1 src0_sel:WORD_1 src1_sel:DWORD
	v_cmp_gt_i16_sdwa s[16:17], v39, v76 src0_sel:WORD_1 src1_sel:DWORD
	v_cndmask_b32_e32 v0, -1, v77, vcc
	v_cmp_gt_i16_e32 vcc, 0, v40
	v_cndmask_b32_e64 v80, v77, -1, s[16:17]
	v_cndmask_b32_e32 v1, -1, v77, vcc
	v_cmp_gt_i16_sdwa s[16:17], v41, v76 src0_sel:WORD_1 src1_sel:DWORD
	v_cmp_lt_i16_e32 vcc, -1, v41
	v_cndmask_b32_e64 v68, v77, -1, s[16:17]
	v_cndmask_b32_e64 v69, v77, -1, vcc
	v_xor_b32_e32 v81, v81, v39
	v_xor_b32_sdwa v39, v80, v39 dst_sel:DWORD dst_unused:UNUSED_PAD src0_sel:DWORD src1_sel:WORD_1
	v_xor_b32_e32 v79, v79, v38
	v_xor_b32_sdwa v38, v78, v38 dst_sel:DWORD dst_unused:UNUSED_PAD src0_sel:DWORD src1_sel:WORD_1
	;; [unrolled: 2-line block ×4, first 2 shown]
	v_perm_b32 v39, v39, v81, s18
	v_perm_b32 v38, v38, v79, s18
	;; [unrolled: 1-line block ×4, first 2 shown]
	s_branch .LBB240_128
.LBB240_75:
	v_mov_b32_e32 v45, 0
	v_lshlrev_b64 v[2:3], 3, v[44:45]
	v_mov_b32_e32 v4, s51
	v_add_co_u32_e32 v2, vcc, s49, v2
	v_addc_co_u32_e32 v3, vcc, v4, v3, vcc
	global_load_dwordx2 v[2:3], v[2:3], off
	v_mov_b32_e32 v4, v45
	v_mov_b32_e32 v5, v45
	;; [unrolled: 1-line block ×14, first 2 shown]
	s_or_b64 exec, exec, s[16:17]
	s_and_saveexec_b64 s[16:17], s[2:3]
	s_cbranch_execz .LBB240_22
.LBB240_76:
	v_mul_lo_u32 v4, v36, s52
	v_mov_b32_e32 v5, 0
	v_lshlrev_b64 v[4:5], 3, v[4:5]
	v_mov_b32_e32 v36, s51
	v_add_co_u32_e32 v4, vcc, s49, v4
	v_addc_co_u32_e32 v5, vcc, v36, v5, vcc
	global_load_dwordx2 v[4:5], v[4:5], off
	s_or_b64 exec, exec, s[16:17]
	s_and_saveexec_b64 s[16:17], s[4:5]
	s_cbranch_execz .LBB240_23
.LBB240_77:
	v_mul_lo_u32 v6, v35, s52
	v_mov_b32_e32 v7, 0
	v_lshlrev_b64 v[6:7], 3, v[6:7]
	v_mov_b32_e32 v35, s51
	v_add_co_u32_e32 v6, vcc, s49, v6
	v_addc_co_u32_e32 v7, vcc, v35, v7, vcc
	global_load_dwordx2 v[6:7], v[6:7], off
	s_or_b64 exec, exec, s[16:17]
	s_and_saveexec_b64 s[16:17], s[6:7]
	s_cbranch_execz .LBB240_24
.LBB240_78:
	v_mul_lo_u32 v8, v33, s52
	v_mov_b32_e32 v9, 0
	v_lshlrev_b64 v[8:9], 3, v[8:9]
	v_mov_b32_e32 v33, s51
	v_add_co_u32_e32 v8, vcc, s49, v8
	v_addc_co_u32_e32 v9, vcc, v33, v9, vcc
	global_load_dwordx2 v[8:9], v[8:9], off
	s_or_b64 exec, exec, s[16:17]
	s_and_saveexec_b64 s[16:17], s[8:9]
	s_cbranch_execz .LBB240_25
.LBB240_79:
	v_mul_lo_u32 v10, v30, s52
	v_mov_b32_e32 v11, 0
	v_lshlrev_b64 v[10:11], 3, v[10:11]
	v_mov_b32_e32 v30, s51
	v_add_co_u32_e32 v10, vcc, s49, v10
	v_addc_co_u32_e32 v11, vcc, v30, v11, vcc
	global_load_dwordx2 v[10:11], v[10:11], off
	s_or_b64 exec, exec, s[16:17]
	s_and_saveexec_b64 s[16:17], s[10:11]
	s_cbranch_execz .LBB240_26
.LBB240_80:
	v_mul_lo_u32 v12, v28, s52
	v_mov_b32_e32 v13, 0
	v_lshlrev_b64 v[12:13], 3, v[12:13]
	v_mov_b32_e32 v28, s51
	v_add_co_u32_e32 v12, vcc, s49, v12
	v_addc_co_u32_e32 v13, vcc, v28, v13, vcc
	global_load_dwordx2 v[12:13], v[12:13], off
	s_or_b64 exec, exec, s[16:17]
	s_and_saveexec_b64 s[16:17], s[12:13]
	s_cbranch_execz .LBB240_27
.LBB240_81:
	v_mul_lo_u32 v14, v26, s52
	v_mov_b32_e32 v15, 0
	v_lshlrev_b64 v[14:15], 3, v[14:15]
	v_mov_b32_e32 v26, s51
	v_add_co_u32_e32 v14, vcc, s49, v14
	v_addc_co_u32_e32 v15, vcc, v26, v15, vcc
	global_load_dwordx2 v[14:15], v[14:15], off
	s_or_b64 exec, exec, s[16:17]
	s_xor_b64 s[16:17], s[34:35], -1
	s_and_saveexec_b64 s[18:19], s[14:15]
	s_cbranch_execnz .LBB240_28
	s_branch .LBB240_29
.LBB240_82:
                                        ; implicit-def: $vgpr36_vgpr37
                                        ; implicit-def: $vgpr32_vgpr33
                                        ; implicit-def: $vgpr28_vgpr29
                                        ; implicit-def: $vgpr24_vgpr25
                                        ; implicit-def: $vgpr40_vgpr41
	s_cbranch_execz .LBB240_128
; %bb.83:
	s_waitcnt lgkmcnt(3)
	v_mov_b32_e32 v22, 0
	s_waitcnt lgkmcnt(0)
	v_mov_b32_e32 v35, 0x7fff
	v_cmp_gt_i16_e32 vcc, 0, v19
	v_cmp_lt_i16_sdwa s[16:17], v19, v22 src0_sel:WORD_1 src1_sel:DWORD
	v_cndmask_b32_e64 v23, v35, 0, vcc
	v_cmp_gt_i16_e32 vcc, 0, v18
	v_cndmask_b32_e64 v25, v35, 0, s[16:17]
	v_cmp_lt_i16_sdwa s[16:17], v18, v22 src0_sel:WORD_1 src1_sel:DWORD
	v_cndmask_b32_e64 v24, v35, 0, vcc
	v_cndmask_b32_e64 v27, v35, 0, s[16:17]
	v_cmp_gt_i16_e32 vcc, 0, v21
	v_cmp_lt_i16_sdwa s[16:17], v21, v22 src0_sel:WORD_1 src1_sel:DWORD
	v_xor_b32_sdwa v25, v25, v19 dst_sel:DWORD dst_unused:UNUSED_PAD src0_sel:DWORD src1_sel:WORD_1
	v_xor_b32_e32 v19, v23, v19
	v_cndmask_b32_e64 v23, v35, 0, vcc
	v_cmp_gt_i16_e32 vcc, 0, v20
	v_cndmask_b32_e64 v28, v35, 0, s[16:17]
	v_cmp_lt_i16_sdwa s[16:17], v20, v22 src0_sel:WORD_1 src1_sel:DWORD
	v_mbcnt_hi_u32_b32 v26, -1, v67
	v_and_b32_e32 v34, 0x3c0, v46
	v_xor_b32_sdwa v27, v27, v18 dst_sel:DWORD dst_unused:UNUSED_PAD src0_sel:DWORD src1_sel:WORD_1
	v_xor_b32_e32 v18, v24, v18
	v_cndmask_b32_e64 v24, v35, 0, vcc
	v_cndmask_b32_e64 v29, v35, 0, s[16:17]
	v_add_u32_e32 v0, v26, v34
	v_xor_b32_sdwa v29, v29, v20 dst_sel:DWORD dst_unused:UNUSED_PAD src0_sel:DWORD src1_sel:WORD_1
	v_xor_b32_sdwa v28, v28, v21 dst_sel:DWORD dst_unused:UNUSED_PAD src0_sel:DWORD src1_sel:WORD_1
	v_xor_b32_e32 v20, v24, v20
	v_xor_b32_e32 v21, v23, v21
	s_mov_b32 s16, 0x5040100
	v_lshlrev_b32_e32 v1, 4, v0
	v_perm_b32 v21, v28, v21, s16
	v_perm_b32 v20, v29, v20, s16
	;; [unrolled: 1-line block ×4, first 2 shown]
	v_and_b32_e32 v36, 0x1e00, v63
	ds_write_b128 v1, v[18:21]
	v_or_b32_e32 v1, v26, v36
	v_lshlrev_b32_e32 v18, 1, v1
	v_lshlrev_b32_e32 v0, 6, v0
	; wave barrier
	ds_read_u16 v33, v18
	ds_read_u16 v32, v18 offset:128
	ds_read_u16 v31, v18 offset:256
	;; [unrolled: 1-line block ×7, first 2 shown]
	s_waitcnt lgkmcnt(0)
	s_barrier
	ds_write2_b64 v0, v[14:15], v[16:17] offset1:1
	ds_write2_b64 v0, v[10:11], v[12:13] offset0:2 offset1:3
	ds_write2_b64 v0, v[6:7], v[8:9] offset0:4 offset1:5
	;; [unrolled: 1-line block ×3, first 2 shown]
	v_lshlrev_b32_e32 v0, 3, v1
	; wave barrier
	ds_read2st64_b64 v[12:15], v0 offset1:1
	ds_read2st64_b64 v[8:11], v0 offset0:2 offset1:3
	ds_read2st64_b64 v[4:7], v0 offset0:4 offset1:5
	;; [unrolled: 1-line block ×3, first 2 shown]
	s_waitcnt lgkmcnt(0)
	s_barrier
	s_load_dword s18, s[54:55], 0xc
	s_getpc_b64 s[16:17]
	s_add_u32 s16, s16, _ZN7rocprim17ROCPRIM_400000_NS16block_radix_sortI12hip_bfloat16Lj512ELj8ElLj1ELj1ELj0ELNS0_26block_radix_rank_algorithmE1ELNS0_18block_padding_hintE2ELNS0_4arch9wavefront6targetE1EE19radix_bits_per_passE@rel32@lo+4
	s_addc_u32 s17, s17, _ZN7rocprim17ROCPRIM_400000_NS16block_radix_sortI12hip_bfloat16Lj512ELj8ElLj1ELj1ELj0ELNS0_26block_radix_rank_algorithmE1ELNS0_18block_padding_hintE2ELNS0_4arch9wavefront6targetE1EE19radix_bits_per_passE@rel32@hi+12
	s_load_dword s44, s[16:17], 0x0
	s_movk_i32 s19, 0x8000
	v_cmp_ne_u16_e32 vcc, s19, v33
	s_waitcnt lgkmcnt(0)
	s_lshr_b32 s16, s18, 16
	s_and_b32 s17, s18, 0xffff
	v_mad_u32_u24 v16, v66, s16, v65
	v_mad_u64_u32 v[16:17], s[16:17], v16, s17, v[46:47]
	s_min_u32 s16, s44, 16
	s_lshl_b32 s16, -1, s16
	v_lshrrev_b32_e32 v24, 6, v16
	s_not_b32 s18, s16
	v_cndmask_b32_e32 v16, v35, v33, vcc
	v_and_b32_sdwa v16, s18, v16 dst_sel:DWORD dst_unused:UNUSED_PAD src0_sel:DWORD src1_sel:WORD_0
	v_lshlrev_b32_e32 v17, 3, v16
	v_add_lshl_u32 v37, v24, v17, 2
	v_and_b32_e32 v17, 1, v16
	v_add_co_u32_e32 v18, vcc, -1, v17
	v_addc_co_u32_e64 v19, s[16:17], 0, -1, vcc
	v_cmp_ne_u32_e32 vcc, 0, v17
	v_lshlrev_b32_e32 v23, 30, v16
	v_xor_b32_e32 v17, vcc_hi, v19
	v_not_b32_e32 v19, v23
	v_xor_b32_e32 v18, vcc_lo, v18
	v_cmp_gt_i64_e32 vcc, 0, v[22:23]
	v_ashrrev_i32_e32 v19, 31, v19
	v_and_b32_e32 v18, exec_lo, v18
	v_xor_b32_e32 v20, vcc_hi, v19
	v_xor_b32_e32 v19, vcc_lo, v19
	v_lshlrev_b32_e32 v23, 29, v16
	v_and_b32_e32 v18, v18, v19
	v_not_b32_e32 v19, v23
	v_and_b32_e32 v17, exec_hi, v17
	v_cmp_gt_i64_e32 vcc, 0, v[22:23]
	v_ashrrev_i32_e32 v19, 31, v19
	v_and_b32_e32 v17, v17, v20
	v_xor_b32_e32 v20, vcc_hi, v19
	v_xor_b32_e32 v19, vcc_lo, v19
	v_lshlrev_b32_e32 v23, 28, v16
	v_and_b32_e32 v18, v18, v19
	v_not_b32_e32 v19, v23
	v_cmp_gt_i64_e32 vcc, 0, v[22:23]
	v_ashrrev_i32_e32 v19, 31, v19
	v_and_b32_e32 v17, v17, v20
	v_xor_b32_e32 v20, vcc_hi, v19
	v_xor_b32_e32 v19, vcc_lo, v19
	v_lshlrev_b32_e32 v23, 27, v16
	v_and_b32_e32 v18, v18, v19
	v_not_b32_e32 v19, v23
	;; [unrolled: 8-line block ×3, first 2 shown]
	v_cmp_gt_i64_e32 vcc, 0, v[22:23]
	v_ashrrev_i32_e32 v19, 31, v19
	v_and_b32_e32 v17, v17, v20
	v_xor_b32_e32 v20, vcc_hi, v19
	v_xor_b32_e32 v19, vcc_lo, v19
	v_lshlrev_b32_e32 v23, 25, v16
	v_and_b32_e32 v18, v18, v19
	v_cmp_gt_i64_e32 vcc, 0, v[22:23]
	v_not_b32_e32 v19, v23
	v_lshlrev_b32_e32 v23, 24, v16
	v_ashrrev_i32_e32 v19, 31, v19
	v_not_b32_e32 v16, v23
	v_and_b32_e32 v17, v17, v20
	v_xor_b32_e32 v20, vcc_hi, v19
	v_xor_b32_e32 v19, vcc_lo, v19
	v_cmp_gt_i64_e32 vcc, 0, v[22:23]
	v_ashrrev_i32_e32 v16, 31, v16
	v_and_b32_e32 v18, v18, v19
	v_xor_b32_e32 v19, vcc_hi, v16
	v_xor_b32_e32 v16, vcc_lo, v16
	v_and_b32_e32 v17, v17, v20
	v_and_b32_e32 v16, v18, v16
	;; [unrolled: 1-line block ×3, first 2 shown]
	v_mbcnt_lo_u32_b32 v18, v16, 0
	v_mbcnt_hi_u32_b32 v38, v17, v18
	v_cmp_eq_u32_e32 vcc, 0, v38
	v_cmp_ne_u64_e64 s[16:17], 0, v[16:17]
	s_and_b64 s[20:21], s[16:17], vcc
	ds_write2_b32 v64, v22, v22 offset0:8 offset1:9
	ds_write2_b32 v64, v22, v22 offset0:10 offset1:11
	s_waitcnt lgkmcnt(0)
	s_barrier
	s_waitcnt lgkmcnt(0)
	; wave barrier
	s_and_saveexec_b64 s[16:17], s[20:21]
	s_cbranch_execz .LBB240_85
; %bb.84:
	v_bcnt_u32_b32 v16, v16, 0
	v_bcnt_u32_b32 v16, v17, v16
	ds_write_b32 v37, v16 offset:32
.LBB240_85:
	s_or_b64 exec, exec, s[16:17]
	v_cmp_ne_u16_e32 vcc, s19, v32
	v_cndmask_b32_e32 v16, v35, v32, vcc
	v_and_b32_sdwa v16, s18, v16 dst_sel:DWORD dst_unused:UNUSED_PAD src0_sel:DWORD src1_sel:WORD_0
	v_lshlrev_b32_e32 v17, 3, v16
	v_add_lshl_u32 v40, v24, v17, 2
	v_and_b32_e32 v17, 1, v16
	v_add_co_u32_e32 v18, vcc, -1, v17
	v_addc_co_u32_e64 v19, s[16:17], 0, -1, vcc
	v_cmp_ne_u32_e32 vcc, 0, v17
	v_lshlrev_b32_e32 v23, 30, v16
	v_xor_b32_e32 v17, vcc_hi, v19
	v_not_b32_e32 v19, v23
	v_xor_b32_e32 v18, vcc_lo, v18
	v_cmp_gt_i64_e32 vcc, 0, v[22:23]
	v_ashrrev_i32_e32 v19, 31, v19
	v_and_b32_e32 v18, exec_lo, v18
	v_xor_b32_e32 v20, vcc_hi, v19
	v_xor_b32_e32 v19, vcc_lo, v19
	v_lshlrev_b32_e32 v23, 29, v16
	v_and_b32_e32 v18, v18, v19
	v_not_b32_e32 v19, v23
	v_and_b32_e32 v17, exec_hi, v17
	v_cmp_gt_i64_e32 vcc, 0, v[22:23]
	v_ashrrev_i32_e32 v19, 31, v19
	v_and_b32_e32 v17, v17, v20
	v_xor_b32_e32 v20, vcc_hi, v19
	v_xor_b32_e32 v19, vcc_lo, v19
	v_lshlrev_b32_e32 v23, 28, v16
	v_and_b32_e32 v18, v18, v19
	v_not_b32_e32 v19, v23
	v_cmp_gt_i64_e32 vcc, 0, v[22:23]
	v_ashrrev_i32_e32 v19, 31, v19
	v_and_b32_e32 v17, v17, v20
	v_xor_b32_e32 v20, vcc_hi, v19
	v_xor_b32_e32 v19, vcc_lo, v19
	v_lshlrev_b32_e32 v23, 27, v16
	v_and_b32_e32 v18, v18, v19
	v_not_b32_e32 v19, v23
	v_cmp_gt_i64_e32 vcc, 0, v[22:23]
	v_ashrrev_i32_e32 v19, 31, v19
	v_and_b32_e32 v17, v17, v20
	v_xor_b32_e32 v20, vcc_hi, v19
	v_xor_b32_e32 v19, vcc_lo, v19
	v_lshlrev_b32_e32 v23, 26, v16
	v_and_b32_e32 v18, v18, v19
	v_not_b32_e32 v19, v23
	v_cmp_gt_i64_e32 vcc, 0, v[22:23]
	v_ashrrev_i32_e32 v19, 31, v19
	v_and_b32_e32 v17, v17, v20
	v_xor_b32_e32 v20, vcc_hi, v19
	v_xor_b32_e32 v19, vcc_lo, v19
	v_lshlrev_b32_e32 v23, 25, v16
	v_and_b32_e32 v18, v18, v19
	v_cmp_gt_i64_e32 vcc, 0, v[22:23]
	v_not_b32_e32 v19, v23
	v_lshlrev_b32_e32 v23, 24, v16
	v_ashrrev_i32_e32 v19, 31, v19
	v_not_b32_e32 v16, v23
	v_and_b32_e32 v17, v17, v20
	v_xor_b32_e32 v20, vcc_hi, v19
	v_xor_b32_e32 v19, vcc_lo, v19
	v_cmp_gt_i64_e32 vcc, 0, v[22:23]
	v_ashrrev_i32_e32 v16, 31, v16
	v_and_b32_e32 v18, v18, v19
	v_xor_b32_e32 v19, vcc_hi, v16
	v_xor_b32_e32 v16, vcc_lo, v16
	; wave barrier
	ds_read_b32 v39, v40 offset:32
	v_and_b32_e32 v17, v17, v20
	v_and_b32_e32 v16, v18, v16
	;; [unrolled: 1-line block ×3, first 2 shown]
	v_mbcnt_lo_u32_b32 v18, v16, 0
	v_mbcnt_hi_u32_b32 v41, v17, v18
	v_cmp_eq_u32_e32 vcc, 0, v41
	v_cmp_ne_u64_e64 s[16:17], 0, v[16:17]
	s_and_b64 s[20:21], s[16:17], vcc
	; wave barrier
	s_and_saveexec_b64 s[16:17], s[20:21]
	s_cbranch_execz .LBB240_87
; %bb.86:
	v_bcnt_u32_b32 v16, v16, 0
	v_bcnt_u32_b32 v16, v17, v16
	s_waitcnt lgkmcnt(0)
	v_add_u32_e32 v16, v39, v16
	ds_write_b32 v40, v16 offset:32
.LBB240_87:
	s_or_b64 exec, exec, s[16:17]
	v_mov_b32_e32 v20, 0x7fff
	v_cmp_ne_u16_e32 vcc, s19, v31
	v_cndmask_b32_e32 v16, v20, v31, vcc
	v_and_b32_sdwa v18, s18, v16 dst_sel:DWORD dst_unused:UNUSED_PAD src0_sel:DWORD src1_sel:WORD_0
	v_and_b32_e32 v17, 1, v18
	v_add_co_u32_e32 v19, vcc, -1, v17
	v_addc_co_u32_e64 v21, s[16:17], 0, -1, vcc
	v_cmp_ne_u32_e32 vcc, 0, v17
	v_lshlrev_b32_e32 v16, 3, v18
	v_xor_b32_e32 v17, vcc_hi, v21
	v_add_lshl_u32 v66, v24, v16, 2
	v_mov_b32_e32 v16, 0
	v_and_b32_e32 v21, exec_hi, v17
	v_lshlrev_b32_e32 v17, 30, v18
	v_xor_b32_e32 v19, vcc_lo, v19
	v_cmp_gt_i64_e32 vcc, 0, v[16:17]
	v_not_b32_e32 v17, v17
	v_ashrrev_i32_e32 v17, 31, v17
	v_and_b32_e32 v19, exec_lo, v19
	v_xor_b32_e32 v22, vcc_hi, v17
	v_xor_b32_e32 v17, vcc_lo, v17
	v_and_b32_e32 v19, v19, v17
	v_lshlrev_b32_e32 v17, 29, v18
	v_cmp_gt_i64_e32 vcc, 0, v[16:17]
	v_not_b32_e32 v17, v17
	v_ashrrev_i32_e32 v17, 31, v17
	v_and_b32_e32 v21, v21, v22
	v_xor_b32_e32 v22, vcc_hi, v17
	v_xor_b32_e32 v17, vcc_lo, v17
	v_and_b32_e32 v19, v19, v17
	v_lshlrev_b32_e32 v17, 28, v18
	v_cmp_gt_i64_e32 vcc, 0, v[16:17]
	v_not_b32_e32 v17, v17
	v_ashrrev_i32_e32 v17, 31, v17
	v_and_b32_e32 v21, v21, v22
	;; [unrolled: 8-line block ×5, first 2 shown]
	v_xor_b32_e32 v22, vcc_hi, v17
	v_xor_b32_e32 v17, vcc_lo, v17
	v_and_b32_e32 v21, v21, v22
	v_and_b32_e32 v22, v19, v17
	v_lshlrev_b32_e32 v17, 24, v18
	v_cmp_gt_i64_e32 vcc, 0, v[16:17]
	v_not_b32_e32 v17, v17
	v_ashrrev_i32_e32 v17, 31, v17
	v_xor_b32_e32 v18, vcc_hi, v17
	v_xor_b32_e32 v17, vcc_lo, v17
	; wave barrier
	ds_read_b32 v65, v66 offset:32
	v_and_b32_e32 v19, v21, v18
	v_and_b32_e32 v18, v22, v17
	v_mbcnt_lo_u32_b32 v17, v18, 0
	v_mbcnt_hi_u32_b32 v67, v19, v17
	v_cmp_eq_u32_e32 vcc, 0, v67
	v_cmp_ne_u64_e64 s[16:17], 0, v[18:19]
	s_and_b64 s[20:21], s[16:17], vcc
	; wave barrier
	s_and_saveexec_b64 s[16:17], s[20:21]
	s_cbranch_execz .LBB240_89
; %bb.88:
	v_bcnt_u32_b32 v17, v18, 0
	v_bcnt_u32_b32 v17, v19, v17
	s_waitcnt lgkmcnt(0)
	v_add_u32_e32 v17, v65, v17
	ds_write_b32 v66, v17 offset:32
.LBB240_89:
	s_or_b64 exec, exec, s[16:17]
	v_cmp_ne_u16_e32 vcc, s19, v30
	v_cndmask_b32_e32 v17, v20, v30, vcc
	v_and_b32_sdwa v18, s18, v17 dst_sel:DWORD dst_unused:UNUSED_PAD src0_sel:DWORD src1_sel:WORD_0
	v_lshlrev_b32_e32 v17, 3, v18
	v_add_lshl_u32 v69, v24, v17, 2
	v_and_b32_e32 v17, 1, v18
	v_add_co_u32_e32 v19, vcc, -1, v17
	v_addc_co_u32_e64 v20, s[16:17], 0, -1, vcc
	v_cmp_ne_u32_e32 vcc, 0, v17
	v_xor_b32_e32 v17, vcc_hi, v20
	v_and_b32_e32 v20, exec_hi, v17
	v_lshlrev_b32_e32 v17, 30, v18
	v_xor_b32_e32 v19, vcc_lo, v19
	v_cmp_gt_i64_e32 vcc, 0, v[16:17]
	v_not_b32_e32 v17, v17
	v_ashrrev_i32_e32 v17, 31, v17
	v_and_b32_e32 v19, exec_lo, v19
	v_xor_b32_e32 v21, vcc_hi, v17
	v_xor_b32_e32 v17, vcc_lo, v17
	v_and_b32_e32 v19, v19, v17
	v_lshlrev_b32_e32 v17, 29, v18
	v_cmp_gt_i64_e32 vcc, 0, v[16:17]
	v_not_b32_e32 v17, v17
	v_ashrrev_i32_e32 v17, 31, v17
	v_and_b32_e32 v20, v20, v21
	v_xor_b32_e32 v21, vcc_hi, v17
	v_xor_b32_e32 v17, vcc_lo, v17
	v_and_b32_e32 v19, v19, v17
	v_lshlrev_b32_e32 v17, 28, v18
	v_cmp_gt_i64_e32 vcc, 0, v[16:17]
	v_not_b32_e32 v17, v17
	v_ashrrev_i32_e32 v17, 31, v17
	v_and_b32_e32 v20, v20, v21
	;; [unrolled: 8-line block ×5, first 2 shown]
	v_xor_b32_e32 v21, vcc_hi, v17
	v_xor_b32_e32 v17, vcc_lo, v17
	v_and_b32_e32 v19, v19, v17
	v_lshlrev_b32_e32 v17, 24, v18
	v_cmp_gt_i64_e32 vcc, 0, v[16:17]
	v_not_b32_e32 v16, v17
	v_ashrrev_i32_e32 v16, 31, v16
	v_xor_b32_e32 v17, vcc_hi, v16
	v_xor_b32_e32 v16, vcc_lo, v16
	; wave barrier
	ds_read_b32 v68, v69 offset:32
	v_and_b32_e32 v20, v20, v21
	v_and_b32_e32 v16, v19, v16
	;; [unrolled: 1-line block ×3, first 2 shown]
	v_mbcnt_lo_u32_b32 v18, v16, 0
	v_mbcnt_hi_u32_b32 v70, v17, v18
	v_cmp_eq_u32_e32 vcc, 0, v70
	v_cmp_ne_u64_e64 s[16:17], 0, v[16:17]
	s_and_b64 s[20:21], s[16:17], vcc
	; wave barrier
	s_and_saveexec_b64 s[16:17], s[20:21]
	s_cbranch_execz .LBB240_91
; %bb.90:
	v_bcnt_u32_b32 v16, v16, 0
	v_bcnt_u32_b32 v16, v17, v16
	s_waitcnt lgkmcnt(0)
	v_add_u32_e32 v16, v68, v16
	ds_write_b32 v69, v16 offset:32
.LBB240_91:
	s_or_b64 exec, exec, s[16:17]
	v_mov_b32_e32 v20, 0x7fff
	v_cmp_ne_u16_e32 vcc, s19, v29
	v_cndmask_b32_e32 v16, v20, v29, vcc
	v_and_b32_sdwa v18, s18, v16 dst_sel:DWORD dst_unused:UNUSED_PAD src0_sel:DWORD src1_sel:WORD_0
	v_and_b32_e32 v17, 1, v18
	v_add_co_u32_e32 v19, vcc, -1, v17
	v_addc_co_u32_e64 v21, s[16:17], 0, -1, vcc
	v_cmp_ne_u32_e32 vcc, 0, v17
	v_lshlrev_b32_e32 v16, 3, v18
	v_xor_b32_e32 v17, vcc_hi, v21
	v_add_lshl_u32 v72, v24, v16, 2
	v_mov_b32_e32 v16, 0
	v_and_b32_e32 v21, exec_hi, v17
	v_lshlrev_b32_e32 v17, 30, v18
	v_xor_b32_e32 v19, vcc_lo, v19
	v_cmp_gt_i64_e32 vcc, 0, v[16:17]
	v_not_b32_e32 v17, v17
	v_ashrrev_i32_e32 v17, 31, v17
	v_and_b32_e32 v19, exec_lo, v19
	v_xor_b32_e32 v22, vcc_hi, v17
	v_xor_b32_e32 v17, vcc_lo, v17
	v_and_b32_e32 v19, v19, v17
	v_lshlrev_b32_e32 v17, 29, v18
	v_cmp_gt_i64_e32 vcc, 0, v[16:17]
	v_not_b32_e32 v17, v17
	v_ashrrev_i32_e32 v17, 31, v17
	v_and_b32_e32 v21, v21, v22
	v_xor_b32_e32 v22, vcc_hi, v17
	v_xor_b32_e32 v17, vcc_lo, v17
	v_and_b32_e32 v19, v19, v17
	v_lshlrev_b32_e32 v17, 28, v18
	v_cmp_gt_i64_e32 vcc, 0, v[16:17]
	v_not_b32_e32 v17, v17
	v_ashrrev_i32_e32 v17, 31, v17
	v_and_b32_e32 v21, v21, v22
	;; [unrolled: 8-line block ×5, first 2 shown]
	v_xor_b32_e32 v22, vcc_hi, v17
	v_xor_b32_e32 v17, vcc_lo, v17
	v_and_b32_e32 v21, v21, v22
	v_and_b32_e32 v22, v19, v17
	v_lshlrev_b32_e32 v17, 24, v18
	v_cmp_gt_i64_e32 vcc, 0, v[16:17]
	v_not_b32_e32 v17, v17
	v_ashrrev_i32_e32 v17, 31, v17
	v_xor_b32_e32 v18, vcc_hi, v17
	v_xor_b32_e32 v17, vcc_lo, v17
	; wave barrier
	ds_read_b32 v71, v72 offset:32
	v_and_b32_e32 v19, v21, v18
	v_and_b32_e32 v18, v22, v17
	v_mbcnt_lo_u32_b32 v17, v18, 0
	v_mbcnt_hi_u32_b32 v73, v19, v17
	v_cmp_eq_u32_e32 vcc, 0, v73
	v_cmp_ne_u64_e64 s[16:17], 0, v[18:19]
	s_and_b64 s[20:21], s[16:17], vcc
	; wave barrier
	s_and_saveexec_b64 s[16:17], s[20:21]
	s_cbranch_execz .LBB240_93
; %bb.92:
	v_bcnt_u32_b32 v17, v18, 0
	v_bcnt_u32_b32 v17, v19, v17
	s_waitcnt lgkmcnt(0)
	v_add_u32_e32 v17, v71, v17
	ds_write_b32 v72, v17 offset:32
.LBB240_93:
	s_or_b64 exec, exec, s[16:17]
	v_cmp_ne_u16_e32 vcc, s19, v28
	v_cndmask_b32_e32 v17, v20, v28, vcc
	v_and_b32_sdwa v18, s18, v17 dst_sel:DWORD dst_unused:UNUSED_PAD src0_sel:DWORD src1_sel:WORD_0
	v_lshlrev_b32_e32 v17, 3, v18
	v_add_lshl_u32 v75, v24, v17, 2
	v_and_b32_e32 v17, 1, v18
	v_add_co_u32_e32 v19, vcc, -1, v17
	v_addc_co_u32_e64 v20, s[16:17], 0, -1, vcc
	v_cmp_ne_u32_e32 vcc, 0, v17
	v_xor_b32_e32 v17, vcc_hi, v20
	v_and_b32_e32 v20, exec_hi, v17
	v_lshlrev_b32_e32 v17, 30, v18
	v_xor_b32_e32 v19, vcc_lo, v19
	v_cmp_gt_i64_e32 vcc, 0, v[16:17]
	v_not_b32_e32 v17, v17
	v_ashrrev_i32_e32 v17, 31, v17
	v_and_b32_e32 v19, exec_lo, v19
	v_xor_b32_e32 v21, vcc_hi, v17
	v_xor_b32_e32 v17, vcc_lo, v17
	v_and_b32_e32 v19, v19, v17
	v_lshlrev_b32_e32 v17, 29, v18
	v_cmp_gt_i64_e32 vcc, 0, v[16:17]
	v_not_b32_e32 v17, v17
	v_ashrrev_i32_e32 v17, 31, v17
	v_and_b32_e32 v20, v20, v21
	v_xor_b32_e32 v21, vcc_hi, v17
	v_xor_b32_e32 v17, vcc_lo, v17
	v_and_b32_e32 v19, v19, v17
	v_lshlrev_b32_e32 v17, 28, v18
	v_cmp_gt_i64_e32 vcc, 0, v[16:17]
	v_not_b32_e32 v17, v17
	v_ashrrev_i32_e32 v17, 31, v17
	v_and_b32_e32 v20, v20, v21
	;; [unrolled: 8-line block ×5, first 2 shown]
	v_xor_b32_e32 v21, vcc_hi, v17
	v_xor_b32_e32 v17, vcc_lo, v17
	v_and_b32_e32 v19, v19, v17
	v_lshlrev_b32_e32 v17, 24, v18
	v_cmp_gt_i64_e32 vcc, 0, v[16:17]
	v_not_b32_e32 v16, v17
	v_ashrrev_i32_e32 v16, 31, v16
	v_xor_b32_e32 v17, vcc_hi, v16
	v_xor_b32_e32 v16, vcc_lo, v16
	; wave barrier
	ds_read_b32 v74, v75 offset:32
	v_and_b32_e32 v20, v20, v21
	v_and_b32_e32 v16, v19, v16
	;; [unrolled: 1-line block ×3, first 2 shown]
	v_mbcnt_lo_u32_b32 v18, v16, 0
	v_mbcnt_hi_u32_b32 v76, v17, v18
	v_cmp_eq_u32_e32 vcc, 0, v76
	v_cmp_ne_u64_e64 s[16:17], 0, v[16:17]
	s_and_b64 s[20:21], s[16:17], vcc
	; wave barrier
	s_and_saveexec_b64 s[16:17], s[20:21]
	s_cbranch_execz .LBB240_95
; %bb.94:
	v_bcnt_u32_b32 v16, v16, 0
	v_bcnt_u32_b32 v16, v17, v16
	s_waitcnt lgkmcnt(0)
	v_add_u32_e32 v16, v74, v16
	ds_write_b32 v75, v16 offset:32
.LBB240_95:
	s_or_b64 exec, exec, s[16:17]
	v_mov_b32_e32 v20, 0x7fff
	v_cmp_ne_u16_e32 vcc, s19, v27
	v_cndmask_b32_e32 v16, v20, v27, vcc
	v_and_b32_sdwa v18, s18, v16 dst_sel:DWORD dst_unused:UNUSED_PAD src0_sel:DWORD src1_sel:WORD_0
	v_and_b32_e32 v17, 1, v18
	v_add_co_u32_e32 v19, vcc, -1, v17
	v_addc_co_u32_e64 v21, s[16:17], 0, -1, vcc
	v_cmp_ne_u32_e32 vcc, 0, v17
	v_lshlrev_b32_e32 v16, 3, v18
	v_xor_b32_e32 v17, vcc_hi, v21
	v_add_lshl_u32 v78, v24, v16, 2
	v_mov_b32_e32 v16, 0
	v_and_b32_e32 v21, exec_hi, v17
	v_lshlrev_b32_e32 v17, 30, v18
	v_xor_b32_e32 v19, vcc_lo, v19
	v_cmp_gt_i64_e32 vcc, 0, v[16:17]
	v_not_b32_e32 v17, v17
	v_ashrrev_i32_e32 v17, 31, v17
	v_and_b32_e32 v19, exec_lo, v19
	v_xor_b32_e32 v22, vcc_hi, v17
	v_xor_b32_e32 v17, vcc_lo, v17
	v_and_b32_e32 v19, v19, v17
	v_lshlrev_b32_e32 v17, 29, v18
	v_cmp_gt_i64_e32 vcc, 0, v[16:17]
	v_not_b32_e32 v17, v17
	v_ashrrev_i32_e32 v17, 31, v17
	v_and_b32_e32 v21, v21, v22
	v_xor_b32_e32 v22, vcc_hi, v17
	v_xor_b32_e32 v17, vcc_lo, v17
	v_and_b32_e32 v19, v19, v17
	v_lshlrev_b32_e32 v17, 28, v18
	v_cmp_gt_i64_e32 vcc, 0, v[16:17]
	v_not_b32_e32 v17, v17
	v_ashrrev_i32_e32 v17, 31, v17
	v_and_b32_e32 v21, v21, v22
	;; [unrolled: 8-line block ×5, first 2 shown]
	v_xor_b32_e32 v22, vcc_hi, v17
	v_xor_b32_e32 v17, vcc_lo, v17
	v_and_b32_e32 v21, v21, v22
	v_and_b32_e32 v22, v19, v17
	v_lshlrev_b32_e32 v17, 24, v18
	v_cmp_gt_i64_e32 vcc, 0, v[16:17]
	v_not_b32_e32 v17, v17
	v_ashrrev_i32_e32 v17, 31, v17
	v_xor_b32_e32 v18, vcc_hi, v17
	v_xor_b32_e32 v17, vcc_lo, v17
	; wave barrier
	ds_read_b32 v77, v78 offset:32
	v_and_b32_e32 v19, v21, v18
	v_and_b32_e32 v18, v22, v17
	v_mbcnt_lo_u32_b32 v17, v18, 0
	v_mbcnt_hi_u32_b32 v79, v19, v17
	v_cmp_eq_u32_e32 vcc, 0, v79
	v_cmp_ne_u64_e64 s[16:17], 0, v[18:19]
	s_and_b64 s[20:21], s[16:17], vcc
	; wave barrier
	s_and_saveexec_b64 s[16:17], s[20:21]
	s_cbranch_execz .LBB240_97
; %bb.96:
	v_bcnt_u32_b32 v17, v18, 0
	v_bcnt_u32_b32 v17, v19, v17
	s_waitcnt lgkmcnt(0)
	v_add_u32_e32 v17, v77, v17
	ds_write_b32 v78, v17 offset:32
.LBB240_97:
	s_or_b64 exec, exec, s[16:17]
	v_cmp_ne_u16_e32 vcc, s19, v25
	v_cndmask_b32_e32 v17, v20, v25, vcc
	v_and_b32_sdwa v18, s18, v17 dst_sel:DWORD dst_unused:UNUSED_PAD src0_sel:DWORD src1_sel:WORD_0
	v_lshlrev_b32_e32 v17, 3, v18
	v_add_lshl_u32 v81, v24, v17, 2
	v_and_b32_e32 v17, 1, v18
	v_add_co_u32_e32 v19, vcc, -1, v17
	v_addc_co_u32_e64 v20, s[16:17], 0, -1, vcc
	v_cmp_ne_u32_e32 vcc, 0, v17
	v_xor_b32_e32 v17, vcc_hi, v20
	v_and_b32_e32 v20, exec_hi, v17
	v_lshlrev_b32_e32 v17, 30, v18
	v_xor_b32_e32 v19, vcc_lo, v19
	v_cmp_gt_i64_e32 vcc, 0, v[16:17]
	v_not_b32_e32 v17, v17
	v_ashrrev_i32_e32 v17, 31, v17
	v_and_b32_e32 v19, exec_lo, v19
	v_xor_b32_e32 v21, vcc_hi, v17
	v_xor_b32_e32 v17, vcc_lo, v17
	v_and_b32_e32 v19, v19, v17
	v_lshlrev_b32_e32 v17, 29, v18
	v_cmp_gt_i64_e32 vcc, 0, v[16:17]
	v_not_b32_e32 v17, v17
	v_ashrrev_i32_e32 v17, 31, v17
	v_and_b32_e32 v20, v20, v21
	v_xor_b32_e32 v21, vcc_hi, v17
	v_xor_b32_e32 v17, vcc_lo, v17
	v_and_b32_e32 v19, v19, v17
	v_lshlrev_b32_e32 v17, 28, v18
	v_cmp_gt_i64_e32 vcc, 0, v[16:17]
	v_not_b32_e32 v17, v17
	v_ashrrev_i32_e32 v17, 31, v17
	v_and_b32_e32 v20, v20, v21
	;; [unrolled: 8-line block ×5, first 2 shown]
	v_xor_b32_e32 v21, vcc_hi, v17
	v_xor_b32_e32 v17, vcc_lo, v17
	v_and_b32_e32 v19, v19, v17
	v_lshlrev_b32_e32 v17, 24, v18
	v_cmp_gt_i64_e32 vcc, 0, v[16:17]
	v_not_b32_e32 v16, v17
	v_ashrrev_i32_e32 v16, 31, v16
	v_xor_b32_e32 v17, vcc_hi, v16
	v_xor_b32_e32 v16, vcc_lo, v16
	; wave barrier
	ds_read_b32 v80, v81 offset:32
	v_and_b32_e32 v20, v20, v21
	v_and_b32_e32 v16, v19, v16
	;; [unrolled: 1-line block ×3, first 2 shown]
	v_mbcnt_lo_u32_b32 v18, v16, 0
	v_mbcnt_hi_u32_b32 v82, v17, v18
	v_cmp_eq_u32_e32 vcc, 0, v82
	v_cmp_ne_u64_e64 s[16:17], 0, v[16:17]
	v_add_u32_e32 v22, 32, v64
	v_lshrrev_b32_e32 v23, 6, v46
	v_min_u32_e32 v34, 0x1c0, v34
	s_and_b64 s[18:19], s[16:17], vcc
	; wave barrier
	s_and_saveexec_b64 s[16:17], s[18:19]
	s_cbranch_execz .LBB240_99
; %bb.98:
	v_bcnt_u32_b32 v16, v16, 0
	v_bcnt_u32_b32 v16, v17, v16
	s_waitcnt lgkmcnt(0)
	v_add_u32_e32 v16, v80, v16
	ds_write_b32 v81, v16 offset:32
.LBB240_99:
	s_or_b64 exec, exec, s[16:17]
	; wave barrier
	s_waitcnt lgkmcnt(0)
	s_barrier
	ds_read2_b32 v[18:19], v64 offset0:8 offset1:9
	ds_read2_b32 v[20:21], v22 offset0:2 offset1:3
	v_and_b32_e32 v17, 16, v26
	v_cmp_eq_u32_e32 vcc, 0, v17
	v_or_b32_e32 v17, 63, v34
	v_cmp_eq_u32_e64 s[16:17], v17, v46
	s_waitcnt lgkmcnt(1)
	v_add_u32_e32 v17, v19, v18
	v_and_b32_e32 v16, 15, v26
	s_waitcnt lgkmcnt(0)
	v_add3_u32 v17, v17, v20, v21
	v_cmp_eq_u32_e64 s[24:25], 0, v16
	v_cmp_lt_u32_e64 s[26:27], 1, v16
	v_mov_b32_dpp v21, v17 row_shr:1 row_mask:0xf bank_mask:0xf
	v_cndmask_b32_e64 v21, v21, 0, s[24:25]
	v_add_u32_e32 v17, v21, v17
	v_cmp_lt_u32_e64 s[30:31], 3, v16
	v_cmp_lt_u32_e64 s[34:35], 7, v16
	v_mov_b32_dpp v21, v17 row_shr:2 row_mask:0xf bank_mask:0xf
	v_cndmask_b32_e64 v21, 0, v21, s[26:27]
	v_add_u32_e32 v17, v17, v21
	v_bfe_i32 v35, v26, 4, 1
	v_cmp_lt_u32_e64 s[36:37], 31, v26
	v_mov_b32_dpp v21, v17 row_shr:4 row_mask:0xf bank_mask:0xf
	v_cndmask_b32_e64 v21, 0, v21, s[30:31]
	v_add_u32_e32 v17, v17, v21
	v_lshlrev_b32_e32 v23, 2, v23
	s_nop 0
	v_mov_b32_dpp v21, v17 row_shr:8 row_mask:0xf bank_mask:0xf
	v_cndmask_b32_e64 v16, 0, v21, s[34:35]
	v_add_u32_e32 v16, v17, v16
	s_nop 1
	v_mov_b32_dpp v17, v16 row_bcast:15 row_mask:0xf bank_mask:0xf
	v_and_b32_e32 v17, v35, v17
	v_add_u32_e32 v16, v16, v17
	s_nop 1
	v_mov_b32_dpp v17, v16 row_bcast:31 row_mask:0xf bank_mask:0xf
	v_cndmask_b32_e64 v17, 0, v17, s[36:37]
	v_add_u32_e32 v17, v16, v17
	s_and_saveexec_b64 s[18:19], s[16:17]
	s_cbranch_execz .LBB240_101
; %bb.100:
	ds_write_b32 v23, v17
.LBB240_101:
	s_or_b64 exec, exec, s[18:19]
	v_and_b32_e32 v16, 7, v26
	v_cmp_gt_u32_e64 s[28:29], 8, v46
	v_lshlrev_b32_e32 v21, 2, v46
	v_cmp_eq_u32_e64 s[22:23], 0, v16
	v_cmp_lt_u32_e64 s[20:21], 1, v16
	v_cmp_lt_u32_e64 s[18:19], 3, v16
	s_waitcnt lgkmcnt(0)
	s_barrier
	s_and_saveexec_b64 s[38:39], s[28:29]
	s_cbranch_execz .LBB240_103
; %bb.102:
	ds_read_b32 v16, v21
	s_waitcnt lgkmcnt(0)
	s_nop 0
	v_mov_b32_dpp v34, v16 row_shr:1 row_mask:0xf bank_mask:0xf
	v_cndmask_b32_e64 v34, v34, 0, s[22:23]
	v_add_u32_e32 v16, v34, v16
	s_nop 1
	v_mov_b32_dpp v34, v16 row_shr:2 row_mask:0xf bank_mask:0xf
	v_cndmask_b32_e64 v34, 0, v34, s[20:21]
	v_add_u32_e32 v16, v16, v34
	;; [unrolled: 4-line block ×3, first 2 shown]
	ds_write_b32 v21, v16
.LBB240_103:
	s_or_b64 exec, exec, s[38:39]
	v_cmp_lt_u32_e64 s[38:39], 63, v46
	v_add_u32_e32 v34, -4, v23
	v_mov_b32_e32 v16, 0
	v_mov_b32_e32 v83, 0
	s_waitcnt lgkmcnt(0)
	s_barrier
	s_and_saveexec_b64 s[40:41], s[38:39]
	s_cbranch_execz .LBB240_105
; %bb.104:
	ds_read_b32 v83, v34
.LBB240_105:
	s_or_b64 exec, exec, s[40:41]
	v_add_u32_e32 v35, -1, v26
	v_and_b32_e32 v84, 64, v26
	v_cmp_lt_i32_e64 s[40:41], v35, v84
	v_cndmask_b32_e64 v35, v35, v26, s[40:41]
	v_lshlrev_b32_e32 v35, 2, v35
	s_waitcnt lgkmcnt(0)
	v_add_u32_e32 v17, v83, v17
	ds_bpermute_b32 v17, v35, v17
	v_cmp_eq_u32_e64 s[40:41], 0, v26
	v_cmp_eq_u32_e64 s[42:43], 0, v46
	v_and_or_b32 v36, v26, 63, v36
	v_lshlrev_b32_e32 v84, 1, v36
	s_waitcnt lgkmcnt(0)
	v_cndmask_b32_e64 v17, v17, v83, s[40:41]
	v_cndmask_b32_e64 v17, v17, 0, s[42:43]
	v_add_u32_e32 v18, v17, v18
	v_add_u32_e32 v19, v18, v19
	;; [unrolled: 1-line block ×3, first 2 shown]
	ds_write2_b32 v64, v17, v18 offset0:8 offset1:9
	ds_write2_b32 v22, v19, v20 offset0:2 offset1:3
	s_waitcnt lgkmcnt(0)
	s_barrier
	ds_read_b32 v17, v37 offset:32
	ds_read_b32 v18, v40 offset:32
	;; [unrolled: 1-line block ×8, first 2 shown]
	s_waitcnt lgkmcnt(7)
	v_add_u32_e32 v17, v17, v38
	s_waitcnt lgkmcnt(6)
	v_add3_u32 v18, v41, v39, v18
	s_waitcnt lgkmcnt(4)
	v_add3_u32 v38, v70, v68, v20
	v_lshlrev_b32_e32 v20, 1, v17
	v_add3_u32 v19, v67, v65, v19
	s_waitcnt lgkmcnt(0)
	s_barrier
	ds_write_b16 v20, v33
	v_lshlrev_b32_e32 v20, 1, v18
	ds_write_b16 v20, v32
	v_lshlrev_b32_e32 v20, 1, v19
	v_add3_u32 v39, v73, v71, v26
	ds_write_b16 v20, v31
	v_lshlrev_b32_e32 v20, 1, v38
	v_add3_u32 v37, v76, v74, v37
	;; [unrolled: 3-line block ×4, first 2 shown]
	ds_write_b16 v20, v28
	v_lshlrev_b32_e32 v20, 1, v40
	ds_write_b16 v20, v27
	v_lshlrev_b32_e32 v20, 1, v41
	v_lshlrev_b32_e32 v17, 3, v17
	s_min_u32 s44, s44, 8
	ds_write_b16 v20, v25
	s_waitcnt lgkmcnt(0)
	s_barrier
	ds_read_u16 v31, v84
	ds_read_u16 v30, v84 offset:128
	ds_read_u16 v29, v84 offset:256
	;; [unrolled: 1-line block ×7, first 2 shown]
	s_waitcnt lgkmcnt(0)
	s_barrier
	ds_write_b64 v17, v[12:13]
	v_lshlrev_b32_e32 v12, 3, v18
	s_lshl_b32 s44, -1, s44
	s_movk_i32 s54, 0x8000
	ds_write_b64 v12, v[14:15]
	v_lshlrev_b32_e32 v12, 3, v19
	s_not_b32 s53, s44
	v_lshrrev_b16_e32 v17, 8, v31
	v_mov_b32_e32 v18, 0x7f
	v_cmp_ne_u16_e64 s[44:45], s54, v31
	ds_write_b64 v12, v[8:9]
	v_lshlrev_b32_e32 v8, 3, v38
	v_cndmask_b32_e64 v17, v18, v17, s[44:45]
	ds_write_b64 v8, v[10:11]
	v_lshlrev_b32_e32 v8, 3, v39
	v_and_b32_sdwa v19, v17, s53 dst_sel:DWORD dst_unused:UNUSED_PAD src0_sel:WORD_0 src1_sel:DWORD
	ds_write_b64 v8, v[4:5]
	v_lshlrev_b32_e32 v4, 3, v37
	v_lshlrev_b32_e32 v17, 3, v19
	ds_write_b64 v4, v[6:7]
	v_lshlrev_b32_e32 v4, 3, v40
	v_add_lshl_u32 v32, v17, v24, 2
	v_and_b32_e32 v17, 1, v19
	v_lshlrev_b32_e32 v36, 3, v36
	ds_write_b64 v4, v[0:1]
	v_lshlrev_b32_e32 v0, 3, v41
	v_add_co_u32_e64 v33, s[44:45], -1, v17
	ds_write_b64 v0, v[2:3]
	s_waitcnt lgkmcnt(0)
	s_barrier
	ds_read2st64_b64 v[12:15], v36 offset1:1
	ds_read2st64_b64 v[8:11], v36 offset0:2 offset1:3
	ds_read2st64_b64 v[4:7], v36 offset0:4 offset1:5
	ds_read2st64_b64 v[0:3], v36 offset0:6 offset1:7
	v_addc_co_u32_e64 v36, s[44:45], 0, -1, s[44:45]
	v_cmp_ne_u32_e64 s[44:45], 0, v17
	v_xor_b32_e32 v17, s45, v36
	v_and_b32_e32 v36, exec_hi, v17
	v_lshlrev_b32_e32 v17, 30, v19
	v_xor_b32_e32 v33, s44, v33
	v_cmp_gt_i64_e64 s[44:45], 0, v[16:17]
	v_not_b32_e32 v17, v17
	v_ashrrev_i32_e32 v17, 31, v17
	v_and_b32_e32 v33, exec_lo, v33
	v_xor_b32_e32 v37, s45, v17
	v_xor_b32_e32 v17, s44, v17
	v_and_b32_e32 v33, v33, v17
	v_lshlrev_b32_e32 v17, 29, v19
	v_cmp_gt_i64_e64 s[44:45], 0, v[16:17]
	v_not_b32_e32 v17, v17
	v_ashrrev_i32_e32 v17, 31, v17
	v_and_b32_e32 v36, v36, v37
	v_xor_b32_e32 v37, s45, v17
	v_xor_b32_e32 v17, s44, v17
	v_and_b32_e32 v33, v33, v17
	v_lshlrev_b32_e32 v17, 28, v19
	v_cmp_gt_i64_e64 s[44:45], 0, v[16:17]
	v_not_b32_e32 v17, v17
	v_ashrrev_i32_e32 v17, 31, v17
	v_and_b32_e32 v36, v36, v37
	;; [unrolled: 8-line block ×5, first 2 shown]
	v_xor_b32_e32 v37, s45, v17
	v_xor_b32_e32 v17, s44, v17
	v_and_b32_e32 v33, v33, v17
	v_lshlrev_b32_e32 v17, 24, v19
	s_waitcnt lgkmcnt(0)
	s_barrier
	ds_write2_b32 v64, v16, v16 offset0:8 offset1:9
	ds_write2_b32 v22, v16, v16 offset0:2 offset1:3
	v_cmp_gt_i64_e64 s[44:45], 0, v[16:17]
	v_not_b32_e32 v16, v17
	v_ashrrev_i32_e32 v16, 31, v16
	v_xor_b32_e32 v17, s45, v16
	v_xor_b32_e32 v16, s44, v16
	v_and_b32_e32 v36, v36, v37
	v_and_b32_e32 v16, v33, v16
	;; [unrolled: 1-line block ×3, first 2 shown]
	v_mbcnt_lo_u32_b32 v19, v16, 0
	v_mbcnt_hi_u32_b32 v33, v17, v19
	v_cmp_eq_u32_e64 s[44:45], 0, v33
	v_cmp_ne_u64_e64 s[46:47], 0, v[16:17]
	s_and_b64 s[46:47], s[46:47], s[44:45]
	s_waitcnt lgkmcnt(0)
	s_barrier
	s_waitcnt lgkmcnt(0)
	; wave barrier
	s_and_saveexec_b64 s[44:45], s[46:47]
	s_cbranch_execz .LBB240_107
; %bb.106:
	v_bcnt_u32_b32 v16, v16, 0
	v_bcnt_u32_b32 v16, v17, v16
	ds_write_b32 v32, v16 offset:32
.LBB240_107:
	s_or_b64 exec, exec, s[44:45]
	v_lshrrev_b16_e32 v16, 8, v30
	v_cmp_ne_u16_e64 s[44:45], s54, v30
	v_cndmask_b32_e64 v16, v18, v16, s[44:45]
	v_and_b32_e32 v18, s53, v16
	v_and_b32_e32 v17, 1, v18
	v_add_co_u32_e64 v19, s[44:45], -1, v17
	v_addc_co_u32_e64 v38, s[44:45], 0, -1, s[44:45]
	v_cmp_ne_u32_e64 s[44:45], 0, v17
	v_lshlrev_b32_e32 v16, 3, v18
	v_xor_b32_e32 v17, s45, v38
	v_add_lshl_u32 v37, v16, v24, 2
	v_mov_b32_e32 v16, 0
	v_and_b32_e32 v38, exec_hi, v17
	v_lshlrev_b32_e32 v17, 30, v18
	v_xor_b32_e32 v19, s44, v19
	v_cmp_gt_i64_e64 s[44:45], 0, v[16:17]
	v_not_b32_e32 v17, v17
	v_ashrrev_i32_e32 v17, 31, v17
	v_and_b32_e32 v19, exec_lo, v19
	v_xor_b32_e32 v39, s45, v17
	v_xor_b32_e32 v17, s44, v17
	v_and_b32_e32 v19, v19, v17
	v_lshlrev_b32_e32 v17, 29, v18
	v_cmp_gt_i64_e64 s[44:45], 0, v[16:17]
	v_not_b32_e32 v17, v17
	v_ashrrev_i32_e32 v17, 31, v17
	v_and_b32_e32 v38, v38, v39
	v_xor_b32_e32 v39, s45, v17
	v_xor_b32_e32 v17, s44, v17
	v_and_b32_e32 v19, v19, v17
	v_lshlrev_b32_e32 v17, 28, v18
	v_cmp_gt_i64_e64 s[44:45], 0, v[16:17]
	v_not_b32_e32 v17, v17
	v_ashrrev_i32_e32 v17, 31, v17
	v_and_b32_e32 v38, v38, v39
	;; [unrolled: 8-line block ×5, first 2 shown]
	v_xor_b32_e32 v39, s45, v17
	v_xor_b32_e32 v17, s44, v17
	v_and_b32_e32 v38, v38, v39
	v_and_b32_e32 v39, v19, v17
	v_lshlrev_b32_e32 v17, 24, v18
	v_cmp_gt_i64_e64 s[44:45], 0, v[16:17]
	v_not_b32_e32 v17, v17
	v_ashrrev_i32_e32 v17, 31, v17
	v_xor_b32_e32 v18, s45, v17
	v_xor_b32_e32 v17, s44, v17
	; wave barrier
	ds_read_b32 v36, v37 offset:32
	v_and_b32_e32 v19, v38, v18
	v_and_b32_e32 v18, v39, v17
	v_mbcnt_lo_u32_b32 v17, v18, 0
	v_mbcnt_hi_u32_b32 v38, v19, v17
	v_cmp_eq_u32_e64 s[44:45], 0, v38
	v_cmp_ne_u64_e64 s[46:47], 0, v[18:19]
	s_and_b64 s[46:47], s[46:47], s[44:45]
	; wave barrier
	s_and_saveexec_b64 s[44:45], s[46:47]
	s_cbranch_execz .LBB240_109
; %bb.108:
	v_bcnt_u32_b32 v17, v18, 0
	v_bcnt_u32_b32 v17, v19, v17
	s_waitcnt lgkmcnt(0)
	v_add_u32_e32 v17, v36, v17
	ds_write_b32 v37, v17 offset:32
.LBB240_109:
	s_or_b64 exec, exec, s[44:45]
	v_lshrrev_b16_e32 v17, 8, v29
	v_mov_b32_e32 v18, 0x7f
	v_cmp_ne_u16_e64 s[44:45], s54, v29
	v_cndmask_b32_e64 v17, v18, v17, s[44:45]
	v_and_b32_e32 v19, s53, v17
	v_lshlrev_b32_e32 v17, 3, v19
	v_add_lshl_u32 v40, v17, v24, 2
	v_and_b32_e32 v17, 1, v19
	v_add_co_u32_e64 v41, s[44:45], -1, v17
	v_addc_co_u32_e64 v46, s[44:45], 0, -1, s[44:45]
	v_cmp_ne_u32_e64 s[44:45], 0, v17
	v_xor_b32_e32 v17, s45, v46
	v_and_b32_e32 v46, exec_hi, v17
	v_lshlrev_b32_e32 v17, 30, v19
	v_xor_b32_e32 v41, s44, v41
	v_cmp_gt_i64_e64 s[44:45], 0, v[16:17]
	v_not_b32_e32 v17, v17
	v_ashrrev_i32_e32 v17, 31, v17
	v_and_b32_e32 v41, exec_lo, v41
	v_xor_b32_e32 v65, s45, v17
	v_xor_b32_e32 v17, s44, v17
	v_and_b32_e32 v41, v41, v17
	v_lshlrev_b32_e32 v17, 29, v19
	v_cmp_gt_i64_e64 s[44:45], 0, v[16:17]
	v_not_b32_e32 v17, v17
	v_ashrrev_i32_e32 v17, 31, v17
	v_and_b32_e32 v46, v46, v65
	v_xor_b32_e32 v65, s45, v17
	v_xor_b32_e32 v17, s44, v17
	v_and_b32_e32 v41, v41, v17
	v_lshlrev_b32_e32 v17, 28, v19
	v_cmp_gt_i64_e64 s[44:45], 0, v[16:17]
	v_not_b32_e32 v17, v17
	v_ashrrev_i32_e32 v17, 31, v17
	v_and_b32_e32 v46, v46, v65
	;; [unrolled: 8-line block ×5, first 2 shown]
	v_xor_b32_e32 v65, s45, v17
	v_xor_b32_e32 v17, s44, v17
	v_and_b32_e32 v41, v41, v17
	v_lshlrev_b32_e32 v17, 24, v19
	v_cmp_gt_i64_e64 s[44:45], 0, v[16:17]
	v_not_b32_e32 v16, v17
	v_ashrrev_i32_e32 v16, 31, v16
	v_xor_b32_e32 v17, s45, v16
	v_xor_b32_e32 v16, s44, v16
	; wave barrier
	ds_read_b32 v39, v40 offset:32
	v_and_b32_e32 v46, v46, v65
	v_and_b32_e32 v16, v41, v16
	;; [unrolled: 1-line block ×3, first 2 shown]
	v_mbcnt_lo_u32_b32 v19, v16, 0
	v_mbcnt_hi_u32_b32 v41, v17, v19
	v_cmp_eq_u32_e64 s[44:45], 0, v41
	v_cmp_ne_u64_e64 s[46:47], 0, v[16:17]
	s_and_b64 s[46:47], s[46:47], s[44:45]
	; wave barrier
	s_and_saveexec_b64 s[44:45], s[46:47]
	s_cbranch_execz .LBB240_111
; %bb.110:
	v_bcnt_u32_b32 v16, v16, 0
	v_bcnt_u32_b32 v16, v17, v16
	s_waitcnt lgkmcnt(0)
	v_add_u32_e32 v16, v39, v16
	ds_write_b32 v40, v16 offset:32
.LBB240_111:
	s_or_b64 exec, exec, s[44:45]
	v_lshrrev_b16_e32 v16, 8, v28
	v_cmp_ne_u16_e64 s[44:45], s54, v28
	v_cndmask_b32_e64 v16, v18, v16, s[44:45]
	v_and_b32_e32 v18, s53, v16
	v_and_b32_e32 v17, 1, v18
	v_add_co_u32_e64 v19, s[44:45], -1, v17
	v_addc_co_u32_e64 v66, s[44:45], 0, -1, s[44:45]
	v_cmp_ne_u32_e64 s[44:45], 0, v17
	v_lshlrev_b32_e32 v16, 3, v18
	v_xor_b32_e32 v17, s45, v66
	v_add_lshl_u32 v65, v16, v24, 2
	v_mov_b32_e32 v16, 0
	v_and_b32_e32 v66, exec_hi, v17
	v_lshlrev_b32_e32 v17, 30, v18
	v_xor_b32_e32 v19, s44, v19
	v_cmp_gt_i64_e64 s[44:45], 0, v[16:17]
	v_not_b32_e32 v17, v17
	v_ashrrev_i32_e32 v17, 31, v17
	v_and_b32_e32 v19, exec_lo, v19
	v_xor_b32_e32 v67, s45, v17
	v_xor_b32_e32 v17, s44, v17
	v_and_b32_e32 v19, v19, v17
	v_lshlrev_b32_e32 v17, 29, v18
	v_cmp_gt_i64_e64 s[44:45], 0, v[16:17]
	v_not_b32_e32 v17, v17
	v_ashrrev_i32_e32 v17, 31, v17
	v_and_b32_e32 v66, v66, v67
	v_xor_b32_e32 v67, s45, v17
	v_xor_b32_e32 v17, s44, v17
	v_and_b32_e32 v19, v19, v17
	v_lshlrev_b32_e32 v17, 28, v18
	v_cmp_gt_i64_e64 s[44:45], 0, v[16:17]
	v_not_b32_e32 v17, v17
	v_ashrrev_i32_e32 v17, 31, v17
	v_and_b32_e32 v66, v66, v67
	;; [unrolled: 8-line block ×5, first 2 shown]
	v_xor_b32_e32 v67, s45, v17
	v_xor_b32_e32 v17, s44, v17
	v_and_b32_e32 v66, v66, v67
	v_and_b32_e32 v67, v19, v17
	v_lshlrev_b32_e32 v17, 24, v18
	v_cmp_gt_i64_e64 s[44:45], 0, v[16:17]
	v_not_b32_e32 v17, v17
	v_ashrrev_i32_e32 v17, 31, v17
	v_xor_b32_e32 v18, s45, v17
	v_xor_b32_e32 v17, s44, v17
	; wave barrier
	ds_read_b32 v46, v65 offset:32
	v_and_b32_e32 v19, v66, v18
	v_and_b32_e32 v18, v67, v17
	v_mbcnt_lo_u32_b32 v17, v18, 0
	v_mbcnt_hi_u32_b32 v66, v19, v17
	v_cmp_eq_u32_e64 s[44:45], 0, v66
	v_cmp_ne_u64_e64 s[46:47], 0, v[18:19]
	s_and_b64 s[46:47], s[46:47], s[44:45]
	; wave barrier
	s_and_saveexec_b64 s[44:45], s[46:47]
	s_cbranch_execz .LBB240_113
; %bb.112:
	v_bcnt_u32_b32 v17, v18, 0
	v_bcnt_u32_b32 v17, v19, v17
	s_waitcnt lgkmcnt(0)
	v_add_u32_e32 v17, v46, v17
	ds_write_b32 v65, v17 offset:32
.LBB240_113:
	s_or_b64 exec, exec, s[44:45]
	v_lshrrev_b16_e32 v17, 8, v27
	v_mov_b32_e32 v18, 0x7f
	v_cmp_ne_u16_e64 s[44:45], s54, v27
	v_cndmask_b32_e64 v17, v18, v17, s[44:45]
	v_and_b32_e32 v19, s53, v17
	v_lshlrev_b32_e32 v17, 3, v19
	v_add_lshl_u32 v68, v17, v24, 2
	v_and_b32_e32 v17, 1, v19
	v_add_co_u32_e64 v69, s[44:45], -1, v17
	v_addc_co_u32_e64 v70, s[44:45], 0, -1, s[44:45]
	v_cmp_ne_u32_e64 s[44:45], 0, v17
	v_xor_b32_e32 v17, s45, v70
	v_and_b32_e32 v70, exec_hi, v17
	v_lshlrev_b32_e32 v17, 30, v19
	v_xor_b32_e32 v69, s44, v69
	v_cmp_gt_i64_e64 s[44:45], 0, v[16:17]
	v_not_b32_e32 v17, v17
	v_ashrrev_i32_e32 v17, 31, v17
	v_and_b32_e32 v69, exec_lo, v69
	v_xor_b32_e32 v71, s45, v17
	v_xor_b32_e32 v17, s44, v17
	v_and_b32_e32 v69, v69, v17
	v_lshlrev_b32_e32 v17, 29, v19
	v_cmp_gt_i64_e64 s[44:45], 0, v[16:17]
	v_not_b32_e32 v17, v17
	v_ashrrev_i32_e32 v17, 31, v17
	v_and_b32_e32 v70, v70, v71
	v_xor_b32_e32 v71, s45, v17
	v_xor_b32_e32 v17, s44, v17
	v_and_b32_e32 v69, v69, v17
	v_lshlrev_b32_e32 v17, 28, v19
	v_cmp_gt_i64_e64 s[44:45], 0, v[16:17]
	v_not_b32_e32 v17, v17
	v_ashrrev_i32_e32 v17, 31, v17
	v_and_b32_e32 v70, v70, v71
	;; [unrolled: 8-line block ×5, first 2 shown]
	v_xor_b32_e32 v71, s45, v17
	v_xor_b32_e32 v17, s44, v17
	v_and_b32_e32 v69, v69, v17
	v_lshlrev_b32_e32 v17, 24, v19
	v_cmp_gt_i64_e64 s[44:45], 0, v[16:17]
	v_not_b32_e32 v16, v17
	v_ashrrev_i32_e32 v16, 31, v16
	v_xor_b32_e32 v17, s45, v16
	v_xor_b32_e32 v16, s44, v16
	; wave barrier
	ds_read_b32 v67, v68 offset:32
	v_and_b32_e32 v70, v70, v71
	v_and_b32_e32 v16, v69, v16
	v_and_b32_e32 v17, v70, v17
	v_mbcnt_lo_u32_b32 v19, v16, 0
	v_mbcnt_hi_u32_b32 v69, v17, v19
	v_cmp_eq_u32_e64 s[44:45], 0, v69
	v_cmp_ne_u64_e64 s[46:47], 0, v[16:17]
	s_and_b64 s[46:47], s[46:47], s[44:45]
	; wave barrier
	s_and_saveexec_b64 s[44:45], s[46:47]
	s_cbranch_execz .LBB240_115
; %bb.114:
	v_bcnt_u32_b32 v16, v16, 0
	v_bcnt_u32_b32 v16, v17, v16
	s_waitcnt lgkmcnt(0)
	v_add_u32_e32 v16, v67, v16
	ds_write_b32 v68, v16 offset:32
.LBB240_115:
	s_or_b64 exec, exec, s[44:45]
	v_lshrrev_b16_e32 v16, 8, v26
	v_cmp_ne_u16_e64 s[44:45], s54, v26
	v_cndmask_b32_e64 v16, v18, v16, s[44:45]
	v_and_b32_e32 v18, s53, v16
	v_and_b32_e32 v17, 1, v18
	v_add_co_u32_e64 v19, s[44:45], -1, v17
	v_addc_co_u32_e64 v72, s[44:45], 0, -1, s[44:45]
	v_cmp_ne_u32_e64 s[44:45], 0, v17
	v_lshlrev_b32_e32 v16, 3, v18
	v_xor_b32_e32 v17, s45, v72
	v_add_lshl_u32 v71, v16, v24, 2
	v_mov_b32_e32 v16, 0
	v_and_b32_e32 v72, exec_hi, v17
	v_lshlrev_b32_e32 v17, 30, v18
	v_xor_b32_e32 v19, s44, v19
	v_cmp_gt_i64_e64 s[44:45], 0, v[16:17]
	v_not_b32_e32 v17, v17
	v_ashrrev_i32_e32 v17, 31, v17
	v_and_b32_e32 v19, exec_lo, v19
	v_xor_b32_e32 v73, s45, v17
	v_xor_b32_e32 v17, s44, v17
	v_and_b32_e32 v19, v19, v17
	v_lshlrev_b32_e32 v17, 29, v18
	v_cmp_gt_i64_e64 s[44:45], 0, v[16:17]
	v_not_b32_e32 v17, v17
	v_ashrrev_i32_e32 v17, 31, v17
	v_and_b32_e32 v72, v72, v73
	v_xor_b32_e32 v73, s45, v17
	v_xor_b32_e32 v17, s44, v17
	v_and_b32_e32 v19, v19, v17
	v_lshlrev_b32_e32 v17, 28, v18
	v_cmp_gt_i64_e64 s[44:45], 0, v[16:17]
	v_not_b32_e32 v17, v17
	v_ashrrev_i32_e32 v17, 31, v17
	v_and_b32_e32 v72, v72, v73
	;; [unrolled: 8-line block ×5, first 2 shown]
	v_xor_b32_e32 v73, s45, v17
	v_xor_b32_e32 v17, s44, v17
	v_and_b32_e32 v72, v72, v73
	v_and_b32_e32 v73, v19, v17
	v_lshlrev_b32_e32 v17, 24, v18
	v_cmp_gt_i64_e64 s[44:45], 0, v[16:17]
	v_not_b32_e32 v17, v17
	v_ashrrev_i32_e32 v17, 31, v17
	v_xor_b32_e32 v18, s45, v17
	v_xor_b32_e32 v17, s44, v17
	; wave barrier
	ds_read_b32 v70, v71 offset:32
	v_and_b32_e32 v19, v72, v18
	v_and_b32_e32 v18, v73, v17
	v_mbcnt_lo_u32_b32 v17, v18, 0
	v_mbcnt_hi_u32_b32 v72, v19, v17
	v_cmp_eq_u32_e64 s[44:45], 0, v72
	v_cmp_ne_u64_e64 s[46:47], 0, v[18:19]
	s_and_b64 s[46:47], s[46:47], s[44:45]
	; wave barrier
	s_and_saveexec_b64 s[44:45], s[46:47]
	s_cbranch_execz .LBB240_117
; %bb.116:
	v_bcnt_u32_b32 v17, v18, 0
	v_bcnt_u32_b32 v17, v19, v17
	s_waitcnt lgkmcnt(0)
	v_add_u32_e32 v17, v70, v17
	ds_write_b32 v71, v17 offset:32
.LBB240_117:
	s_or_b64 exec, exec, s[44:45]
	v_lshrrev_b16_e32 v17, 8, v25
	v_mov_b32_e32 v18, 0x7f
	v_cmp_ne_u16_e64 s[44:45], s54, v25
	v_cndmask_b32_e64 v17, v18, v17, s[44:45]
	v_and_b32_e32 v19, s53, v17
	v_lshlrev_b32_e32 v17, 3, v19
	v_add_lshl_u32 v74, v17, v24, 2
	v_and_b32_e32 v17, 1, v19
	v_add_co_u32_e64 v75, s[44:45], -1, v17
	v_addc_co_u32_e64 v76, s[44:45], 0, -1, s[44:45]
	v_cmp_ne_u32_e64 s[44:45], 0, v17
	v_xor_b32_e32 v17, s45, v76
	v_and_b32_e32 v76, exec_hi, v17
	v_lshlrev_b32_e32 v17, 30, v19
	v_xor_b32_e32 v75, s44, v75
	v_cmp_gt_i64_e64 s[44:45], 0, v[16:17]
	v_not_b32_e32 v17, v17
	v_ashrrev_i32_e32 v17, 31, v17
	v_and_b32_e32 v75, exec_lo, v75
	v_xor_b32_e32 v77, s45, v17
	v_xor_b32_e32 v17, s44, v17
	v_and_b32_e32 v75, v75, v17
	v_lshlrev_b32_e32 v17, 29, v19
	v_cmp_gt_i64_e64 s[44:45], 0, v[16:17]
	v_not_b32_e32 v17, v17
	v_ashrrev_i32_e32 v17, 31, v17
	v_and_b32_e32 v76, v76, v77
	v_xor_b32_e32 v77, s45, v17
	v_xor_b32_e32 v17, s44, v17
	v_and_b32_e32 v75, v75, v17
	v_lshlrev_b32_e32 v17, 28, v19
	v_cmp_gt_i64_e64 s[44:45], 0, v[16:17]
	v_not_b32_e32 v17, v17
	v_ashrrev_i32_e32 v17, 31, v17
	v_and_b32_e32 v76, v76, v77
	;; [unrolled: 8-line block ×5, first 2 shown]
	v_xor_b32_e32 v77, s45, v17
	v_xor_b32_e32 v17, s44, v17
	v_and_b32_e32 v75, v75, v17
	v_lshlrev_b32_e32 v17, 24, v19
	v_cmp_gt_i64_e64 s[44:45], 0, v[16:17]
	v_not_b32_e32 v16, v17
	v_ashrrev_i32_e32 v16, 31, v16
	v_xor_b32_e32 v17, s45, v16
	v_xor_b32_e32 v16, s44, v16
	; wave barrier
	ds_read_b32 v73, v74 offset:32
	v_and_b32_e32 v76, v76, v77
	v_and_b32_e32 v16, v75, v16
	;; [unrolled: 1-line block ×3, first 2 shown]
	v_mbcnt_lo_u32_b32 v19, v16, 0
	v_mbcnt_hi_u32_b32 v75, v17, v19
	v_cmp_eq_u32_e64 s[44:45], 0, v75
	v_cmp_ne_u64_e64 s[46:47], 0, v[16:17]
	s_and_b64 s[46:47], s[46:47], s[44:45]
	; wave barrier
	s_and_saveexec_b64 s[44:45], s[46:47]
	s_cbranch_execz .LBB240_119
; %bb.118:
	v_bcnt_u32_b32 v16, v16, 0
	v_bcnt_u32_b32 v16, v17, v16
	s_waitcnt lgkmcnt(0)
	v_add_u32_e32 v16, v73, v16
	ds_write_b32 v74, v16 offset:32
.LBB240_119:
	s_or_b64 exec, exec, s[44:45]
	v_lshrrev_b16_e32 v16, 8, v20
	v_cmp_ne_u16_e64 s[44:45], s54, v20
	v_cndmask_b32_e64 v16, v18, v16, s[44:45]
	v_and_b32_e32 v18, s53, v16
	v_and_b32_e32 v17, 1, v18
	v_add_co_u32_e64 v19, s[44:45], -1, v17
	v_addc_co_u32_e64 v77, s[44:45], 0, -1, s[44:45]
	v_cmp_ne_u32_e64 s[44:45], 0, v17
	v_lshlrev_b32_e32 v16, 3, v18
	v_xor_b32_e32 v17, s45, v77
	v_add_lshl_u32 v76, v16, v24, 2
	v_mov_b32_e32 v16, 0
	v_and_b32_e32 v77, exec_hi, v17
	v_lshlrev_b32_e32 v17, 30, v18
	v_xor_b32_e32 v19, s44, v19
	v_cmp_gt_i64_e64 s[44:45], 0, v[16:17]
	v_not_b32_e32 v17, v17
	v_ashrrev_i32_e32 v17, 31, v17
	v_and_b32_e32 v19, exec_lo, v19
	v_xor_b32_e32 v78, s45, v17
	v_xor_b32_e32 v17, s44, v17
	v_and_b32_e32 v19, v19, v17
	v_lshlrev_b32_e32 v17, 29, v18
	v_cmp_gt_i64_e64 s[44:45], 0, v[16:17]
	v_not_b32_e32 v17, v17
	v_ashrrev_i32_e32 v17, 31, v17
	v_and_b32_e32 v77, v77, v78
	v_xor_b32_e32 v78, s45, v17
	v_xor_b32_e32 v17, s44, v17
	v_and_b32_e32 v19, v19, v17
	v_lshlrev_b32_e32 v17, 28, v18
	v_cmp_gt_i64_e64 s[44:45], 0, v[16:17]
	v_not_b32_e32 v17, v17
	v_ashrrev_i32_e32 v17, 31, v17
	v_and_b32_e32 v77, v77, v78
	;; [unrolled: 8-line block ×5, first 2 shown]
	v_xor_b32_e32 v78, s45, v17
	v_xor_b32_e32 v17, s44, v17
	v_and_b32_e32 v19, v19, v17
	v_lshlrev_b32_e32 v17, 24, v18
	v_cmp_gt_i64_e64 s[44:45], 0, v[16:17]
	v_not_b32_e32 v16, v17
	v_ashrrev_i32_e32 v16, 31, v16
	v_xor_b32_e32 v17, s45, v16
	v_xor_b32_e32 v16, s44, v16
	; wave barrier
	ds_read_b32 v24, v76 offset:32
	v_and_b32_e32 v77, v77, v78
	v_and_b32_e32 v16, v19, v16
	;; [unrolled: 1-line block ×3, first 2 shown]
	v_mbcnt_lo_u32_b32 v18, v16, 0
	v_mbcnt_hi_u32_b32 v77, v17, v18
	v_cmp_eq_u32_e64 s[44:45], 0, v77
	v_cmp_ne_u64_e64 s[46:47], 0, v[16:17]
	s_and_b64 s[46:47], s[46:47], s[44:45]
	; wave barrier
	s_and_saveexec_b64 s[44:45], s[46:47]
	s_cbranch_execz .LBB240_121
; %bb.120:
	v_bcnt_u32_b32 v16, v16, 0
	v_bcnt_u32_b32 v16, v17, v16
	s_waitcnt lgkmcnt(0)
	v_add_u32_e32 v16, v24, v16
	ds_write_b32 v76, v16 offset:32
.LBB240_121:
	s_or_b64 exec, exec, s[44:45]
	; wave barrier
	s_waitcnt lgkmcnt(0)
	s_barrier
	ds_read2_b32 v[18:19], v64 offset0:8 offset1:9
	ds_read2_b32 v[16:17], v22 offset0:2 offset1:3
	s_waitcnt lgkmcnt(1)
	v_add_u32_e32 v78, v19, v18
	s_waitcnt lgkmcnt(0)
	v_add3_u32 v17, v78, v16, v17
	s_nop 1
	v_mov_b32_dpp v78, v17 row_shr:1 row_mask:0xf bank_mask:0xf
	v_cndmask_b32_e64 v78, v78, 0, s[24:25]
	v_add_u32_e32 v17, v78, v17
	s_nop 1
	v_mov_b32_dpp v78, v17 row_shr:2 row_mask:0xf bank_mask:0xf
	v_cndmask_b32_e64 v78, 0, v78, s[26:27]
	v_add_u32_e32 v17, v17, v78
	;; [unrolled: 4-line block ×4, first 2 shown]
	s_nop 1
	v_mov_b32_dpp v78, v17 row_bcast:15 row_mask:0xf bank_mask:0xf
	v_cndmask_b32_e64 v78, v78, 0, vcc
	v_add_u32_e32 v17, v17, v78
	s_nop 1
	v_mov_b32_dpp v78, v17 row_bcast:31 row_mask:0xf bank_mask:0xf
	v_cndmask_b32_e64 v78, 0, v78, s[36:37]
	v_add_u32_e32 v78, v17, v78
	s_and_saveexec_b64 s[24:25], s[16:17]
	s_cbranch_execz .LBB240_123
; %bb.122:
	ds_write_b32 v23, v78
.LBB240_123:
	s_or_b64 exec, exec, s[24:25]
	s_waitcnt lgkmcnt(0)
	s_barrier
	s_and_saveexec_b64 s[16:17], s[28:29]
	s_cbranch_execz .LBB240_125
; %bb.124:
	ds_read_b32 v17, v21
	s_waitcnt lgkmcnt(0)
	s_nop 0
	v_mov_b32_dpp v23, v17 row_shr:1 row_mask:0xf bank_mask:0xf
	v_cndmask_b32_e64 v23, v23, 0, s[22:23]
	v_add_u32_e32 v17, v23, v17
	s_nop 1
	v_mov_b32_dpp v23, v17 row_shr:2 row_mask:0xf bank_mask:0xf
	v_cndmask_b32_e64 v23, 0, v23, s[20:21]
	v_add_u32_e32 v17, v17, v23
	;; [unrolled: 4-line block ×3, first 2 shown]
	ds_write_b32 v21, v17
.LBB240_125:
	s_or_b64 exec, exec, s[16:17]
	v_mov_b32_e32 v17, 0
	v_mov_b32_e32 v21, 0
	s_waitcnt lgkmcnt(0)
	s_barrier
	s_and_saveexec_b64 s[16:17], s[38:39]
	s_cbranch_execz .LBB240_127
; %bb.126:
	ds_read_b32 v21, v34
.LBB240_127:
	s_or_b64 exec, exec, s[16:17]
	s_waitcnt lgkmcnt(0)
	v_add_u32_e32 v23, v21, v78
	ds_bpermute_b32 v23, v35, v23
	v_lshlrev_b32_e32 v34, 3, v63
	s_mov_b32 s18, 0x5040100
	s_waitcnt lgkmcnt(0)
	v_cndmask_b32_e64 v21, v23, v21, s[40:41]
	v_cndmask_b32_e64 v21, v21, 0, s[42:43]
	v_add_u32_e32 v18, v21, v18
	v_add_u32_e32 v19, v18, v19
	;; [unrolled: 1-line block ×3, first 2 shown]
	ds_write2_b32 v64, v21, v18 offset0:8 offset1:9
	ds_write2_b32 v22, v19, v16 offset0:2 offset1:3
	s_waitcnt lgkmcnt(0)
	s_barrier
	ds_read_b32 v16, v76 offset:32
	ds_read_b32 v18, v74 offset:32
	;; [unrolled: 1-line block ×4, first 2 shown]
	s_waitcnt lgkmcnt(3)
	v_add3_u32 v16, v77, v24, v16
	ds_read_b32 v22, v65 offset:32
	ds_read_b32 v23, v40 offset:32
	;; [unrolled: 1-line block ×4, first 2 shown]
	s_waitcnt lgkmcnt(0)
	s_barrier
	v_add3_u32 v23, v41, v39, v23
	v_add3_u32 v24, v38, v36, v24
	v_add_u32_e32 v32, v32, v33
	v_lshlrev_b32_e32 v33, 1, v32
	ds_write_b16 v33, v31
	v_lshlrev_b32_e32 v31, 1, v24
	v_add3_u32 v22, v66, v46, v22
	ds_write_b16 v31, v30
	v_lshlrev_b32_e32 v30, 1, v23
	v_add3_u32 v21, v69, v67, v21
	;; [unrolled: 3-line block ×4, first 2 shown]
	ds_write_b16 v28, v27
	v_lshlrev_b32_e32 v27, 1, v19
	ds_write_b16 v27, v26
	v_lshlrev_b32_e32 v26, 1, v18
	;; [unrolled: 2-line block ×4, first 2 shown]
	s_waitcnt lgkmcnt(0)
	s_barrier
	v_lshlrev_b32_e32 v26, 3, v21
	v_lshlrev_b32_e32 v27, 3, v19
	;; [unrolled: 1-line block ×3, first 2 shown]
	ds_read_b128 v[18:21], v20
	v_mov_b32_e32 v40, -1
	v_mov_b32_e32 v41, 0x7fff
	v_lshlrev_b32_e32 v25, 3, v32
	v_lshlrev_b32_e32 v24, 3, v24
	s_waitcnt lgkmcnt(0)
	v_cmp_gt_i16_sdwa vcc, v18, v40 src0_sel:WORD_1 src1_sel:DWORD
	v_cndmask_b32_e32 v29, 0, v41, vcc
	v_cmp_lt_i16_e32 vcc, -1, v18
	v_cndmask_b32_e32 v30, 0, v41, vcc
	v_cmp_lt_i16_sdwa s[16:17], v19, v17 src0_sel:WORD_1 src1_sel:DWORD
	v_cmp_gt_i16_e32 vcc, 0, v19
	v_cndmask_b32_e64 v31, v41, 0, s[16:17]
	v_cndmask_b32_e64 v32, v41, 0, vcc
	v_lshlrev_b32_e32 v23, 3, v23
	v_lshlrev_b32_e32 v22, 3, v22
	v_xor_b32_e32 v32, v32, v19
	v_xor_b32_sdwa v19, v31, v19 dst_sel:DWORD dst_unused:UNUSED_PAD src0_sel:DWORD src1_sel:WORD_1
	v_lshlrev_b32_e32 v16, 3, v16
	v_perm_b32 v39, v19, v32, s18
	v_xor_b32_e32 v19, v30, v18
	v_xor_b32_sdwa v18, v29, v18 dst_sel:DWORD dst_unused:UNUSED_PAD src0_sel:DWORD src1_sel:WORD_1
	s_barrier
	ds_write_b64 v25, v[12:13]
	ds_write_b64 v24, v[14:15]
	;; [unrolled: 1-line block ×8, first 2 shown]
	s_waitcnt lgkmcnt(0)
	s_barrier
	ds_read2_b64 v[22:25], v34 offset1:1
	ds_read2_b64 v[26:29], v34 offset0:2 offset1:3
	ds_read2_b64 v[30:33], v34 offset0:4 offset1:5
	;; [unrolled: 1-line block ×3, first 2 shown]
	v_cmp_gt_i16_sdwa vcc, v20, v40 src0_sel:WORD_1 src1_sel:DWORD
	v_cndmask_b32_e32 v0, 0, v41, vcc
	v_cmp_lt_i16_e32 vcc, -1, v20
	v_cndmask_b32_e32 v1, 0, v41, vcc
	v_cmp_lt_i16_sdwa s[16:17], v21, v17 src0_sel:WORD_1 src1_sel:DWORD
	v_cmp_gt_i16_e32 vcc, 0, v21
	v_cndmask_b32_e64 v2, v41, 0, s[16:17]
	v_cndmask_b32_e64 v3, v41, 0, vcc
	v_xor_b32_e32 v3, v3, v21
	v_xor_b32_sdwa v2, v2, v21 dst_sel:DWORD dst_unused:UNUSED_PAD src0_sel:DWORD src1_sel:WORD_1
	v_xor_b32_e32 v1, v1, v20
	v_xor_b32_sdwa v0, v0, v20 dst_sel:DWORD dst_unused:UNUSED_PAD src0_sel:DWORD src1_sel:WORD_1
	v_perm_b32 v38, v18, v19, s18
	v_perm_b32 v41, v2, v3, s18
	;; [unrolled: 1-line block ×3, first 2 shown]
.LBB240_128:
	s_waitcnt lgkmcnt(0)
	s_barrier
	ds_write_b128 v54, v[38:41]
	s_waitcnt lgkmcnt(0)
	s_barrier
	ds_read_u16 v8, v43 offset:1024
	ds_read_u16 v7, v48 offset:2048
	ds_read_u16 v6, v49 offset:3072
	ds_read_u16 v5, v50 offset:4096
	ds_read_u16 v4, v51 offset:5120
	ds_read_u16 v3, v52 offset:6144
	ds_read_u16 v2, v53 offset:7168
	v_mov_b32_e32 v43, 0
	v_lshlrev_b64 v[0:1], 1, v[42:43]
	v_mov_b32_e32 v9, s48
	v_add_co_u32_e32 v0, vcc, s33, v0
	v_addc_co_u32_e32 v1, vcc, v9, v1, vcc
	s_and_saveexec_b64 s[16:17], s[0:1]
	s_cbranch_execnz .LBB240_147
; %bb.129:
	s_or_b64 exec, exec, s[16:17]
	s_and_saveexec_b64 s[16:17], s[2:3]
	s_cbranch_execnz .LBB240_148
.LBB240_130:
	s_or_b64 exec, exec, s[16:17]
	s_and_saveexec_b64 s[16:17], s[4:5]
	s_cbranch_execnz .LBB240_149
.LBB240_131:
	s_or_b64 exec, exec, s[16:17]
	s_and_saveexec_b64 s[16:17], s[6:7]
	s_cbranch_execnz .LBB240_150
.LBB240_132:
	s_or_b64 exec, exec, s[16:17]
	s_and_saveexec_b64 s[16:17], s[8:9]
	s_cbranch_execnz .LBB240_151
.LBB240_133:
	s_or_b64 exec, exec, s[16:17]
	s_and_saveexec_b64 s[16:17], s[10:11]
	s_cbranch_execnz .LBB240_152
.LBB240_134:
	s_or_b64 exec, exec, s[16:17]
	s_and_saveexec_b64 s[16:17], s[12:13]
	s_cbranch_execnz .LBB240_153
.LBB240_135:
	s_or_b64 exec, exec, s[16:17]
	s_and_saveexec_b64 s[16:17], s[14:15]
	s_cbranch_execz .LBB240_137
.LBB240_136:
	s_mul_i32 s18, s50, 0xe00
	s_mov_b32 s19, 0
	s_lshl_b64 s[18:19], s[18:19], 1
	s_waitcnt lgkmcnt(1)
	v_mov_b32_e32 v3, s19
	v_add_co_u32_e32 v0, vcc, s18, v0
	v_addc_co_u32_e32 v1, vcc, v1, v3, vcc
	s_waitcnt lgkmcnt(0)
	global_store_short v[0:1], v2, off
.LBB240_137:
	s_or_b64 exec, exec, s[16:17]
	s_waitcnt lgkmcnt(0)
	s_barrier
	ds_write2_b64 v62, v[22:23], v[24:25] offset1:1
	ds_write2_b64 v62, v[26:27], v[28:29] offset0:2 offset1:3
	ds_write2_b64 v62, v[30:31], v[32:33] offset0:4 offset1:5
	;; [unrolled: 1-line block ×3, first 2 shown]
	s_waitcnt lgkmcnt(0)
	s_barrier
	ds_read_b64 v[14:15], v45 offset:4096
	ds_read_b64 v[12:13], v56 offset:8192
	;; [unrolled: 1-line block ×7, first 2 shown]
	v_mov_b32_e32 v45, 0
	v_lshlrev_b64 v[2:3], 3, v[44:45]
	v_mov_b32_e32 v16, s51
	v_add_co_u32_e32 v2, vcc, s49, v2
	v_addc_co_u32_e32 v3, vcc, v16, v3, vcc
	s_and_saveexec_b64 s[16:17], s[0:1]
	s_cbranch_execnz .LBB240_154
; %bb.138:
	s_or_b64 exec, exec, s[16:17]
	s_and_saveexec_b64 s[0:1], s[2:3]
	s_cbranch_execnz .LBB240_155
.LBB240_139:
	s_or_b64 exec, exec, s[0:1]
	s_and_saveexec_b64 s[0:1], s[4:5]
	s_cbranch_execnz .LBB240_156
.LBB240_140:
	s_or_b64 exec, exec, s[0:1]
	s_and_saveexec_b64 s[0:1], s[6:7]
	s_cbranch_execnz .LBB240_157
.LBB240_141:
	s_or_b64 exec, exec, s[0:1]
	s_and_saveexec_b64 s[0:1], s[8:9]
	s_cbranch_execnz .LBB240_158
.LBB240_142:
	s_or_b64 exec, exec, s[0:1]
	s_and_saveexec_b64 s[0:1], s[10:11]
	s_cbranch_execnz .LBB240_159
.LBB240_143:
	s_or_b64 exec, exec, s[0:1]
	s_and_saveexec_b64 s[0:1], s[12:13]
	s_cbranch_execnz .LBB240_160
.LBB240_144:
	s_or_b64 exec, exec, s[0:1]
	s_and_saveexec_b64 s[0:1], s[14:15]
	s_cbranch_execz .LBB240_146
.LBB240_145:
	s_mul_i32 s0, s52, 0xe00
	s_mov_b32 s1, 0
	s_lshl_b64 s[0:1], s[0:1], 3
	s_waitcnt lgkmcnt(1)
	v_mov_b32_e32 v4, s1
	v_add_co_u32_e32 v2, vcc, s0, v2
	v_addc_co_u32_e32 v3, vcc, v3, v4, vcc
	s_waitcnt lgkmcnt(0)
	global_store_dwordx2 v[2:3], v[0:1], off
.LBB240_146:
	s_endpgm
.LBB240_147:
	ds_read_u16 v9, v47
	s_waitcnt lgkmcnt(0)
	global_store_short v[0:1], v9, off
	s_or_b64 exec, exec, s[16:17]
	s_and_saveexec_b64 s[16:17], s[2:3]
	s_cbranch_execz .LBB240_130
.LBB240_148:
	s_lshl_b32 s18, s50, 9
	s_mov_b32 s19, 0
	s_lshl_b64 s[18:19], s[18:19], 1
	v_mov_b32_e32 v9, s19
	v_add_co_u32_e32 v10, vcc, s18, v0
	v_addc_co_u32_e32 v11, vcc, v1, v9, vcc
	s_waitcnt lgkmcnt(6)
	global_store_short v[10:11], v8, off
	s_or_b64 exec, exec, s[16:17]
	s_and_saveexec_b64 s[16:17], s[4:5]
	s_cbranch_execz .LBB240_131
.LBB240_149:
	s_lshl_b32 s18, s50, 10
	s_mov_b32 s19, 0
	s_lshl_b64 s[18:19], s[18:19], 1
	v_mov_b32_e32 v9, s19
	s_waitcnt lgkmcnt(6)
	v_add_co_u32_e32 v8, vcc, s18, v0
	v_addc_co_u32_e32 v9, vcc, v1, v9, vcc
	s_waitcnt lgkmcnt(5)
	global_store_short v[8:9], v7, off
	s_or_b64 exec, exec, s[16:17]
	s_and_saveexec_b64 s[16:17], s[6:7]
	s_cbranch_execz .LBB240_132
.LBB240_150:
	s_mul_i32 s18, s50, 0x600
	s_mov_b32 s19, 0
	s_lshl_b64 s[18:19], s[18:19], 1
	s_waitcnt lgkmcnt(5)
	v_mov_b32_e32 v7, s19
	v_add_co_u32_e32 v8, vcc, s18, v0
	v_addc_co_u32_e32 v9, vcc, v1, v7, vcc
	s_waitcnt lgkmcnt(4)
	global_store_short v[8:9], v6, off
	s_or_b64 exec, exec, s[16:17]
	s_and_saveexec_b64 s[16:17], s[8:9]
	s_cbranch_execz .LBB240_133
.LBB240_151:
	s_lshl_b32 s18, s50, 11
	s_mov_b32 s19, 0
	s_lshl_b64 s[18:19], s[18:19], 1
	s_waitcnt lgkmcnt(5)
	v_mov_b32_e32 v7, s19
	s_waitcnt lgkmcnt(4)
	v_add_co_u32_e32 v6, vcc, s18, v0
	v_addc_co_u32_e32 v7, vcc, v1, v7, vcc
	s_waitcnt lgkmcnt(3)
	global_store_short v[6:7], v5, off
	s_or_b64 exec, exec, s[16:17]
	s_and_saveexec_b64 s[16:17], s[10:11]
	s_cbranch_execz .LBB240_134
.LBB240_152:
	s_mul_i32 s18, s50, 0xa00
	s_mov_b32 s19, 0
	s_lshl_b64 s[18:19], s[18:19], 1
	s_waitcnt lgkmcnt(3)
	v_mov_b32_e32 v5, s19
	v_add_co_u32_e32 v6, vcc, s18, v0
	v_addc_co_u32_e32 v7, vcc, v1, v5, vcc
	s_waitcnt lgkmcnt(2)
	global_store_short v[6:7], v4, off
	s_or_b64 exec, exec, s[16:17]
	s_and_saveexec_b64 s[16:17], s[12:13]
	s_cbranch_execz .LBB240_135
.LBB240_153:
	s_mul_i32 s18, s50, 0xc00
	s_mov_b32 s19, 0
	s_lshl_b64 s[18:19], s[18:19], 1
	s_waitcnt lgkmcnt(3)
	v_mov_b32_e32 v5, s19
	s_waitcnt lgkmcnt(2)
	v_add_co_u32_e32 v4, vcc, s18, v0
	v_addc_co_u32_e32 v5, vcc, v1, v5, vcc
	s_waitcnt lgkmcnt(1)
	global_store_short v[4:5], v3, off
	s_or_b64 exec, exec, s[16:17]
	s_and_saveexec_b64 s[16:17], s[14:15]
	s_cbranch_execnz .LBB240_136
	s_branch .LBB240_137
.LBB240_154:
	ds_read_b64 v[16:17], v55
	s_waitcnt lgkmcnt(0)
	global_store_dwordx2 v[2:3], v[16:17], off
	s_or_b64 exec, exec, s[16:17]
	s_and_saveexec_b64 s[0:1], s[2:3]
	s_cbranch_execz .LBB240_139
.LBB240_155:
	s_lshl_b32 s2, s52, 9
	s_mov_b32 s3, 0
	s_lshl_b64 s[2:3], s[2:3], 3
	v_mov_b32_e32 v17, s3
	v_add_co_u32_e32 v16, vcc, s2, v2
	v_addc_co_u32_e32 v17, vcc, v3, v17, vcc
	s_waitcnt lgkmcnt(6)
	global_store_dwordx2 v[16:17], v[14:15], off
	s_or_b64 exec, exec, s[0:1]
	s_and_saveexec_b64 s[0:1], s[4:5]
	s_cbranch_execz .LBB240_140
.LBB240_156:
	s_lshl_b32 s2, s52, 10
	s_mov_b32 s3, 0
	s_lshl_b64 s[2:3], s[2:3], 3
	s_waitcnt lgkmcnt(6)
	v_mov_b32_e32 v15, s3
	v_add_co_u32_e32 v14, vcc, s2, v2
	v_addc_co_u32_e32 v15, vcc, v3, v15, vcc
	s_waitcnt lgkmcnt(5)
	global_store_dwordx2 v[14:15], v[12:13], off
	s_or_b64 exec, exec, s[0:1]
	s_and_saveexec_b64 s[0:1], s[6:7]
	s_cbranch_execz .LBB240_141
.LBB240_157:
	s_mul_i32 s2, s52, 0x600
	s_mov_b32 s3, 0
	s_lshl_b64 s[2:3], s[2:3], 3
	s_waitcnt lgkmcnt(5)
	v_mov_b32_e32 v13, s3
	v_add_co_u32_e32 v12, vcc, s2, v2
	v_addc_co_u32_e32 v13, vcc, v3, v13, vcc
	s_waitcnt lgkmcnt(4)
	global_store_dwordx2 v[12:13], v[10:11], off
	s_or_b64 exec, exec, s[0:1]
	s_and_saveexec_b64 s[0:1], s[8:9]
	s_cbranch_execz .LBB240_142
.LBB240_158:
	s_lshl_b32 s2, s52, 11
	s_mov_b32 s3, 0
	s_lshl_b64 s[2:3], s[2:3], 3
	s_waitcnt lgkmcnt(4)
	v_mov_b32_e32 v11, s3
	v_add_co_u32_e32 v10, vcc, s2, v2
	v_addc_co_u32_e32 v11, vcc, v3, v11, vcc
	s_waitcnt lgkmcnt(3)
	global_store_dwordx2 v[10:11], v[8:9], off
	s_or_b64 exec, exec, s[0:1]
	s_and_saveexec_b64 s[0:1], s[10:11]
	s_cbranch_execz .LBB240_143
.LBB240_159:
	s_mul_i32 s2, s52, 0xa00
	s_mov_b32 s3, 0
	s_lshl_b64 s[2:3], s[2:3], 3
	s_waitcnt lgkmcnt(3)
	v_mov_b32_e32 v9, s3
	v_add_co_u32_e32 v8, vcc, s2, v2
	v_addc_co_u32_e32 v9, vcc, v3, v9, vcc
	s_waitcnt lgkmcnt(2)
	global_store_dwordx2 v[8:9], v[6:7], off
	s_or_b64 exec, exec, s[0:1]
	s_and_saveexec_b64 s[0:1], s[12:13]
	s_cbranch_execz .LBB240_144
.LBB240_160:
	s_mul_i32 s2, s52, 0xc00
	s_mov_b32 s3, 0
	s_lshl_b64 s[2:3], s[2:3], 3
	s_waitcnt lgkmcnt(2)
	v_mov_b32_e32 v7, s3
	v_add_co_u32_e32 v6, vcc, s2, v2
	v_addc_co_u32_e32 v7, vcc, v3, v7, vcc
	s_waitcnt lgkmcnt(1)
	global_store_dwordx2 v[6:7], v[4:5], off
	s_or_b64 exec, exec, s[0:1]
	s_and_saveexec_b64 s[0:1], s[14:15]
	s_cbranch_execnz .LBB240_145
	s_branch .LBB240_146
	.section	.rodata,"a",@progbits
	.p2align	6, 0x0
	.amdhsa_kernel _ZN2at6native18radixSortKVInPlaceILin2ELin1ELi512ELi8EN3c108BFloat16EljEEvNS_4cuda6detail10TensorInfoIT3_T5_EES8_S8_S8_NS6_IT4_S8_EES8_b
		.amdhsa_group_segment_fixed_size 33792
		.amdhsa_private_segment_fixed_size 0
		.amdhsa_kernarg_size 712
		.amdhsa_user_sgpr_count 6
		.amdhsa_user_sgpr_private_segment_buffer 1
		.amdhsa_user_sgpr_dispatch_ptr 0
		.amdhsa_user_sgpr_queue_ptr 0
		.amdhsa_user_sgpr_kernarg_segment_ptr 1
		.amdhsa_user_sgpr_dispatch_id 0
		.amdhsa_user_sgpr_flat_scratch_init 0
		.amdhsa_user_sgpr_kernarg_preload_length 0
		.amdhsa_user_sgpr_kernarg_preload_offset 0
		.amdhsa_user_sgpr_private_segment_size 0
		.amdhsa_uses_dynamic_stack 0
		.amdhsa_system_sgpr_private_segment_wavefront_offset 0
		.amdhsa_system_sgpr_workgroup_id_x 1
		.amdhsa_system_sgpr_workgroup_id_y 1
		.amdhsa_system_sgpr_workgroup_id_z 1
		.amdhsa_system_sgpr_workgroup_info 0
		.amdhsa_system_vgpr_workitem_id 2
		.amdhsa_next_free_vgpr 108
		.amdhsa_next_free_sgpr 57
		.amdhsa_accum_offset 108
		.amdhsa_reserve_vcc 1
		.amdhsa_reserve_flat_scratch 0
		.amdhsa_float_round_mode_32 0
		.amdhsa_float_round_mode_16_64 0
		.amdhsa_float_denorm_mode_32 3
		.amdhsa_float_denorm_mode_16_64 3
		.amdhsa_dx10_clamp 1
		.amdhsa_ieee_mode 1
		.amdhsa_fp16_overflow 0
		.amdhsa_tg_split 0
		.amdhsa_exception_fp_ieee_invalid_op 0
		.amdhsa_exception_fp_denorm_src 0
		.amdhsa_exception_fp_ieee_div_zero 0
		.amdhsa_exception_fp_ieee_overflow 0
		.amdhsa_exception_fp_ieee_underflow 0
		.amdhsa_exception_fp_ieee_inexact 0
		.amdhsa_exception_int_div_zero 0
	.end_amdhsa_kernel
	.section	.text._ZN2at6native18radixSortKVInPlaceILin2ELin1ELi512ELi8EN3c108BFloat16EljEEvNS_4cuda6detail10TensorInfoIT3_T5_EES8_S8_S8_NS6_IT4_S8_EES8_b,"axG",@progbits,_ZN2at6native18radixSortKVInPlaceILin2ELin1ELi512ELi8EN3c108BFloat16EljEEvNS_4cuda6detail10TensorInfoIT3_T5_EES8_S8_S8_NS6_IT4_S8_EES8_b,comdat
.Lfunc_end240:
	.size	_ZN2at6native18radixSortKVInPlaceILin2ELin1ELi512ELi8EN3c108BFloat16EljEEvNS_4cuda6detail10TensorInfoIT3_T5_EES8_S8_S8_NS6_IT4_S8_EES8_b, .Lfunc_end240-_ZN2at6native18radixSortKVInPlaceILin2ELin1ELi512ELi8EN3c108BFloat16EljEEvNS_4cuda6detail10TensorInfoIT3_T5_EES8_S8_S8_NS6_IT4_S8_EES8_b
                                        ; -- End function
	.section	.AMDGPU.csdata,"",@progbits
; Kernel info:
; codeLenInByte = 21528
; NumSgprs: 61
; NumVgprs: 108
; NumAgprs: 0
; TotalNumVgprs: 108
; ScratchSize: 0
; MemoryBound: 0
; FloatMode: 240
; IeeeMode: 1
; LDSByteSize: 33792 bytes/workgroup (compile time only)
; SGPRBlocks: 7
; VGPRBlocks: 13
; NumSGPRsForWavesPerEU: 61
; NumVGPRsForWavesPerEU: 108
; AccumOffset: 108
; Occupancy: 2
; WaveLimiterHint : 1
; COMPUTE_PGM_RSRC2:SCRATCH_EN: 0
; COMPUTE_PGM_RSRC2:USER_SGPR: 6
; COMPUTE_PGM_RSRC2:TRAP_HANDLER: 0
; COMPUTE_PGM_RSRC2:TGID_X_EN: 1
; COMPUTE_PGM_RSRC2:TGID_Y_EN: 1
; COMPUTE_PGM_RSRC2:TGID_Z_EN: 1
; COMPUTE_PGM_RSRC2:TIDIG_COMP_CNT: 2
; COMPUTE_PGM_RSRC3_GFX90A:ACCUM_OFFSET: 26
; COMPUTE_PGM_RSRC3_GFX90A:TG_SPLIT: 0
	.section	.text._ZN2at6native18radixSortKVInPlaceILin2ELin1ELi256ELi8EN3c108BFloat16EljEEvNS_4cuda6detail10TensorInfoIT3_T5_EES8_S8_S8_NS6_IT4_S8_EES8_b,"axG",@progbits,_ZN2at6native18radixSortKVInPlaceILin2ELin1ELi256ELi8EN3c108BFloat16EljEEvNS_4cuda6detail10TensorInfoIT3_T5_EES8_S8_S8_NS6_IT4_S8_EES8_b,comdat
	.protected	_ZN2at6native18radixSortKVInPlaceILin2ELin1ELi256ELi8EN3c108BFloat16EljEEvNS_4cuda6detail10TensorInfoIT3_T5_EES8_S8_S8_NS6_IT4_S8_EES8_b ; -- Begin function _ZN2at6native18radixSortKVInPlaceILin2ELin1ELi256ELi8EN3c108BFloat16EljEEvNS_4cuda6detail10TensorInfoIT3_T5_EES8_S8_S8_NS6_IT4_S8_EES8_b
	.globl	_ZN2at6native18radixSortKVInPlaceILin2ELin1ELi256ELi8EN3c108BFloat16EljEEvNS_4cuda6detail10TensorInfoIT3_T5_EES8_S8_S8_NS6_IT4_S8_EES8_b
	.p2align	8
	.type	_ZN2at6native18radixSortKVInPlaceILin2ELin1ELi256ELi8EN3c108BFloat16EljEEvNS_4cuda6detail10TensorInfoIT3_T5_EES8_S8_S8_NS6_IT4_S8_EES8_b,@function
_ZN2at6native18radixSortKVInPlaceILin2ELin1ELi256ELi8EN3c108BFloat16EljEEvNS_4cuda6detail10TensorInfoIT3_T5_EES8_S8_S8_NS6_IT4_S8_EES8_b: ; @_ZN2at6native18radixSortKVInPlaceILin2ELin1ELi256ELi8EN3c108BFloat16EljEEvNS_4cuda6detail10TensorInfoIT3_T5_EES8_S8_S8_NS6_IT4_S8_EES8_b
; %bb.0:
	s_load_dwordx2 s[0:1], s[4:5], 0x1c8
	s_load_dwordx4 s[44:47], s[4:5], 0xd8
	s_add_u32 s50, s4, 0x1c8
	s_addc_u32 s51, s5, 0
	s_waitcnt lgkmcnt(0)
	s_mul_i32 s1, s1, s8
	s_add_i32 s1, s1, s7
	s_mul_i32 s0, s1, s0
	s_add_i32 s6, s0, s6
	s_cmp_ge_u32 s6, s44
	s_cbranch_scc1 .LBB241_146
; %bb.1:
	s_load_dword s2, s[4:5], 0x1b8
	s_load_dwordx2 s[0:1], s[4:5], 0x0
	s_add_u32 s14, s4, 0xe8
	s_addc_u32 s15, s5, 0
	s_mov_b32 s17, 0
	s_waitcnt lgkmcnt(0)
	s_cmp_lt_i32 s2, 2
	s_mov_b32 s16, s6
	s_cbranch_scc1 .LBB241_4
; %bb.2:
	s_add_i32 s16, s2, -1
	s_add_i32 s7, s2, 1
	s_lshl_b64 s[2:3], s[16:17], 2
	s_add_u32 s2, s2, s14
	s_addc_u32 s3, s3, s15
	s_add_u32 s2, s2, 8
	s_addc_u32 s3, s3, 0
	s_mov_b32 s16, s6
.LBB241_3:                              ; =>This Inner Loop Header: Depth=1
	s_load_dword s8, s[2:3], 0x0
	s_load_dword s10, s[2:3], 0x64
	s_mov_b32 s9, s16
	s_waitcnt lgkmcnt(0)
	v_cvt_f32_u32_e32 v1, s8
	s_sub_i32 s11, 0, s8
	v_rcp_iflag_f32_e32 v1, v1
	v_mul_f32_e32 v1, 0x4f7ffffe, v1
	v_cvt_u32_f32_e32 v1, v1
	v_readfirstlane_b32 s12, v1
	s_mul_i32 s11, s11, s12
	s_mul_hi_u32 s11, s12, s11
	s_add_i32 s12, s12, s11
	s_mul_hi_u32 s11, s16, s12
	s_mul_i32 s12, s11, s8
	s_sub_i32 s12, s16, s12
	s_add_i32 s13, s11, 1
	s_sub_i32 s16, s12, s8
	s_cmp_ge_u32 s12, s8
	s_cselect_b32 s11, s13, s11
	s_cselect_b32 s12, s16, s12
	s_add_i32 s13, s11, 1
	s_cmp_ge_u32 s12, s8
	s_cselect_b32 s16, s13, s11
	s_mul_i32 s8, s16, s8
	s_sub_i32 s8, s9, s8
	s_mul_i32 s8, s10, s8
	s_add_i32 s7, s7, -1
	s_add_i32 s17, s8, s17
	s_add_u32 s2, s2, -4
	s_addc_u32 s3, s3, -1
	s_cmp_gt_u32 s7, 2
	s_cbranch_scc1 .LBB241_3
.LBB241_4:
	s_load_dword s2, s[4:5], 0x6c
	s_load_dwordx2 s[48:49], s[4:5], 0x1c0
	s_mov_b32 s3, 0
	v_and_b32_e32 v46, 0x3ff, v0
	v_mul_lo_u32 v42, v46, s46
	s_waitcnt lgkmcnt(0)
	s_mul_i32 s2, s2, s6
	s_bitcmp1_b32 s49, 0
	s_cselect_b64 s[34:35], -1, 0
	s_mov_b32 s6, 0xffff
	s_and_b64 s[4:5], s[34:35], exec
	s_cselect_b32 s22, s6, 0x7fff
	s_lshl_b64 s[2:3], s[2:3], 1
	s_add_u32 s33, s0, s2
	s_addc_u32 s47, s1, s3
	v_cmp_gt_u32_e64 s[0:1], s45, v46
	v_mov_b32_e32 v1, s22
	s_and_saveexec_b64 s[2:3], s[0:1]
	s_cbranch_execz .LBB241_6
; %bb.5:
	v_mov_b32_e32 v43, 0
	v_lshlrev_b64 v[2:3], 1, v[42:43]
	v_mov_b32_e32 v1, s47
	v_add_co_u32_e32 v2, vcc, s33, v2
	v_addc_co_u32_e32 v3, vcc, v1, v3, vcc
	global_load_ushort v1, v[2:3], off
.LBB241_6:
	s_or_b64 exec, exec, s[2:3]
	v_add_u32_e32 v36, 0x100, v46
	v_cmp_gt_u32_e64 s[2:3], s45, v36
	v_mov_b32_e32 v2, s22
	s_and_saveexec_b64 s[4:5], s[2:3]
	s_cbranch_execz .LBB241_8
; %bb.7:
	v_mul_lo_u32 v2, v36, s46
	v_mov_b32_e32 v3, 0
	v_lshlrev_b64 v[2:3], 1, v[2:3]
	v_mov_b32_e32 v4, s47
	v_add_co_u32_e32 v2, vcc, s33, v2
	v_addc_co_u32_e32 v3, vcc, v4, v3, vcc
	global_load_ushort v2, v[2:3], off
.LBB241_8:
	s_or_b64 exec, exec, s[4:5]
	v_add_u32_e32 v35, 0x200, v46
	v_cmp_gt_u32_e64 s[4:5], s45, v35
	v_mov_b32_e32 v3, s22
	s_and_saveexec_b64 s[6:7], s[4:5]
	s_cbranch_execz .LBB241_10
; %bb.9:
	v_mul_lo_u32 v4, v35, s46
	v_mov_b32_e32 v5, 0
	v_lshlrev_b64 v[4:5], 1, v[4:5]
	v_mov_b32_e32 v3, s47
	v_add_co_u32_e32 v4, vcc, s33, v4
	v_addc_co_u32_e32 v5, vcc, v3, v5, vcc
	global_load_ushort v3, v[4:5], off
.LBB241_10:
	;; [unrolled: 15-line block ×3, first 2 shown]
	s_or_b64 exec, exec, s[8:9]
	v_or_b32_e32 v30, 0x400, v46
	v_cmp_gt_u32_e64 s[8:9], s45, v30
	v_mov_b32_e32 v5, s22
	s_and_saveexec_b64 s[10:11], s[8:9]
	s_cbranch_execz .LBB241_14
; %bb.13:
	v_mul_lo_u32 v6, v30, s46
	v_mov_b32_e32 v7, 0
	v_lshlrev_b64 v[6:7], 1, v[6:7]
	v_mov_b32_e32 v5, s47
	v_add_co_u32_e32 v6, vcc, s33, v6
	v_addc_co_u32_e32 v7, vcc, v5, v7, vcc
	global_load_ushort v5, v[6:7], off
.LBB241_14:
	s_or_b64 exec, exec, s[10:11]
	v_add_u32_e32 v28, 0x500, v46
	v_cmp_gt_u32_e64 s[10:11], s45, v28
	v_mov_b32_e32 v6, s22
	s_and_saveexec_b64 s[12:13], s[10:11]
	s_cbranch_execz .LBB241_16
; %bb.15:
	v_mul_lo_u32 v6, v28, s46
	v_mov_b32_e32 v7, 0
	v_lshlrev_b64 v[6:7], 1, v[6:7]
	v_mov_b32_e32 v8, s47
	v_add_co_u32_e32 v6, vcc, s33, v6
	v_addc_co_u32_e32 v7, vcc, v8, v7, vcc
	global_load_ushort v6, v[6:7], off
.LBB241_16:
	s_or_b64 exec, exec, s[12:13]
	s_load_dwordx2 s[18:19], s[14:15], 0x0
	v_add_u32_e32 v26, 0x600, v46
	v_cmp_gt_u32_e64 s[12:13], s45, v26
	v_mov_b32_e32 v7, s22
	s_and_saveexec_b64 s[20:21], s[12:13]
	s_cbranch_execz .LBB241_18
; %bb.17:
	v_mul_lo_u32 v8, v26, s46
	v_mov_b32_e32 v9, 0
	v_lshlrev_b64 v[8:9], 1, v[8:9]
	v_mov_b32_e32 v7, s47
	v_add_co_u32_e32 v8, vcc, s33, v8
	v_addc_co_u32_e32 v9, vcc, v7, v9, vcc
	global_load_ushort v7, v[8:9], off
.LBB241_18:
	s_or_b64 exec, exec, s[20:21]
	s_load_dword s23, s[14:15], 0x6c
	v_add_u32_e32 v22, 0x700, v46
	v_cmp_gt_u32_e64 s[14:15], s45, v22
	v_mov_b32_e32 v8, s22
	s_and_saveexec_b64 s[20:21], s[14:15]
	s_cbranch_execz .LBB241_20
; %bb.19:
	v_mul_lo_u32 v8, v22, s46
	v_mov_b32_e32 v9, 0
	v_lshlrev_b64 v[8:9], 1, v[8:9]
	v_mov_b32_e32 v10, s47
	v_add_co_u32_e32 v8, vcc, s33, v8
	v_addc_co_u32_e32 v9, vcc, v10, v9, vcc
	global_load_ushort v8, v[8:9], off
.LBB241_20:
	s_or_b64 exec, exec, s[20:21]
	v_lshrrev_b32_e32 v34, 5, v46
	v_and_b32_e32 v9, 30, v34
	v_add_lshl_u32 v47, v9, v46, 1
	v_lshrrev_b32_e32 v32, 5, v36
	s_waitcnt vmcnt(0)
	ds_write_b16 v47, v1
	v_and_b32_e32 v1, 62, v32
	v_lshrrev_b32_e32 v31, 5, v35
	v_add_lshl_u32 v43, v1, v46, 1
	v_and_b32_e32 v1, 62, v31
	v_lshrrev_b32_e32 v29, 5, v33
	v_add_lshl_u32 v48, v1, v46, 1
	;; [unrolled: 3-line block ×5, first 2 shown]
	v_and_b32_e32 v1, 0x7e, v23
	v_add_lshl_u32 v52, v1, v46, 1
	v_lshrrev_b32_e32 v1, 5, v22
	ds_write_b16 v43, v2 offset:512
	v_and_b32_e32 v2, 0x7e, v1
	v_lshrrev_b32_e32 v24, 2, v46
	v_add_lshl_u32 v53, v2, v46, 1
	v_lshlrev_b32_e32 v63, 3, v46
	v_and_b32_e32 v2, 0xfe, v24
	s_waitcnt lgkmcnt(0)
	s_mul_i32 s16, s23, s16
	v_add_lshl_u32 v54, v2, v63, 1
	s_add_i32 s16, s16, s17
	s_mov_b32 s17, 0
	ds_write_b16 v48, v3 offset:1024
	ds_write_b16 v49, v4 offset:1536
	;; [unrolled: 1-line block ×6, first 2 shown]
	s_waitcnt lgkmcnt(0)
	s_barrier
	ds_read_b128 v[18:21], v54
	s_lshl_b64 s[20:21], s[16:17], 3
	s_add_u32 s49, s18, s20
	s_mov_b32 s16, s17
	s_addc_u32 s52, s19, s21
	s_mov_b32 s18, s17
	s_mov_b32 s19, s17
	;; [unrolled: 1-line block ×14, first 2 shown]
	v_pk_mov_b32 v[2:3], s[16:17], s[16:17] op_sel:[0,1]
	v_pk_mov_b32 v[4:5], s[18:19], s[18:19] op_sel:[0,1]
	;; [unrolled: 1-line block ×8, first 2 shown]
	v_pk_mov_b32 v[2:3], 0, 0
	v_mul_lo_u32 v44, v46, s48
	s_waitcnt lgkmcnt(0)
	s_barrier
	s_and_saveexec_b64 s[16:17], s[0:1]
	s_cbranch_execnz .LBB241_75
; %bb.21:
	s_or_b64 exec, exec, s[16:17]
	s_and_saveexec_b64 s[16:17], s[2:3]
	s_cbranch_execnz .LBB241_76
.LBB241_22:
	s_or_b64 exec, exec, s[16:17]
	s_and_saveexec_b64 s[16:17], s[4:5]
	s_cbranch_execnz .LBB241_77
.LBB241_23:
	s_or_b64 exec, exec, s[16:17]
	s_and_saveexec_b64 s[16:17], s[6:7]
	s_cbranch_execnz .LBB241_78
.LBB241_24:
	s_or_b64 exec, exec, s[16:17]
	s_and_saveexec_b64 s[16:17], s[8:9]
	s_cbranch_execnz .LBB241_79
.LBB241_25:
	s_or_b64 exec, exec, s[16:17]
	s_and_saveexec_b64 s[16:17], s[10:11]
	s_cbranch_execnz .LBB241_80
.LBB241_26:
	s_or_b64 exec, exec, s[16:17]
	s_and_saveexec_b64 s[16:17], s[12:13]
	s_cbranch_execnz .LBB241_81
.LBB241_27:
	s_or_b64 exec, exec, s[16:17]
	s_xor_b64 s[16:17], s[34:35], -1
	s_and_saveexec_b64 s[18:19], s[14:15]
	s_cbranch_execz .LBB241_29
.LBB241_28:
	v_mul_lo_u32 v16, v22, s48
	v_mov_b32_e32 v17, 0
	v_lshlrev_b64 v[16:17], 3, v[16:17]
	v_mov_b32_e32 v22, s52
	v_add_co_u32_e32 v16, vcc, s49, v16
	v_addc_co_u32_e32 v17, vcc, v22, v17, vcc
	global_load_dwordx2 v[16:17], v[16:17], off
.LBB241_29:
	s_or_b64 exec, exec, s[18:19]
	v_add_lshl_u32 v55, v34, v46, 3
	v_add_lshl_u32 v45, v32, v46, 3
	;; [unrolled: 1-line block ×9, first 2 shown]
	s_waitcnt vmcnt(0)
	ds_write_b64 v55, v[2:3]
	ds_write_b64 v45, v[4:5] offset:2048
	ds_write_b64 v56, v[6:7] offset:4096
	;; [unrolled: 1-line block ×7, first 2 shown]
	s_waitcnt lgkmcnt(0)
	s_barrier
	ds_read2_b64 v[14:17], v62 offset1:1
	ds_read2_b64 v[10:13], v62 offset0:2 offset1:3
	ds_read2_b64 v[6:9], v62 offset0:4 offset1:5
	;; [unrolled: 1-line block ×3, first 2 shown]
	s_and_b64 vcc, exec, s[16:17]
	v_bfe_u32 v65, v0, 10, 10
	v_bfe_u32 v66, v0, 20, 10
	v_mbcnt_lo_u32_b32 v67, -1, 0
	v_lshlrev_b32_e32 v64, 4, v46
	s_waitcnt lgkmcnt(0)
	s_barrier
	s_cbranch_vccz .LBB241_82
; %bb.30:
	s_movk_i32 s16, 0x8000
	v_pk_ashrrev_i16 v24, 15, v18 op_sel_hi:[0,1]
	v_or_b32_e32 v25, 0xffff8000, v24
	v_or_b32_sdwa v24, v24, s16 dst_sel:DWORD dst_unused:UNUSED_PAD src0_sel:WORD_1 src1_sel:DWORD
	v_pk_ashrrev_i16 v22, 15, v19 op_sel_hi:[0,1]
	v_xor_b32_sdwa v26, v24, v18 dst_sel:DWORD dst_unused:UNUSED_PAD src0_sel:DWORD src1_sel:WORD_1
	v_pk_ashrrev_i16 v24, 15, v21 op_sel_hi:[0,1]
	v_pk_ashrrev_i16 v28, 15, v20 op_sel_hi:[0,1]
	v_mbcnt_hi_u32_b32 v76, -1, v67
	v_and_b32_e32 v40, 0x3c0, v46
	v_or_b32_e32 v23, 0xffff8000, v22
	v_or_b32_sdwa v22, v22, s16 dst_sel:DWORD dst_unused:UNUSED_PAD src0_sel:WORD_1 src1_sel:DWORD
	v_xor_b32_e32 v27, v25, v18
	v_or_b32_e32 v25, 0xffff8000, v24
	v_or_b32_e32 v29, 0xffff8000, v28
	v_or_b32_sdwa v24, v24, s16 dst_sel:DWORD dst_unused:UNUSED_PAD src0_sel:WORD_1 src1_sel:DWORD
	v_or_b32_sdwa v28, v28, s16 dst_sel:DWORD dst_unused:UNUSED_PAD src0_sel:WORD_1 src1_sel:DWORD
	v_add_u32_e32 v0, v76, v40
	v_xor_b32_sdwa v22, v22, v19 dst_sel:DWORD dst_unused:UNUSED_PAD src0_sel:DWORD src1_sel:WORD_1
	v_xor_b32_e32 v23, v23, v19
	v_xor_b32_sdwa v28, v28, v20 dst_sel:DWORD dst_unused:UNUSED_PAD src0_sel:DWORD src1_sel:WORD_1
	v_xor_b32_sdwa v24, v24, v21 dst_sel:DWORD dst_unused:UNUSED_PAD src0_sel:DWORD src1_sel:WORD_1
	v_xor_b32_e32 v29, v29, v20
	v_xor_b32_e32 v25, v25, v21
	s_mov_b32 s16, 0x5040100
	v_lshlrev_b32_e32 v1, 4, v0
	v_perm_b32 v25, v24, v25, s16
	v_perm_b32 v24, v28, v29, s16
	;; [unrolled: 1-line block ×4, first 2 shown]
	v_and_b32_e32 v82, 0x1e00, v63
	ds_write_b128 v1, v[22:25]
	v_or_b32_e32 v1, v76, v82
	v_lshlrev_b32_e32 v22, 1, v1
	v_lshlrev_b32_e32 v0, 6, v0
	; wave barrier
	ds_read_u16 v79, v22
	ds_read_u16 v78, v22 offset:128
	ds_read_u16 v77, v22 offset:256
	;; [unrolled: 1-line block ×7, first 2 shown]
	s_waitcnt lgkmcnt(0)
	s_barrier
	ds_write2_b64 v0, v[14:15], v[16:17] offset1:1
	ds_write2_b64 v0, v[10:11], v[12:13] offset0:2 offset1:3
	ds_write2_b64 v0, v[6:7], v[8:9] offset0:4 offset1:5
	;; [unrolled: 1-line block ×3, first 2 shown]
	v_lshlrev_b32_e32 v0, 3, v1
	; wave barrier
	ds_read2st64_b64 v[34:37], v0 offset1:1
	ds_read2st64_b64 v[30:33], v0 offset0:2 offset1:3
	ds_read2st64_b64 v[26:29], v0 offset0:4 offset1:5
	;; [unrolled: 1-line block ×3, first 2 shown]
	s_waitcnt lgkmcnt(0)
	s_barrier
	s_load_dword s18, s[50:51], 0xc
	s_getpc_b64 s[16:17]
	s_add_u32 s16, s16, _ZN7rocprim17ROCPRIM_400000_NS16block_radix_sortI12hip_bfloat16Lj256ELj8ElLj1ELj1ELj0ELNS0_26block_radix_rank_algorithmE1ELNS0_18block_padding_hintE2ELNS0_4arch9wavefront6targetE1EE19radix_bits_per_passE@rel32@lo+4
	s_addc_u32 s17, s17, _ZN7rocprim17ROCPRIM_400000_NS16block_radix_sortI12hip_bfloat16Lj256ELj8ElLj1ELj1ELj0ELNS0_26block_radix_rank_algorithmE1ELNS0_18block_padding_hintE2ELNS0_4arch9wavefront6targetE1EE19radix_bits_per_passE@rel32@hi+12
	s_load_dword s42, s[16:17], 0x0
	s_movk_i32 s19, 0x7fff
	v_mov_b32_e32 v41, 0xffff8000
	s_waitcnt lgkmcnt(0)
	s_lshr_b32 s16, s18, 16
	s_and_b32 s17, s18, 0xffff
	v_mad_u32_u24 v1, v66, s16, v65
	v_mad_u64_u32 v[38:39], s[16:17], v1, s17, v[46:47]
	s_min_u32 s16, s42, 16
	s_lshl_b32 s16, -1, s16
	v_cmp_ne_u16_e32 vcc, s19, v79
	s_not_b32 s18, s16
	v_cndmask_b32_e32 v1, v41, v79, vcc
	v_lshrrev_b32_e32 v68, 6, v38
	v_and_b32_sdwa v38, s18, v1 dst_sel:DWORD dst_unused:UNUSED_PAD src0_sel:DWORD src1_sel:WORD_0
	v_lshlrev_b32_e32 v1, 2, v38
	v_add_lshl_u32 v83, v68, v1, 2
	v_and_b32_e32 v1, 1, v38
	v_add_co_u32_e32 v39, vcc, -1, v1
	v_addc_co_u32_e64 v69, s[16:17], 0, -1, vcc
	v_cmp_ne_u32_e32 vcc, 0, v1
	v_xor_b32_e32 v1, vcc_hi, v69
	v_mov_b32_e32 v0, 0
	v_and_b32_e32 v69, exec_hi, v1
	v_lshlrev_b32_e32 v1, 30, v38
	v_xor_b32_e32 v39, vcc_lo, v39
	v_cmp_gt_i64_e32 vcc, 0, v[0:1]
	v_not_b32_e32 v1, v1
	v_ashrrev_i32_e32 v1, 31, v1
	v_and_b32_e32 v39, exec_lo, v39
	v_xor_b32_e32 v70, vcc_hi, v1
	v_xor_b32_e32 v1, vcc_lo, v1
	v_and_b32_e32 v39, v39, v1
	v_lshlrev_b32_e32 v1, 29, v38
	v_cmp_gt_i64_e32 vcc, 0, v[0:1]
	v_not_b32_e32 v1, v1
	v_ashrrev_i32_e32 v1, 31, v1
	v_and_b32_e32 v69, v69, v70
	v_xor_b32_e32 v70, vcc_hi, v1
	v_xor_b32_e32 v1, vcc_lo, v1
	v_and_b32_e32 v39, v39, v1
	v_lshlrev_b32_e32 v1, 28, v38
	v_cmp_gt_i64_e32 vcc, 0, v[0:1]
	v_not_b32_e32 v1, v1
	v_ashrrev_i32_e32 v1, 31, v1
	v_and_b32_e32 v69, v69, v70
	;; [unrolled: 8-line block ×5, first 2 shown]
	v_xor_b32_e32 v70, vcc_hi, v1
	v_xor_b32_e32 v1, vcc_lo, v1
	v_and_b32_e32 v69, v69, v70
	v_and_b32_e32 v70, v39, v1
	v_lshlrev_b32_e32 v1, 24, v38
	v_cmp_gt_i64_e32 vcc, 0, v[0:1]
	v_not_b32_e32 v1, v1
	v_ashrrev_i32_e32 v1, 31, v1
	v_xor_b32_e32 v38, vcc_hi, v1
	v_xor_b32_e32 v1, vcc_lo, v1
	v_and_b32_e32 v39, v69, v38
	v_and_b32_e32 v38, v70, v1
	v_mbcnt_lo_u32_b32 v1, v38, 0
	v_mbcnt_hi_u32_b32 v84, v39, v1
	v_cmp_eq_u32_e32 vcc, 0, v84
	v_cmp_ne_u64_e64 s[16:17], 0, v[38:39]
	s_and_b64 s[20:21], s[16:17], vcc
	ds_write2_b32 v64, v0, v0 offset0:4 offset1:5
	ds_write2_b32 v64, v0, v0 offset0:6 offset1:7
	s_waitcnt lgkmcnt(0)
	s_barrier
	s_waitcnt lgkmcnt(0)
	; wave barrier
	s_and_saveexec_b64 s[16:17], s[20:21]
	s_cbranch_execz .LBB241_32
; %bb.31:
	v_bcnt_u32_b32 v1, v38, 0
	v_bcnt_u32_b32 v1, v39, v1
	ds_write_b32 v83, v1 offset:16
.LBB241_32:
	s_or_b64 exec, exec, s[16:17]
	v_cmp_ne_u16_e32 vcc, s19, v78
	v_cndmask_b32_e32 v1, v41, v78, vcc
	v_and_b32_sdwa v38, s18, v1 dst_sel:DWORD dst_unused:UNUSED_PAD src0_sel:DWORD src1_sel:WORD_0
	v_lshlrev_b32_e32 v1, 2, v38
	v_add_lshl_u32 v86, v68, v1, 2
	v_and_b32_e32 v1, 1, v38
	v_add_co_u32_e32 v39, vcc, -1, v1
	v_addc_co_u32_e64 v41, s[16:17], 0, -1, vcc
	v_cmp_ne_u32_e32 vcc, 0, v1
	v_xor_b32_e32 v1, vcc_hi, v41
	v_and_b32_e32 v41, exec_hi, v1
	v_lshlrev_b32_e32 v1, 30, v38
	v_xor_b32_e32 v39, vcc_lo, v39
	v_cmp_gt_i64_e32 vcc, 0, v[0:1]
	v_not_b32_e32 v1, v1
	v_ashrrev_i32_e32 v1, 31, v1
	v_and_b32_e32 v39, exec_lo, v39
	v_xor_b32_e32 v69, vcc_hi, v1
	v_xor_b32_e32 v1, vcc_lo, v1
	v_and_b32_e32 v39, v39, v1
	v_lshlrev_b32_e32 v1, 29, v38
	v_cmp_gt_i64_e32 vcc, 0, v[0:1]
	v_not_b32_e32 v1, v1
	v_ashrrev_i32_e32 v1, 31, v1
	v_and_b32_e32 v41, v41, v69
	v_xor_b32_e32 v69, vcc_hi, v1
	v_xor_b32_e32 v1, vcc_lo, v1
	v_and_b32_e32 v39, v39, v1
	v_lshlrev_b32_e32 v1, 28, v38
	v_cmp_gt_i64_e32 vcc, 0, v[0:1]
	v_not_b32_e32 v1, v1
	v_ashrrev_i32_e32 v1, 31, v1
	v_and_b32_e32 v41, v41, v69
	;; [unrolled: 8-line block ×5, first 2 shown]
	v_xor_b32_e32 v69, vcc_hi, v1
	v_xor_b32_e32 v1, vcc_lo, v1
	v_and_b32_e32 v39, v39, v1
	v_lshlrev_b32_e32 v1, 24, v38
	v_cmp_gt_i64_e32 vcc, 0, v[0:1]
	v_not_b32_e32 v0, v1
	v_ashrrev_i32_e32 v0, 31, v0
	v_xor_b32_e32 v1, vcc_hi, v0
	v_xor_b32_e32 v0, vcc_lo, v0
	; wave barrier
	ds_read_b32 v85, v86 offset:16
	v_and_b32_e32 v41, v41, v69
	v_and_b32_e32 v0, v39, v0
	;; [unrolled: 1-line block ×3, first 2 shown]
	v_mbcnt_lo_u32_b32 v38, v0, 0
	v_mbcnt_hi_u32_b32 v87, v1, v38
	v_cmp_eq_u32_e32 vcc, 0, v87
	v_cmp_ne_u64_e64 s[16:17], 0, v[0:1]
	s_and_b64 s[20:21], s[16:17], vcc
	; wave barrier
	s_and_saveexec_b64 s[16:17], s[20:21]
	s_cbranch_execz .LBB241_34
; %bb.33:
	v_bcnt_u32_b32 v0, v0, 0
	v_bcnt_u32_b32 v0, v1, v0
	s_waitcnt lgkmcnt(0)
	v_add_u32_e32 v0, v85, v0
	ds_write_b32 v86, v0 offset:16
.LBB241_34:
	s_or_b64 exec, exec, s[16:17]
	v_mov_b32_e32 v41, 0xffff8000
	v_cmp_ne_u16_e32 vcc, s19, v77
	v_cndmask_b32_e32 v0, v41, v77, vcc
	v_and_b32_sdwa v38, s18, v0 dst_sel:DWORD dst_unused:UNUSED_PAD src0_sel:DWORD src1_sel:WORD_0
	v_and_b32_e32 v1, 1, v38
	v_add_co_u32_e32 v39, vcc, -1, v1
	v_addc_co_u32_e64 v69, s[16:17], 0, -1, vcc
	v_cmp_ne_u32_e32 vcc, 0, v1
	v_lshlrev_b32_e32 v0, 2, v38
	v_xor_b32_e32 v1, vcc_hi, v69
	v_add_lshl_u32 v89, v68, v0, 2
	v_mov_b32_e32 v0, 0
	v_and_b32_e32 v69, exec_hi, v1
	v_lshlrev_b32_e32 v1, 30, v38
	v_xor_b32_e32 v39, vcc_lo, v39
	v_cmp_gt_i64_e32 vcc, 0, v[0:1]
	v_not_b32_e32 v1, v1
	v_ashrrev_i32_e32 v1, 31, v1
	v_and_b32_e32 v39, exec_lo, v39
	v_xor_b32_e32 v70, vcc_hi, v1
	v_xor_b32_e32 v1, vcc_lo, v1
	v_and_b32_e32 v39, v39, v1
	v_lshlrev_b32_e32 v1, 29, v38
	v_cmp_gt_i64_e32 vcc, 0, v[0:1]
	v_not_b32_e32 v1, v1
	v_ashrrev_i32_e32 v1, 31, v1
	v_and_b32_e32 v69, v69, v70
	v_xor_b32_e32 v70, vcc_hi, v1
	v_xor_b32_e32 v1, vcc_lo, v1
	v_and_b32_e32 v39, v39, v1
	v_lshlrev_b32_e32 v1, 28, v38
	v_cmp_gt_i64_e32 vcc, 0, v[0:1]
	v_not_b32_e32 v1, v1
	v_ashrrev_i32_e32 v1, 31, v1
	v_and_b32_e32 v69, v69, v70
	;; [unrolled: 8-line block ×5, first 2 shown]
	v_xor_b32_e32 v70, vcc_hi, v1
	v_xor_b32_e32 v1, vcc_lo, v1
	v_and_b32_e32 v69, v69, v70
	v_and_b32_e32 v70, v39, v1
	v_lshlrev_b32_e32 v1, 24, v38
	v_cmp_gt_i64_e32 vcc, 0, v[0:1]
	v_not_b32_e32 v1, v1
	v_ashrrev_i32_e32 v1, 31, v1
	v_xor_b32_e32 v38, vcc_hi, v1
	v_xor_b32_e32 v1, vcc_lo, v1
	; wave barrier
	ds_read_b32 v88, v89 offset:16
	v_and_b32_e32 v39, v69, v38
	v_and_b32_e32 v38, v70, v1
	v_mbcnt_lo_u32_b32 v1, v38, 0
	v_mbcnt_hi_u32_b32 v90, v39, v1
	v_cmp_eq_u32_e32 vcc, 0, v90
	v_cmp_ne_u64_e64 s[16:17], 0, v[38:39]
	s_and_b64 s[20:21], s[16:17], vcc
	; wave barrier
	s_and_saveexec_b64 s[16:17], s[20:21]
	s_cbranch_execz .LBB241_36
; %bb.35:
	v_bcnt_u32_b32 v1, v38, 0
	v_bcnt_u32_b32 v1, v39, v1
	s_waitcnt lgkmcnt(0)
	v_add_u32_e32 v1, v88, v1
	ds_write_b32 v89, v1 offset:16
.LBB241_36:
	s_or_b64 exec, exec, s[16:17]
	v_cmp_ne_u16_e32 vcc, s19, v75
	v_cndmask_b32_e32 v1, v41, v75, vcc
	v_and_b32_sdwa v38, s18, v1 dst_sel:DWORD dst_unused:UNUSED_PAD src0_sel:DWORD src1_sel:WORD_0
	v_lshlrev_b32_e32 v1, 2, v38
	v_add_lshl_u32 v92, v68, v1, 2
	v_and_b32_e32 v1, 1, v38
	v_add_co_u32_e32 v39, vcc, -1, v1
	v_addc_co_u32_e64 v41, s[16:17], 0, -1, vcc
	v_cmp_ne_u32_e32 vcc, 0, v1
	v_xor_b32_e32 v1, vcc_hi, v41
	v_and_b32_e32 v41, exec_hi, v1
	v_lshlrev_b32_e32 v1, 30, v38
	v_xor_b32_e32 v39, vcc_lo, v39
	v_cmp_gt_i64_e32 vcc, 0, v[0:1]
	v_not_b32_e32 v1, v1
	v_ashrrev_i32_e32 v1, 31, v1
	v_and_b32_e32 v39, exec_lo, v39
	v_xor_b32_e32 v69, vcc_hi, v1
	v_xor_b32_e32 v1, vcc_lo, v1
	v_and_b32_e32 v39, v39, v1
	v_lshlrev_b32_e32 v1, 29, v38
	v_cmp_gt_i64_e32 vcc, 0, v[0:1]
	v_not_b32_e32 v1, v1
	v_ashrrev_i32_e32 v1, 31, v1
	v_and_b32_e32 v41, v41, v69
	v_xor_b32_e32 v69, vcc_hi, v1
	v_xor_b32_e32 v1, vcc_lo, v1
	v_and_b32_e32 v39, v39, v1
	v_lshlrev_b32_e32 v1, 28, v38
	v_cmp_gt_i64_e32 vcc, 0, v[0:1]
	v_not_b32_e32 v1, v1
	v_ashrrev_i32_e32 v1, 31, v1
	v_and_b32_e32 v41, v41, v69
	;; [unrolled: 8-line block ×5, first 2 shown]
	v_xor_b32_e32 v69, vcc_hi, v1
	v_xor_b32_e32 v1, vcc_lo, v1
	v_and_b32_e32 v39, v39, v1
	v_lshlrev_b32_e32 v1, 24, v38
	v_cmp_gt_i64_e32 vcc, 0, v[0:1]
	v_not_b32_e32 v0, v1
	v_ashrrev_i32_e32 v0, 31, v0
	v_xor_b32_e32 v1, vcc_hi, v0
	v_xor_b32_e32 v0, vcc_lo, v0
	; wave barrier
	ds_read_b32 v91, v92 offset:16
	v_and_b32_e32 v41, v41, v69
	v_and_b32_e32 v0, v39, v0
	;; [unrolled: 1-line block ×3, first 2 shown]
	v_mbcnt_lo_u32_b32 v38, v0, 0
	v_mbcnt_hi_u32_b32 v93, v1, v38
	v_cmp_eq_u32_e32 vcc, 0, v93
	v_cmp_ne_u64_e64 s[16:17], 0, v[0:1]
	s_and_b64 s[20:21], s[16:17], vcc
	; wave barrier
	s_and_saveexec_b64 s[16:17], s[20:21]
	s_cbranch_execz .LBB241_38
; %bb.37:
	v_bcnt_u32_b32 v0, v0, 0
	v_bcnt_u32_b32 v0, v1, v0
	s_waitcnt lgkmcnt(0)
	v_add_u32_e32 v0, v91, v0
	ds_write_b32 v92, v0 offset:16
.LBB241_38:
	s_or_b64 exec, exec, s[16:17]
	v_mov_b32_e32 v41, 0xffff8000
	v_cmp_ne_u16_e32 vcc, s19, v74
	v_cndmask_b32_e32 v0, v41, v74, vcc
	v_and_b32_sdwa v38, s18, v0 dst_sel:DWORD dst_unused:UNUSED_PAD src0_sel:DWORD src1_sel:WORD_0
	v_and_b32_e32 v1, 1, v38
	v_add_co_u32_e32 v39, vcc, -1, v1
	v_addc_co_u32_e64 v69, s[16:17], 0, -1, vcc
	v_cmp_ne_u32_e32 vcc, 0, v1
	v_lshlrev_b32_e32 v0, 2, v38
	v_xor_b32_e32 v1, vcc_hi, v69
	v_add_lshl_u32 v95, v68, v0, 2
	v_mov_b32_e32 v0, 0
	v_and_b32_e32 v69, exec_hi, v1
	v_lshlrev_b32_e32 v1, 30, v38
	v_xor_b32_e32 v39, vcc_lo, v39
	v_cmp_gt_i64_e32 vcc, 0, v[0:1]
	v_not_b32_e32 v1, v1
	v_ashrrev_i32_e32 v1, 31, v1
	v_and_b32_e32 v39, exec_lo, v39
	v_xor_b32_e32 v70, vcc_hi, v1
	v_xor_b32_e32 v1, vcc_lo, v1
	v_and_b32_e32 v39, v39, v1
	v_lshlrev_b32_e32 v1, 29, v38
	v_cmp_gt_i64_e32 vcc, 0, v[0:1]
	v_not_b32_e32 v1, v1
	v_ashrrev_i32_e32 v1, 31, v1
	v_and_b32_e32 v69, v69, v70
	v_xor_b32_e32 v70, vcc_hi, v1
	v_xor_b32_e32 v1, vcc_lo, v1
	v_and_b32_e32 v39, v39, v1
	v_lshlrev_b32_e32 v1, 28, v38
	v_cmp_gt_i64_e32 vcc, 0, v[0:1]
	v_not_b32_e32 v1, v1
	v_ashrrev_i32_e32 v1, 31, v1
	v_and_b32_e32 v69, v69, v70
	;; [unrolled: 8-line block ×5, first 2 shown]
	v_xor_b32_e32 v70, vcc_hi, v1
	v_xor_b32_e32 v1, vcc_lo, v1
	v_and_b32_e32 v69, v69, v70
	v_and_b32_e32 v70, v39, v1
	v_lshlrev_b32_e32 v1, 24, v38
	v_cmp_gt_i64_e32 vcc, 0, v[0:1]
	v_not_b32_e32 v1, v1
	v_ashrrev_i32_e32 v1, 31, v1
	v_xor_b32_e32 v38, vcc_hi, v1
	v_xor_b32_e32 v1, vcc_lo, v1
	; wave barrier
	ds_read_b32 v94, v95 offset:16
	v_and_b32_e32 v39, v69, v38
	v_and_b32_e32 v38, v70, v1
	v_mbcnt_lo_u32_b32 v1, v38, 0
	v_mbcnt_hi_u32_b32 v96, v39, v1
	v_cmp_eq_u32_e32 vcc, 0, v96
	v_cmp_ne_u64_e64 s[16:17], 0, v[38:39]
	s_and_b64 s[20:21], s[16:17], vcc
	; wave barrier
	s_and_saveexec_b64 s[16:17], s[20:21]
	s_cbranch_execz .LBB241_40
; %bb.39:
	v_bcnt_u32_b32 v1, v38, 0
	v_bcnt_u32_b32 v1, v39, v1
	s_waitcnt lgkmcnt(0)
	v_add_u32_e32 v1, v94, v1
	ds_write_b32 v95, v1 offset:16
.LBB241_40:
	s_or_b64 exec, exec, s[16:17]
	v_cmp_ne_u16_e32 vcc, s19, v73
	v_cndmask_b32_e32 v1, v41, v73, vcc
	v_and_b32_sdwa v38, s18, v1 dst_sel:DWORD dst_unused:UNUSED_PAD src0_sel:DWORD src1_sel:WORD_0
	v_lshlrev_b32_e32 v1, 2, v38
	v_add_lshl_u32 v98, v68, v1, 2
	v_and_b32_e32 v1, 1, v38
	v_add_co_u32_e32 v39, vcc, -1, v1
	v_addc_co_u32_e64 v41, s[16:17], 0, -1, vcc
	v_cmp_ne_u32_e32 vcc, 0, v1
	v_xor_b32_e32 v1, vcc_hi, v41
	v_and_b32_e32 v41, exec_hi, v1
	v_lshlrev_b32_e32 v1, 30, v38
	v_xor_b32_e32 v39, vcc_lo, v39
	v_cmp_gt_i64_e32 vcc, 0, v[0:1]
	v_not_b32_e32 v1, v1
	v_ashrrev_i32_e32 v1, 31, v1
	v_and_b32_e32 v39, exec_lo, v39
	v_xor_b32_e32 v69, vcc_hi, v1
	v_xor_b32_e32 v1, vcc_lo, v1
	v_and_b32_e32 v39, v39, v1
	v_lshlrev_b32_e32 v1, 29, v38
	v_cmp_gt_i64_e32 vcc, 0, v[0:1]
	v_not_b32_e32 v1, v1
	v_ashrrev_i32_e32 v1, 31, v1
	v_and_b32_e32 v41, v41, v69
	v_xor_b32_e32 v69, vcc_hi, v1
	v_xor_b32_e32 v1, vcc_lo, v1
	v_and_b32_e32 v39, v39, v1
	v_lshlrev_b32_e32 v1, 28, v38
	v_cmp_gt_i64_e32 vcc, 0, v[0:1]
	v_not_b32_e32 v1, v1
	v_ashrrev_i32_e32 v1, 31, v1
	v_and_b32_e32 v41, v41, v69
	;; [unrolled: 8-line block ×5, first 2 shown]
	v_xor_b32_e32 v69, vcc_hi, v1
	v_xor_b32_e32 v1, vcc_lo, v1
	v_and_b32_e32 v39, v39, v1
	v_lshlrev_b32_e32 v1, 24, v38
	v_cmp_gt_i64_e32 vcc, 0, v[0:1]
	v_not_b32_e32 v0, v1
	v_ashrrev_i32_e32 v0, 31, v0
	v_xor_b32_e32 v1, vcc_hi, v0
	v_xor_b32_e32 v0, vcc_lo, v0
	; wave barrier
	ds_read_b32 v97, v98 offset:16
	v_and_b32_e32 v41, v41, v69
	v_and_b32_e32 v0, v39, v0
	v_and_b32_e32 v1, v41, v1
	v_mbcnt_lo_u32_b32 v38, v0, 0
	v_mbcnt_hi_u32_b32 v99, v1, v38
	v_cmp_eq_u32_e32 vcc, 0, v99
	v_cmp_ne_u64_e64 s[16:17], 0, v[0:1]
	s_and_b64 s[20:21], s[16:17], vcc
	; wave barrier
	s_and_saveexec_b64 s[16:17], s[20:21]
	s_cbranch_execz .LBB241_42
; %bb.41:
	v_bcnt_u32_b32 v0, v0, 0
	v_bcnt_u32_b32 v0, v1, v0
	s_waitcnt lgkmcnt(0)
	v_add_u32_e32 v0, v97, v0
	ds_write_b32 v98, v0 offset:16
.LBB241_42:
	s_or_b64 exec, exec, s[16:17]
	v_mov_b32_e32 v41, 0xffff8000
	v_cmp_ne_u16_e32 vcc, s19, v72
	v_cndmask_b32_e32 v0, v41, v72, vcc
	v_and_b32_sdwa v38, s18, v0 dst_sel:DWORD dst_unused:UNUSED_PAD src0_sel:DWORD src1_sel:WORD_0
	v_and_b32_e32 v1, 1, v38
	v_add_co_u32_e32 v39, vcc, -1, v1
	v_addc_co_u32_e64 v69, s[16:17], 0, -1, vcc
	v_cmp_ne_u32_e32 vcc, 0, v1
	v_lshlrev_b32_e32 v0, 2, v38
	v_xor_b32_e32 v1, vcc_hi, v69
	v_add_lshl_u32 v101, v68, v0, 2
	v_mov_b32_e32 v0, 0
	v_and_b32_e32 v69, exec_hi, v1
	v_lshlrev_b32_e32 v1, 30, v38
	v_xor_b32_e32 v39, vcc_lo, v39
	v_cmp_gt_i64_e32 vcc, 0, v[0:1]
	v_not_b32_e32 v1, v1
	v_ashrrev_i32_e32 v1, 31, v1
	v_and_b32_e32 v39, exec_lo, v39
	v_xor_b32_e32 v70, vcc_hi, v1
	v_xor_b32_e32 v1, vcc_lo, v1
	v_and_b32_e32 v39, v39, v1
	v_lshlrev_b32_e32 v1, 29, v38
	v_cmp_gt_i64_e32 vcc, 0, v[0:1]
	v_not_b32_e32 v1, v1
	v_ashrrev_i32_e32 v1, 31, v1
	v_and_b32_e32 v69, v69, v70
	v_xor_b32_e32 v70, vcc_hi, v1
	v_xor_b32_e32 v1, vcc_lo, v1
	v_and_b32_e32 v39, v39, v1
	v_lshlrev_b32_e32 v1, 28, v38
	v_cmp_gt_i64_e32 vcc, 0, v[0:1]
	v_not_b32_e32 v1, v1
	v_ashrrev_i32_e32 v1, 31, v1
	v_and_b32_e32 v69, v69, v70
	;; [unrolled: 8-line block ×5, first 2 shown]
	v_xor_b32_e32 v70, vcc_hi, v1
	v_xor_b32_e32 v1, vcc_lo, v1
	v_and_b32_e32 v69, v69, v70
	v_and_b32_e32 v70, v39, v1
	v_lshlrev_b32_e32 v1, 24, v38
	v_cmp_gt_i64_e32 vcc, 0, v[0:1]
	v_not_b32_e32 v1, v1
	v_ashrrev_i32_e32 v1, 31, v1
	v_xor_b32_e32 v38, vcc_hi, v1
	v_xor_b32_e32 v1, vcc_lo, v1
	; wave barrier
	ds_read_b32 v100, v101 offset:16
	v_and_b32_e32 v39, v69, v38
	v_and_b32_e32 v38, v70, v1
	v_mbcnt_lo_u32_b32 v1, v38, 0
	v_mbcnt_hi_u32_b32 v102, v39, v1
	v_cmp_eq_u32_e32 vcc, 0, v102
	v_cmp_ne_u64_e64 s[16:17], 0, v[38:39]
	s_and_b64 s[20:21], s[16:17], vcc
	; wave barrier
	s_and_saveexec_b64 s[16:17], s[20:21]
	s_cbranch_execz .LBB241_44
; %bb.43:
	v_bcnt_u32_b32 v1, v38, 0
	v_bcnt_u32_b32 v1, v39, v1
	s_waitcnt lgkmcnt(0)
	v_add_u32_e32 v1, v100, v1
	ds_write_b32 v101, v1 offset:16
.LBB241_44:
	s_or_b64 exec, exec, s[16:17]
	v_cmp_ne_u16_e32 vcc, s19, v71
	v_cndmask_b32_e32 v1, v41, v71, vcc
	v_and_b32_sdwa v38, s18, v1 dst_sel:DWORD dst_unused:UNUSED_PAD src0_sel:DWORD src1_sel:WORD_0
	v_lshlrev_b32_e32 v1, 2, v38
	v_add_lshl_u32 v104, v68, v1, 2
	v_and_b32_e32 v1, 1, v38
	v_add_co_u32_e32 v39, vcc, -1, v1
	v_min_u32_e32 v80, 0xc0, v40
	v_addc_co_u32_e64 v40, s[16:17], 0, -1, vcc
	v_cmp_ne_u32_e32 vcc, 0, v1
	v_xor_b32_e32 v1, vcc_hi, v40
	v_and_b32_e32 v40, exec_hi, v1
	v_lshlrev_b32_e32 v1, 30, v38
	v_xor_b32_e32 v39, vcc_lo, v39
	v_cmp_gt_i64_e32 vcc, 0, v[0:1]
	v_not_b32_e32 v1, v1
	v_ashrrev_i32_e32 v1, 31, v1
	v_and_b32_e32 v39, exec_lo, v39
	v_xor_b32_e32 v41, vcc_hi, v1
	v_xor_b32_e32 v1, vcc_lo, v1
	v_and_b32_e32 v39, v39, v1
	v_lshlrev_b32_e32 v1, 29, v38
	v_cmp_gt_i64_e32 vcc, 0, v[0:1]
	v_not_b32_e32 v1, v1
	v_ashrrev_i32_e32 v1, 31, v1
	v_and_b32_e32 v40, v40, v41
	v_xor_b32_e32 v41, vcc_hi, v1
	v_xor_b32_e32 v1, vcc_lo, v1
	v_and_b32_e32 v39, v39, v1
	v_lshlrev_b32_e32 v1, 28, v38
	v_cmp_gt_i64_e32 vcc, 0, v[0:1]
	v_not_b32_e32 v1, v1
	v_ashrrev_i32_e32 v1, 31, v1
	v_and_b32_e32 v40, v40, v41
	;; [unrolled: 8-line block ×5, first 2 shown]
	v_xor_b32_e32 v41, vcc_hi, v1
	v_xor_b32_e32 v1, vcc_lo, v1
	v_and_b32_e32 v39, v39, v1
	v_lshlrev_b32_e32 v1, 24, v38
	v_cmp_gt_i64_e32 vcc, 0, v[0:1]
	v_not_b32_e32 v0, v1
	v_ashrrev_i32_e32 v0, 31, v0
	v_xor_b32_e32 v1, vcc_hi, v0
	v_xor_b32_e32 v0, vcc_lo, v0
	; wave barrier
	ds_read_b32 v103, v104 offset:16
	v_and_b32_e32 v40, v40, v41
	v_and_b32_e32 v0, v39, v0
	;; [unrolled: 1-line block ×3, first 2 shown]
	v_mbcnt_lo_u32_b32 v38, v0, 0
	v_mbcnt_hi_u32_b32 v105, v1, v38
	v_cmp_eq_u32_e32 vcc, 0, v105
	v_cmp_ne_u64_e64 s[16:17], 0, v[0:1]
	v_add_u32_e32 v69, 16, v64
	v_lshrrev_b32_e32 v70, 6, v46
	s_and_b64 s[18:19], s[16:17], vcc
	; wave barrier
	s_and_saveexec_b64 s[16:17], s[18:19]
	s_cbranch_execz .LBB241_46
; %bb.45:
	v_bcnt_u32_b32 v0, v0, 0
	v_bcnt_u32_b32 v0, v1, v0
	s_waitcnt lgkmcnt(0)
	v_add_u32_e32 v0, v103, v0
	ds_write_b32 v104, v0 offset:16
.LBB241_46:
	s_or_b64 exec, exec, s[16:17]
	; wave barrier
	s_waitcnt lgkmcnt(0)
	s_barrier
	ds_read2_b32 v[38:39], v64 offset0:4 offset1:5
	ds_read2_b32 v[40:41], v69 offset0:2 offset1:3
	v_and_b32_e32 v1, 16, v76
	v_cmp_eq_u32_e32 vcc, 0, v1
	v_or_b32_e32 v1, 63, v80
	v_cmp_eq_u32_e64 s[16:17], v1, v46
	s_waitcnt lgkmcnt(1)
	v_add_u32_e32 v1, v39, v38
	v_and_b32_e32 v0, 15, v76
	s_waitcnt lgkmcnt(0)
	v_add3_u32 v1, v1, v40, v41
	v_cmp_eq_u32_e64 s[22:23], 0, v0
	v_cmp_lt_u32_e64 s[24:25], 1, v0
	v_mov_b32_dpp v41, v1 row_shr:1 row_mask:0xf bank_mask:0xf
	v_cndmask_b32_e64 v41, v41, 0, s[22:23]
	v_add_u32_e32 v1, v41, v1
	v_cmp_lt_u32_e64 s[28:29], 3, v0
	v_cmp_lt_u32_e64 s[30:31], 7, v0
	v_mov_b32_dpp v41, v1 row_shr:2 row_mask:0xf bank_mask:0xf
	v_cndmask_b32_e64 v41, 0, v41, s[24:25]
	v_add_u32_e32 v1, v1, v41
	v_bfe_i32 v81, v76, 4, 1
	v_cmp_lt_u32_e64 s[34:35], 31, v76
	v_mov_b32_dpp v41, v1 row_shr:4 row_mask:0xf bank_mask:0xf
	v_cndmask_b32_e64 v41, 0, v41, s[28:29]
	v_add_u32_e32 v1, v1, v41
	v_lshlrev_b32_e32 v70, 2, v70
	s_nop 0
	v_mov_b32_dpp v41, v1 row_shr:8 row_mask:0xf bank_mask:0xf
	v_cndmask_b32_e64 v0, 0, v41, s[30:31]
	v_add_u32_e32 v0, v1, v0
	s_nop 1
	v_mov_b32_dpp v1, v0 row_bcast:15 row_mask:0xf bank_mask:0xf
	v_and_b32_e32 v1, v81, v1
	v_add_u32_e32 v0, v0, v1
	s_nop 1
	v_mov_b32_dpp v1, v0 row_bcast:31 row_mask:0xf bank_mask:0xf
	v_cndmask_b32_e64 v1, 0, v1, s[34:35]
	v_add_u32_e32 v1, v0, v1
	s_and_saveexec_b64 s[18:19], s[16:17]
	s_cbranch_execz .LBB241_48
; %bb.47:
	ds_write_b32 v70, v1
.LBB241_48:
	s_or_b64 exec, exec, s[18:19]
	v_and_b32_e32 v0, 3, v76
	v_cmp_gt_u32_e64 s[26:27], 4, v46
	v_lshlrev_b32_e32 v41, 2, v46
	v_cmp_eq_u32_e64 s[20:21], 0, v0
	v_cmp_lt_u32_e64 s[18:19], 1, v0
	s_waitcnt lgkmcnt(0)
	s_barrier
	s_and_saveexec_b64 s[36:37], s[26:27]
	s_cbranch_execz .LBB241_50
; %bb.49:
	ds_read_b32 v0, v41
	s_waitcnt lgkmcnt(0)
	s_nop 0
	v_mov_b32_dpp v80, v0 row_shr:1 row_mask:0xf bank_mask:0xf
	v_cndmask_b32_e64 v80, v80, 0, s[20:21]
	v_add_u32_e32 v0, v80, v0
	s_nop 1
	v_mov_b32_dpp v80, v0 row_shr:2 row_mask:0xf bank_mask:0xf
	v_cndmask_b32_e64 v80, 0, v80, s[18:19]
	v_add_u32_e32 v0, v0, v80
	ds_write_b32 v41, v0
.LBB241_50:
	s_or_b64 exec, exec, s[36:37]
	v_cmp_lt_u32_e64 s[36:37], 63, v46
	v_add_u32_e32 v80, -4, v70
	v_mov_b32_e32 v0, 0
	v_mov_b32_e32 v106, 0
	s_waitcnt lgkmcnt(0)
	s_barrier
	s_and_saveexec_b64 s[38:39], s[36:37]
	s_cbranch_execz .LBB241_52
; %bb.51:
	ds_read_b32 v106, v80
.LBB241_52:
	s_or_b64 exec, exec, s[38:39]
	v_add_u32_e32 v81, -1, v76
	v_and_b32_e32 v107, 64, v76
	v_cmp_lt_i32_e64 s[38:39], v81, v107
	v_cndmask_b32_e64 v81, v81, v76, s[38:39]
	v_lshlrev_b32_e32 v81, 2, v81
	s_waitcnt lgkmcnt(0)
	v_add_u32_e32 v1, v106, v1
	ds_bpermute_b32 v1, v81, v1
	v_cmp_eq_u32_e64 s[38:39], 0, v76
	v_cmp_eq_u32_e64 s[40:41], 0, v46
	v_and_or_b32 v82, v76, 63, v82
	v_lshlrev_b32_e32 v107, 1, v82
	s_waitcnt lgkmcnt(0)
	v_cndmask_b32_e64 v1, v1, v106, s[38:39]
	v_cndmask_b32_e64 v1, v1, 0, s[40:41]
	v_add_u32_e32 v38, v1, v38
	v_add_u32_e32 v39, v38, v39
	;; [unrolled: 1-line block ×3, first 2 shown]
	ds_write2_b32 v64, v1, v38 offset0:4 offset1:5
	ds_write2_b32 v69, v39, v40 offset0:2 offset1:3
	s_waitcnt lgkmcnt(0)
	s_barrier
	ds_read_b32 v1, v83 offset:16
	ds_read_b32 v38, v86 offset:16
	;; [unrolled: 1-line block ×8, first 2 shown]
	s_waitcnt lgkmcnt(7)
	v_add_u32_e32 v1, v1, v84
	s_waitcnt lgkmcnt(6)
	v_add3_u32 v38, v87, v85, v38
	s_waitcnt lgkmcnt(4)
	v_add3_u32 v84, v93, v91, v40
	v_lshlrev_b32_e32 v40, 1, v1
	v_add3_u32 v39, v90, v88, v39
	s_waitcnt lgkmcnt(0)
	s_barrier
	ds_write_b16 v40, v79
	v_lshlrev_b32_e32 v40, 1, v38
	ds_write_b16 v40, v78
	v_lshlrev_b32_e32 v40, 1, v39
	v_add3_u32 v85, v96, v94, v76
	ds_write_b16 v40, v77
	v_lshlrev_b32_e32 v40, 1, v84
	v_add3_u32 v83, v99, v97, v83
	;; [unrolled: 3-line block ×4, first 2 shown]
	ds_write_b16 v40, v73
	v_lshlrev_b32_e32 v40, 1, v86
	ds_write_b16 v40, v72
	v_lshlrev_b32_e32 v40, 1, v87
	v_lshlrev_b32_e32 v1, 3, v1
	ds_write_b16 v40, v71
	s_waitcnt lgkmcnt(0)
	s_barrier
	ds_read_u16 v77, v107
	ds_read_u16 v76, v107 offset:128
	ds_read_u16 v75, v107 offset:256
	;; [unrolled: 1-line block ×7, first 2 shown]
	s_waitcnt lgkmcnt(0)
	s_barrier
	ds_write_b64 v1, v[34:35]
	v_lshlrev_b32_e32 v1, 3, v38
	ds_write_b64 v1, v[36:37]
	v_lshlrev_b32_e32 v1, 3, v39
	;; [unrolled: 2-line block ×6, first 2 shown]
	s_min_u32 s42, s42, 8
	ds_write_b64 v1, v[22:23]
	v_lshlrev_b32_e32 v1, 3, v87
	s_lshl_b32 s42, -1, s42
	s_movk_i32 s54, 0x7fff
	ds_write_b64 v1, v[24:25]
	s_not_b32 s53, s42
	v_lshrrev_b16_e32 v1, 8, v77
	v_mov_b32_e32 v38, 0x80
	v_cmp_ne_u16_e64 s[42:43], s54, v77
	v_cndmask_b32_e64 v1, v38, v1, s[42:43]
	v_and_b32_sdwa v39, v1, s53 dst_sel:DWORD dst_unused:UNUSED_PAD src0_sel:WORD_0 src1_sel:DWORD
	v_lshlrev_b32_e32 v1, 2, v39
	v_add_lshl_u32 v78, v1, v68, 2
	v_and_b32_e32 v1, 1, v39
	v_lshlrev_b32_e32 v82, 3, v82
	v_add_co_u32_e64 v79, s[42:43], -1, v1
	s_waitcnt lgkmcnt(0)
	s_barrier
	ds_read2st64_b64 v[34:37], v82 offset1:1
	ds_read2st64_b64 v[30:33], v82 offset0:2 offset1:3
	ds_read2st64_b64 v[26:29], v82 offset0:4 offset1:5
	;; [unrolled: 1-line block ×3, first 2 shown]
	v_addc_co_u32_e64 v82, s[42:43], 0, -1, s[42:43]
	v_cmp_ne_u32_e64 s[42:43], 0, v1
	v_xor_b32_e32 v1, s43, v82
	v_and_b32_e32 v82, exec_hi, v1
	v_lshlrev_b32_e32 v1, 30, v39
	v_xor_b32_e32 v79, s42, v79
	v_cmp_gt_i64_e64 s[42:43], 0, v[0:1]
	v_not_b32_e32 v1, v1
	v_ashrrev_i32_e32 v1, 31, v1
	v_and_b32_e32 v79, exec_lo, v79
	v_xor_b32_e32 v83, s43, v1
	v_xor_b32_e32 v1, s42, v1
	v_and_b32_e32 v79, v79, v1
	v_lshlrev_b32_e32 v1, 29, v39
	v_cmp_gt_i64_e64 s[42:43], 0, v[0:1]
	v_not_b32_e32 v1, v1
	v_ashrrev_i32_e32 v1, 31, v1
	v_and_b32_e32 v82, v82, v83
	v_xor_b32_e32 v83, s43, v1
	v_xor_b32_e32 v1, s42, v1
	v_and_b32_e32 v79, v79, v1
	v_lshlrev_b32_e32 v1, 28, v39
	v_cmp_gt_i64_e64 s[42:43], 0, v[0:1]
	v_not_b32_e32 v1, v1
	v_ashrrev_i32_e32 v1, 31, v1
	v_and_b32_e32 v82, v82, v83
	;; [unrolled: 8-line block ×5, first 2 shown]
	v_xor_b32_e32 v83, s43, v1
	v_xor_b32_e32 v1, s42, v1
	v_and_b32_e32 v79, v79, v1
	v_lshlrev_b32_e32 v1, 24, v39
	s_waitcnt lgkmcnt(0)
	s_barrier
	ds_write2_b32 v64, v0, v0 offset0:4 offset1:5
	ds_write2_b32 v69, v0, v0 offset0:2 offset1:3
	v_cmp_gt_i64_e64 s[42:43], 0, v[0:1]
	v_not_b32_e32 v0, v1
	v_ashrrev_i32_e32 v0, 31, v0
	v_xor_b32_e32 v1, s43, v0
	v_xor_b32_e32 v0, s42, v0
	v_and_b32_e32 v82, v82, v83
	v_and_b32_e32 v0, v79, v0
	;; [unrolled: 1-line block ×3, first 2 shown]
	v_mbcnt_lo_u32_b32 v39, v0, 0
	v_mbcnt_hi_u32_b32 v79, v1, v39
	v_cmp_eq_u32_e64 s[42:43], 0, v79
	v_cmp_ne_u64_e64 s[44:45], 0, v[0:1]
	s_and_b64 s[44:45], s[44:45], s[42:43]
	s_waitcnt lgkmcnt(0)
	s_barrier
	s_waitcnt lgkmcnt(0)
	; wave barrier
	s_and_saveexec_b64 s[42:43], s[44:45]
	s_cbranch_execz .LBB241_54
; %bb.53:
	v_bcnt_u32_b32 v0, v0, 0
	v_bcnt_u32_b32 v0, v1, v0
	ds_write_b32 v78, v0 offset:16
.LBB241_54:
	s_or_b64 exec, exec, s[42:43]
	v_lshrrev_b16_e32 v0, 8, v76
	v_cmp_ne_u16_e64 s[42:43], s54, v76
	v_cndmask_b32_e64 v0, v38, v0, s[42:43]
	v_and_b32_e32 v38, s53, v0
	v_and_b32_e32 v1, 1, v38
	v_add_co_u32_e64 v39, s[42:43], -1, v1
	v_addc_co_u32_e64 v84, s[42:43], 0, -1, s[42:43]
	v_cmp_ne_u32_e64 s[42:43], 0, v1
	v_lshlrev_b32_e32 v0, 2, v38
	v_xor_b32_e32 v1, s43, v84
	v_add_lshl_u32 v83, v0, v68, 2
	v_mov_b32_e32 v0, 0
	v_and_b32_e32 v84, exec_hi, v1
	v_lshlrev_b32_e32 v1, 30, v38
	v_xor_b32_e32 v39, s42, v39
	v_cmp_gt_i64_e64 s[42:43], 0, v[0:1]
	v_not_b32_e32 v1, v1
	v_ashrrev_i32_e32 v1, 31, v1
	v_and_b32_e32 v39, exec_lo, v39
	v_xor_b32_e32 v85, s43, v1
	v_xor_b32_e32 v1, s42, v1
	v_and_b32_e32 v39, v39, v1
	v_lshlrev_b32_e32 v1, 29, v38
	v_cmp_gt_i64_e64 s[42:43], 0, v[0:1]
	v_not_b32_e32 v1, v1
	v_ashrrev_i32_e32 v1, 31, v1
	v_and_b32_e32 v84, v84, v85
	v_xor_b32_e32 v85, s43, v1
	v_xor_b32_e32 v1, s42, v1
	v_and_b32_e32 v39, v39, v1
	v_lshlrev_b32_e32 v1, 28, v38
	v_cmp_gt_i64_e64 s[42:43], 0, v[0:1]
	v_not_b32_e32 v1, v1
	v_ashrrev_i32_e32 v1, 31, v1
	v_and_b32_e32 v84, v84, v85
	;; [unrolled: 8-line block ×5, first 2 shown]
	v_xor_b32_e32 v85, s43, v1
	v_xor_b32_e32 v1, s42, v1
	v_and_b32_e32 v84, v84, v85
	v_and_b32_e32 v85, v39, v1
	v_lshlrev_b32_e32 v1, 24, v38
	v_cmp_gt_i64_e64 s[42:43], 0, v[0:1]
	v_not_b32_e32 v1, v1
	v_ashrrev_i32_e32 v1, 31, v1
	v_xor_b32_e32 v38, s43, v1
	v_xor_b32_e32 v1, s42, v1
	; wave barrier
	ds_read_b32 v82, v83 offset:16
	v_and_b32_e32 v39, v84, v38
	v_and_b32_e32 v38, v85, v1
	v_mbcnt_lo_u32_b32 v1, v38, 0
	v_mbcnt_hi_u32_b32 v84, v39, v1
	v_cmp_eq_u32_e64 s[42:43], 0, v84
	v_cmp_ne_u64_e64 s[44:45], 0, v[38:39]
	s_and_b64 s[44:45], s[44:45], s[42:43]
	; wave barrier
	s_and_saveexec_b64 s[42:43], s[44:45]
	s_cbranch_execz .LBB241_56
; %bb.55:
	v_bcnt_u32_b32 v1, v38, 0
	v_bcnt_u32_b32 v1, v39, v1
	s_waitcnt lgkmcnt(0)
	v_add_u32_e32 v1, v82, v1
	ds_write_b32 v83, v1 offset:16
.LBB241_56:
	s_or_b64 exec, exec, s[42:43]
	v_lshrrev_b16_e32 v1, 8, v75
	v_mov_b32_e32 v38, 0x80
	v_cmp_ne_u16_e64 s[42:43], s54, v75
	v_cndmask_b32_e64 v1, v38, v1, s[42:43]
	v_and_b32_e32 v39, s53, v1
	v_lshlrev_b32_e32 v1, 2, v39
	v_add_lshl_u32 v86, v1, v68, 2
	v_and_b32_e32 v1, 1, v39
	v_add_co_u32_e64 v87, s[42:43], -1, v1
	v_addc_co_u32_e64 v88, s[42:43], 0, -1, s[42:43]
	v_cmp_ne_u32_e64 s[42:43], 0, v1
	v_xor_b32_e32 v1, s43, v88
	v_and_b32_e32 v88, exec_hi, v1
	v_lshlrev_b32_e32 v1, 30, v39
	v_xor_b32_e32 v87, s42, v87
	v_cmp_gt_i64_e64 s[42:43], 0, v[0:1]
	v_not_b32_e32 v1, v1
	v_ashrrev_i32_e32 v1, 31, v1
	v_and_b32_e32 v87, exec_lo, v87
	v_xor_b32_e32 v89, s43, v1
	v_xor_b32_e32 v1, s42, v1
	v_and_b32_e32 v87, v87, v1
	v_lshlrev_b32_e32 v1, 29, v39
	v_cmp_gt_i64_e64 s[42:43], 0, v[0:1]
	v_not_b32_e32 v1, v1
	v_ashrrev_i32_e32 v1, 31, v1
	v_and_b32_e32 v88, v88, v89
	v_xor_b32_e32 v89, s43, v1
	v_xor_b32_e32 v1, s42, v1
	v_and_b32_e32 v87, v87, v1
	v_lshlrev_b32_e32 v1, 28, v39
	v_cmp_gt_i64_e64 s[42:43], 0, v[0:1]
	v_not_b32_e32 v1, v1
	v_ashrrev_i32_e32 v1, 31, v1
	v_and_b32_e32 v88, v88, v89
	;; [unrolled: 8-line block ×5, first 2 shown]
	v_xor_b32_e32 v89, s43, v1
	v_xor_b32_e32 v1, s42, v1
	v_and_b32_e32 v87, v87, v1
	v_lshlrev_b32_e32 v1, 24, v39
	v_cmp_gt_i64_e64 s[42:43], 0, v[0:1]
	v_not_b32_e32 v0, v1
	v_ashrrev_i32_e32 v0, 31, v0
	v_xor_b32_e32 v1, s43, v0
	v_xor_b32_e32 v0, s42, v0
	; wave barrier
	ds_read_b32 v85, v86 offset:16
	v_and_b32_e32 v88, v88, v89
	v_and_b32_e32 v0, v87, v0
	;; [unrolled: 1-line block ×3, first 2 shown]
	v_mbcnt_lo_u32_b32 v39, v0, 0
	v_mbcnt_hi_u32_b32 v87, v1, v39
	v_cmp_eq_u32_e64 s[42:43], 0, v87
	v_cmp_ne_u64_e64 s[44:45], 0, v[0:1]
	s_and_b64 s[44:45], s[44:45], s[42:43]
	; wave barrier
	s_and_saveexec_b64 s[42:43], s[44:45]
	s_cbranch_execz .LBB241_58
; %bb.57:
	v_bcnt_u32_b32 v0, v0, 0
	v_bcnt_u32_b32 v0, v1, v0
	s_waitcnt lgkmcnt(0)
	v_add_u32_e32 v0, v85, v0
	ds_write_b32 v86, v0 offset:16
.LBB241_58:
	s_or_b64 exec, exec, s[42:43]
	v_lshrrev_b16_e32 v0, 8, v74
	v_cmp_ne_u16_e64 s[42:43], s54, v74
	v_cndmask_b32_e64 v0, v38, v0, s[42:43]
	v_and_b32_e32 v38, s53, v0
	v_and_b32_e32 v1, 1, v38
	v_add_co_u32_e64 v39, s[42:43], -1, v1
	v_addc_co_u32_e64 v90, s[42:43], 0, -1, s[42:43]
	v_cmp_ne_u32_e64 s[42:43], 0, v1
	v_lshlrev_b32_e32 v0, 2, v38
	v_xor_b32_e32 v1, s43, v90
	v_add_lshl_u32 v89, v0, v68, 2
	v_mov_b32_e32 v0, 0
	v_and_b32_e32 v90, exec_hi, v1
	v_lshlrev_b32_e32 v1, 30, v38
	v_xor_b32_e32 v39, s42, v39
	v_cmp_gt_i64_e64 s[42:43], 0, v[0:1]
	v_not_b32_e32 v1, v1
	v_ashrrev_i32_e32 v1, 31, v1
	v_and_b32_e32 v39, exec_lo, v39
	v_xor_b32_e32 v91, s43, v1
	v_xor_b32_e32 v1, s42, v1
	v_and_b32_e32 v39, v39, v1
	v_lshlrev_b32_e32 v1, 29, v38
	v_cmp_gt_i64_e64 s[42:43], 0, v[0:1]
	v_not_b32_e32 v1, v1
	v_ashrrev_i32_e32 v1, 31, v1
	v_and_b32_e32 v90, v90, v91
	v_xor_b32_e32 v91, s43, v1
	v_xor_b32_e32 v1, s42, v1
	v_and_b32_e32 v39, v39, v1
	v_lshlrev_b32_e32 v1, 28, v38
	v_cmp_gt_i64_e64 s[42:43], 0, v[0:1]
	v_not_b32_e32 v1, v1
	v_ashrrev_i32_e32 v1, 31, v1
	v_and_b32_e32 v90, v90, v91
	;; [unrolled: 8-line block ×5, first 2 shown]
	v_xor_b32_e32 v91, s43, v1
	v_xor_b32_e32 v1, s42, v1
	v_and_b32_e32 v90, v90, v91
	v_and_b32_e32 v91, v39, v1
	v_lshlrev_b32_e32 v1, 24, v38
	v_cmp_gt_i64_e64 s[42:43], 0, v[0:1]
	v_not_b32_e32 v1, v1
	v_ashrrev_i32_e32 v1, 31, v1
	v_xor_b32_e32 v38, s43, v1
	v_xor_b32_e32 v1, s42, v1
	; wave barrier
	ds_read_b32 v88, v89 offset:16
	v_and_b32_e32 v39, v90, v38
	v_and_b32_e32 v38, v91, v1
	v_mbcnt_lo_u32_b32 v1, v38, 0
	v_mbcnt_hi_u32_b32 v90, v39, v1
	v_cmp_eq_u32_e64 s[42:43], 0, v90
	v_cmp_ne_u64_e64 s[44:45], 0, v[38:39]
	s_and_b64 s[44:45], s[44:45], s[42:43]
	; wave barrier
	s_and_saveexec_b64 s[42:43], s[44:45]
	s_cbranch_execz .LBB241_60
; %bb.59:
	v_bcnt_u32_b32 v1, v38, 0
	v_bcnt_u32_b32 v1, v39, v1
	s_waitcnt lgkmcnt(0)
	v_add_u32_e32 v1, v88, v1
	ds_write_b32 v89, v1 offset:16
.LBB241_60:
	s_or_b64 exec, exec, s[42:43]
	v_lshrrev_b16_e32 v1, 8, v73
	v_mov_b32_e32 v38, 0x80
	v_cmp_ne_u16_e64 s[42:43], s54, v73
	v_cndmask_b32_e64 v1, v38, v1, s[42:43]
	v_and_b32_e32 v39, s53, v1
	v_lshlrev_b32_e32 v1, 2, v39
	v_add_lshl_u32 v92, v1, v68, 2
	v_and_b32_e32 v1, 1, v39
	v_add_co_u32_e64 v93, s[42:43], -1, v1
	v_addc_co_u32_e64 v94, s[42:43], 0, -1, s[42:43]
	v_cmp_ne_u32_e64 s[42:43], 0, v1
	v_xor_b32_e32 v1, s43, v94
	v_and_b32_e32 v94, exec_hi, v1
	v_lshlrev_b32_e32 v1, 30, v39
	v_xor_b32_e32 v93, s42, v93
	v_cmp_gt_i64_e64 s[42:43], 0, v[0:1]
	v_not_b32_e32 v1, v1
	v_ashrrev_i32_e32 v1, 31, v1
	v_and_b32_e32 v93, exec_lo, v93
	v_xor_b32_e32 v95, s43, v1
	v_xor_b32_e32 v1, s42, v1
	v_and_b32_e32 v93, v93, v1
	v_lshlrev_b32_e32 v1, 29, v39
	v_cmp_gt_i64_e64 s[42:43], 0, v[0:1]
	v_not_b32_e32 v1, v1
	v_ashrrev_i32_e32 v1, 31, v1
	v_and_b32_e32 v94, v94, v95
	v_xor_b32_e32 v95, s43, v1
	v_xor_b32_e32 v1, s42, v1
	v_and_b32_e32 v93, v93, v1
	v_lshlrev_b32_e32 v1, 28, v39
	v_cmp_gt_i64_e64 s[42:43], 0, v[0:1]
	v_not_b32_e32 v1, v1
	v_ashrrev_i32_e32 v1, 31, v1
	v_and_b32_e32 v94, v94, v95
	;; [unrolled: 8-line block ×5, first 2 shown]
	v_xor_b32_e32 v95, s43, v1
	v_xor_b32_e32 v1, s42, v1
	v_and_b32_e32 v93, v93, v1
	v_lshlrev_b32_e32 v1, 24, v39
	v_cmp_gt_i64_e64 s[42:43], 0, v[0:1]
	v_not_b32_e32 v0, v1
	v_ashrrev_i32_e32 v0, 31, v0
	v_xor_b32_e32 v1, s43, v0
	v_xor_b32_e32 v0, s42, v0
	; wave barrier
	ds_read_b32 v91, v92 offset:16
	v_and_b32_e32 v94, v94, v95
	v_and_b32_e32 v0, v93, v0
	;; [unrolled: 1-line block ×3, first 2 shown]
	v_mbcnt_lo_u32_b32 v39, v0, 0
	v_mbcnt_hi_u32_b32 v93, v1, v39
	v_cmp_eq_u32_e64 s[42:43], 0, v93
	v_cmp_ne_u64_e64 s[44:45], 0, v[0:1]
	s_and_b64 s[44:45], s[44:45], s[42:43]
	; wave barrier
	s_and_saveexec_b64 s[42:43], s[44:45]
	s_cbranch_execz .LBB241_62
; %bb.61:
	v_bcnt_u32_b32 v0, v0, 0
	v_bcnt_u32_b32 v0, v1, v0
	s_waitcnt lgkmcnt(0)
	v_add_u32_e32 v0, v91, v0
	ds_write_b32 v92, v0 offset:16
.LBB241_62:
	s_or_b64 exec, exec, s[42:43]
	v_lshrrev_b16_e32 v0, 8, v72
	v_cmp_ne_u16_e64 s[42:43], s54, v72
	v_cndmask_b32_e64 v0, v38, v0, s[42:43]
	v_and_b32_e32 v38, s53, v0
	v_and_b32_e32 v1, 1, v38
	v_add_co_u32_e64 v39, s[42:43], -1, v1
	v_addc_co_u32_e64 v96, s[42:43], 0, -1, s[42:43]
	v_cmp_ne_u32_e64 s[42:43], 0, v1
	v_lshlrev_b32_e32 v0, 2, v38
	v_xor_b32_e32 v1, s43, v96
	v_add_lshl_u32 v95, v0, v68, 2
	v_mov_b32_e32 v0, 0
	v_and_b32_e32 v96, exec_hi, v1
	v_lshlrev_b32_e32 v1, 30, v38
	v_xor_b32_e32 v39, s42, v39
	v_cmp_gt_i64_e64 s[42:43], 0, v[0:1]
	v_not_b32_e32 v1, v1
	v_ashrrev_i32_e32 v1, 31, v1
	v_and_b32_e32 v39, exec_lo, v39
	v_xor_b32_e32 v97, s43, v1
	v_xor_b32_e32 v1, s42, v1
	v_and_b32_e32 v39, v39, v1
	v_lshlrev_b32_e32 v1, 29, v38
	v_cmp_gt_i64_e64 s[42:43], 0, v[0:1]
	v_not_b32_e32 v1, v1
	v_ashrrev_i32_e32 v1, 31, v1
	v_and_b32_e32 v96, v96, v97
	v_xor_b32_e32 v97, s43, v1
	v_xor_b32_e32 v1, s42, v1
	v_and_b32_e32 v39, v39, v1
	v_lshlrev_b32_e32 v1, 28, v38
	v_cmp_gt_i64_e64 s[42:43], 0, v[0:1]
	v_not_b32_e32 v1, v1
	v_ashrrev_i32_e32 v1, 31, v1
	v_and_b32_e32 v96, v96, v97
	;; [unrolled: 8-line block ×5, first 2 shown]
	v_xor_b32_e32 v97, s43, v1
	v_xor_b32_e32 v1, s42, v1
	v_and_b32_e32 v96, v96, v97
	v_and_b32_e32 v97, v39, v1
	v_lshlrev_b32_e32 v1, 24, v38
	v_cmp_gt_i64_e64 s[42:43], 0, v[0:1]
	v_not_b32_e32 v1, v1
	v_ashrrev_i32_e32 v1, 31, v1
	v_xor_b32_e32 v38, s43, v1
	v_xor_b32_e32 v1, s42, v1
	; wave barrier
	ds_read_b32 v94, v95 offset:16
	v_and_b32_e32 v39, v96, v38
	v_and_b32_e32 v38, v97, v1
	v_mbcnt_lo_u32_b32 v1, v38, 0
	v_mbcnt_hi_u32_b32 v96, v39, v1
	v_cmp_eq_u32_e64 s[42:43], 0, v96
	v_cmp_ne_u64_e64 s[44:45], 0, v[38:39]
	s_and_b64 s[44:45], s[44:45], s[42:43]
	; wave barrier
	s_and_saveexec_b64 s[42:43], s[44:45]
	s_cbranch_execz .LBB241_64
; %bb.63:
	v_bcnt_u32_b32 v1, v38, 0
	v_bcnt_u32_b32 v1, v39, v1
	s_waitcnt lgkmcnt(0)
	v_add_u32_e32 v1, v94, v1
	ds_write_b32 v95, v1 offset:16
.LBB241_64:
	s_or_b64 exec, exec, s[42:43]
	v_lshrrev_b16_e32 v1, 8, v71
	v_mov_b32_e32 v38, 0x80
	v_cmp_ne_u16_e64 s[42:43], s54, v71
	v_cndmask_b32_e64 v1, v38, v1, s[42:43]
	v_and_b32_e32 v39, s53, v1
	v_lshlrev_b32_e32 v1, 2, v39
	v_add_lshl_u32 v98, v1, v68, 2
	v_and_b32_e32 v1, 1, v39
	v_add_co_u32_e64 v99, s[42:43], -1, v1
	v_addc_co_u32_e64 v100, s[42:43], 0, -1, s[42:43]
	v_cmp_ne_u32_e64 s[42:43], 0, v1
	v_xor_b32_e32 v1, s43, v100
	v_and_b32_e32 v100, exec_hi, v1
	v_lshlrev_b32_e32 v1, 30, v39
	v_xor_b32_e32 v99, s42, v99
	v_cmp_gt_i64_e64 s[42:43], 0, v[0:1]
	v_not_b32_e32 v1, v1
	v_ashrrev_i32_e32 v1, 31, v1
	v_and_b32_e32 v99, exec_lo, v99
	v_xor_b32_e32 v101, s43, v1
	v_xor_b32_e32 v1, s42, v1
	v_and_b32_e32 v99, v99, v1
	v_lshlrev_b32_e32 v1, 29, v39
	v_cmp_gt_i64_e64 s[42:43], 0, v[0:1]
	v_not_b32_e32 v1, v1
	v_ashrrev_i32_e32 v1, 31, v1
	v_and_b32_e32 v100, v100, v101
	v_xor_b32_e32 v101, s43, v1
	v_xor_b32_e32 v1, s42, v1
	v_and_b32_e32 v99, v99, v1
	v_lshlrev_b32_e32 v1, 28, v39
	v_cmp_gt_i64_e64 s[42:43], 0, v[0:1]
	v_not_b32_e32 v1, v1
	v_ashrrev_i32_e32 v1, 31, v1
	v_and_b32_e32 v100, v100, v101
	;; [unrolled: 8-line block ×5, first 2 shown]
	v_xor_b32_e32 v101, s43, v1
	v_xor_b32_e32 v1, s42, v1
	v_and_b32_e32 v99, v99, v1
	v_lshlrev_b32_e32 v1, 24, v39
	v_cmp_gt_i64_e64 s[42:43], 0, v[0:1]
	v_not_b32_e32 v0, v1
	v_ashrrev_i32_e32 v0, 31, v0
	v_xor_b32_e32 v1, s43, v0
	v_xor_b32_e32 v0, s42, v0
	; wave barrier
	ds_read_b32 v97, v98 offset:16
	v_and_b32_e32 v100, v100, v101
	v_and_b32_e32 v0, v99, v0
	;; [unrolled: 1-line block ×3, first 2 shown]
	v_mbcnt_lo_u32_b32 v39, v0, 0
	v_mbcnt_hi_u32_b32 v99, v1, v39
	v_cmp_eq_u32_e64 s[42:43], 0, v99
	v_cmp_ne_u64_e64 s[44:45], 0, v[0:1]
	s_and_b64 s[44:45], s[44:45], s[42:43]
	; wave barrier
	s_and_saveexec_b64 s[42:43], s[44:45]
	s_cbranch_execz .LBB241_66
; %bb.65:
	v_bcnt_u32_b32 v0, v0, 0
	v_bcnt_u32_b32 v0, v1, v0
	s_waitcnt lgkmcnt(0)
	v_add_u32_e32 v0, v97, v0
	ds_write_b32 v98, v0 offset:16
.LBB241_66:
	s_or_b64 exec, exec, s[42:43]
	v_lshrrev_b16_e32 v0, 8, v40
	v_cmp_ne_u16_e64 s[42:43], s54, v40
	v_cndmask_b32_e64 v0, v38, v0, s[42:43]
	v_and_b32_e32 v38, s53, v0
	v_and_b32_e32 v1, 1, v38
	v_add_co_u32_e64 v39, s[42:43], -1, v1
	v_addc_co_u32_e64 v101, s[42:43], 0, -1, s[42:43]
	v_cmp_ne_u32_e64 s[42:43], 0, v1
	v_lshlrev_b32_e32 v0, 2, v38
	v_xor_b32_e32 v1, s43, v101
	v_add_lshl_u32 v100, v0, v68, 2
	v_mov_b32_e32 v0, 0
	v_and_b32_e32 v101, exec_hi, v1
	v_lshlrev_b32_e32 v1, 30, v38
	v_xor_b32_e32 v39, s42, v39
	v_cmp_gt_i64_e64 s[42:43], 0, v[0:1]
	v_not_b32_e32 v1, v1
	v_ashrrev_i32_e32 v1, 31, v1
	v_and_b32_e32 v39, exec_lo, v39
	v_xor_b32_e32 v102, s43, v1
	v_xor_b32_e32 v1, s42, v1
	v_and_b32_e32 v39, v39, v1
	v_lshlrev_b32_e32 v1, 29, v38
	v_cmp_gt_i64_e64 s[42:43], 0, v[0:1]
	v_not_b32_e32 v1, v1
	v_ashrrev_i32_e32 v1, 31, v1
	v_and_b32_e32 v101, v101, v102
	v_xor_b32_e32 v102, s43, v1
	v_xor_b32_e32 v1, s42, v1
	v_and_b32_e32 v39, v39, v1
	v_lshlrev_b32_e32 v1, 28, v38
	v_cmp_gt_i64_e64 s[42:43], 0, v[0:1]
	v_not_b32_e32 v1, v1
	v_ashrrev_i32_e32 v1, 31, v1
	v_and_b32_e32 v101, v101, v102
	;; [unrolled: 8-line block ×5, first 2 shown]
	v_xor_b32_e32 v102, s43, v1
	v_xor_b32_e32 v1, s42, v1
	v_and_b32_e32 v39, v39, v1
	v_lshlrev_b32_e32 v1, 24, v38
	v_cmp_gt_i64_e64 s[42:43], 0, v[0:1]
	v_not_b32_e32 v0, v1
	v_ashrrev_i32_e32 v0, 31, v0
	v_xor_b32_e32 v1, s43, v0
	v_xor_b32_e32 v0, s42, v0
	; wave barrier
	ds_read_b32 v68, v100 offset:16
	v_and_b32_e32 v101, v101, v102
	v_and_b32_e32 v0, v39, v0
	;; [unrolled: 1-line block ×3, first 2 shown]
	v_mbcnt_lo_u32_b32 v38, v0, 0
	v_mbcnt_hi_u32_b32 v101, v1, v38
	v_cmp_eq_u32_e64 s[42:43], 0, v101
	v_cmp_ne_u64_e64 s[44:45], 0, v[0:1]
	s_and_b64 s[44:45], s[44:45], s[42:43]
	; wave barrier
	s_and_saveexec_b64 s[42:43], s[44:45]
	s_cbranch_execz .LBB241_68
; %bb.67:
	v_bcnt_u32_b32 v0, v0, 0
	v_bcnt_u32_b32 v0, v1, v0
	s_waitcnt lgkmcnt(0)
	v_add_u32_e32 v0, v68, v0
	ds_write_b32 v100, v0 offset:16
.LBB241_68:
	s_or_b64 exec, exec, s[42:43]
	; wave barrier
	s_waitcnt lgkmcnt(0)
	s_barrier
	ds_read2_b32 v[38:39], v64 offset0:4 offset1:5
	ds_read2_b32 v[0:1], v69 offset0:2 offset1:3
	s_waitcnt lgkmcnt(1)
	v_add_u32_e32 v102, v39, v38
	s_waitcnt lgkmcnt(0)
	v_add3_u32 v1, v102, v0, v1
	s_nop 1
	v_mov_b32_dpp v102, v1 row_shr:1 row_mask:0xf bank_mask:0xf
	v_cndmask_b32_e64 v102, v102, 0, s[22:23]
	v_add_u32_e32 v1, v102, v1
	s_nop 1
	v_mov_b32_dpp v102, v1 row_shr:2 row_mask:0xf bank_mask:0xf
	v_cndmask_b32_e64 v102, 0, v102, s[24:25]
	v_add_u32_e32 v1, v1, v102
	;; [unrolled: 4-line block ×4, first 2 shown]
	s_nop 1
	v_mov_b32_dpp v102, v1 row_bcast:15 row_mask:0xf bank_mask:0xf
	v_cndmask_b32_e64 v102, v102, 0, vcc
	v_add_u32_e32 v1, v1, v102
	s_nop 1
	v_mov_b32_dpp v102, v1 row_bcast:31 row_mask:0xf bank_mask:0xf
	v_cndmask_b32_e64 v102, 0, v102, s[34:35]
	v_add_u32_e32 v102, v1, v102
	s_and_saveexec_b64 s[22:23], s[16:17]
	s_cbranch_execz .LBB241_70
; %bb.69:
	ds_write_b32 v70, v102
.LBB241_70:
	s_or_b64 exec, exec, s[22:23]
	s_waitcnt lgkmcnt(0)
	s_barrier
	s_and_saveexec_b64 s[16:17], s[26:27]
	s_cbranch_execz .LBB241_72
; %bb.71:
	ds_read_b32 v1, v41
	s_waitcnt lgkmcnt(0)
	s_nop 0
	v_mov_b32_dpp v70, v1 row_shr:1 row_mask:0xf bank_mask:0xf
	v_cndmask_b32_e64 v70, v70, 0, s[20:21]
	v_add_u32_e32 v1, v70, v1
	s_nop 1
	v_mov_b32_dpp v70, v1 row_shr:2 row_mask:0xf bank_mask:0xf
	v_cndmask_b32_e64 v70, 0, v70, s[18:19]
	v_add_u32_e32 v1, v1, v70
	ds_write_b32 v41, v1
.LBB241_72:
	s_or_b64 exec, exec, s[16:17]
	v_mov_b32_e32 v1, 0
	v_mov_b32_e32 v41, 0
	s_waitcnt lgkmcnt(0)
	s_barrier
	s_and_saveexec_b64 s[16:17], s[36:37]
	s_cbranch_execz .LBB241_74
; %bb.73:
	ds_read_b32 v41, v80
.LBB241_74:
	s_or_b64 exec, exec, s[16:17]
	s_waitcnt lgkmcnt(0)
	v_add_u32_e32 v70, v41, v102
	ds_bpermute_b32 v70, v81, v70
	s_mov_b32 s18, 0x5040100
	s_waitcnt lgkmcnt(0)
	v_cndmask_b32_e64 v41, v70, v41, s[38:39]
	v_cndmask_b32_e64 v41, v41, 0, s[40:41]
	v_add_u32_e32 v38, v41, v38
	v_add_u32_e32 v39, v38, v39
	;; [unrolled: 1-line block ×3, first 2 shown]
	ds_write2_b32 v64, v41, v38 offset0:4 offset1:5
	ds_write2_b32 v69, v39, v0 offset0:2 offset1:3
	s_waitcnt lgkmcnt(0)
	s_barrier
	ds_read_b32 v0, v100 offset:16
	ds_read_b32 v38, v98 offset:16
	;; [unrolled: 1-line block ×4, first 2 shown]
	s_waitcnt lgkmcnt(3)
	v_add3_u32 v0, v101, v68, v0
	ds_read_b32 v68, v89 offset:16
	ds_read_b32 v69, v86 offset:16
	;; [unrolled: 1-line block ×4, first 2 shown]
	s_waitcnt lgkmcnt(0)
	s_barrier
	v_add3_u32 v69, v87, v85, v69
	v_add3_u32 v70, v84, v82, v70
	v_add_u32_e32 v78, v78, v79
	v_lshlrev_b32_e32 v79, 1, v78
	ds_write_b16 v79, v77
	v_lshlrev_b32_e32 v77, 1, v70
	v_add3_u32 v68, v90, v88, v68
	ds_write_b16 v77, v76
	v_lshlrev_b32_e32 v76, 1, v69
	v_add3_u32 v41, v93, v91, v41
	;; [unrolled: 3-line block ×4, first 2 shown]
	ds_write_b16 v74, v73
	v_lshlrev_b32_e32 v73, 1, v39
	ds_write_b16 v73, v72
	v_lshlrev_b32_e32 v72, 1, v38
	;; [unrolled: 2-line block ×4, first 2 shown]
	s_waitcnt lgkmcnt(0)
	s_barrier
	v_lshlrev_b32_e32 v72, 3, v41
	v_lshlrev_b32_e32 v73, 3, v39
	;; [unrolled: 1-line block ×3, first 2 shown]
	ds_read_b128 v[38:41], v40
	v_mov_b32_e32 v77, 0xffff8000
	v_lshlrev_b32_e32 v71, 3, v78
	v_lshlrev_b32_e32 v75, 3, v63
	;; [unrolled: 1-line block ×3, first 2 shown]
	s_waitcnt lgkmcnt(0)
	v_cmp_lt_i16_sdwa vcc, v38, v1 src0_sel:WORD_1 src1_sel:DWORD
	v_cndmask_b32_e32 v78, -1, v77, vcc
	v_cmp_gt_i16_e32 vcc, 0, v38
	v_lshlrev_b32_e32 v69, 3, v69
	v_lshlrev_b32_e32 v68, 3, v68
	;; [unrolled: 1-line block ×3, first 2 shown]
	v_cndmask_b32_e32 v79, -1, v77, vcc
	v_cmp_lt_i16_e32 vcc, -1, v39
	s_barrier
	ds_write_b64 v71, v[34:35]
	ds_write_b64 v70, v[36:37]
	;; [unrolled: 1-line block ×8, first 2 shown]
	s_waitcnt lgkmcnt(0)
	s_barrier
	ds_read2_b64 v[22:25], v75 offset1:1
	ds_read2_b64 v[26:29], v75 offset0:2 offset1:3
	ds_read2_b64 v[30:33], v75 offset0:4 offset1:5
	;; [unrolled: 1-line block ×3, first 2 shown]
	v_mov_b32_e32 v76, -1
	v_cndmask_b32_e64 v81, v77, -1, vcc
	v_cmp_lt_i16_sdwa vcc, v40, v1 src0_sel:WORD_1 src1_sel:DWORD
	v_cmp_gt_i16_sdwa s[16:17], v39, v76 src0_sel:WORD_1 src1_sel:DWORD
	v_cndmask_b32_e32 v0, -1, v77, vcc
	v_cmp_gt_i16_e32 vcc, 0, v40
	v_cndmask_b32_e64 v80, v77, -1, s[16:17]
	v_cndmask_b32_e32 v1, -1, v77, vcc
	v_cmp_gt_i16_sdwa s[16:17], v41, v76 src0_sel:WORD_1 src1_sel:DWORD
	v_cmp_lt_i16_e32 vcc, -1, v41
	v_cndmask_b32_e64 v68, v77, -1, s[16:17]
	v_cndmask_b32_e64 v69, v77, -1, vcc
	v_xor_b32_e32 v81, v81, v39
	v_xor_b32_sdwa v39, v80, v39 dst_sel:DWORD dst_unused:UNUSED_PAD src0_sel:DWORD src1_sel:WORD_1
	v_xor_b32_e32 v79, v79, v38
	v_xor_b32_sdwa v38, v78, v38 dst_sel:DWORD dst_unused:UNUSED_PAD src0_sel:DWORD src1_sel:WORD_1
	;; [unrolled: 2-line block ×4, first 2 shown]
	v_perm_b32 v39, v39, v81, s18
	v_perm_b32 v38, v38, v79, s18
	;; [unrolled: 1-line block ×4, first 2 shown]
	s_branch .LBB241_128
.LBB241_75:
	v_mov_b32_e32 v45, 0
	v_lshlrev_b64 v[2:3], 3, v[44:45]
	v_mov_b32_e32 v4, s52
	v_add_co_u32_e32 v2, vcc, s49, v2
	v_addc_co_u32_e32 v3, vcc, v4, v3, vcc
	global_load_dwordx2 v[2:3], v[2:3], off
	v_mov_b32_e32 v4, v45
	v_mov_b32_e32 v5, v45
	;; [unrolled: 1-line block ×14, first 2 shown]
	s_or_b64 exec, exec, s[16:17]
	s_and_saveexec_b64 s[16:17], s[2:3]
	s_cbranch_execz .LBB241_22
.LBB241_76:
	v_mul_lo_u32 v4, v36, s48
	v_mov_b32_e32 v5, 0
	v_lshlrev_b64 v[4:5], 3, v[4:5]
	v_mov_b32_e32 v36, s52
	v_add_co_u32_e32 v4, vcc, s49, v4
	v_addc_co_u32_e32 v5, vcc, v36, v5, vcc
	global_load_dwordx2 v[4:5], v[4:5], off
	s_or_b64 exec, exec, s[16:17]
	s_and_saveexec_b64 s[16:17], s[4:5]
	s_cbranch_execz .LBB241_23
.LBB241_77:
	v_mul_lo_u32 v6, v35, s48
	v_mov_b32_e32 v7, 0
	v_lshlrev_b64 v[6:7], 3, v[6:7]
	v_mov_b32_e32 v35, s52
	v_add_co_u32_e32 v6, vcc, s49, v6
	v_addc_co_u32_e32 v7, vcc, v35, v7, vcc
	global_load_dwordx2 v[6:7], v[6:7], off
	s_or_b64 exec, exec, s[16:17]
	s_and_saveexec_b64 s[16:17], s[6:7]
	s_cbranch_execz .LBB241_24
.LBB241_78:
	v_mul_lo_u32 v8, v33, s48
	v_mov_b32_e32 v9, 0
	v_lshlrev_b64 v[8:9], 3, v[8:9]
	v_mov_b32_e32 v33, s52
	v_add_co_u32_e32 v8, vcc, s49, v8
	v_addc_co_u32_e32 v9, vcc, v33, v9, vcc
	global_load_dwordx2 v[8:9], v[8:9], off
	s_or_b64 exec, exec, s[16:17]
	s_and_saveexec_b64 s[16:17], s[8:9]
	s_cbranch_execz .LBB241_25
.LBB241_79:
	v_mul_lo_u32 v10, v30, s48
	v_mov_b32_e32 v11, 0
	v_lshlrev_b64 v[10:11], 3, v[10:11]
	v_mov_b32_e32 v30, s52
	v_add_co_u32_e32 v10, vcc, s49, v10
	v_addc_co_u32_e32 v11, vcc, v30, v11, vcc
	global_load_dwordx2 v[10:11], v[10:11], off
	s_or_b64 exec, exec, s[16:17]
	s_and_saveexec_b64 s[16:17], s[10:11]
	s_cbranch_execz .LBB241_26
.LBB241_80:
	v_mul_lo_u32 v12, v28, s48
	v_mov_b32_e32 v13, 0
	v_lshlrev_b64 v[12:13], 3, v[12:13]
	v_mov_b32_e32 v28, s52
	v_add_co_u32_e32 v12, vcc, s49, v12
	v_addc_co_u32_e32 v13, vcc, v28, v13, vcc
	global_load_dwordx2 v[12:13], v[12:13], off
	s_or_b64 exec, exec, s[16:17]
	s_and_saveexec_b64 s[16:17], s[12:13]
	s_cbranch_execz .LBB241_27
.LBB241_81:
	v_mul_lo_u32 v14, v26, s48
	v_mov_b32_e32 v15, 0
	v_lshlrev_b64 v[14:15], 3, v[14:15]
	v_mov_b32_e32 v26, s52
	v_add_co_u32_e32 v14, vcc, s49, v14
	v_addc_co_u32_e32 v15, vcc, v26, v15, vcc
	global_load_dwordx2 v[14:15], v[14:15], off
	s_or_b64 exec, exec, s[16:17]
	s_xor_b64 s[16:17], s[34:35], -1
	s_and_saveexec_b64 s[18:19], s[14:15]
	s_cbranch_execnz .LBB241_28
	s_branch .LBB241_29
.LBB241_82:
                                        ; implicit-def: $vgpr36_vgpr37
                                        ; implicit-def: $vgpr32_vgpr33
                                        ; implicit-def: $vgpr28_vgpr29
                                        ; implicit-def: $vgpr24_vgpr25
                                        ; implicit-def: $vgpr40_vgpr41
	s_cbranch_execz .LBB241_128
; %bb.83:
	s_waitcnt lgkmcnt(3)
	v_mov_b32_e32 v22, 0
	s_waitcnt lgkmcnt(0)
	v_mov_b32_e32 v35, 0x7fff
	v_cmp_gt_i16_e32 vcc, 0, v19
	v_cmp_lt_i16_sdwa s[16:17], v19, v22 src0_sel:WORD_1 src1_sel:DWORD
	v_cndmask_b32_e64 v23, v35, 0, vcc
	v_cmp_gt_i16_e32 vcc, 0, v18
	v_cndmask_b32_e64 v25, v35, 0, s[16:17]
	v_cmp_lt_i16_sdwa s[16:17], v18, v22 src0_sel:WORD_1 src1_sel:DWORD
	v_cndmask_b32_e64 v24, v35, 0, vcc
	v_cndmask_b32_e64 v27, v35, 0, s[16:17]
	v_cmp_gt_i16_e32 vcc, 0, v21
	v_cmp_lt_i16_sdwa s[16:17], v21, v22 src0_sel:WORD_1 src1_sel:DWORD
	v_xor_b32_sdwa v25, v25, v19 dst_sel:DWORD dst_unused:UNUSED_PAD src0_sel:DWORD src1_sel:WORD_1
	v_xor_b32_e32 v19, v23, v19
	v_cndmask_b32_e64 v23, v35, 0, vcc
	v_cmp_gt_i16_e32 vcc, 0, v20
	v_cndmask_b32_e64 v28, v35, 0, s[16:17]
	v_cmp_lt_i16_sdwa s[16:17], v20, v22 src0_sel:WORD_1 src1_sel:DWORD
	v_mbcnt_hi_u32_b32 v26, -1, v67
	v_and_b32_e32 v34, 0x3c0, v46
	v_xor_b32_sdwa v27, v27, v18 dst_sel:DWORD dst_unused:UNUSED_PAD src0_sel:DWORD src1_sel:WORD_1
	v_xor_b32_e32 v18, v24, v18
	v_cndmask_b32_e64 v24, v35, 0, vcc
	v_cndmask_b32_e64 v29, v35, 0, s[16:17]
	v_add_u32_e32 v0, v26, v34
	v_xor_b32_sdwa v29, v29, v20 dst_sel:DWORD dst_unused:UNUSED_PAD src0_sel:DWORD src1_sel:WORD_1
	v_xor_b32_sdwa v28, v28, v21 dst_sel:DWORD dst_unused:UNUSED_PAD src0_sel:DWORD src1_sel:WORD_1
	v_xor_b32_e32 v20, v24, v20
	v_xor_b32_e32 v21, v23, v21
	s_mov_b32 s16, 0x5040100
	v_lshlrev_b32_e32 v1, 4, v0
	v_perm_b32 v21, v28, v21, s16
	v_perm_b32 v20, v29, v20, s16
	;; [unrolled: 1-line block ×4, first 2 shown]
	v_and_b32_e32 v36, 0x1e00, v63
	ds_write_b128 v1, v[18:21]
	v_or_b32_e32 v1, v26, v36
	v_lshlrev_b32_e32 v18, 1, v1
	v_lshlrev_b32_e32 v0, 6, v0
	; wave barrier
	ds_read_u16 v33, v18
	ds_read_u16 v32, v18 offset:128
	ds_read_u16 v31, v18 offset:256
	;; [unrolled: 1-line block ×7, first 2 shown]
	s_waitcnt lgkmcnt(0)
	s_barrier
	ds_write2_b64 v0, v[14:15], v[16:17] offset1:1
	ds_write2_b64 v0, v[10:11], v[12:13] offset0:2 offset1:3
	ds_write2_b64 v0, v[6:7], v[8:9] offset0:4 offset1:5
	;; [unrolled: 1-line block ×3, first 2 shown]
	v_lshlrev_b32_e32 v0, 3, v1
	; wave barrier
	ds_read2st64_b64 v[12:15], v0 offset1:1
	ds_read2st64_b64 v[8:11], v0 offset0:2 offset1:3
	ds_read2st64_b64 v[4:7], v0 offset0:4 offset1:5
	;; [unrolled: 1-line block ×3, first 2 shown]
	s_waitcnt lgkmcnt(0)
	s_barrier
	s_load_dword s18, s[50:51], 0xc
	s_getpc_b64 s[16:17]
	s_add_u32 s16, s16, _ZN7rocprim17ROCPRIM_400000_NS16block_radix_sortI12hip_bfloat16Lj256ELj8ElLj1ELj1ELj0ELNS0_26block_radix_rank_algorithmE1ELNS0_18block_padding_hintE2ELNS0_4arch9wavefront6targetE1EE19radix_bits_per_passE@rel32@lo+4
	s_addc_u32 s17, s17, _ZN7rocprim17ROCPRIM_400000_NS16block_radix_sortI12hip_bfloat16Lj256ELj8ElLj1ELj1ELj0ELNS0_26block_radix_rank_algorithmE1ELNS0_18block_padding_hintE2ELNS0_4arch9wavefront6targetE1EE19radix_bits_per_passE@rel32@hi+12
	s_load_dword s42, s[16:17], 0x0
	s_movk_i32 s19, 0x8000
	v_cmp_ne_u16_e32 vcc, s19, v33
	s_waitcnt lgkmcnt(0)
	s_lshr_b32 s16, s18, 16
	s_and_b32 s17, s18, 0xffff
	v_mad_u32_u24 v16, v66, s16, v65
	v_mad_u64_u32 v[16:17], s[16:17], v16, s17, v[46:47]
	s_min_u32 s16, s42, 16
	s_lshl_b32 s16, -1, s16
	v_lshrrev_b32_e32 v24, 6, v16
	s_not_b32 s18, s16
	v_cndmask_b32_e32 v16, v35, v33, vcc
	v_and_b32_sdwa v16, s18, v16 dst_sel:DWORD dst_unused:UNUSED_PAD src0_sel:DWORD src1_sel:WORD_0
	v_lshlrev_b32_e32 v17, 2, v16
	v_add_lshl_u32 v37, v24, v17, 2
	v_and_b32_e32 v17, 1, v16
	v_add_co_u32_e32 v18, vcc, -1, v17
	v_addc_co_u32_e64 v19, s[16:17], 0, -1, vcc
	v_cmp_ne_u32_e32 vcc, 0, v17
	v_lshlrev_b32_e32 v23, 30, v16
	v_xor_b32_e32 v17, vcc_hi, v19
	v_not_b32_e32 v19, v23
	v_xor_b32_e32 v18, vcc_lo, v18
	v_cmp_gt_i64_e32 vcc, 0, v[22:23]
	v_ashrrev_i32_e32 v19, 31, v19
	v_and_b32_e32 v18, exec_lo, v18
	v_xor_b32_e32 v20, vcc_hi, v19
	v_xor_b32_e32 v19, vcc_lo, v19
	v_lshlrev_b32_e32 v23, 29, v16
	v_and_b32_e32 v18, v18, v19
	v_not_b32_e32 v19, v23
	v_and_b32_e32 v17, exec_hi, v17
	v_cmp_gt_i64_e32 vcc, 0, v[22:23]
	v_ashrrev_i32_e32 v19, 31, v19
	v_and_b32_e32 v17, v17, v20
	v_xor_b32_e32 v20, vcc_hi, v19
	v_xor_b32_e32 v19, vcc_lo, v19
	v_lshlrev_b32_e32 v23, 28, v16
	v_and_b32_e32 v18, v18, v19
	v_not_b32_e32 v19, v23
	v_cmp_gt_i64_e32 vcc, 0, v[22:23]
	v_ashrrev_i32_e32 v19, 31, v19
	v_and_b32_e32 v17, v17, v20
	v_xor_b32_e32 v20, vcc_hi, v19
	v_xor_b32_e32 v19, vcc_lo, v19
	v_lshlrev_b32_e32 v23, 27, v16
	v_and_b32_e32 v18, v18, v19
	v_not_b32_e32 v19, v23
	;; [unrolled: 8-line block ×3, first 2 shown]
	v_cmp_gt_i64_e32 vcc, 0, v[22:23]
	v_ashrrev_i32_e32 v19, 31, v19
	v_and_b32_e32 v17, v17, v20
	v_xor_b32_e32 v20, vcc_hi, v19
	v_xor_b32_e32 v19, vcc_lo, v19
	v_lshlrev_b32_e32 v23, 25, v16
	v_and_b32_e32 v18, v18, v19
	v_cmp_gt_i64_e32 vcc, 0, v[22:23]
	v_not_b32_e32 v19, v23
	v_lshlrev_b32_e32 v23, 24, v16
	v_ashrrev_i32_e32 v19, 31, v19
	v_not_b32_e32 v16, v23
	v_and_b32_e32 v17, v17, v20
	v_xor_b32_e32 v20, vcc_hi, v19
	v_xor_b32_e32 v19, vcc_lo, v19
	v_cmp_gt_i64_e32 vcc, 0, v[22:23]
	v_ashrrev_i32_e32 v16, 31, v16
	v_and_b32_e32 v18, v18, v19
	v_xor_b32_e32 v19, vcc_hi, v16
	v_xor_b32_e32 v16, vcc_lo, v16
	v_and_b32_e32 v17, v17, v20
	v_and_b32_e32 v16, v18, v16
	;; [unrolled: 1-line block ×3, first 2 shown]
	v_mbcnt_lo_u32_b32 v18, v16, 0
	v_mbcnt_hi_u32_b32 v38, v17, v18
	v_cmp_eq_u32_e32 vcc, 0, v38
	v_cmp_ne_u64_e64 s[16:17], 0, v[16:17]
	s_and_b64 s[20:21], s[16:17], vcc
	ds_write2_b32 v64, v22, v22 offset0:4 offset1:5
	ds_write2_b32 v64, v22, v22 offset0:6 offset1:7
	s_waitcnt lgkmcnt(0)
	s_barrier
	s_waitcnt lgkmcnt(0)
	; wave barrier
	s_and_saveexec_b64 s[16:17], s[20:21]
	s_cbranch_execz .LBB241_85
; %bb.84:
	v_bcnt_u32_b32 v16, v16, 0
	v_bcnt_u32_b32 v16, v17, v16
	ds_write_b32 v37, v16 offset:16
.LBB241_85:
	s_or_b64 exec, exec, s[16:17]
	v_cmp_ne_u16_e32 vcc, s19, v32
	v_cndmask_b32_e32 v16, v35, v32, vcc
	v_and_b32_sdwa v16, s18, v16 dst_sel:DWORD dst_unused:UNUSED_PAD src0_sel:DWORD src1_sel:WORD_0
	v_lshlrev_b32_e32 v17, 2, v16
	v_add_lshl_u32 v40, v24, v17, 2
	v_and_b32_e32 v17, 1, v16
	v_add_co_u32_e32 v18, vcc, -1, v17
	v_addc_co_u32_e64 v19, s[16:17], 0, -1, vcc
	v_cmp_ne_u32_e32 vcc, 0, v17
	v_lshlrev_b32_e32 v23, 30, v16
	v_xor_b32_e32 v17, vcc_hi, v19
	v_not_b32_e32 v19, v23
	v_xor_b32_e32 v18, vcc_lo, v18
	v_cmp_gt_i64_e32 vcc, 0, v[22:23]
	v_ashrrev_i32_e32 v19, 31, v19
	v_and_b32_e32 v18, exec_lo, v18
	v_xor_b32_e32 v20, vcc_hi, v19
	v_xor_b32_e32 v19, vcc_lo, v19
	v_lshlrev_b32_e32 v23, 29, v16
	v_and_b32_e32 v18, v18, v19
	v_not_b32_e32 v19, v23
	v_and_b32_e32 v17, exec_hi, v17
	v_cmp_gt_i64_e32 vcc, 0, v[22:23]
	v_ashrrev_i32_e32 v19, 31, v19
	v_and_b32_e32 v17, v17, v20
	v_xor_b32_e32 v20, vcc_hi, v19
	v_xor_b32_e32 v19, vcc_lo, v19
	v_lshlrev_b32_e32 v23, 28, v16
	v_and_b32_e32 v18, v18, v19
	v_not_b32_e32 v19, v23
	v_cmp_gt_i64_e32 vcc, 0, v[22:23]
	v_ashrrev_i32_e32 v19, 31, v19
	v_and_b32_e32 v17, v17, v20
	v_xor_b32_e32 v20, vcc_hi, v19
	v_xor_b32_e32 v19, vcc_lo, v19
	v_lshlrev_b32_e32 v23, 27, v16
	v_and_b32_e32 v18, v18, v19
	v_not_b32_e32 v19, v23
	;; [unrolled: 8-line block ×3, first 2 shown]
	v_cmp_gt_i64_e32 vcc, 0, v[22:23]
	v_ashrrev_i32_e32 v19, 31, v19
	v_and_b32_e32 v17, v17, v20
	v_xor_b32_e32 v20, vcc_hi, v19
	v_xor_b32_e32 v19, vcc_lo, v19
	v_lshlrev_b32_e32 v23, 25, v16
	v_and_b32_e32 v18, v18, v19
	v_cmp_gt_i64_e32 vcc, 0, v[22:23]
	v_not_b32_e32 v19, v23
	v_lshlrev_b32_e32 v23, 24, v16
	v_ashrrev_i32_e32 v19, 31, v19
	v_not_b32_e32 v16, v23
	v_and_b32_e32 v17, v17, v20
	v_xor_b32_e32 v20, vcc_hi, v19
	v_xor_b32_e32 v19, vcc_lo, v19
	v_cmp_gt_i64_e32 vcc, 0, v[22:23]
	v_ashrrev_i32_e32 v16, 31, v16
	v_and_b32_e32 v18, v18, v19
	v_xor_b32_e32 v19, vcc_hi, v16
	v_xor_b32_e32 v16, vcc_lo, v16
	; wave barrier
	ds_read_b32 v39, v40 offset:16
	v_and_b32_e32 v17, v17, v20
	v_and_b32_e32 v16, v18, v16
	;; [unrolled: 1-line block ×3, first 2 shown]
	v_mbcnt_lo_u32_b32 v18, v16, 0
	v_mbcnt_hi_u32_b32 v41, v17, v18
	v_cmp_eq_u32_e32 vcc, 0, v41
	v_cmp_ne_u64_e64 s[16:17], 0, v[16:17]
	s_and_b64 s[20:21], s[16:17], vcc
	; wave barrier
	s_and_saveexec_b64 s[16:17], s[20:21]
	s_cbranch_execz .LBB241_87
; %bb.86:
	v_bcnt_u32_b32 v16, v16, 0
	v_bcnt_u32_b32 v16, v17, v16
	s_waitcnt lgkmcnt(0)
	v_add_u32_e32 v16, v39, v16
	ds_write_b32 v40, v16 offset:16
.LBB241_87:
	s_or_b64 exec, exec, s[16:17]
	v_mov_b32_e32 v20, 0x7fff
	v_cmp_ne_u16_e32 vcc, s19, v31
	v_cndmask_b32_e32 v16, v20, v31, vcc
	v_and_b32_sdwa v18, s18, v16 dst_sel:DWORD dst_unused:UNUSED_PAD src0_sel:DWORD src1_sel:WORD_0
	v_and_b32_e32 v17, 1, v18
	v_add_co_u32_e32 v19, vcc, -1, v17
	v_addc_co_u32_e64 v21, s[16:17], 0, -1, vcc
	v_cmp_ne_u32_e32 vcc, 0, v17
	v_lshlrev_b32_e32 v16, 2, v18
	v_xor_b32_e32 v17, vcc_hi, v21
	v_add_lshl_u32 v66, v24, v16, 2
	v_mov_b32_e32 v16, 0
	v_and_b32_e32 v21, exec_hi, v17
	v_lshlrev_b32_e32 v17, 30, v18
	v_xor_b32_e32 v19, vcc_lo, v19
	v_cmp_gt_i64_e32 vcc, 0, v[16:17]
	v_not_b32_e32 v17, v17
	v_ashrrev_i32_e32 v17, 31, v17
	v_and_b32_e32 v19, exec_lo, v19
	v_xor_b32_e32 v22, vcc_hi, v17
	v_xor_b32_e32 v17, vcc_lo, v17
	v_and_b32_e32 v19, v19, v17
	v_lshlrev_b32_e32 v17, 29, v18
	v_cmp_gt_i64_e32 vcc, 0, v[16:17]
	v_not_b32_e32 v17, v17
	v_ashrrev_i32_e32 v17, 31, v17
	v_and_b32_e32 v21, v21, v22
	v_xor_b32_e32 v22, vcc_hi, v17
	v_xor_b32_e32 v17, vcc_lo, v17
	v_and_b32_e32 v19, v19, v17
	v_lshlrev_b32_e32 v17, 28, v18
	v_cmp_gt_i64_e32 vcc, 0, v[16:17]
	v_not_b32_e32 v17, v17
	v_ashrrev_i32_e32 v17, 31, v17
	v_and_b32_e32 v21, v21, v22
	;; [unrolled: 8-line block ×5, first 2 shown]
	v_xor_b32_e32 v22, vcc_hi, v17
	v_xor_b32_e32 v17, vcc_lo, v17
	v_and_b32_e32 v21, v21, v22
	v_and_b32_e32 v22, v19, v17
	v_lshlrev_b32_e32 v17, 24, v18
	v_cmp_gt_i64_e32 vcc, 0, v[16:17]
	v_not_b32_e32 v17, v17
	v_ashrrev_i32_e32 v17, 31, v17
	v_xor_b32_e32 v18, vcc_hi, v17
	v_xor_b32_e32 v17, vcc_lo, v17
	; wave barrier
	ds_read_b32 v65, v66 offset:16
	v_and_b32_e32 v19, v21, v18
	v_and_b32_e32 v18, v22, v17
	v_mbcnt_lo_u32_b32 v17, v18, 0
	v_mbcnt_hi_u32_b32 v67, v19, v17
	v_cmp_eq_u32_e32 vcc, 0, v67
	v_cmp_ne_u64_e64 s[16:17], 0, v[18:19]
	s_and_b64 s[20:21], s[16:17], vcc
	; wave barrier
	s_and_saveexec_b64 s[16:17], s[20:21]
	s_cbranch_execz .LBB241_89
; %bb.88:
	v_bcnt_u32_b32 v17, v18, 0
	v_bcnt_u32_b32 v17, v19, v17
	s_waitcnt lgkmcnt(0)
	v_add_u32_e32 v17, v65, v17
	ds_write_b32 v66, v17 offset:16
.LBB241_89:
	s_or_b64 exec, exec, s[16:17]
	v_cmp_ne_u16_e32 vcc, s19, v30
	v_cndmask_b32_e32 v17, v20, v30, vcc
	v_and_b32_sdwa v18, s18, v17 dst_sel:DWORD dst_unused:UNUSED_PAD src0_sel:DWORD src1_sel:WORD_0
	v_lshlrev_b32_e32 v17, 2, v18
	v_add_lshl_u32 v69, v24, v17, 2
	v_and_b32_e32 v17, 1, v18
	v_add_co_u32_e32 v19, vcc, -1, v17
	v_addc_co_u32_e64 v20, s[16:17], 0, -1, vcc
	v_cmp_ne_u32_e32 vcc, 0, v17
	v_xor_b32_e32 v17, vcc_hi, v20
	v_and_b32_e32 v20, exec_hi, v17
	v_lshlrev_b32_e32 v17, 30, v18
	v_xor_b32_e32 v19, vcc_lo, v19
	v_cmp_gt_i64_e32 vcc, 0, v[16:17]
	v_not_b32_e32 v17, v17
	v_ashrrev_i32_e32 v17, 31, v17
	v_and_b32_e32 v19, exec_lo, v19
	v_xor_b32_e32 v21, vcc_hi, v17
	v_xor_b32_e32 v17, vcc_lo, v17
	v_and_b32_e32 v19, v19, v17
	v_lshlrev_b32_e32 v17, 29, v18
	v_cmp_gt_i64_e32 vcc, 0, v[16:17]
	v_not_b32_e32 v17, v17
	v_ashrrev_i32_e32 v17, 31, v17
	v_and_b32_e32 v20, v20, v21
	v_xor_b32_e32 v21, vcc_hi, v17
	v_xor_b32_e32 v17, vcc_lo, v17
	v_and_b32_e32 v19, v19, v17
	v_lshlrev_b32_e32 v17, 28, v18
	v_cmp_gt_i64_e32 vcc, 0, v[16:17]
	v_not_b32_e32 v17, v17
	v_ashrrev_i32_e32 v17, 31, v17
	v_and_b32_e32 v20, v20, v21
	;; [unrolled: 8-line block ×5, first 2 shown]
	v_xor_b32_e32 v21, vcc_hi, v17
	v_xor_b32_e32 v17, vcc_lo, v17
	v_and_b32_e32 v19, v19, v17
	v_lshlrev_b32_e32 v17, 24, v18
	v_cmp_gt_i64_e32 vcc, 0, v[16:17]
	v_not_b32_e32 v16, v17
	v_ashrrev_i32_e32 v16, 31, v16
	v_xor_b32_e32 v17, vcc_hi, v16
	v_xor_b32_e32 v16, vcc_lo, v16
	; wave barrier
	ds_read_b32 v68, v69 offset:16
	v_and_b32_e32 v20, v20, v21
	v_and_b32_e32 v16, v19, v16
	v_and_b32_e32 v17, v20, v17
	v_mbcnt_lo_u32_b32 v18, v16, 0
	v_mbcnt_hi_u32_b32 v70, v17, v18
	v_cmp_eq_u32_e32 vcc, 0, v70
	v_cmp_ne_u64_e64 s[16:17], 0, v[16:17]
	s_and_b64 s[20:21], s[16:17], vcc
	; wave barrier
	s_and_saveexec_b64 s[16:17], s[20:21]
	s_cbranch_execz .LBB241_91
; %bb.90:
	v_bcnt_u32_b32 v16, v16, 0
	v_bcnt_u32_b32 v16, v17, v16
	s_waitcnt lgkmcnt(0)
	v_add_u32_e32 v16, v68, v16
	ds_write_b32 v69, v16 offset:16
.LBB241_91:
	s_or_b64 exec, exec, s[16:17]
	v_mov_b32_e32 v20, 0x7fff
	v_cmp_ne_u16_e32 vcc, s19, v29
	v_cndmask_b32_e32 v16, v20, v29, vcc
	v_and_b32_sdwa v18, s18, v16 dst_sel:DWORD dst_unused:UNUSED_PAD src0_sel:DWORD src1_sel:WORD_0
	v_and_b32_e32 v17, 1, v18
	v_add_co_u32_e32 v19, vcc, -1, v17
	v_addc_co_u32_e64 v21, s[16:17], 0, -1, vcc
	v_cmp_ne_u32_e32 vcc, 0, v17
	v_lshlrev_b32_e32 v16, 2, v18
	v_xor_b32_e32 v17, vcc_hi, v21
	v_add_lshl_u32 v72, v24, v16, 2
	v_mov_b32_e32 v16, 0
	v_and_b32_e32 v21, exec_hi, v17
	v_lshlrev_b32_e32 v17, 30, v18
	v_xor_b32_e32 v19, vcc_lo, v19
	v_cmp_gt_i64_e32 vcc, 0, v[16:17]
	v_not_b32_e32 v17, v17
	v_ashrrev_i32_e32 v17, 31, v17
	v_and_b32_e32 v19, exec_lo, v19
	v_xor_b32_e32 v22, vcc_hi, v17
	v_xor_b32_e32 v17, vcc_lo, v17
	v_and_b32_e32 v19, v19, v17
	v_lshlrev_b32_e32 v17, 29, v18
	v_cmp_gt_i64_e32 vcc, 0, v[16:17]
	v_not_b32_e32 v17, v17
	v_ashrrev_i32_e32 v17, 31, v17
	v_and_b32_e32 v21, v21, v22
	v_xor_b32_e32 v22, vcc_hi, v17
	v_xor_b32_e32 v17, vcc_lo, v17
	v_and_b32_e32 v19, v19, v17
	v_lshlrev_b32_e32 v17, 28, v18
	v_cmp_gt_i64_e32 vcc, 0, v[16:17]
	v_not_b32_e32 v17, v17
	v_ashrrev_i32_e32 v17, 31, v17
	v_and_b32_e32 v21, v21, v22
	;; [unrolled: 8-line block ×5, first 2 shown]
	v_xor_b32_e32 v22, vcc_hi, v17
	v_xor_b32_e32 v17, vcc_lo, v17
	v_and_b32_e32 v21, v21, v22
	v_and_b32_e32 v22, v19, v17
	v_lshlrev_b32_e32 v17, 24, v18
	v_cmp_gt_i64_e32 vcc, 0, v[16:17]
	v_not_b32_e32 v17, v17
	v_ashrrev_i32_e32 v17, 31, v17
	v_xor_b32_e32 v18, vcc_hi, v17
	v_xor_b32_e32 v17, vcc_lo, v17
	; wave barrier
	ds_read_b32 v71, v72 offset:16
	v_and_b32_e32 v19, v21, v18
	v_and_b32_e32 v18, v22, v17
	v_mbcnt_lo_u32_b32 v17, v18, 0
	v_mbcnt_hi_u32_b32 v73, v19, v17
	v_cmp_eq_u32_e32 vcc, 0, v73
	v_cmp_ne_u64_e64 s[16:17], 0, v[18:19]
	s_and_b64 s[20:21], s[16:17], vcc
	; wave barrier
	s_and_saveexec_b64 s[16:17], s[20:21]
	s_cbranch_execz .LBB241_93
; %bb.92:
	v_bcnt_u32_b32 v17, v18, 0
	v_bcnt_u32_b32 v17, v19, v17
	s_waitcnt lgkmcnt(0)
	v_add_u32_e32 v17, v71, v17
	ds_write_b32 v72, v17 offset:16
.LBB241_93:
	s_or_b64 exec, exec, s[16:17]
	v_cmp_ne_u16_e32 vcc, s19, v28
	v_cndmask_b32_e32 v17, v20, v28, vcc
	v_and_b32_sdwa v18, s18, v17 dst_sel:DWORD dst_unused:UNUSED_PAD src0_sel:DWORD src1_sel:WORD_0
	v_lshlrev_b32_e32 v17, 2, v18
	v_add_lshl_u32 v75, v24, v17, 2
	v_and_b32_e32 v17, 1, v18
	v_add_co_u32_e32 v19, vcc, -1, v17
	v_addc_co_u32_e64 v20, s[16:17], 0, -1, vcc
	v_cmp_ne_u32_e32 vcc, 0, v17
	v_xor_b32_e32 v17, vcc_hi, v20
	v_and_b32_e32 v20, exec_hi, v17
	v_lshlrev_b32_e32 v17, 30, v18
	v_xor_b32_e32 v19, vcc_lo, v19
	v_cmp_gt_i64_e32 vcc, 0, v[16:17]
	v_not_b32_e32 v17, v17
	v_ashrrev_i32_e32 v17, 31, v17
	v_and_b32_e32 v19, exec_lo, v19
	v_xor_b32_e32 v21, vcc_hi, v17
	v_xor_b32_e32 v17, vcc_lo, v17
	v_and_b32_e32 v19, v19, v17
	v_lshlrev_b32_e32 v17, 29, v18
	v_cmp_gt_i64_e32 vcc, 0, v[16:17]
	v_not_b32_e32 v17, v17
	v_ashrrev_i32_e32 v17, 31, v17
	v_and_b32_e32 v20, v20, v21
	v_xor_b32_e32 v21, vcc_hi, v17
	v_xor_b32_e32 v17, vcc_lo, v17
	v_and_b32_e32 v19, v19, v17
	v_lshlrev_b32_e32 v17, 28, v18
	v_cmp_gt_i64_e32 vcc, 0, v[16:17]
	v_not_b32_e32 v17, v17
	v_ashrrev_i32_e32 v17, 31, v17
	v_and_b32_e32 v20, v20, v21
	;; [unrolled: 8-line block ×5, first 2 shown]
	v_xor_b32_e32 v21, vcc_hi, v17
	v_xor_b32_e32 v17, vcc_lo, v17
	v_and_b32_e32 v19, v19, v17
	v_lshlrev_b32_e32 v17, 24, v18
	v_cmp_gt_i64_e32 vcc, 0, v[16:17]
	v_not_b32_e32 v16, v17
	v_ashrrev_i32_e32 v16, 31, v16
	v_xor_b32_e32 v17, vcc_hi, v16
	v_xor_b32_e32 v16, vcc_lo, v16
	; wave barrier
	ds_read_b32 v74, v75 offset:16
	v_and_b32_e32 v20, v20, v21
	v_and_b32_e32 v16, v19, v16
	v_and_b32_e32 v17, v20, v17
	v_mbcnt_lo_u32_b32 v18, v16, 0
	v_mbcnt_hi_u32_b32 v76, v17, v18
	v_cmp_eq_u32_e32 vcc, 0, v76
	v_cmp_ne_u64_e64 s[16:17], 0, v[16:17]
	s_and_b64 s[20:21], s[16:17], vcc
	; wave barrier
	s_and_saveexec_b64 s[16:17], s[20:21]
	s_cbranch_execz .LBB241_95
; %bb.94:
	v_bcnt_u32_b32 v16, v16, 0
	v_bcnt_u32_b32 v16, v17, v16
	s_waitcnt lgkmcnt(0)
	v_add_u32_e32 v16, v74, v16
	ds_write_b32 v75, v16 offset:16
.LBB241_95:
	s_or_b64 exec, exec, s[16:17]
	v_mov_b32_e32 v20, 0x7fff
	v_cmp_ne_u16_e32 vcc, s19, v27
	v_cndmask_b32_e32 v16, v20, v27, vcc
	v_and_b32_sdwa v18, s18, v16 dst_sel:DWORD dst_unused:UNUSED_PAD src0_sel:DWORD src1_sel:WORD_0
	v_and_b32_e32 v17, 1, v18
	v_add_co_u32_e32 v19, vcc, -1, v17
	v_addc_co_u32_e64 v21, s[16:17], 0, -1, vcc
	v_cmp_ne_u32_e32 vcc, 0, v17
	v_lshlrev_b32_e32 v16, 2, v18
	v_xor_b32_e32 v17, vcc_hi, v21
	v_add_lshl_u32 v78, v24, v16, 2
	v_mov_b32_e32 v16, 0
	v_and_b32_e32 v21, exec_hi, v17
	v_lshlrev_b32_e32 v17, 30, v18
	v_xor_b32_e32 v19, vcc_lo, v19
	v_cmp_gt_i64_e32 vcc, 0, v[16:17]
	v_not_b32_e32 v17, v17
	v_ashrrev_i32_e32 v17, 31, v17
	v_and_b32_e32 v19, exec_lo, v19
	v_xor_b32_e32 v22, vcc_hi, v17
	v_xor_b32_e32 v17, vcc_lo, v17
	v_and_b32_e32 v19, v19, v17
	v_lshlrev_b32_e32 v17, 29, v18
	v_cmp_gt_i64_e32 vcc, 0, v[16:17]
	v_not_b32_e32 v17, v17
	v_ashrrev_i32_e32 v17, 31, v17
	v_and_b32_e32 v21, v21, v22
	v_xor_b32_e32 v22, vcc_hi, v17
	v_xor_b32_e32 v17, vcc_lo, v17
	v_and_b32_e32 v19, v19, v17
	v_lshlrev_b32_e32 v17, 28, v18
	v_cmp_gt_i64_e32 vcc, 0, v[16:17]
	v_not_b32_e32 v17, v17
	v_ashrrev_i32_e32 v17, 31, v17
	v_and_b32_e32 v21, v21, v22
	;; [unrolled: 8-line block ×5, first 2 shown]
	v_xor_b32_e32 v22, vcc_hi, v17
	v_xor_b32_e32 v17, vcc_lo, v17
	v_and_b32_e32 v21, v21, v22
	v_and_b32_e32 v22, v19, v17
	v_lshlrev_b32_e32 v17, 24, v18
	v_cmp_gt_i64_e32 vcc, 0, v[16:17]
	v_not_b32_e32 v17, v17
	v_ashrrev_i32_e32 v17, 31, v17
	v_xor_b32_e32 v18, vcc_hi, v17
	v_xor_b32_e32 v17, vcc_lo, v17
	; wave barrier
	ds_read_b32 v77, v78 offset:16
	v_and_b32_e32 v19, v21, v18
	v_and_b32_e32 v18, v22, v17
	v_mbcnt_lo_u32_b32 v17, v18, 0
	v_mbcnt_hi_u32_b32 v79, v19, v17
	v_cmp_eq_u32_e32 vcc, 0, v79
	v_cmp_ne_u64_e64 s[16:17], 0, v[18:19]
	s_and_b64 s[20:21], s[16:17], vcc
	; wave barrier
	s_and_saveexec_b64 s[16:17], s[20:21]
	s_cbranch_execz .LBB241_97
; %bb.96:
	v_bcnt_u32_b32 v17, v18, 0
	v_bcnt_u32_b32 v17, v19, v17
	s_waitcnt lgkmcnt(0)
	v_add_u32_e32 v17, v77, v17
	ds_write_b32 v78, v17 offset:16
.LBB241_97:
	s_or_b64 exec, exec, s[16:17]
	v_cmp_ne_u16_e32 vcc, s19, v25
	v_cndmask_b32_e32 v17, v20, v25, vcc
	v_and_b32_sdwa v18, s18, v17 dst_sel:DWORD dst_unused:UNUSED_PAD src0_sel:DWORD src1_sel:WORD_0
	v_lshlrev_b32_e32 v17, 2, v18
	v_add_lshl_u32 v81, v24, v17, 2
	v_and_b32_e32 v17, 1, v18
	v_add_co_u32_e32 v19, vcc, -1, v17
	v_addc_co_u32_e64 v20, s[16:17], 0, -1, vcc
	v_cmp_ne_u32_e32 vcc, 0, v17
	v_xor_b32_e32 v17, vcc_hi, v20
	v_and_b32_e32 v20, exec_hi, v17
	v_lshlrev_b32_e32 v17, 30, v18
	v_xor_b32_e32 v19, vcc_lo, v19
	v_cmp_gt_i64_e32 vcc, 0, v[16:17]
	v_not_b32_e32 v17, v17
	v_ashrrev_i32_e32 v17, 31, v17
	v_and_b32_e32 v19, exec_lo, v19
	v_xor_b32_e32 v21, vcc_hi, v17
	v_xor_b32_e32 v17, vcc_lo, v17
	v_and_b32_e32 v19, v19, v17
	v_lshlrev_b32_e32 v17, 29, v18
	v_cmp_gt_i64_e32 vcc, 0, v[16:17]
	v_not_b32_e32 v17, v17
	v_ashrrev_i32_e32 v17, 31, v17
	v_and_b32_e32 v20, v20, v21
	v_xor_b32_e32 v21, vcc_hi, v17
	v_xor_b32_e32 v17, vcc_lo, v17
	v_and_b32_e32 v19, v19, v17
	v_lshlrev_b32_e32 v17, 28, v18
	v_cmp_gt_i64_e32 vcc, 0, v[16:17]
	v_not_b32_e32 v17, v17
	v_ashrrev_i32_e32 v17, 31, v17
	v_and_b32_e32 v20, v20, v21
	;; [unrolled: 8-line block ×5, first 2 shown]
	v_xor_b32_e32 v21, vcc_hi, v17
	v_xor_b32_e32 v17, vcc_lo, v17
	v_and_b32_e32 v19, v19, v17
	v_lshlrev_b32_e32 v17, 24, v18
	v_cmp_gt_i64_e32 vcc, 0, v[16:17]
	v_not_b32_e32 v16, v17
	v_ashrrev_i32_e32 v16, 31, v16
	v_xor_b32_e32 v17, vcc_hi, v16
	v_xor_b32_e32 v16, vcc_lo, v16
	; wave barrier
	ds_read_b32 v80, v81 offset:16
	v_and_b32_e32 v20, v20, v21
	v_and_b32_e32 v16, v19, v16
	;; [unrolled: 1-line block ×3, first 2 shown]
	v_mbcnt_lo_u32_b32 v18, v16, 0
	v_mbcnt_hi_u32_b32 v82, v17, v18
	v_cmp_eq_u32_e32 vcc, 0, v82
	v_cmp_ne_u64_e64 s[16:17], 0, v[16:17]
	v_add_u32_e32 v22, 16, v64
	v_lshrrev_b32_e32 v23, 6, v46
	v_min_u32_e32 v34, 0xc0, v34
	s_and_b64 s[18:19], s[16:17], vcc
	; wave barrier
	s_and_saveexec_b64 s[16:17], s[18:19]
	s_cbranch_execz .LBB241_99
; %bb.98:
	v_bcnt_u32_b32 v16, v16, 0
	v_bcnt_u32_b32 v16, v17, v16
	s_waitcnt lgkmcnt(0)
	v_add_u32_e32 v16, v80, v16
	ds_write_b32 v81, v16 offset:16
.LBB241_99:
	s_or_b64 exec, exec, s[16:17]
	; wave barrier
	s_waitcnt lgkmcnt(0)
	s_barrier
	ds_read2_b32 v[18:19], v64 offset0:4 offset1:5
	ds_read2_b32 v[20:21], v22 offset0:2 offset1:3
	v_and_b32_e32 v17, 16, v26
	v_cmp_eq_u32_e32 vcc, 0, v17
	v_or_b32_e32 v17, 63, v34
	v_cmp_eq_u32_e64 s[16:17], v17, v46
	s_waitcnt lgkmcnt(1)
	v_add_u32_e32 v17, v19, v18
	v_and_b32_e32 v16, 15, v26
	s_waitcnt lgkmcnt(0)
	v_add3_u32 v17, v17, v20, v21
	v_cmp_eq_u32_e64 s[22:23], 0, v16
	v_cmp_lt_u32_e64 s[24:25], 1, v16
	v_mov_b32_dpp v21, v17 row_shr:1 row_mask:0xf bank_mask:0xf
	v_cndmask_b32_e64 v21, v21, 0, s[22:23]
	v_add_u32_e32 v17, v21, v17
	v_cmp_lt_u32_e64 s[28:29], 3, v16
	v_cmp_lt_u32_e64 s[30:31], 7, v16
	v_mov_b32_dpp v21, v17 row_shr:2 row_mask:0xf bank_mask:0xf
	v_cndmask_b32_e64 v21, 0, v21, s[24:25]
	v_add_u32_e32 v17, v17, v21
	v_bfe_i32 v35, v26, 4, 1
	v_cmp_lt_u32_e64 s[34:35], 31, v26
	v_mov_b32_dpp v21, v17 row_shr:4 row_mask:0xf bank_mask:0xf
	v_cndmask_b32_e64 v21, 0, v21, s[28:29]
	v_add_u32_e32 v17, v17, v21
	v_lshlrev_b32_e32 v23, 2, v23
	s_nop 0
	v_mov_b32_dpp v21, v17 row_shr:8 row_mask:0xf bank_mask:0xf
	v_cndmask_b32_e64 v16, 0, v21, s[30:31]
	v_add_u32_e32 v16, v17, v16
	s_nop 1
	v_mov_b32_dpp v17, v16 row_bcast:15 row_mask:0xf bank_mask:0xf
	v_and_b32_e32 v17, v35, v17
	v_add_u32_e32 v16, v16, v17
	s_nop 1
	v_mov_b32_dpp v17, v16 row_bcast:31 row_mask:0xf bank_mask:0xf
	v_cndmask_b32_e64 v17, 0, v17, s[34:35]
	v_add_u32_e32 v17, v16, v17
	s_and_saveexec_b64 s[18:19], s[16:17]
	s_cbranch_execz .LBB241_101
; %bb.100:
	ds_write_b32 v23, v17
.LBB241_101:
	s_or_b64 exec, exec, s[18:19]
	v_and_b32_e32 v16, 3, v26
	v_cmp_gt_u32_e64 s[26:27], 4, v46
	v_lshlrev_b32_e32 v21, 2, v46
	v_cmp_eq_u32_e64 s[20:21], 0, v16
	v_cmp_lt_u32_e64 s[18:19], 1, v16
	s_waitcnt lgkmcnt(0)
	s_barrier
	s_and_saveexec_b64 s[36:37], s[26:27]
	s_cbranch_execz .LBB241_103
; %bb.102:
	ds_read_b32 v16, v21
	s_waitcnt lgkmcnt(0)
	s_nop 0
	v_mov_b32_dpp v34, v16 row_shr:1 row_mask:0xf bank_mask:0xf
	v_cndmask_b32_e64 v34, v34, 0, s[20:21]
	v_add_u32_e32 v16, v34, v16
	s_nop 1
	v_mov_b32_dpp v34, v16 row_shr:2 row_mask:0xf bank_mask:0xf
	v_cndmask_b32_e64 v34, 0, v34, s[18:19]
	v_add_u32_e32 v16, v16, v34
	ds_write_b32 v21, v16
.LBB241_103:
	s_or_b64 exec, exec, s[36:37]
	v_cmp_lt_u32_e64 s[36:37], 63, v46
	v_add_u32_e32 v34, -4, v23
	v_mov_b32_e32 v16, 0
	v_mov_b32_e32 v83, 0
	s_waitcnt lgkmcnt(0)
	s_barrier
	s_and_saveexec_b64 s[38:39], s[36:37]
	s_cbranch_execz .LBB241_105
; %bb.104:
	ds_read_b32 v83, v34
.LBB241_105:
	s_or_b64 exec, exec, s[38:39]
	v_add_u32_e32 v35, -1, v26
	v_and_b32_e32 v84, 64, v26
	v_cmp_lt_i32_e64 s[38:39], v35, v84
	v_cndmask_b32_e64 v35, v35, v26, s[38:39]
	v_lshlrev_b32_e32 v35, 2, v35
	s_waitcnt lgkmcnt(0)
	v_add_u32_e32 v17, v83, v17
	ds_bpermute_b32 v17, v35, v17
	v_cmp_eq_u32_e64 s[38:39], 0, v26
	v_cmp_eq_u32_e64 s[40:41], 0, v46
	v_and_or_b32 v36, v26, 63, v36
	v_lshlrev_b32_e32 v84, 1, v36
	s_waitcnt lgkmcnt(0)
	v_cndmask_b32_e64 v17, v17, v83, s[38:39]
	v_cndmask_b32_e64 v17, v17, 0, s[40:41]
	v_add_u32_e32 v18, v17, v18
	v_add_u32_e32 v19, v18, v19
	;; [unrolled: 1-line block ×3, first 2 shown]
	ds_write2_b32 v64, v17, v18 offset0:4 offset1:5
	ds_write2_b32 v22, v19, v20 offset0:2 offset1:3
	s_waitcnt lgkmcnt(0)
	s_barrier
	ds_read_b32 v17, v37 offset:16
	ds_read_b32 v18, v40 offset:16
	;; [unrolled: 1-line block ×8, first 2 shown]
	s_waitcnt lgkmcnt(7)
	v_add_u32_e32 v17, v17, v38
	s_waitcnt lgkmcnt(6)
	v_add3_u32 v18, v41, v39, v18
	s_waitcnt lgkmcnt(4)
	v_add3_u32 v38, v70, v68, v20
	v_lshlrev_b32_e32 v20, 1, v17
	v_add3_u32 v19, v67, v65, v19
	s_waitcnt lgkmcnt(0)
	s_barrier
	ds_write_b16 v20, v33
	v_lshlrev_b32_e32 v20, 1, v18
	ds_write_b16 v20, v32
	v_lshlrev_b32_e32 v20, 1, v19
	v_add3_u32 v39, v73, v71, v26
	ds_write_b16 v20, v31
	v_lshlrev_b32_e32 v20, 1, v38
	v_add3_u32 v37, v76, v74, v37
	;; [unrolled: 3-line block ×4, first 2 shown]
	ds_write_b16 v20, v28
	v_lshlrev_b32_e32 v20, 1, v40
	ds_write_b16 v20, v27
	v_lshlrev_b32_e32 v20, 1, v41
	v_lshlrev_b32_e32 v17, 3, v17
	s_min_u32 s42, s42, 8
	ds_write_b16 v20, v25
	s_waitcnt lgkmcnt(0)
	s_barrier
	ds_read_u16 v31, v84
	ds_read_u16 v30, v84 offset:128
	ds_read_u16 v29, v84 offset:256
	;; [unrolled: 1-line block ×7, first 2 shown]
	s_waitcnt lgkmcnt(0)
	s_barrier
	ds_write_b64 v17, v[12:13]
	v_lshlrev_b32_e32 v12, 3, v18
	s_lshl_b32 s42, -1, s42
	s_movk_i32 s51, 0x8000
	ds_write_b64 v12, v[14:15]
	v_lshlrev_b32_e32 v12, 3, v19
	s_not_b32 s50, s42
	v_lshrrev_b16_e32 v17, 8, v31
	v_mov_b32_e32 v18, 0x7f
	v_cmp_ne_u16_e64 s[42:43], s51, v31
	ds_write_b64 v12, v[8:9]
	v_lshlrev_b32_e32 v8, 3, v38
	v_cndmask_b32_e64 v17, v18, v17, s[42:43]
	ds_write_b64 v8, v[10:11]
	v_lshlrev_b32_e32 v8, 3, v39
	v_and_b32_sdwa v19, v17, s50 dst_sel:DWORD dst_unused:UNUSED_PAD src0_sel:WORD_0 src1_sel:DWORD
	ds_write_b64 v8, v[4:5]
	v_lshlrev_b32_e32 v4, 3, v37
	v_lshlrev_b32_e32 v17, 2, v19
	ds_write_b64 v4, v[6:7]
	v_lshlrev_b32_e32 v4, 3, v40
	v_add_lshl_u32 v32, v17, v24, 2
	v_and_b32_e32 v17, 1, v19
	v_lshlrev_b32_e32 v36, 3, v36
	ds_write_b64 v4, v[0:1]
	v_lshlrev_b32_e32 v0, 3, v41
	v_add_co_u32_e64 v33, s[42:43], -1, v17
	ds_write_b64 v0, v[2:3]
	s_waitcnt lgkmcnt(0)
	s_barrier
	ds_read2st64_b64 v[12:15], v36 offset1:1
	ds_read2st64_b64 v[8:11], v36 offset0:2 offset1:3
	ds_read2st64_b64 v[4:7], v36 offset0:4 offset1:5
	;; [unrolled: 1-line block ×3, first 2 shown]
	v_addc_co_u32_e64 v36, s[42:43], 0, -1, s[42:43]
	v_cmp_ne_u32_e64 s[42:43], 0, v17
	v_xor_b32_e32 v17, s43, v36
	v_and_b32_e32 v36, exec_hi, v17
	v_lshlrev_b32_e32 v17, 30, v19
	v_xor_b32_e32 v33, s42, v33
	v_cmp_gt_i64_e64 s[42:43], 0, v[16:17]
	v_not_b32_e32 v17, v17
	v_ashrrev_i32_e32 v17, 31, v17
	v_and_b32_e32 v33, exec_lo, v33
	v_xor_b32_e32 v37, s43, v17
	v_xor_b32_e32 v17, s42, v17
	v_and_b32_e32 v33, v33, v17
	v_lshlrev_b32_e32 v17, 29, v19
	v_cmp_gt_i64_e64 s[42:43], 0, v[16:17]
	v_not_b32_e32 v17, v17
	v_ashrrev_i32_e32 v17, 31, v17
	v_and_b32_e32 v36, v36, v37
	v_xor_b32_e32 v37, s43, v17
	v_xor_b32_e32 v17, s42, v17
	v_and_b32_e32 v33, v33, v17
	v_lshlrev_b32_e32 v17, 28, v19
	v_cmp_gt_i64_e64 s[42:43], 0, v[16:17]
	v_not_b32_e32 v17, v17
	v_ashrrev_i32_e32 v17, 31, v17
	v_and_b32_e32 v36, v36, v37
	;; [unrolled: 8-line block ×5, first 2 shown]
	v_xor_b32_e32 v37, s43, v17
	v_xor_b32_e32 v17, s42, v17
	v_and_b32_e32 v33, v33, v17
	v_lshlrev_b32_e32 v17, 24, v19
	s_waitcnt lgkmcnt(0)
	s_barrier
	ds_write2_b32 v64, v16, v16 offset0:4 offset1:5
	ds_write2_b32 v22, v16, v16 offset0:2 offset1:3
	v_cmp_gt_i64_e64 s[42:43], 0, v[16:17]
	v_not_b32_e32 v16, v17
	v_ashrrev_i32_e32 v16, 31, v16
	v_xor_b32_e32 v17, s43, v16
	v_xor_b32_e32 v16, s42, v16
	v_and_b32_e32 v36, v36, v37
	v_and_b32_e32 v16, v33, v16
	;; [unrolled: 1-line block ×3, first 2 shown]
	v_mbcnt_lo_u32_b32 v19, v16, 0
	v_mbcnt_hi_u32_b32 v33, v17, v19
	v_cmp_eq_u32_e64 s[42:43], 0, v33
	v_cmp_ne_u64_e64 s[44:45], 0, v[16:17]
	s_and_b64 s[44:45], s[44:45], s[42:43]
	s_waitcnt lgkmcnt(0)
	s_barrier
	s_waitcnt lgkmcnt(0)
	; wave barrier
	s_and_saveexec_b64 s[42:43], s[44:45]
	s_cbranch_execz .LBB241_107
; %bb.106:
	v_bcnt_u32_b32 v16, v16, 0
	v_bcnt_u32_b32 v16, v17, v16
	ds_write_b32 v32, v16 offset:16
.LBB241_107:
	s_or_b64 exec, exec, s[42:43]
	v_lshrrev_b16_e32 v16, 8, v30
	v_cmp_ne_u16_e64 s[42:43], s51, v30
	v_cndmask_b32_e64 v16, v18, v16, s[42:43]
	v_and_b32_e32 v18, s50, v16
	v_and_b32_e32 v17, 1, v18
	v_add_co_u32_e64 v19, s[42:43], -1, v17
	v_addc_co_u32_e64 v38, s[42:43], 0, -1, s[42:43]
	v_cmp_ne_u32_e64 s[42:43], 0, v17
	v_lshlrev_b32_e32 v16, 2, v18
	v_xor_b32_e32 v17, s43, v38
	v_add_lshl_u32 v37, v16, v24, 2
	v_mov_b32_e32 v16, 0
	v_and_b32_e32 v38, exec_hi, v17
	v_lshlrev_b32_e32 v17, 30, v18
	v_xor_b32_e32 v19, s42, v19
	v_cmp_gt_i64_e64 s[42:43], 0, v[16:17]
	v_not_b32_e32 v17, v17
	v_ashrrev_i32_e32 v17, 31, v17
	v_and_b32_e32 v19, exec_lo, v19
	v_xor_b32_e32 v39, s43, v17
	v_xor_b32_e32 v17, s42, v17
	v_and_b32_e32 v19, v19, v17
	v_lshlrev_b32_e32 v17, 29, v18
	v_cmp_gt_i64_e64 s[42:43], 0, v[16:17]
	v_not_b32_e32 v17, v17
	v_ashrrev_i32_e32 v17, 31, v17
	v_and_b32_e32 v38, v38, v39
	v_xor_b32_e32 v39, s43, v17
	v_xor_b32_e32 v17, s42, v17
	v_and_b32_e32 v19, v19, v17
	v_lshlrev_b32_e32 v17, 28, v18
	v_cmp_gt_i64_e64 s[42:43], 0, v[16:17]
	v_not_b32_e32 v17, v17
	v_ashrrev_i32_e32 v17, 31, v17
	v_and_b32_e32 v38, v38, v39
	;; [unrolled: 8-line block ×5, first 2 shown]
	v_xor_b32_e32 v39, s43, v17
	v_xor_b32_e32 v17, s42, v17
	v_and_b32_e32 v38, v38, v39
	v_and_b32_e32 v39, v19, v17
	v_lshlrev_b32_e32 v17, 24, v18
	v_cmp_gt_i64_e64 s[42:43], 0, v[16:17]
	v_not_b32_e32 v17, v17
	v_ashrrev_i32_e32 v17, 31, v17
	v_xor_b32_e32 v18, s43, v17
	v_xor_b32_e32 v17, s42, v17
	; wave barrier
	ds_read_b32 v36, v37 offset:16
	v_and_b32_e32 v19, v38, v18
	v_and_b32_e32 v18, v39, v17
	v_mbcnt_lo_u32_b32 v17, v18, 0
	v_mbcnt_hi_u32_b32 v38, v19, v17
	v_cmp_eq_u32_e64 s[42:43], 0, v38
	v_cmp_ne_u64_e64 s[44:45], 0, v[18:19]
	s_and_b64 s[44:45], s[44:45], s[42:43]
	; wave barrier
	s_and_saveexec_b64 s[42:43], s[44:45]
	s_cbranch_execz .LBB241_109
; %bb.108:
	v_bcnt_u32_b32 v17, v18, 0
	v_bcnt_u32_b32 v17, v19, v17
	s_waitcnt lgkmcnt(0)
	v_add_u32_e32 v17, v36, v17
	ds_write_b32 v37, v17 offset:16
.LBB241_109:
	s_or_b64 exec, exec, s[42:43]
	v_lshrrev_b16_e32 v17, 8, v29
	v_mov_b32_e32 v18, 0x7f
	v_cmp_ne_u16_e64 s[42:43], s51, v29
	v_cndmask_b32_e64 v17, v18, v17, s[42:43]
	v_and_b32_e32 v19, s50, v17
	v_lshlrev_b32_e32 v17, 2, v19
	v_add_lshl_u32 v40, v17, v24, 2
	v_and_b32_e32 v17, 1, v19
	v_add_co_u32_e64 v41, s[42:43], -1, v17
	v_addc_co_u32_e64 v46, s[42:43], 0, -1, s[42:43]
	v_cmp_ne_u32_e64 s[42:43], 0, v17
	v_xor_b32_e32 v17, s43, v46
	v_and_b32_e32 v46, exec_hi, v17
	v_lshlrev_b32_e32 v17, 30, v19
	v_xor_b32_e32 v41, s42, v41
	v_cmp_gt_i64_e64 s[42:43], 0, v[16:17]
	v_not_b32_e32 v17, v17
	v_ashrrev_i32_e32 v17, 31, v17
	v_and_b32_e32 v41, exec_lo, v41
	v_xor_b32_e32 v65, s43, v17
	v_xor_b32_e32 v17, s42, v17
	v_and_b32_e32 v41, v41, v17
	v_lshlrev_b32_e32 v17, 29, v19
	v_cmp_gt_i64_e64 s[42:43], 0, v[16:17]
	v_not_b32_e32 v17, v17
	v_ashrrev_i32_e32 v17, 31, v17
	v_and_b32_e32 v46, v46, v65
	v_xor_b32_e32 v65, s43, v17
	v_xor_b32_e32 v17, s42, v17
	v_and_b32_e32 v41, v41, v17
	v_lshlrev_b32_e32 v17, 28, v19
	v_cmp_gt_i64_e64 s[42:43], 0, v[16:17]
	v_not_b32_e32 v17, v17
	v_ashrrev_i32_e32 v17, 31, v17
	v_and_b32_e32 v46, v46, v65
	;; [unrolled: 8-line block ×5, first 2 shown]
	v_xor_b32_e32 v65, s43, v17
	v_xor_b32_e32 v17, s42, v17
	v_and_b32_e32 v41, v41, v17
	v_lshlrev_b32_e32 v17, 24, v19
	v_cmp_gt_i64_e64 s[42:43], 0, v[16:17]
	v_not_b32_e32 v16, v17
	v_ashrrev_i32_e32 v16, 31, v16
	v_xor_b32_e32 v17, s43, v16
	v_xor_b32_e32 v16, s42, v16
	; wave barrier
	ds_read_b32 v39, v40 offset:16
	v_and_b32_e32 v46, v46, v65
	v_and_b32_e32 v16, v41, v16
	;; [unrolled: 1-line block ×3, first 2 shown]
	v_mbcnt_lo_u32_b32 v19, v16, 0
	v_mbcnt_hi_u32_b32 v41, v17, v19
	v_cmp_eq_u32_e64 s[42:43], 0, v41
	v_cmp_ne_u64_e64 s[44:45], 0, v[16:17]
	s_and_b64 s[44:45], s[44:45], s[42:43]
	; wave barrier
	s_and_saveexec_b64 s[42:43], s[44:45]
	s_cbranch_execz .LBB241_111
; %bb.110:
	v_bcnt_u32_b32 v16, v16, 0
	v_bcnt_u32_b32 v16, v17, v16
	s_waitcnt lgkmcnt(0)
	v_add_u32_e32 v16, v39, v16
	ds_write_b32 v40, v16 offset:16
.LBB241_111:
	s_or_b64 exec, exec, s[42:43]
	v_lshrrev_b16_e32 v16, 8, v28
	v_cmp_ne_u16_e64 s[42:43], s51, v28
	v_cndmask_b32_e64 v16, v18, v16, s[42:43]
	v_and_b32_e32 v18, s50, v16
	v_and_b32_e32 v17, 1, v18
	v_add_co_u32_e64 v19, s[42:43], -1, v17
	v_addc_co_u32_e64 v66, s[42:43], 0, -1, s[42:43]
	v_cmp_ne_u32_e64 s[42:43], 0, v17
	v_lshlrev_b32_e32 v16, 2, v18
	v_xor_b32_e32 v17, s43, v66
	v_add_lshl_u32 v65, v16, v24, 2
	v_mov_b32_e32 v16, 0
	v_and_b32_e32 v66, exec_hi, v17
	v_lshlrev_b32_e32 v17, 30, v18
	v_xor_b32_e32 v19, s42, v19
	v_cmp_gt_i64_e64 s[42:43], 0, v[16:17]
	v_not_b32_e32 v17, v17
	v_ashrrev_i32_e32 v17, 31, v17
	v_and_b32_e32 v19, exec_lo, v19
	v_xor_b32_e32 v67, s43, v17
	v_xor_b32_e32 v17, s42, v17
	v_and_b32_e32 v19, v19, v17
	v_lshlrev_b32_e32 v17, 29, v18
	v_cmp_gt_i64_e64 s[42:43], 0, v[16:17]
	v_not_b32_e32 v17, v17
	v_ashrrev_i32_e32 v17, 31, v17
	v_and_b32_e32 v66, v66, v67
	v_xor_b32_e32 v67, s43, v17
	v_xor_b32_e32 v17, s42, v17
	v_and_b32_e32 v19, v19, v17
	v_lshlrev_b32_e32 v17, 28, v18
	v_cmp_gt_i64_e64 s[42:43], 0, v[16:17]
	v_not_b32_e32 v17, v17
	v_ashrrev_i32_e32 v17, 31, v17
	v_and_b32_e32 v66, v66, v67
	;; [unrolled: 8-line block ×5, first 2 shown]
	v_xor_b32_e32 v67, s43, v17
	v_xor_b32_e32 v17, s42, v17
	v_and_b32_e32 v66, v66, v67
	v_and_b32_e32 v67, v19, v17
	v_lshlrev_b32_e32 v17, 24, v18
	v_cmp_gt_i64_e64 s[42:43], 0, v[16:17]
	v_not_b32_e32 v17, v17
	v_ashrrev_i32_e32 v17, 31, v17
	v_xor_b32_e32 v18, s43, v17
	v_xor_b32_e32 v17, s42, v17
	; wave barrier
	ds_read_b32 v46, v65 offset:16
	v_and_b32_e32 v19, v66, v18
	v_and_b32_e32 v18, v67, v17
	v_mbcnt_lo_u32_b32 v17, v18, 0
	v_mbcnt_hi_u32_b32 v66, v19, v17
	v_cmp_eq_u32_e64 s[42:43], 0, v66
	v_cmp_ne_u64_e64 s[44:45], 0, v[18:19]
	s_and_b64 s[44:45], s[44:45], s[42:43]
	; wave barrier
	s_and_saveexec_b64 s[42:43], s[44:45]
	s_cbranch_execz .LBB241_113
; %bb.112:
	v_bcnt_u32_b32 v17, v18, 0
	v_bcnt_u32_b32 v17, v19, v17
	s_waitcnt lgkmcnt(0)
	v_add_u32_e32 v17, v46, v17
	ds_write_b32 v65, v17 offset:16
.LBB241_113:
	s_or_b64 exec, exec, s[42:43]
	v_lshrrev_b16_e32 v17, 8, v27
	v_mov_b32_e32 v18, 0x7f
	v_cmp_ne_u16_e64 s[42:43], s51, v27
	v_cndmask_b32_e64 v17, v18, v17, s[42:43]
	v_and_b32_e32 v19, s50, v17
	v_lshlrev_b32_e32 v17, 2, v19
	v_add_lshl_u32 v68, v17, v24, 2
	v_and_b32_e32 v17, 1, v19
	v_add_co_u32_e64 v69, s[42:43], -1, v17
	v_addc_co_u32_e64 v70, s[42:43], 0, -1, s[42:43]
	v_cmp_ne_u32_e64 s[42:43], 0, v17
	v_xor_b32_e32 v17, s43, v70
	v_and_b32_e32 v70, exec_hi, v17
	v_lshlrev_b32_e32 v17, 30, v19
	v_xor_b32_e32 v69, s42, v69
	v_cmp_gt_i64_e64 s[42:43], 0, v[16:17]
	v_not_b32_e32 v17, v17
	v_ashrrev_i32_e32 v17, 31, v17
	v_and_b32_e32 v69, exec_lo, v69
	v_xor_b32_e32 v71, s43, v17
	v_xor_b32_e32 v17, s42, v17
	v_and_b32_e32 v69, v69, v17
	v_lshlrev_b32_e32 v17, 29, v19
	v_cmp_gt_i64_e64 s[42:43], 0, v[16:17]
	v_not_b32_e32 v17, v17
	v_ashrrev_i32_e32 v17, 31, v17
	v_and_b32_e32 v70, v70, v71
	v_xor_b32_e32 v71, s43, v17
	v_xor_b32_e32 v17, s42, v17
	v_and_b32_e32 v69, v69, v17
	v_lshlrev_b32_e32 v17, 28, v19
	v_cmp_gt_i64_e64 s[42:43], 0, v[16:17]
	v_not_b32_e32 v17, v17
	v_ashrrev_i32_e32 v17, 31, v17
	v_and_b32_e32 v70, v70, v71
	;; [unrolled: 8-line block ×5, first 2 shown]
	v_xor_b32_e32 v71, s43, v17
	v_xor_b32_e32 v17, s42, v17
	v_and_b32_e32 v69, v69, v17
	v_lshlrev_b32_e32 v17, 24, v19
	v_cmp_gt_i64_e64 s[42:43], 0, v[16:17]
	v_not_b32_e32 v16, v17
	v_ashrrev_i32_e32 v16, 31, v16
	v_xor_b32_e32 v17, s43, v16
	v_xor_b32_e32 v16, s42, v16
	; wave barrier
	ds_read_b32 v67, v68 offset:16
	v_and_b32_e32 v70, v70, v71
	v_and_b32_e32 v16, v69, v16
	;; [unrolled: 1-line block ×3, first 2 shown]
	v_mbcnt_lo_u32_b32 v19, v16, 0
	v_mbcnt_hi_u32_b32 v69, v17, v19
	v_cmp_eq_u32_e64 s[42:43], 0, v69
	v_cmp_ne_u64_e64 s[44:45], 0, v[16:17]
	s_and_b64 s[44:45], s[44:45], s[42:43]
	; wave barrier
	s_and_saveexec_b64 s[42:43], s[44:45]
	s_cbranch_execz .LBB241_115
; %bb.114:
	v_bcnt_u32_b32 v16, v16, 0
	v_bcnt_u32_b32 v16, v17, v16
	s_waitcnt lgkmcnt(0)
	v_add_u32_e32 v16, v67, v16
	ds_write_b32 v68, v16 offset:16
.LBB241_115:
	s_or_b64 exec, exec, s[42:43]
	v_lshrrev_b16_e32 v16, 8, v26
	v_cmp_ne_u16_e64 s[42:43], s51, v26
	v_cndmask_b32_e64 v16, v18, v16, s[42:43]
	v_and_b32_e32 v18, s50, v16
	v_and_b32_e32 v17, 1, v18
	v_add_co_u32_e64 v19, s[42:43], -1, v17
	v_addc_co_u32_e64 v72, s[42:43], 0, -1, s[42:43]
	v_cmp_ne_u32_e64 s[42:43], 0, v17
	v_lshlrev_b32_e32 v16, 2, v18
	v_xor_b32_e32 v17, s43, v72
	v_add_lshl_u32 v71, v16, v24, 2
	v_mov_b32_e32 v16, 0
	v_and_b32_e32 v72, exec_hi, v17
	v_lshlrev_b32_e32 v17, 30, v18
	v_xor_b32_e32 v19, s42, v19
	v_cmp_gt_i64_e64 s[42:43], 0, v[16:17]
	v_not_b32_e32 v17, v17
	v_ashrrev_i32_e32 v17, 31, v17
	v_and_b32_e32 v19, exec_lo, v19
	v_xor_b32_e32 v73, s43, v17
	v_xor_b32_e32 v17, s42, v17
	v_and_b32_e32 v19, v19, v17
	v_lshlrev_b32_e32 v17, 29, v18
	v_cmp_gt_i64_e64 s[42:43], 0, v[16:17]
	v_not_b32_e32 v17, v17
	v_ashrrev_i32_e32 v17, 31, v17
	v_and_b32_e32 v72, v72, v73
	v_xor_b32_e32 v73, s43, v17
	v_xor_b32_e32 v17, s42, v17
	v_and_b32_e32 v19, v19, v17
	v_lshlrev_b32_e32 v17, 28, v18
	v_cmp_gt_i64_e64 s[42:43], 0, v[16:17]
	v_not_b32_e32 v17, v17
	v_ashrrev_i32_e32 v17, 31, v17
	v_and_b32_e32 v72, v72, v73
	;; [unrolled: 8-line block ×5, first 2 shown]
	v_xor_b32_e32 v73, s43, v17
	v_xor_b32_e32 v17, s42, v17
	v_and_b32_e32 v72, v72, v73
	v_and_b32_e32 v73, v19, v17
	v_lshlrev_b32_e32 v17, 24, v18
	v_cmp_gt_i64_e64 s[42:43], 0, v[16:17]
	v_not_b32_e32 v17, v17
	v_ashrrev_i32_e32 v17, 31, v17
	v_xor_b32_e32 v18, s43, v17
	v_xor_b32_e32 v17, s42, v17
	; wave barrier
	ds_read_b32 v70, v71 offset:16
	v_and_b32_e32 v19, v72, v18
	v_and_b32_e32 v18, v73, v17
	v_mbcnt_lo_u32_b32 v17, v18, 0
	v_mbcnt_hi_u32_b32 v72, v19, v17
	v_cmp_eq_u32_e64 s[42:43], 0, v72
	v_cmp_ne_u64_e64 s[44:45], 0, v[18:19]
	s_and_b64 s[44:45], s[44:45], s[42:43]
	; wave barrier
	s_and_saveexec_b64 s[42:43], s[44:45]
	s_cbranch_execz .LBB241_117
; %bb.116:
	v_bcnt_u32_b32 v17, v18, 0
	v_bcnt_u32_b32 v17, v19, v17
	s_waitcnt lgkmcnt(0)
	v_add_u32_e32 v17, v70, v17
	ds_write_b32 v71, v17 offset:16
.LBB241_117:
	s_or_b64 exec, exec, s[42:43]
	v_lshrrev_b16_e32 v17, 8, v25
	v_mov_b32_e32 v18, 0x7f
	v_cmp_ne_u16_e64 s[42:43], s51, v25
	v_cndmask_b32_e64 v17, v18, v17, s[42:43]
	v_and_b32_e32 v19, s50, v17
	v_lshlrev_b32_e32 v17, 2, v19
	v_add_lshl_u32 v74, v17, v24, 2
	v_and_b32_e32 v17, 1, v19
	v_add_co_u32_e64 v75, s[42:43], -1, v17
	v_addc_co_u32_e64 v76, s[42:43], 0, -1, s[42:43]
	v_cmp_ne_u32_e64 s[42:43], 0, v17
	v_xor_b32_e32 v17, s43, v76
	v_and_b32_e32 v76, exec_hi, v17
	v_lshlrev_b32_e32 v17, 30, v19
	v_xor_b32_e32 v75, s42, v75
	v_cmp_gt_i64_e64 s[42:43], 0, v[16:17]
	v_not_b32_e32 v17, v17
	v_ashrrev_i32_e32 v17, 31, v17
	v_and_b32_e32 v75, exec_lo, v75
	v_xor_b32_e32 v77, s43, v17
	v_xor_b32_e32 v17, s42, v17
	v_and_b32_e32 v75, v75, v17
	v_lshlrev_b32_e32 v17, 29, v19
	v_cmp_gt_i64_e64 s[42:43], 0, v[16:17]
	v_not_b32_e32 v17, v17
	v_ashrrev_i32_e32 v17, 31, v17
	v_and_b32_e32 v76, v76, v77
	v_xor_b32_e32 v77, s43, v17
	v_xor_b32_e32 v17, s42, v17
	v_and_b32_e32 v75, v75, v17
	v_lshlrev_b32_e32 v17, 28, v19
	v_cmp_gt_i64_e64 s[42:43], 0, v[16:17]
	v_not_b32_e32 v17, v17
	v_ashrrev_i32_e32 v17, 31, v17
	v_and_b32_e32 v76, v76, v77
	;; [unrolled: 8-line block ×5, first 2 shown]
	v_xor_b32_e32 v77, s43, v17
	v_xor_b32_e32 v17, s42, v17
	v_and_b32_e32 v75, v75, v17
	v_lshlrev_b32_e32 v17, 24, v19
	v_cmp_gt_i64_e64 s[42:43], 0, v[16:17]
	v_not_b32_e32 v16, v17
	v_ashrrev_i32_e32 v16, 31, v16
	v_xor_b32_e32 v17, s43, v16
	v_xor_b32_e32 v16, s42, v16
	; wave barrier
	ds_read_b32 v73, v74 offset:16
	v_and_b32_e32 v76, v76, v77
	v_and_b32_e32 v16, v75, v16
	;; [unrolled: 1-line block ×3, first 2 shown]
	v_mbcnt_lo_u32_b32 v19, v16, 0
	v_mbcnt_hi_u32_b32 v75, v17, v19
	v_cmp_eq_u32_e64 s[42:43], 0, v75
	v_cmp_ne_u64_e64 s[44:45], 0, v[16:17]
	s_and_b64 s[44:45], s[44:45], s[42:43]
	; wave barrier
	s_and_saveexec_b64 s[42:43], s[44:45]
	s_cbranch_execz .LBB241_119
; %bb.118:
	v_bcnt_u32_b32 v16, v16, 0
	v_bcnt_u32_b32 v16, v17, v16
	s_waitcnt lgkmcnt(0)
	v_add_u32_e32 v16, v73, v16
	ds_write_b32 v74, v16 offset:16
.LBB241_119:
	s_or_b64 exec, exec, s[42:43]
	v_lshrrev_b16_e32 v16, 8, v20
	v_cmp_ne_u16_e64 s[42:43], s51, v20
	v_cndmask_b32_e64 v16, v18, v16, s[42:43]
	v_and_b32_e32 v18, s50, v16
	v_and_b32_e32 v17, 1, v18
	v_add_co_u32_e64 v19, s[42:43], -1, v17
	v_addc_co_u32_e64 v77, s[42:43], 0, -1, s[42:43]
	v_cmp_ne_u32_e64 s[42:43], 0, v17
	v_lshlrev_b32_e32 v16, 2, v18
	v_xor_b32_e32 v17, s43, v77
	v_add_lshl_u32 v76, v16, v24, 2
	v_mov_b32_e32 v16, 0
	v_and_b32_e32 v77, exec_hi, v17
	v_lshlrev_b32_e32 v17, 30, v18
	v_xor_b32_e32 v19, s42, v19
	v_cmp_gt_i64_e64 s[42:43], 0, v[16:17]
	v_not_b32_e32 v17, v17
	v_ashrrev_i32_e32 v17, 31, v17
	v_and_b32_e32 v19, exec_lo, v19
	v_xor_b32_e32 v78, s43, v17
	v_xor_b32_e32 v17, s42, v17
	v_and_b32_e32 v19, v19, v17
	v_lshlrev_b32_e32 v17, 29, v18
	v_cmp_gt_i64_e64 s[42:43], 0, v[16:17]
	v_not_b32_e32 v17, v17
	v_ashrrev_i32_e32 v17, 31, v17
	v_and_b32_e32 v77, v77, v78
	v_xor_b32_e32 v78, s43, v17
	v_xor_b32_e32 v17, s42, v17
	v_and_b32_e32 v19, v19, v17
	v_lshlrev_b32_e32 v17, 28, v18
	v_cmp_gt_i64_e64 s[42:43], 0, v[16:17]
	v_not_b32_e32 v17, v17
	v_ashrrev_i32_e32 v17, 31, v17
	v_and_b32_e32 v77, v77, v78
	v_xor_b32_e32 v78, s43, v17
	v_xor_b32_e32 v17, s42, v17
	v_and_b32_e32 v19, v19, v17
	v_lshlrev_b32_e32 v17, 27, v18
	v_cmp_gt_i64_e64 s[42:43], 0, v[16:17]
	v_not_b32_e32 v17, v17
	v_ashrrev_i32_e32 v17, 31, v17
	v_and_b32_e32 v77, v77, v78
	v_xor_b32_e32 v78, s43, v17
	v_xor_b32_e32 v17, s42, v17
	v_and_b32_e32 v19, v19, v17
	v_lshlrev_b32_e32 v17, 26, v18
	v_cmp_gt_i64_e64 s[42:43], 0, v[16:17]
	v_not_b32_e32 v17, v17
	v_ashrrev_i32_e32 v17, 31, v17
	v_and_b32_e32 v77, v77, v78
	v_xor_b32_e32 v78, s43, v17
	v_xor_b32_e32 v17, s42, v17
	v_and_b32_e32 v19, v19, v17
	v_lshlrev_b32_e32 v17, 25, v18
	v_cmp_gt_i64_e64 s[42:43], 0, v[16:17]
	v_not_b32_e32 v17, v17
	v_ashrrev_i32_e32 v17, 31, v17
	v_and_b32_e32 v77, v77, v78
	v_xor_b32_e32 v78, s43, v17
	v_xor_b32_e32 v17, s42, v17
	v_and_b32_e32 v19, v19, v17
	v_lshlrev_b32_e32 v17, 24, v18
	v_cmp_gt_i64_e64 s[42:43], 0, v[16:17]
	v_not_b32_e32 v16, v17
	v_ashrrev_i32_e32 v16, 31, v16
	v_xor_b32_e32 v17, s43, v16
	v_xor_b32_e32 v16, s42, v16
	; wave barrier
	ds_read_b32 v24, v76 offset:16
	v_and_b32_e32 v77, v77, v78
	v_and_b32_e32 v16, v19, v16
	;; [unrolled: 1-line block ×3, first 2 shown]
	v_mbcnt_lo_u32_b32 v18, v16, 0
	v_mbcnt_hi_u32_b32 v77, v17, v18
	v_cmp_eq_u32_e64 s[42:43], 0, v77
	v_cmp_ne_u64_e64 s[44:45], 0, v[16:17]
	s_and_b64 s[44:45], s[44:45], s[42:43]
	; wave barrier
	s_and_saveexec_b64 s[42:43], s[44:45]
	s_cbranch_execz .LBB241_121
; %bb.120:
	v_bcnt_u32_b32 v16, v16, 0
	v_bcnt_u32_b32 v16, v17, v16
	s_waitcnt lgkmcnt(0)
	v_add_u32_e32 v16, v24, v16
	ds_write_b32 v76, v16 offset:16
.LBB241_121:
	s_or_b64 exec, exec, s[42:43]
	; wave barrier
	s_waitcnt lgkmcnt(0)
	s_barrier
	ds_read2_b32 v[18:19], v64 offset0:4 offset1:5
	ds_read2_b32 v[16:17], v22 offset0:2 offset1:3
	s_waitcnt lgkmcnt(1)
	v_add_u32_e32 v78, v19, v18
	s_waitcnt lgkmcnt(0)
	v_add3_u32 v17, v78, v16, v17
	s_nop 1
	v_mov_b32_dpp v78, v17 row_shr:1 row_mask:0xf bank_mask:0xf
	v_cndmask_b32_e64 v78, v78, 0, s[22:23]
	v_add_u32_e32 v17, v78, v17
	s_nop 1
	v_mov_b32_dpp v78, v17 row_shr:2 row_mask:0xf bank_mask:0xf
	v_cndmask_b32_e64 v78, 0, v78, s[24:25]
	v_add_u32_e32 v17, v17, v78
	;; [unrolled: 4-line block ×4, first 2 shown]
	s_nop 1
	v_mov_b32_dpp v78, v17 row_bcast:15 row_mask:0xf bank_mask:0xf
	v_cndmask_b32_e64 v78, v78, 0, vcc
	v_add_u32_e32 v17, v17, v78
	s_nop 1
	v_mov_b32_dpp v78, v17 row_bcast:31 row_mask:0xf bank_mask:0xf
	v_cndmask_b32_e64 v78, 0, v78, s[34:35]
	v_add_u32_e32 v78, v17, v78
	s_and_saveexec_b64 s[22:23], s[16:17]
	s_cbranch_execz .LBB241_123
; %bb.122:
	ds_write_b32 v23, v78
.LBB241_123:
	s_or_b64 exec, exec, s[22:23]
	s_waitcnt lgkmcnt(0)
	s_barrier
	s_and_saveexec_b64 s[16:17], s[26:27]
	s_cbranch_execz .LBB241_125
; %bb.124:
	ds_read_b32 v17, v21
	s_waitcnt lgkmcnt(0)
	s_nop 0
	v_mov_b32_dpp v23, v17 row_shr:1 row_mask:0xf bank_mask:0xf
	v_cndmask_b32_e64 v23, v23, 0, s[20:21]
	v_add_u32_e32 v17, v23, v17
	s_nop 1
	v_mov_b32_dpp v23, v17 row_shr:2 row_mask:0xf bank_mask:0xf
	v_cndmask_b32_e64 v23, 0, v23, s[18:19]
	v_add_u32_e32 v17, v17, v23
	ds_write_b32 v21, v17
.LBB241_125:
	s_or_b64 exec, exec, s[16:17]
	v_mov_b32_e32 v17, 0
	v_mov_b32_e32 v21, 0
	s_waitcnt lgkmcnt(0)
	s_barrier
	s_and_saveexec_b64 s[16:17], s[36:37]
	s_cbranch_execz .LBB241_127
; %bb.126:
	ds_read_b32 v21, v34
.LBB241_127:
	s_or_b64 exec, exec, s[16:17]
	s_waitcnt lgkmcnt(0)
	v_add_u32_e32 v23, v21, v78
	ds_bpermute_b32 v23, v35, v23
	v_lshlrev_b32_e32 v34, 3, v63
	s_mov_b32 s18, 0x5040100
	s_waitcnt lgkmcnt(0)
	v_cndmask_b32_e64 v21, v23, v21, s[38:39]
	v_cndmask_b32_e64 v21, v21, 0, s[40:41]
	v_add_u32_e32 v18, v21, v18
	v_add_u32_e32 v19, v18, v19
	;; [unrolled: 1-line block ×3, first 2 shown]
	ds_write2_b32 v64, v21, v18 offset0:4 offset1:5
	ds_write2_b32 v22, v19, v16 offset0:2 offset1:3
	s_waitcnt lgkmcnt(0)
	s_barrier
	ds_read_b32 v16, v76 offset:16
	ds_read_b32 v18, v74 offset:16
	;; [unrolled: 1-line block ×4, first 2 shown]
	s_waitcnt lgkmcnt(3)
	v_add3_u32 v16, v77, v24, v16
	ds_read_b32 v22, v65 offset:16
	ds_read_b32 v23, v40 offset:16
	;; [unrolled: 1-line block ×4, first 2 shown]
	s_waitcnt lgkmcnt(0)
	s_barrier
	v_add3_u32 v23, v41, v39, v23
	v_add3_u32 v24, v38, v36, v24
	v_add_u32_e32 v32, v32, v33
	v_lshlrev_b32_e32 v33, 1, v32
	ds_write_b16 v33, v31
	v_lshlrev_b32_e32 v31, 1, v24
	v_add3_u32 v22, v66, v46, v22
	ds_write_b16 v31, v30
	v_lshlrev_b32_e32 v30, 1, v23
	v_add3_u32 v21, v69, v67, v21
	;; [unrolled: 3-line block ×4, first 2 shown]
	ds_write_b16 v28, v27
	v_lshlrev_b32_e32 v27, 1, v19
	ds_write_b16 v27, v26
	v_lshlrev_b32_e32 v26, 1, v18
	;; [unrolled: 2-line block ×4, first 2 shown]
	s_waitcnt lgkmcnt(0)
	s_barrier
	v_lshlrev_b32_e32 v26, 3, v21
	v_lshlrev_b32_e32 v27, 3, v19
	v_lshlrev_b32_e32 v28, 3, v18
	ds_read_b128 v[18:21], v20
	v_mov_b32_e32 v40, -1
	v_mov_b32_e32 v41, 0x7fff
	v_lshlrev_b32_e32 v25, 3, v32
	v_lshlrev_b32_e32 v24, 3, v24
	s_waitcnt lgkmcnt(0)
	v_cmp_gt_i16_sdwa vcc, v18, v40 src0_sel:WORD_1 src1_sel:DWORD
	v_cndmask_b32_e32 v29, 0, v41, vcc
	v_cmp_lt_i16_e32 vcc, -1, v18
	v_cndmask_b32_e32 v30, 0, v41, vcc
	v_cmp_lt_i16_sdwa s[16:17], v19, v17 src0_sel:WORD_1 src1_sel:DWORD
	v_cmp_gt_i16_e32 vcc, 0, v19
	v_cndmask_b32_e64 v31, v41, 0, s[16:17]
	v_cndmask_b32_e64 v32, v41, 0, vcc
	v_lshlrev_b32_e32 v23, 3, v23
	v_lshlrev_b32_e32 v22, 3, v22
	v_xor_b32_e32 v32, v32, v19
	v_xor_b32_sdwa v19, v31, v19 dst_sel:DWORD dst_unused:UNUSED_PAD src0_sel:DWORD src1_sel:WORD_1
	v_lshlrev_b32_e32 v16, 3, v16
	v_perm_b32 v39, v19, v32, s18
	v_xor_b32_e32 v19, v30, v18
	v_xor_b32_sdwa v18, v29, v18 dst_sel:DWORD dst_unused:UNUSED_PAD src0_sel:DWORD src1_sel:WORD_1
	s_barrier
	ds_write_b64 v25, v[12:13]
	ds_write_b64 v24, v[14:15]
	;; [unrolled: 1-line block ×8, first 2 shown]
	s_waitcnt lgkmcnt(0)
	s_barrier
	ds_read2_b64 v[22:25], v34 offset1:1
	ds_read2_b64 v[26:29], v34 offset0:2 offset1:3
	ds_read2_b64 v[30:33], v34 offset0:4 offset1:5
	;; [unrolled: 1-line block ×3, first 2 shown]
	v_cmp_gt_i16_sdwa vcc, v20, v40 src0_sel:WORD_1 src1_sel:DWORD
	v_cndmask_b32_e32 v0, 0, v41, vcc
	v_cmp_lt_i16_e32 vcc, -1, v20
	v_cndmask_b32_e32 v1, 0, v41, vcc
	v_cmp_lt_i16_sdwa s[16:17], v21, v17 src0_sel:WORD_1 src1_sel:DWORD
	v_cmp_gt_i16_e32 vcc, 0, v21
	v_cndmask_b32_e64 v2, v41, 0, s[16:17]
	v_cndmask_b32_e64 v3, v41, 0, vcc
	v_xor_b32_e32 v3, v3, v21
	v_xor_b32_sdwa v2, v2, v21 dst_sel:DWORD dst_unused:UNUSED_PAD src0_sel:DWORD src1_sel:WORD_1
	v_xor_b32_e32 v1, v1, v20
	v_xor_b32_sdwa v0, v0, v20 dst_sel:DWORD dst_unused:UNUSED_PAD src0_sel:DWORD src1_sel:WORD_1
	v_perm_b32 v38, v18, v19, s18
	v_perm_b32 v41, v2, v3, s18
	;; [unrolled: 1-line block ×3, first 2 shown]
.LBB241_128:
	s_waitcnt lgkmcnt(0)
	s_barrier
	ds_write_b128 v54, v[38:41]
	s_waitcnt lgkmcnt(0)
	s_barrier
	ds_read_u16 v8, v43 offset:512
	ds_read_u16 v7, v48 offset:1024
	;; [unrolled: 1-line block ×7, first 2 shown]
	v_mov_b32_e32 v43, 0
	v_lshlrev_b64 v[0:1], 1, v[42:43]
	v_mov_b32_e32 v9, s47
	v_add_co_u32_e32 v0, vcc, s33, v0
	v_addc_co_u32_e32 v1, vcc, v9, v1, vcc
	s_and_saveexec_b64 s[16:17], s[0:1]
	s_cbranch_execnz .LBB241_147
; %bb.129:
	s_or_b64 exec, exec, s[16:17]
	s_and_saveexec_b64 s[16:17], s[2:3]
	s_cbranch_execnz .LBB241_148
.LBB241_130:
	s_or_b64 exec, exec, s[16:17]
	s_and_saveexec_b64 s[16:17], s[4:5]
	s_cbranch_execnz .LBB241_149
.LBB241_131:
	s_or_b64 exec, exec, s[16:17]
	s_and_saveexec_b64 s[16:17], s[6:7]
	s_cbranch_execnz .LBB241_150
.LBB241_132:
	s_or_b64 exec, exec, s[16:17]
	s_and_saveexec_b64 s[16:17], s[8:9]
	s_cbranch_execnz .LBB241_151
.LBB241_133:
	s_or_b64 exec, exec, s[16:17]
	s_and_saveexec_b64 s[16:17], s[10:11]
	s_cbranch_execnz .LBB241_152
.LBB241_134:
	s_or_b64 exec, exec, s[16:17]
	s_and_saveexec_b64 s[16:17], s[12:13]
	s_cbranch_execnz .LBB241_153
.LBB241_135:
	s_or_b64 exec, exec, s[16:17]
	s_and_saveexec_b64 s[16:17], s[14:15]
	s_cbranch_execz .LBB241_137
.LBB241_136:
	s_mul_i32 s18, s46, 0x700
	s_mov_b32 s19, 0
	s_lshl_b64 s[18:19], s[18:19], 1
	s_waitcnt lgkmcnt(1)
	v_mov_b32_e32 v3, s19
	v_add_co_u32_e32 v0, vcc, s18, v0
	v_addc_co_u32_e32 v1, vcc, v1, v3, vcc
	s_waitcnt lgkmcnt(0)
	global_store_short v[0:1], v2, off
.LBB241_137:
	s_or_b64 exec, exec, s[16:17]
	s_waitcnt lgkmcnt(0)
	s_barrier
	ds_write2_b64 v62, v[22:23], v[24:25] offset1:1
	ds_write2_b64 v62, v[26:27], v[28:29] offset0:2 offset1:3
	ds_write2_b64 v62, v[30:31], v[32:33] offset0:4 offset1:5
	;; [unrolled: 1-line block ×3, first 2 shown]
	s_waitcnt lgkmcnt(0)
	s_barrier
	ds_read_b64 v[14:15], v45 offset:2048
	ds_read_b64 v[12:13], v56 offset:4096
	;; [unrolled: 1-line block ×7, first 2 shown]
	v_mov_b32_e32 v45, 0
	v_lshlrev_b64 v[2:3], 3, v[44:45]
	v_mov_b32_e32 v16, s52
	v_add_co_u32_e32 v2, vcc, s49, v2
	v_addc_co_u32_e32 v3, vcc, v16, v3, vcc
	s_and_saveexec_b64 s[16:17], s[0:1]
	s_cbranch_execnz .LBB241_154
; %bb.138:
	s_or_b64 exec, exec, s[16:17]
	s_and_saveexec_b64 s[0:1], s[2:3]
	s_cbranch_execnz .LBB241_155
.LBB241_139:
	s_or_b64 exec, exec, s[0:1]
	s_and_saveexec_b64 s[0:1], s[4:5]
	s_cbranch_execnz .LBB241_156
.LBB241_140:
	s_or_b64 exec, exec, s[0:1]
	s_and_saveexec_b64 s[0:1], s[6:7]
	s_cbranch_execnz .LBB241_157
.LBB241_141:
	s_or_b64 exec, exec, s[0:1]
	s_and_saveexec_b64 s[0:1], s[8:9]
	s_cbranch_execnz .LBB241_158
.LBB241_142:
	s_or_b64 exec, exec, s[0:1]
	s_and_saveexec_b64 s[0:1], s[10:11]
	s_cbranch_execnz .LBB241_159
.LBB241_143:
	s_or_b64 exec, exec, s[0:1]
	s_and_saveexec_b64 s[0:1], s[12:13]
	s_cbranch_execnz .LBB241_160
.LBB241_144:
	s_or_b64 exec, exec, s[0:1]
	s_and_saveexec_b64 s[0:1], s[14:15]
	s_cbranch_execz .LBB241_146
.LBB241_145:
	s_mul_i32 s0, s48, 0x700
	s_mov_b32 s1, 0
	s_lshl_b64 s[0:1], s[0:1], 3
	s_waitcnt lgkmcnt(1)
	v_mov_b32_e32 v4, s1
	v_add_co_u32_e32 v2, vcc, s0, v2
	v_addc_co_u32_e32 v3, vcc, v3, v4, vcc
	s_waitcnt lgkmcnt(0)
	global_store_dwordx2 v[2:3], v[0:1], off
.LBB241_146:
	s_endpgm
.LBB241_147:
	ds_read_u16 v9, v47
	s_waitcnt lgkmcnt(0)
	global_store_short v[0:1], v9, off
	s_or_b64 exec, exec, s[16:17]
	s_and_saveexec_b64 s[16:17], s[2:3]
	s_cbranch_execz .LBB241_130
.LBB241_148:
	s_lshl_b32 s18, s46, 8
	s_mov_b32 s19, 0
	s_lshl_b64 s[18:19], s[18:19], 1
	v_mov_b32_e32 v9, s19
	v_add_co_u32_e32 v10, vcc, s18, v0
	v_addc_co_u32_e32 v11, vcc, v1, v9, vcc
	s_waitcnt lgkmcnt(6)
	global_store_short v[10:11], v8, off
	s_or_b64 exec, exec, s[16:17]
	s_and_saveexec_b64 s[16:17], s[4:5]
	s_cbranch_execz .LBB241_131
.LBB241_149:
	s_lshl_b32 s18, s46, 9
	s_mov_b32 s19, 0
	s_lshl_b64 s[18:19], s[18:19], 1
	v_mov_b32_e32 v9, s19
	s_waitcnt lgkmcnt(6)
	v_add_co_u32_e32 v8, vcc, s18, v0
	v_addc_co_u32_e32 v9, vcc, v1, v9, vcc
	s_waitcnt lgkmcnt(5)
	global_store_short v[8:9], v7, off
	s_or_b64 exec, exec, s[16:17]
	s_and_saveexec_b64 s[16:17], s[6:7]
	s_cbranch_execz .LBB241_132
.LBB241_150:
	s_mul_i32 s18, s46, 0x300
	s_mov_b32 s19, 0
	s_lshl_b64 s[18:19], s[18:19], 1
	s_waitcnt lgkmcnt(5)
	v_mov_b32_e32 v7, s19
	v_add_co_u32_e32 v8, vcc, s18, v0
	v_addc_co_u32_e32 v9, vcc, v1, v7, vcc
	s_waitcnt lgkmcnt(4)
	global_store_short v[8:9], v6, off
	s_or_b64 exec, exec, s[16:17]
	s_and_saveexec_b64 s[16:17], s[8:9]
	s_cbranch_execz .LBB241_133
.LBB241_151:
	s_lshl_b32 s18, s46, 10
	s_mov_b32 s19, 0
	s_lshl_b64 s[18:19], s[18:19], 1
	s_waitcnt lgkmcnt(5)
	v_mov_b32_e32 v7, s19
	s_waitcnt lgkmcnt(4)
	v_add_co_u32_e32 v6, vcc, s18, v0
	v_addc_co_u32_e32 v7, vcc, v1, v7, vcc
	s_waitcnt lgkmcnt(3)
	global_store_short v[6:7], v5, off
	s_or_b64 exec, exec, s[16:17]
	s_and_saveexec_b64 s[16:17], s[10:11]
	s_cbranch_execz .LBB241_134
.LBB241_152:
	s_mul_i32 s18, s46, 0x500
	s_mov_b32 s19, 0
	s_lshl_b64 s[18:19], s[18:19], 1
	s_waitcnt lgkmcnt(3)
	v_mov_b32_e32 v5, s19
	v_add_co_u32_e32 v6, vcc, s18, v0
	v_addc_co_u32_e32 v7, vcc, v1, v5, vcc
	s_waitcnt lgkmcnt(2)
	global_store_short v[6:7], v4, off
	s_or_b64 exec, exec, s[16:17]
	s_and_saveexec_b64 s[16:17], s[12:13]
	s_cbranch_execz .LBB241_135
.LBB241_153:
	s_mul_i32 s18, s46, 0x600
	s_mov_b32 s19, 0
	s_lshl_b64 s[18:19], s[18:19], 1
	s_waitcnt lgkmcnt(3)
	v_mov_b32_e32 v5, s19
	s_waitcnt lgkmcnt(2)
	v_add_co_u32_e32 v4, vcc, s18, v0
	v_addc_co_u32_e32 v5, vcc, v1, v5, vcc
	s_waitcnt lgkmcnt(1)
	global_store_short v[4:5], v3, off
	s_or_b64 exec, exec, s[16:17]
	s_and_saveexec_b64 s[16:17], s[14:15]
	s_cbranch_execnz .LBB241_136
	s_branch .LBB241_137
.LBB241_154:
	ds_read_b64 v[16:17], v55
	s_waitcnt lgkmcnt(0)
	global_store_dwordx2 v[2:3], v[16:17], off
	s_or_b64 exec, exec, s[16:17]
	s_and_saveexec_b64 s[0:1], s[2:3]
	s_cbranch_execz .LBB241_139
.LBB241_155:
	s_lshl_b32 s2, s48, 8
	s_mov_b32 s3, 0
	s_lshl_b64 s[2:3], s[2:3], 3
	v_mov_b32_e32 v17, s3
	v_add_co_u32_e32 v16, vcc, s2, v2
	v_addc_co_u32_e32 v17, vcc, v3, v17, vcc
	s_waitcnt lgkmcnt(6)
	global_store_dwordx2 v[16:17], v[14:15], off
	s_or_b64 exec, exec, s[0:1]
	s_and_saveexec_b64 s[0:1], s[4:5]
	s_cbranch_execz .LBB241_140
.LBB241_156:
	s_lshl_b32 s2, s48, 9
	s_mov_b32 s3, 0
	s_lshl_b64 s[2:3], s[2:3], 3
	s_waitcnt lgkmcnt(6)
	v_mov_b32_e32 v15, s3
	v_add_co_u32_e32 v14, vcc, s2, v2
	v_addc_co_u32_e32 v15, vcc, v3, v15, vcc
	s_waitcnt lgkmcnt(5)
	global_store_dwordx2 v[14:15], v[12:13], off
	s_or_b64 exec, exec, s[0:1]
	s_and_saveexec_b64 s[0:1], s[6:7]
	s_cbranch_execz .LBB241_141
.LBB241_157:
	s_mul_i32 s2, s48, 0x300
	s_mov_b32 s3, 0
	s_lshl_b64 s[2:3], s[2:3], 3
	s_waitcnt lgkmcnt(5)
	v_mov_b32_e32 v13, s3
	v_add_co_u32_e32 v12, vcc, s2, v2
	v_addc_co_u32_e32 v13, vcc, v3, v13, vcc
	s_waitcnt lgkmcnt(4)
	global_store_dwordx2 v[12:13], v[10:11], off
	s_or_b64 exec, exec, s[0:1]
	s_and_saveexec_b64 s[0:1], s[8:9]
	s_cbranch_execz .LBB241_142
.LBB241_158:
	s_lshl_b32 s2, s48, 10
	s_mov_b32 s3, 0
	s_lshl_b64 s[2:3], s[2:3], 3
	s_waitcnt lgkmcnt(4)
	v_mov_b32_e32 v11, s3
	v_add_co_u32_e32 v10, vcc, s2, v2
	v_addc_co_u32_e32 v11, vcc, v3, v11, vcc
	s_waitcnt lgkmcnt(3)
	global_store_dwordx2 v[10:11], v[8:9], off
	s_or_b64 exec, exec, s[0:1]
	s_and_saveexec_b64 s[0:1], s[10:11]
	s_cbranch_execz .LBB241_143
.LBB241_159:
	s_mul_i32 s2, s48, 0x500
	s_mov_b32 s3, 0
	s_lshl_b64 s[2:3], s[2:3], 3
	s_waitcnt lgkmcnt(3)
	v_mov_b32_e32 v9, s3
	v_add_co_u32_e32 v8, vcc, s2, v2
	v_addc_co_u32_e32 v9, vcc, v3, v9, vcc
	s_waitcnt lgkmcnt(2)
	global_store_dwordx2 v[8:9], v[6:7], off
	s_or_b64 exec, exec, s[0:1]
	s_and_saveexec_b64 s[0:1], s[12:13]
	s_cbranch_execz .LBB241_144
.LBB241_160:
	s_mul_i32 s2, s48, 0x600
	s_mov_b32 s3, 0
	s_lshl_b64 s[2:3], s[2:3], 3
	s_waitcnt lgkmcnt(2)
	v_mov_b32_e32 v7, s3
	v_add_co_u32_e32 v6, vcc, s2, v2
	v_addc_co_u32_e32 v7, vcc, v3, v7, vcc
	s_waitcnt lgkmcnt(1)
	global_store_dwordx2 v[6:7], v[4:5], off
	s_or_b64 exec, exec, s[0:1]
	s_and_saveexec_b64 s[0:1], s[14:15]
	s_cbranch_execnz .LBB241_145
	s_branch .LBB241_146
	.section	.rodata,"a",@progbits
	.p2align	6, 0x0
	.amdhsa_kernel _ZN2at6native18radixSortKVInPlaceILin2ELin1ELi256ELi8EN3c108BFloat16EljEEvNS_4cuda6detail10TensorInfoIT3_T5_EES8_S8_S8_NS6_IT4_S8_EES8_b
		.amdhsa_group_segment_fixed_size 16896
		.amdhsa_private_segment_fixed_size 0
		.amdhsa_kernarg_size 712
		.amdhsa_user_sgpr_count 6
		.amdhsa_user_sgpr_private_segment_buffer 1
		.amdhsa_user_sgpr_dispatch_ptr 0
		.amdhsa_user_sgpr_queue_ptr 0
		.amdhsa_user_sgpr_kernarg_segment_ptr 1
		.amdhsa_user_sgpr_dispatch_id 0
		.amdhsa_user_sgpr_flat_scratch_init 0
		.amdhsa_user_sgpr_kernarg_preload_length 0
		.amdhsa_user_sgpr_kernarg_preload_offset 0
		.amdhsa_user_sgpr_private_segment_size 0
		.amdhsa_uses_dynamic_stack 0
		.amdhsa_system_sgpr_private_segment_wavefront_offset 0
		.amdhsa_system_sgpr_workgroup_id_x 1
		.amdhsa_system_sgpr_workgroup_id_y 1
		.amdhsa_system_sgpr_workgroup_id_z 1
		.amdhsa_system_sgpr_workgroup_info 0
		.amdhsa_system_vgpr_workitem_id 2
		.amdhsa_next_free_vgpr 108
		.amdhsa_next_free_sgpr 55
		.amdhsa_accum_offset 108
		.amdhsa_reserve_vcc 1
		.amdhsa_reserve_flat_scratch 0
		.amdhsa_float_round_mode_32 0
		.amdhsa_float_round_mode_16_64 0
		.amdhsa_float_denorm_mode_32 3
		.amdhsa_float_denorm_mode_16_64 3
		.amdhsa_dx10_clamp 1
		.amdhsa_ieee_mode 1
		.amdhsa_fp16_overflow 0
		.amdhsa_tg_split 0
		.amdhsa_exception_fp_ieee_invalid_op 0
		.amdhsa_exception_fp_denorm_src 0
		.amdhsa_exception_fp_ieee_div_zero 0
		.amdhsa_exception_fp_ieee_overflow 0
		.amdhsa_exception_fp_ieee_underflow 0
		.amdhsa_exception_fp_ieee_inexact 0
		.amdhsa_exception_int_div_zero 0
	.end_amdhsa_kernel
	.section	.text._ZN2at6native18radixSortKVInPlaceILin2ELin1ELi256ELi8EN3c108BFloat16EljEEvNS_4cuda6detail10TensorInfoIT3_T5_EES8_S8_S8_NS6_IT4_S8_EES8_b,"axG",@progbits,_ZN2at6native18radixSortKVInPlaceILin2ELin1ELi256ELi8EN3c108BFloat16EljEEvNS_4cuda6detail10TensorInfoIT3_T5_EES8_S8_S8_NS6_IT4_S8_EES8_b,comdat
.Lfunc_end241:
	.size	_ZN2at6native18radixSortKVInPlaceILin2ELin1ELi256ELi8EN3c108BFloat16EljEEvNS_4cuda6detail10TensorInfoIT3_T5_EES8_S8_S8_NS6_IT4_S8_EES8_b, .Lfunc_end241-_ZN2at6native18radixSortKVInPlaceILin2ELin1ELi256ELi8EN3c108BFloat16EljEEvNS_4cuda6detail10TensorInfoIT3_T5_EES8_S8_S8_NS6_IT4_S8_EES8_b
                                        ; -- End function
	.section	.AMDGPU.csdata,"",@progbits
; Kernel info:
; codeLenInByte = 21408
; NumSgprs: 59
; NumVgprs: 108
; NumAgprs: 0
; TotalNumVgprs: 108
; ScratchSize: 0
; MemoryBound: 0
; FloatMode: 240
; IeeeMode: 1
; LDSByteSize: 16896 bytes/workgroup (compile time only)
; SGPRBlocks: 7
; VGPRBlocks: 13
; NumSGPRsForWavesPerEU: 59
; NumVGPRsForWavesPerEU: 108
; AccumOffset: 108
; Occupancy: 3
; WaveLimiterHint : 1
; COMPUTE_PGM_RSRC2:SCRATCH_EN: 0
; COMPUTE_PGM_RSRC2:USER_SGPR: 6
; COMPUTE_PGM_RSRC2:TRAP_HANDLER: 0
; COMPUTE_PGM_RSRC2:TGID_X_EN: 1
; COMPUTE_PGM_RSRC2:TGID_Y_EN: 1
; COMPUTE_PGM_RSRC2:TGID_Z_EN: 1
; COMPUTE_PGM_RSRC2:TIDIG_COMP_CNT: 2
; COMPUTE_PGM_RSRC3_GFX90A:ACCUM_OFFSET: 26
; COMPUTE_PGM_RSRC3_GFX90A:TG_SPLIT: 0
	.section	.text._ZN2at6native18radixSortKVInPlaceILin2ELin1ELi128ELi8EN3c108BFloat16EljEEvNS_4cuda6detail10TensorInfoIT3_T5_EES8_S8_S8_NS6_IT4_S8_EES8_b,"axG",@progbits,_ZN2at6native18radixSortKVInPlaceILin2ELin1ELi128ELi8EN3c108BFloat16EljEEvNS_4cuda6detail10TensorInfoIT3_T5_EES8_S8_S8_NS6_IT4_S8_EES8_b,comdat
	.protected	_ZN2at6native18radixSortKVInPlaceILin2ELin1ELi128ELi8EN3c108BFloat16EljEEvNS_4cuda6detail10TensorInfoIT3_T5_EES8_S8_S8_NS6_IT4_S8_EES8_b ; -- Begin function _ZN2at6native18radixSortKVInPlaceILin2ELin1ELi128ELi8EN3c108BFloat16EljEEvNS_4cuda6detail10TensorInfoIT3_T5_EES8_S8_S8_NS6_IT4_S8_EES8_b
	.globl	_ZN2at6native18radixSortKVInPlaceILin2ELin1ELi128ELi8EN3c108BFloat16EljEEvNS_4cuda6detail10TensorInfoIT3_T5_EES8_S8_S8_NS6_IT4_S8_EES8_b
	.p2align	8
	.type	_ZN2at6native18radixSortKVInPlaceILin2ELin1ELi128ELi8EN3c108BFloat16EljEEvNS_4cuda6detail10TensorInfoIT3_T5_EES8_S8_S8_NS6_IT4_S8_EES8_b,@function
_ZN2at6native18radixSortKVInPlaceILin2ELin1ELi128ELi8EN3c108BFloat16EljEEvNS_4cuda6detail10TensorInfoIT3_T5_EES8_S8_S8_NS6_IT4_S8_EES8_b: ; @_ZN2at6native18radixSortKVInPlaceILin2ELin1ELi128ELi8EN3c108BFloat16EljEEvNS_4cuda6detail10TensorInfoIT3_T5_EES8_S8_S8_NS6_IT4_S8_EES8_b
; %bb.0:
	s_load_dwordx2 s[0:1], s[4:5], 0x1c8
	s_load_dwordx4 s[44:47], s[4:5], 0xd8
	s_add_u32 s50, s4, 0x1c8
	s_addc_u32 s51, s5, 0
	s_waitcnt lgkmcnt(0)
	s_mul_i32 s1, s1, s8
	s_add_i32 s1, s1, s7
	s_mul_i32 s0, s1, s0
	s_add_i32 s6, s0, s6
	s_cmp_ge_u32 s6, s44
	s_cbranch_scc1 .LBB242_146
; %bb.1:
	s_load_dword s2, s[4:5], 0x1b8
	s_load_dwordx2 s[0:1], s[4:5], 0x0
	s_add_u32 s14, s4, 0xe8
	s_addc_u32 s15, s5, 0
	s_mov_b32 s17, 0
	s_waitcnt lgkmcnt(0)
	s_cmp_lt_i32 s2, 2
	s_mov_b32 s16, s6
	s_cbranch_scc1 .LBB242_4
; %bb.2:
	s_add_i32 s16, s2, -1
	s_add_i32 s7, s2, 1
	s_lshl_b64 s[2:3], s[16:17], 2
	s_add_u32 s2, s2, s14
	s_addc_u32 s3, s3, s15
	s_add_u32 s2, s2, 8
	s_addc_u32 s3, s3, 0
	s_mov_b32 s16, s6
.LBB242_3:                              ; =>This Inner Loop Header: Depth=1
	s_load_dword s8, s[2:3], 0x0
	s_load_dword s10, s[2:3], 0x64
	s_mov_b32 s9, s16
	s_waitcnt lgkmcnt(0)
	v_cvt_f32_u32_e32 v1, s8
	s_sub_i32 s11, 0, s8
	v_rcp_iflag_f32_e32 v1, v1
	v_mul_f32_e32 v1, 0x4f7ffffe, v1
	v_cvt_u32_f32_e32 v1, v1
	v_readfirstlane_b32 s12, v1
	s_mul_i32 s11, s11, s12
	s_mul_hi_u32 s11, s12, s11
	s_add_i32 s12, s12, s11
	s_mul_hi_u32 s11, s16, s12
	s_mul_i32 s12, s11, s8
	s_sub_i32 s12, s16, s12
	s_add_i32 s13, s11, 1
	s_sub_i32 s16, s12, s8
	s_cmp_ge_u32 s12, s8
	s_cselect_b32 s11, s13, s11
	s_cselect_b32 s12, s16, s12
	s_add_i32 s13, s11, 1
	s_cmp_ge_u32 s12, s8
	s_cselect_b32 s16, s13, s11
	s_mul_i32 s8, s16, s8
	s_sub_i32 s8, s9, s8
	s_mul_i32 s8, s10, s8
	s_add_i32 s7, s7, -1
	s_add_i32 s17, s8, s17
	s_add_u32 s2, s2, -4
	s_addc_u32 s3, s3, -1
	s_cmp_gt_u32 s7, 2
	s_cbranch_scc1 .LBB242_3
.LBB242_4:
	s_load_dword s2, s[4:5], 0x6c
	s_load_dwordx2 s[48:49], s[4:5], 0x1c0
	s_mov_b32 s3, 0
	v_and_b32_e32 v46, 0x3ff, v0
	v_mul_lo_u32 v42, v46, s46
	s_waitcnt lgkmcnt(0)
	s_mul_i32 s2, s2, s6
	s_bitcmp1_b32 s49, 0
	s_cselect_b64 s[34:35], -1, 0
	s_mov_b32 s6, 0xffff
	s_and_b64 s[4:5], s[34:35], exec
	s_cselect_b32 s22, s6, 0x7fff
	s_lshl_b64 s[2:3], s[2:3], 1
	s_add_u32 s33, s0, s2
	s_addc_u32 s44, s1, s3
	v_cmp_gt_u32_e64 s[0:1], s45, v46
	v_mov_b32_e32 v1, s22
	s_and_saveexec_b64 s[2:3], s[0:1]
	s_cbranch_execz .LBB242_6
; %bb.5:
	v_mov_b32_e32 v43, 0
	v_lshlrev_b64 v[2:3], 1, v[42:43]
	v_mov_b32_e32 v1, s44
	v_add_co_u32_e32 v2, vcc, s33, v2
	v_addc_co_u32_e32 v3, vcc, v1, v3, vcc
	global_load_ushort v1, v[2:3], off
.LBB242_6:
	s_or_b64 exec, exec, s[2:3]
	v_add_u32_e32 v36, 0x80, v46
	v_cmp_gt_u32_e64 s[2:3], s45, v36
	v_mov_b32_e32 v2, s22
	s_and_saveexec_b64 s[4:5], s[2:3]
	s_cbranch_execz .LBB242_8
; %bb.7:
	v_mul_lo_u32 v2, v36, s46
	v_mov_b32_e32 v3, 0
	v_lshlrev_b64 v[2:3], 1, v[2:3]
	v_mov_b32_e32 v4, s44
	v_add_co_u32_e32 v2, vcc, s33, v2
	v_addc_co_u32_e32 v3, vcc, v4, v3, vcc
	global_load_ushort v2, v[2:3], off
.LBB242_8:
	s_or_b64 exec, exec, s[4:5]
	v_add_u32_e32 v35, 0x100, v46
	v_cmp_gt_u32_e64 s[4:5], s45, v35
	v_mov_b32_e32 v3, s22
	s_and_saveexec_b64 s[6:7], s[4:5]
	s_cbranch_execz .LBB242_10
; %bb.9:
	v_mul_lo_u32 v4, v35, s46
	v_mov_b32_e32 v5, 0
	v_lshlrev_b64 v[4:5], 1, v[4:5]
	v_mov_b32_e32 v3, s44
	v_add_co_u32_e32 v4, vcc, s33, v4
	v_addc_co_u32_e32 v5, vcc, v3, v5, vcc
	global_load_ushort v3, v[4:5], off
.LBB242_10:
	;; [unrolled: 15-line block ×5, first 2 shown]
	s_or_b64 exec, exec, s[12:13]
	s_load_dwordx2 s[18:19], s[14:15], 0x0
	v_add_u32_e32 v26, 0x300, v46
	v_cmp_gt_u32_e64 s[12:13], s45, v26
	v_mov_b32_e32 v7, s22
	s_and_saveexec_b64 s[20:21], s[12:13]
	s_cbranch_execz .LBB242_18
; %bb.17:
	v_mul_lo_u32 v8, v26, s46
	v_mov_b32_e32 v9, 0
	v_lshlrev_b64 v[8:9], 1, v[8:9]
	v_mov_b32_e32 v7, s44
	v_add_co_u32_e32 v8, vcc, s33, v8
	v_addc_co_u32_e32 v9, vcc, v7, v9, vcc
	global_load_ushort v7, v[8:9], off
.LBB242_18:
	s_or_b64 exec, exec, s[20:21]
	s_load_dword s23, s[14:15], 0x6c
	v_add_u32_e32 v22, 0x380, v46
	v_cmp_gt_u32_e64 s[14:15], s45, v22
	v_mov_b32_e32 v8, s22
	s_and_saveexec_b64 s[20:21], s[14:15]
	s_cbranch_execz .LBB242_20
; %bb.19:
	v_mul_lo_u32 v8, v22, s46
	v_mov_b32_e32 v9, 0
	v_lshlrev_b64 v[8:9], 1, v[8:9]
	v_mov_b32_e32 v10, s44
	v_add_co_u32_e32 v8, vcc, s33, v8
	v_addc_co_u32_e32 v9, vcc, v10, v9, vcc
	global_load_ushort v8, v[8:9], off
.LBB242_20:
	s_or_b64 exec, exec, s[20:21]
	v_lshrrev_b32_e32 v34, 5, v46
	v_and_b32_e32 v9, 30, v34
	v_add_lshl_u32 v47, v9, v46, 1
	v_lshrrev_b32_e32 v32, 5, v36
	s_waitcnt vmcnt(0)
	ds_write_b16 v47, v1
	v_and_b32_e32 v1, 62, v32
	v_lshrrev_b32_e32 v31, 5, v35
	v_add_lshl_u32 v43, v1, v46, 1
	v_and_b32_e32 v1, 62, v31
	v_lshrrev_b32_e32 v29, 5, v33
	v_add_lshl_u32 v48, v1, v46, 1
	;; [unrolled: 3-line block ×5, first 2 shown]
	v_and_b32_e32 v1, 62, v23
	v_add_lshl_u32 v52, v1, v46, 1
	v_lshrrev_b32_e32 v1, 5, v22
	ds_write_b16 v43, v2 offset:256
	v_and_b32_e32 v2, 62, v1
	v_lshrrev_b32_e32 v24, 2, v46
	v_add_lshl_u32 v53, v2, v46, 1
	v_lshlrev_b32_e32 v63, 3, v46
	v_and_b32_e32 v2, 0xfe, v24
	s_waitcnt lgkmcnt(0)
	s_mul_i32 s16, s23, s16
	v_add_lshl_u32 v54, v2, v63, 1
	s_add_i32 s16, s16, s17
	s_mov_b32 s17, 0
	ds_write_b16 v48, v3 offset:512
	ds_write_b16 v49, v4 offset:768
	;; [unrolled: 1-line block ×6, first 2 shown]
	s_waitcnt lgkmcnt(0)
	s_barrier
	ds_read_b128 v[18:21], v54
	s_lshl_b64 s[20:21], s[16:17], 3
	s_add_u32 s45, s18, s20
	s_mov_b32 s16, s17
	s_addc_u32 s47, s19, s21
	s_mov_b32 s18, s17
	s_mov_b32 s19, s17
	;; [unrolled: 1-line block ×14, first 2 shown]
	v_pk_mov_b32 v[2:3], s[16:17], s[16:17] op_sel:[0,1]
	v_pk_mov_b32 v[4:5], s[18:19], s[18:19] op_sel:[0,1]
	;; [unrolled: 1-line block ×8, first 2 shown]
	v_pk_mov_b32 v[2:3], 0, 0
	v_mul_lo_u32 v44, v46, s48
	s_waitcnt lgkmcnt(0)
	s_barrier
	s_and_saveexec_b64 s[16:17], s[0:1]
	s_cbranch_execnz .LBB242_75
; %bb.21:
	s_or_b64 exec, exec, s[16:17]
	s_and_saveexec_b64 s[16:17], s[2:3]
	s_cbranch_execnz .LBB242_76
.LBB242_22:
	s_or_b64 exec, exec, s[16:17]
	s_and_saveexec_b64 s[16:17], s[4:5]
	s_cbranch_execnz .LBB242_77
.LBB242_23:
	s_or_b64 exec, exec, s[16:17]
	s_and_saveexec_b64 s[16:17], s[6:7]
	s_cbranch_execnz .LBB242_78
.LBB242_24:
	s_or_b64 exec, exec, s[16:17]
	s_and_saveexec_b64 s[16:17], s[8:9]
	s_cbranch_execnz .LBB242_79
.LBB242_25:
	s_or_b64 exec, exec, s[16:17]
	s_and_saveexec_b64 s[16:17], s[10:11]
	s_cbranch_execnz .LBB242_80
.LBB242_26:
	s_or_b64 exec, exec, s[16:17]
	s_and_saveexec_b64 s[16:17], s[12:13]
	s_cbranch_execnz .LBB242_81
.LBB242_27:
	s_or_b64 exec, exec, s[16:17]
	s_xor_b64 s[16:17], s[34:35], -1
	s_and_saveexec_b64 s[18:19], s[14:15]
	s_cbranch_execz .LBB242_29
.LBB242_28:
	v_mul_lo_u32 v16, v22, s48
	v_mov_b32_e32 v17, 0
	v_lshlrev_b64 v[16:17], 3, v[16:17]
	v_mov_b32_e32 v22, s47
	v_add_co_u32_e32 v16, vcc, s45, v16
	v_addc_co_u32_e32 v17, vcc, v22, v17, vcc
	global_load_dwordx2 v[16:17], v[16:17], off
.LBB242_29:
	s_or_b64 exec, exec, s[18:19]
	v_add_lshl_u32 v55, v34, v46, 3
	v_add_lshl_u32 v45, v32, v46, 3
	;; [unrolled: 1-line block ×9, first 2 shown]
	s_waitcnt vmcnt(0)
	ds_write_b64 v55, v[2:3]
	ds_write_b64 v45, v[4:5] offset:1024
	ds_write_b64 v56, v[6:7] offset:2048
	;; [unrolled: 1-line block ×7, first 2 shown]
	s_waitcnt lgkmcnt(0)
	s_barrier
	ds_read2_b64 v[14:17], v62 offset1:1
	ds_read2_b64 v[10:13], v62 offset0:2 offset1:3
	ds_read2_b64 v[6:9], v62 offset0:4 offset1:5
	;; [unrolled: 1-line block ×3, first 2 shown]
	s_and_b64 vcc, exec, s[16:17]
	v_bfe_u32 v65, v0, 10, 10
	v_bfe_u32 v66, v0, 20, 10
	v_mbcnt_lo_u32_b32 v67, -1, 0
	v_lshlrev_b32_e32 v64, 4, v46
	s_waitcnt lgkmcnt(0)
	s_barrier
	s_cbranch_vccz .LBB242_82
; %bb.30:
	s_movk_i32 s16, 0x8000
	v_pk_ashrrev_i16 v24, 15, v18 op_sel_hi:[0,1]
	v_or_b32_e32 v25, 0xffff8000, v24
	v_or_b32_sdwa v24, v24, s16 dst_sel:DWORD dst_unused:UNUSED_PAD src0_sel:WORD_1 src1_sel:DWORD
	v_pk_ashrrev_i16 v22, 15, v19 op_sel_hi:[0,1]
	v_xor_b32_sdwa v26, v24, v18 dst_sel:DWORD dst_unused:UNUSED_PAD src0_sel:DWORD src1_sel:WORD_1
	v_pk_ashrrev_i16 v24, 15, v21 op_sel_hi:[0,1]
	v_pk_ashrrev_i16 v28, 15, v20 op_sel_hi:[0,1]
	v_mbcnt_hi_u32_b32 v76, -1, v67
	v_and_b32_e32 v40, 0x3c0, v46
	v_or_b32_e32 v23, 0xffff8000, v22
	v_or_b32_sdwa v22, v22, s16 dst_sel:DWORD dst_unused:UNUSED_PAD src0_sel:WORD_1 src1_sel:DWORD
	v_xor_b32_e32 v27, v25, v18
	v_or_b32_e32 v25, 0xffff8000, v24
	v_or_b32_e32 v29, 0xffff8000, v28
	v_or_b32_sdwa v24, v24, s16 dst_sel:DWORD dst_unused:UNUSED_PAD src0_sel:WORD_1 src1_sel:DWORD
	v_or_b32_sdwa v28, v28, s16 dst_sel:DWORD dst_unused:UNUSED_PAD src0_sel:WORD_1 src1_sel:DWORD
	v_add_u32_e32 v0, v76, v40
	v_xor_b32_sdwa v22, v22, v19 dst_sel:DWORD dst_unused:UNUSED_PAD src0_sel:DWORD src1_sel:WORD_1
	v_xor_b32_e32 v23, v23, v19
	v_xor_b32_sdwa v28, v28, v20 dst_sel:DWORD dst_unused:UNUSED_PAD src0_sel:DWORD src1_sel:WORD_1
	v_xor_b32_sdwa v24, v24, v21 dst_sel:DWORD dst_unused:UNUSED_PAD src0_sel:DWORD src1_sel:WORD_1
	v_xor_b32_e32 v29, v29, v20
	v_xor_b32_e32 v25, v25, v21
	s_mov_b32 s16, 0x5040100
	v_lshlrev_b32_e32 v1, 4, v0
	v_perm_b32 v25, v24, v25, s16
	v_perm_b32 v24, v28, v29, s16
	;; [unrolled: 1-line block ×4, first 2 shown]
	v_and_b32_e32 v82, 0x1e00, v63
	ds_write_b128 v1, v[22:25]
	v_or_b32_e32 v1, v76, v82
	v_lshlrev_b32_e32 v22, 1, v1
	v_lshlrev_b32_e32 v0, 6, v0
	; wave barrier
	ds_read_u16 v79, v22
	ds_read_u16 v78, v22 offset:128
	ds_read_u16 v77, v22 offset:256
	;; [unrolled: 1-line block ×7, first 2 shown]
	s_waitcnt lgkmcnt(0)
	s_barrier
	ds_write2_b64 v0, v[14:15], v[16:17] offset1:1
	ds_write2_b64 v0, v[10:11], v[12:13] offset0:2 offset1:3
	ds_write2_b64 v0, v[6:7], v[8:9] offset0:4 offset1:5
	;; [unrolled: 1-line block ×3, first 2 shown]
	v_lshlrev_b32_e32 v0, 3, v1
	; wave barrier
	ds_read2st64_b64 v[34:37], v0 offset1:1
	ds_read2st64_b64 v[30:33], v0 offset0:2 offset1:3
	ds_read2st64_b64 v[26:29], v0 offset0:4 offset1:5
	;; [unrolled: 1-line block ×3, first 2 shown]
	s_waitcnt lgkmcnt(0)
	s_barrier
	s_load_dword s18, s[50:51], 0xc
	s_getpc_b64 s[16:17]
	s_add_u32 s16, s16, _ZN7rocprim17ROCPRIM_400000_NS16block_radix_sortI12hip_bfloat16Lj128ELj8ElLj1ELj1ELj0ELNS0_26block_radix_rank_algorithmE1ELNS0_18block_padding_hintE2ELNS0_4arch9wavefront6targetE1EE19radix_bits_per_passE@rel32@lo+4
	s_addc_u32 s17, s17, _ZN7rocprim17ROCPRIM_400000_NS16block_radix_sortI12hip_bfloat16Lj128ELj8ElLj1ELj1ELj0ELNS0_26block_radix_rank_algorithmE1ELNS0_18block_padding_hintE2ELNS0_4arch9wavefront6targetE1EE19radix_bits_per_passE@rel32@hi+12
	s_load_dword s40, s[16:17], 0x0
	s_movk_i32 s19, 0x7fff
	v_mov_b32_e32 v41, 0xffff8000
	s_waitcnt lgkmcnt(0)
	s_lshr_b32 s16, s18, 16
	s_and_b32 s17, s18, 0xffff
	v_mad_u32_u24 v1, v66, s16, v65
	v_mad_u64_u32 v[38:39], s[16:17], v1, s17, v[46:47]
	s_min_u32 s16, s40, 16
	s_lshl_b32 s16, -1, s16
	v_cmp_ne_u16_e32 vcc, s19, v79
	s_not_b32 s18, s16
	v_cndmask_b32_e32 v1, v41, v79, vcc
	v_lshrrev_b32_e32 v68, 6, v38
	v_and_b32_sdwa v38, s18, v1 dst_sel:DWORD dst_unused:UNUSED_PAD src0_sel:DWORD src1_sel:WORD_0
	v_lshlrev_b32_e32 v1, 1, v38
	v_add_lshl_u32 v83, v68, v1, 2
	v_and_b32_e32 v1, 1, v38
	v_add_co_u32_e32 v39, vcc, -1, v1
	v_addc_co_u32_e64 v69, s[16:17], 0, -1, vcc
	v_cmp_ne_u32_e32 vcc, 0, v1
	v_xor_b32_e32 v1, vcc_hi, v69
	v_mov_b32_e32 v0, 0
	v_and_b32_e32 v69, exec_hi, v1
	v_lshlrev_b32_e32 v1, 30, v38
	v_xor_b32_e32 v39, vcc_lo, v39
	v_cmp_gt_i64_e32 vcc, 0, v[0:1]
	v_not_b32_e32 v1, v1
	v_ashrrev_i32_e32 v1, 31, v1
	v_and_b32_e32 v39, exec_lo, v39
	v_xor_b32_e32 v70, vcc_hi, v1
	v_xor_b32_e32 v1, vcc_lo, v1
	v_and_b32_e32 v39, v39, v1
	v_lshlrev_b32_e32 v1, 29, v38
	v_cmp_gt_i64_e32 vcc, 0, v[0:1]
	v_not_b32_e32 v1, v1
	v_ashrrev_i32_e32 v1, 31, v1
	v_and_b32_e32 v69, v69, v70
	v_xor_b32_e32 v70, vcc_hi, v1
	v_xor_b32_e32 v1, vcc_lo, v1
	v_and_b32_e32 v39, v39, v1
	v_lshlrev_b32_e32 v1, 28, v38
	v_cmp_gt_i64_e32 vcc, 0, v[0:1]
	v_not_b32_e32 v1, v1
	v_ashrrev_i32_e32 v1, 31, v1
	v_and_b32_e32 v69, v69, v70
	;; [unrolled: 8-line block ×5, first 2 shown]
	v_xor_b32_e32 v70, vcc_hi, v1
	v_xor_b32_e32 v1, vcc_lo, v1
	v_and_b32_e32 v69, v69, v70
	v_and_b32_e32 v70, v39, v1
	v_lshlrev_b32_e32 v1, 24, v38
	v_cmp_gt_i64_e32 vcc, 0, v[0:1]
	v_not_b32_e32 v1, v1
	v_ashrrev_i32_e32 v1, 31, v1
	v_xor_b32_e32 v38, vcc_hi, v1
	v_xor_b32_e32 v1, vcc_lo, v1
	v_and_b32_e32 v39, v69, v38
	v_and_b32_e32 v38, v70, v1
	v_mbcnt_lo_u32_b32 v1, v38, 0
	v_mbcnt_hi_u32_b32 v84, v39, v1
	v_cmp_eq_u32_e32 vcc, 0, v84
	v_cmp_ne_u64_e64 s[16:17], 0, v[38:39]
	s_and_b64 s[20:21], s[16:17], vcc
	ds_write2_b32 v64, v0, v0 offset0:2 offset1:3
	ds_write2_b32 v64, v0, v0 offset0:4 offset1:5
	s_waitcnt lgkmcnt(0)
	s_barrier
	s_waitcnt lgkmcnt(0)
	; wave barrier
	s_and_saveexec_b64 s[16:17], s[20:21]
	s_cbranch_execz .LBB242_32
; %bb.31:
	v_bcnt_u32_b32 v1, v38, 0
	v_bcnt_u32_b32 v1, v39, v1
	ds_write_b32 v83, v1 offset:8
.LBB242_32:
	s_or_b64 exec, exec, s[16:17]
	v_cmp_ne_u16_e32 vcc, s19, v78
	v_cndmask_b32_e32 v1, v41, v78, vcc
	v_and_b32_sdwa v38, s18, v1 dst_sel:DWORD dst_unused:UNUSED_PAD src0_sel:DWORD src1_sel:WORD_0
	v_lshlrev_b32_e32 v1, 1, v38
	v_add_lshl_u32 v86, v68, v1, 2
	v_and_b32_e32 v1, 1, v38
	v_add_co_u32_e32 v39, vcc, -1, v1
	v_addc_co_u32_e64 v41, s[16:17], 0, -1, vcc
	v_cmp_ne_u32_e32 vcc, 0, v1
	v_xor_b32_e32 v1, vcc_hi, v41
	v_and_b32_e32 v41, exec_hi, v1
	v_lshlrev_b32_e32 v1, 30, v38
	v_xor_b32_e32 v39, vcc_lo, v39
	v_cmp_gt_i64_e32 vcc, 0, v[0:1]
	v_not_b32_e32 v1, v1
	v_ashrrev_i32_e32 v1, 31, v1
	v_and_b32_e32 v39, exec_lo, v39
	v_xor_b32_e32 v69, vcc_hi, v1
	v_xor_b32_e32 v1, vcc_lo, v1
	v_and_b32_e32 v39, v39, v1
	v_lshlrev_b32_e32 v1, 29, v38
	v_cmp_gt_i64_e32 vcc, 0, v[0:1]
	v_not_b32_e32 v1, v1
	v_ashrrev_i32_e32 v1, 31, v1
	v_and_b32_e32 v41, v41, v69
	v_xor_b32_e32 v69, vcc_hi, v1
	v_xor_b32_e32 v1, vcc_lo, v1
	v_and_b32_e32 v39, v39, v1
	v_lshlrev_b32_e32 v1, 28, v38
	v_cmp_gt_i64_e32 vcc, 0, v[0:1]
	v_not_b32_e32 v1, v1
	v_ashrrev_i32_e32 v1, 31, v1
	v_and_b32_e32 v41, v41, v69
	v_xor_b32_e32 v69, vcc_hi, v1
	v_xor_b32_e32 v1, vcc_lo, v1
	v_and_b32_e32 v39, v39, v1
	v_lshlrev_b32_e32 v1, 27, v38
	v_cmp_gt_i64_e32 vcc, 0, v[0:1]
	v_not_b32_e32 v1, v1
	v_ashrrev_i32_e32 v1, 31, v1
	v_and_b32_e32 v41, v41, v69
	v_xor_b32_e32 v69, vcc_hi, v1
	v_xor_b32_e32 v1, vcc_lo, v1
	v_and_b32_e32 v39, v39, v1
	v_lshlrev_b32_e32 v1, 26, v38
	v_cmp_gt_i64_e32 vcc, 0, v[0:1]
	v_not_b32_e32 v1, v1
	v_ashrrev_i32_e32 v1, 31, v1
	v_and_b32_e32 v41, v41, v69
	v_xor_b32_e32 v69, vcc_hi, v1
	v_xor_b32_e32 v1, vcc_lo, v1
	v_and_b32_e32 v39, v39, v1
	v_lshlrev_b32_e32 v1, 25, v38
	v_cmp_gt_i64_e32 vcc, 0, v[0:1]
	v_not_b32_e32 v1, v1
	v_ashrrev_i32_e32 v1, 31, v1
	v_and_b32_e32 v41, v41, v69
	v_xor_b32_e32 v69, vcc_hi, v1
	v_xor_b32_e32 v1, vcc_lo, v1
	v_and_b32_e32 v39, v39, v1
	v_lshlrev_b32_e32 v1, 24, v38
	v_cmp_gt_i64_e32 vcc, 0, v[0:1]
	v_not_b32_e32 v0, v1
	v_ashrrev_i32_e32 v0, 31, v0
	v_xor_b32_e32 v1, vcc_hi, v0
	v_xor_b32_e32 v0, vcc_lo, v0
	; wave barrier
	ds_read_b32 v85, v86 offset:8
	v_and_b32_e32 v41, v41, v69
	v_and_b32_e32 v0, v39, v0
	;; [unrolled: 1-line block ×3, first 2 shown]
	v_mbcnt_lo_u32_b32 v38, v0, 0
	v_mbcnt_hi_u32_b32 v87, v1, v38
	v_cmp_eq_u32_e32 vcc, 0, v87
	v_cmp_ne_u64_e64 s[16:17], 0, v[0:1]
	s_and_b64 s[20:21], s[16:17], vcc
	; wave barrier
	s_and_saveexec_b64 s[16:17], s[20:21]
	s_cbranch_execz .LBB242_34
; %bb.33:
	v_bcnt_u32_b32 v0, v0, 0
	v_bcnt_u32_b32 v0, v1, v0
	s_waitcnt lgkmcnt(0)
	v_add_u32_e32 v0, v85, v0
	ds_write_b32 v86, v0 offset:8
.LBB242_34:
	s_or_b64 exec, exec, s[16:17]
	v_mov_b32_e32 v41, 0xffff8000
	v_cmp_ne_u16_e32 vcc, s19, v77
	v_cndmask_b32_e32 v0, v41, v77, vcc
	v_and_b32_sdwa v38, s18, v0 dst_sel:DWORD dst_unused:UNUSED_PAD src0_sel:DWORD src1_sel:WORD_0
	v_and_b32_e32 v1, 1, v38
	v_add_co_u32_e32 v39, vcc, -1, v1
	v_addc_co_u32_e64 v69, s[16:17], 0, -1, vcc
	v_cmp_ne_u32_e32 vcc, 0, v1
	v_lshlrev_b32_e32 v0, 1, v38
	v_xor_b32_e32 v1, vcc_hi, v69
	v_add_lshl_u32 v89, v68, v0, 2
	v_mov_b32_e32 v0, 0
	v_and_b32_e32 v69, exec_hi, v1
	v_lshlrev_b32_e32 v1, 30, v38
	v_xor_b32_e32 v39, vcc_lo, v39
	v_cmp_gt_i64_e32 vcc, 0, v[0:1]
	v_not_b32_e32 v1, v1
	v_ashrrev_i32_e32 v1, 31, v1
	v_and_b32_e32 v39, exec_lo, v39
	v_xor_b32_e32 v70, vcc_hi, v1
	v_xor_b32_e32 v1, vcc_lo, v1
	v_and_b32_e32 v39, v39, v1
	v_lshlrev_b32_e32 v1, 29, v38
	v_cmp_gt_i64_e32 vcc, 0, v[0:1]
	v_not_b32_e32 v1, v1
	v_ashrrev_i32_e32 v1, 31, v1
	v_and_b32_e32 v69, v69, v70
	v_xor_b32_e32 v70, vcc_hi, v1
	v_xor_b32_e32 v1, vcc_lo, v1
	v_and_b32_e32 v39, v39, v1
	v_lshlrev_b32_e32 v1, 28, v38
	v_cmp_gt_i64_e32 vcc, 0, v[0:1]
	v_not_b32_e32 v1, v1
	v_ashrrev_i32_e32 v1, 31, v1
	v_and_b32_e32 v69, v69, v70
	;; [unrolled: 8-line block ×5, first 2 shown]
	v_xor_b32_e32 v70, vcc_hi, v1
	v_xor_b32_e32 v1, vcc_lo, v1
	v_and_b32_e32 v69, v69, v70
	v_and_b32_e32 v70, v39, v1
	v_lshlrev_b32_e32 v1, 24, v38
	v_cmp_gt_i64_e32 vcc, 0, v[0:1]
	v_not_b32_e32 v1, v1
	v_ashrrev_i32_e32 v1, 31, v1
	v_xor_b32_e32 v38, vcc_hi, v1
	v_xor_b32_e32 v1, vcc_lo, v1
	; wave barrier
	ds_read_b32 v88, v89 offset:8
	v_and_b32_e32 v39, v69, v38
	v_and_b32_e32 v38, v70, v1
	v_mbcnt_lo_u32_b32 v1, v38, 0
	v_mbcnt_hi_u32_b32 v90, v39, v1
	v_cmp_eq_u32_e32 vcc, 0, v90
	v_cmp_ne_u64_e64 s[16:17], 0, v[38:39]
	s_and_b64 s[20:21], s[16:17], vcc
	; wave barrier
	s_and_saveexec_b64 s[16:17], s[20:21]
	s_cbranch_execz .LBB242_36
; %bb.35:
	v_bcnt_u32_b32 v1, v38, 0
	v_bcnt_u32_b32 v1, v39, v1
	s_waitcnt lgkmcnt(0)
	v_add_u32_e32 v1, v88, v1
	ds_write_b32 v89, v1 offset:8
.LBB242_36:
	s_or_b64 exec, exec, s[16:17]
	v_cmp_ne_u16_e32 vcc, s19, v75
	v_cndmask_b32_e32 v1, v41, v75, vcc
	v_and_b32_sdwa v38, s18, v1 dst_sel:DWORD dst_unused:UNUSED_PAD src0_sel:DWORD src1_sel:WORD_0
	v_lshlrev_b32_e32 v1, 1, v38
	v_add_lshl_u32 v92, v68, v1, 2
	v_and_b32_e32 v1, 1, v38
	v_add_co_u32_e32 v39, vcc, -1, v1
	v_addc_co_u32_e64 v41, s[16:17], 0, -1, vcc
	v_cmp_ne_u32_e32 vcc, 0, v1
	v_xor_b32_e32 v1, vcc_hi, v41
	v_and_b32_e32 v41, exec_hi, v1
	v_lshlrev_b32_e32 v1, 30, v38
	v_xor_b32_e32 v39, vcc_lo, v39
	v_cmp_gt_i64_e32 vcc, 0, v[0:1]
	v_not_b32_e32 v1, v1
	v_ashrrev_i32_e32 v1, 31, v1
	v_and_b32_e32 v39, exec_lo, v39
	v_xor_b32_e32 v69, vcc_hi, v1
	v_xor_b32_e32 v1, vcc_lo, v1
	v_and_b32_e32 v39, v39, v1
	v_lshlrev_b32_e32 v1, 29, v38
	v_cmp_gt_i64_e32 vcc, 0, v[0:1]
	v_not_b32_e32 v1, v1
	v_ashrrev_i32_e32 v1, 31, v1
	v_and_b32_e32 v41, v41, v69
	v_xor_b32_e32 v69, vcc_hi, v1
	v_xor_b32_e32 v1, vcc_lo, v1
	v_and_b32_e32 v39, v39, v1
	v_lshlrev_b32_e32 v1, 28, v38
	v_cmp_gt_i64_e32 vcc, 0, v[0:1]
	v_not_b32_e32 v1, v1
	v_ashrrev_i32_e32 v1, 31, v1
	v_and_b32_e32 v41, v41, v69
	;; [unrolled: 8-line block ×5, first 2 shown]
	v_xor_b32_e32 v69, vcc_hi, v1
	v_xor_b32_e32 v1, vcc_lo, v1
	v_and_b32_e32 v39, v39, v1
	v_lshlrev_b32_e32 v1, 24, v38
	v_cmp_gt_i64_e32 vcc, 0, v[0:1]
	v_not_b32_e32 v0, v1
	v_ashrrev_i32_e32 v0, 31, v0
	v_xor_b32_e32 v1, vcc_hi, v0
	v_xor_b32_e32 v0, vcc_lo, v0
	; wave barrier
	ds_read_b32 v91, v92 offset:8
	v_and_b32_e32 v41, v41, v69
	v_and_b32_e32 v0, v39, v0
	;; [unrolled: 1-line block ×3, first 2 shown]
	v_mbcnt_lo_u32_b32 v38, v0, 0
	v_mbcnt_hi_u32_b32 v93, v1, v38
	v_cmp_eq_u32_e32 vcc, 0, v93
	v_cmp_ne_u64_e64 s[16:17], 0, v[0:1]
	s_and_b64 s[20:21], s[16:17], vcc
	; wave barrier
	s_and_saveexec_b64 s[16:17], s[20:21]
	s_cbranch_execz .LBB242_38
; %bb.37:
	v_bcnt_u32_b32 v0, v0, 0
	v_bcnt_u32_b32 v0, v1, v0
	s_waitcnt lgkmcnt(0)
	v_add_u32_e32 v0, v91, v0
	ds_write_b32 v92, v0 offset:8
.LBB242_38:
	s_or_b64 exec, exec, s[16:17]
	v_mov_b32_e32 v41, 0xffff8000
	v_cmp_ne_u16_e32 vcc, s19, v74
	v_cndmask_b32_e32 v0, v41, v74, vcc
	v_and_b32_sdwa v38, s18, v0 dst_sel:DWORD dst_unused:UNUSED_PAD src0_sel:DWORD src1_sel:WORD_0
	v_and_b32_e32 v1, 1, v38
	v_add_co_u32_e32 v39, vcc, -1, v1
	v_addc_co_u32_e64 v69, s[16:17], 0, -1, vcc
	v_cmp_ne_u32_e32 vcc, 0, v1
	v_lshlrev_b32_e32 v0, 1, v38
	v_xor_b32_e32 v1, vcc_hi, v69
	v_add_lshl_u32 v95, v68, v0, 2
	v_mov_b32_e32 v0, 0
	v_and_b32_e32 v69, exec_hi, v1
	v_lshlrev_b32_e32 v1, 30, v38
	v_xor_b32_e32 v39, vcc_lo, v39
	v_cmp_gt_i64_e32 vcc, 0, v[0:1]
	v_not_b32_e32 v1, v1
	v_ashrrev_i32_e32 v1, 31, v1
	v_and_b32_e32 v39, exec_lo, v39
	v_xor_b32_e32 v70, vcc_hi, v1
	v_xor_b32_e32 v1, vcc_lo, v1
	v_and_b32_e32 v39, v39, v1
	v_lshlrev_b32_e32 v1, 29, v38
	v_cmp_gt_i64_e32 vcc, 0, v[0:1]
	v_not_b32_e32 v1, v1
	v_ashrrev_i32_e32 v1, 31, v1
	v_and_b32_e32 v69, v69, v70
	v_xor_b32_e32 v70, vcc_hi, v1
	v_xor_b32_e32 v1, vcc_lo, v1
	v_and_b32_e32 v39, v39, v1
	v_lshlrev_b32_e32 v1, 28, v38
	v_cmp_gt_i64_e32 vcc, 0, v[0:1]
	v_not_b32_e32 v1, v1
	v_ashrrev_i32_e32 v1, 31, v1
	v_and_b32_e32 v69, v69, v70
	;; [unrolled: 8-line block ×5, first 2 shown]
	v_xor_b32_e32 v70, vcc_hi, v1
	v_xor_b32_e32 v1, vcc_lo, v1
	v_and_b32_e32 v69, v69, v70
	v_and_b32_e32 v70, v39, v1
	v_lshlrev_b32_e32 v1, 24, v38
	v_cmp_gt_i64_e32 vcc, 0, v[0:1]
	v_not_b32_e32 v1, v1
	v_ashrrev_i32_e32 v1, 31, v1
	v_xor_b32_e32 v38, vcc_hi, v1
	v_xor_b32_e32 v1, vcc_lo, v1
	; wave barrier
	ds_read_b32 v94, v95 offset:8
	v_and_b32_e32 v39, v69, v38
	v_and_b32_e32 v38, v70, v1
	v_mbcnt_lo_u32_b32 v1, v38, 0
	v_mbcnt_hi_u32_b32 v96, v39, v1
	v_cmp_eq_u32_e32 vcc, 0, v96
	v_cmp_ne_u64_e64 s[16:17], 0, v[38:39]
	s_and_b64 s[20:21], s[16:17], vcc
	; wave barrier
	s_and_saveexec_b64 s[16:17], s[20:21]
	s_cbranch_execz .LBB242_40
; %bb.39:
	v_bcnt_u32_b32 v1, v38, 0
	v_bcnt_u32_b32 v1, v39, v1
	s_waitcnt lgkmcnt(0)
	v_add_u32_e32 v1, v94, v1
	ds_write_b32 v95, v1 offset:8
.LBB242_40:
	s_or_b64 exec, exec, s[16:17]
	v_cmp_ne_u16_e32 vcc, s19, v73
	v_cndmask_b32_e32 v1, v41, v73, vcc
	v_and_b32_sdwa v38, s18, v1 dst_sel:DWORD dst_unused:UNUSED_PAD src0_sel:DWORD src1_sel:WORD_0
	v_lshlrev_b32_e32 v1, 1, v38
	v_add_lshl_u32 v98, v68, v1, 2
	v_and_b32_e32 v1, 1, v38
	v_add_co_u32_e32 v39, vcc, -1, v1
	v_addc_co_u32_e64 v41, s[16:17], 0, -1, vcc
	v_cmp_ne_u32_e32 vcc, 0, v1
	v_xor_b32_e32 v1, vcc_hi, v41
	v_and_b32_e32 v41, exec_hi, v1
	v_lshlrev_b32_e32 v1, 30, v38
	v_xor_b32_e32 v39, vcc_lo, v39
	v_cmp_gt_i64_e32 vcc, 0, v[0:1]
	v_not_b32_e32 v1, v1
	v_ashrrev_i32_e32 v1, 31, v1
	v_and_b32_e32 v39, exec_lo, v39
	v_xor_b32_e32 v69, vcc_hi, v1
	v_xor_b32_e32 v1, vcc_lo, v1
	v_and_b32_e32 v39, v39, v1
	v_lshlrev_b32_e32 v1, 29, v38
	v_cmp_gt_i64_e32 vcc, 0, v[0:1]
	v_not_b32_e32 v1, v1
	v_ashrrev_i32_e32 v1, 31, v1
	v_and_b32_e32 v41, v41, v69
	v_xor_b32_e32 v69, vcc_hi, v1
	v_xor_b32_e32 v1, vcc_lo, v1
	v_and_b32_e32 v39, v39, v1
	v_lshlrev_b32_e32 v1, 28, v38
	v_cmp_gt_i64_e32 vcc, 0, v[0:1]
	v_not_b32_e32 v1, v1
	v_ashrrev_i32_e32 v1, 31, v1
	v_and_b32_e32 v41, v41, v69
	;; [unrolled: 8-line block ×5, first 2 shown]
	v_xor_b32_e32 v69, vcc_hi, v1
	v_xor_b32_e32 v1, vcc_lo, v1
	v_and_b32_e32 v39, v39, v1
	v_lshlrev_b32_e32 v1, 24, v38
	v_cmp_gt_i64_e32 vcc, 0, v[0:1]
	v_not_b32_e32 v0, v1
	v_ashrrev_i32_e32 v0, 31, v0
	v_xor_b32_e32 v1, vcc_hi, v0
	v_xor_b32_e32 v0, vcc_lo, v0
	; wave barrier
	ds_read_b32 v97, v98 offset:8
	v_and_b32_e32 v41, v41, v69
	v_and_b32_e32 v0, v39, v0
	;; [unrolled: 1-line block ×3, first 2 shown]
	v_mbcnt_lo_u32_b32 v38, v0, 0
	v_mbcnt_hi_u32_b32 v99, v1, v38
	v_cmp_eq_u32_e32 vcc, 0, v99
	v_cmp_ne_u64_e64 s[16:17], 0, v[0:1]
	s_and_b64 s[20:21], s[16:17], vcc
	; wave barrier
	s_and_saveexec_b64 s[16:17], s[20:21]
	s_cbranch_execz .LBB242_42
; %bb.41:
	v_bcnt_u32_b32 v0, v0, 0
	v_bcnt_u32_b32 v0, v1, v0
	s_waitcnt lgkmcnt(0)
	v_add_u32_e32 v0, v97, v0
	ds_write_b32 v98, v0 offset:8
.LBB242_42:
	s_or_b64 exec, exec, s[16:17]
	v_mov_b32_e32 v41, 0xffff8000
	v_cmp_ne_u16_e32 vcc, s19, v72
	v_cndmask_b32_e32 v0, v41, v72, vcc
	v_and_b32_sdwa v38, s18, v0 dst_sel:DWORD dst_unused:UNUSED_PAD src0_sel:DWORD src1_sel:WORD_0
	v_and_b32_e32 v1, 1, v38
	v_add_co_u32_e32 v39, vcc, -1, v1
	v_addc_co_u32_e64 v69, s[16:17], 0, -1, vcc
	v_cmp_ne_u32_e32 vcc, 0, v1
	v_lshlrev_b32_e32 v0, 1, v38
	v_xor_b32_e32 v1, vcc_hi, v69
	v_add_lshl_u32 v101, v68, v0, 2
	v_mov_b32_e32 v0, 0
	v_and_b32_e32 v69, exec_hi, v1
	v_lshlrev_b32_e32 v1, 30, v38
	v_xor_b32_e32 v39, vcc_lo, v39
	v_cmp_gt_i64_e32 vcc, 0, v[0:1]
	v_not_b32_e32 v1, v1
	v_ashrrev_i32_e32 v1, 31, v1
	v_and_b32_e32 v39, exec_lo, v39
	v_xor_b32_e32 v70, vcc_hi, v1
	v_xor_b32_e32 v1, vcc_lo, v1
	v_and_b32_e32 v39, v39, v1
	v_lshlrev_b32_e32 v1, 29, v38
	v_cmp_gt_i64_e32 vcc, 0, v[0:1]
	v_not_b32_e32 v1, v1
	v_ashrrev_i32_e32 v1, 31, v1
	v_and_b32_e32 v69, v69, v70
	v_xor_b32_e32 v70, vcc_hi, v1
	v_xor_b32_e32 v1, vcc_lo, v1
	v_and_b32_e32 v39, v39, v1
	v_lshlrev_b32_e32 v1, 28, v38
	v_cmp_gt_i64_e32 vcc, 0, v[0:1]
	v_not_b32_e32 v1, v1
	v_ashrrev_i32_e32 v1, 31, v1
	v_and_b32_e32 v69, v69, v70
	;; [unrolled: 8-line block ×5, first 2 shown]
	v_xor_b32_e32 v70, vcc_hi, v1
	v_xor_b32_e32 v1, vcc_lo, v1
	v_and_b32_e32 v69, v69, v70
	v_and_b32_e32 v70, v39, v1
	v_lshlrev_b32_e32 v1, 24, v38
	v_cmp_gt_i64_e32 vcc, 0, v[0:1]
	v_not_b32_e32 v1, v1
	v_ashrrev_i32_e32 v1, 31, v1
	v_xor_b32_e32 v38, vcc_hi, v1
	v_xor_b32_e32 v1, vcc_lo, v1
	; wave barrier
	ds_read_b32 v100, v101 offset:8
	v_and_b32_e32 v39, v69, v38
	v_and_b32_e32 v38, v70, v1
	v_mbcnt_lo_u32_b32 v1, v38, 0
	v_mbcnt_hi_u32_b32 v102, v39, v1
	v_cmp_eq_u32_e32 vcc, 0, v102
	v_cmp_ne_u64_e64 s[16:17], 0, v[38:39]
	s_and_b64 s[20:21], s[16:17], vcc
	; wave barrier
	s_and_saveexec_b64 s[16:17], s[20:21]
	s_cbranch_execz .LBB242_44
; %bb.43:
	v_bcnt_u32_b32 v1, v38, 0
	v_bcnt_u32_b32 v1, v39, v1
	s_waitcnt lgkmcnt(0)
	v_add_u32_e32 v1, v100, v1
	ds_write_b32 v101, v1 offset:8
.LBB242_44:
	s_or_b64 exec, exec, s[16:17]
	v_cmp_ne_u16_e32 vcc, s19, v71
	v_cndmask_b32_e32 v1, v41, v71, vcc
	v_and_b32_sdwa v38, s18, v1 dst_sel:DWORD dst_unused:UNUSED_PAD src0_sel:DWORD src1_sel:WORD_0
	v_lshlrev_b32_e32 v1, 1, v38
	v_add_lshl_u32 v104, v68, v1, 2
	v_and_b32_e32 v1, 1, v38
	v_add_co_u32_e32 v39, vcc, -1, v1
	v_min_u32_e32 v80, 64, v40
	v_addc_co_u32_e64 v40, s[16:17], 0, -1, vcc
	v_cmp_ne_u32_e32 vcc, 0, v1
	v_xor_b32_e32 v1, vcc_hi, v40
	v_and_b32_e32 v40, exec_hi, v1
	v_lshlrev_b32_e32 v1, 30, v38
	v_xor_b32_e32 v39, vcc_lo, v39
	v_cmp_gt_i64_e32 vcc, 0, v[0:1]
	v_not_b32_e32 v1, v1
	v_ashrrev_i32_e32 v1, 31, v1
	v_and_b32_e32 v39, exec_lo, v39
	v_xor_b32_e32 v41, vcc_hi, v1
	v_xor_b32_e32 v1, vcc_lo, v1
	v_and_b32_e32 v39, v39, v1
	v_lshlrev_b32_e32 v1, 29, v38
	v_cmp_gt_i64_e32 vcc, 0, v[0:1]
	v_not_b32_e32 v1, v1
	v_ashrrev_i32_e32 v1, 31, v1
	v_and_b32_e32 v40, v40, v41
	v_xor_b32_e32 v41, vcc_hi, v1
	v_xor_b32_e32 v1, vcc_lo, v1
	v_and_b32_e32 v39, v39, v1
	v_lshlrev_b32_e32 v1, 28, v38
	v_cmp_gt_i64_e32 vcc, 0, v[0:1]
	v_not_b32_e32 v1, v1
	v_ashrrev_i32_e32 v1, 31, v1
	v_and_b32_e32 v40, v40, v41
	;; [unrolled: 8-line block ×5, first 2 shown]
	v_xor_b32_e32 v41, vcc_hi, v1
	v_xor_b32_e32 v1, vcc_lo, v1
	v_and_b32_e32 v39, v39, v1
	v_lshlrev_b32_e32 v1, 24, v38
	v_cmp_gt_i64_e32 vcc, 0, v[0:1]
	v_not_b32_e32 v0, v1
	v_ashrrev_i32_e32 v0, 31, v0
	v_xor_b32_e32 v1, vcc_hi, v0
	v_xor_b32_e32 v0, vcc_lo, v0
	; wave barrier
	ds_read_b32 v103, v104 offset:8
	v_and_b32_e32 v40, v40, v41
	v_and_b32_e32 v0, v39, v0
	;; [unrolled: 1-line block ×3, first 2 shown]
	v_mbcnt_lo_u32_b32 v38, v0, 0
	v_mbcnt_hi_u32_b32 v105, v1, v38
	v_cmp_eq_u32_e32 vcc, 0, v105
	v_cmp_ne_u64_e64 s[16:17], 0, v[0:1]
	v_or_b32_e32 v69, 8, v64
	v_lshrrev_b32_e32 v70, 6, v46
	s_and_b64 s[18:19], s[16:17], vcc
	; wave barrier
	s_and_saveexec_b64 s[16:17], s[18:19]
	s_cbranch_execz .LBB242_46
; %bb.45:
	v_bcnt_u32_b32 v0, v0, 0
	v_bcnt_u32_b32 v0, v1, v0
	s_waitcnt lgkmcnt(0)
	v_add_u32_e32 v0, v103, v0
	ds_write_b32 v104, v0 offset:8
.LBB242_46:
	s_or_b64 exec, exec, s[16:17]
	; wave barrier
	s_waitcnt lgkmcnt(0)
	s_barrier
	ds_read2_b32 v[38:39], v64 offset0:2 offset1:3
	ds_read2_b32 v[40:41], v69 offset0:2 offset1:3
	v_and_b32_e32 v1, 16, v76
	v_cmp_eq_u32_e32 vcc, 0, v1
	v_or_b32_e32 v1, 63, v80
	v_cmp_eq_u32_e64 s[16:17], v1, v46
	s_waitcnt lgkmcnt(1)
	v_add_u32_e32 v1, v39, v38
	v_and_b32_e32 v0, 15, v76
	s_waitcnt lgkmcnt(0)
	v_add3_u32 v1, v1, v40, v41
	v_cmp_eq_u32_e64 s[20:21], 0, v0
	v_cmp_lt_u32_e64 s[22:23], 1, v0
	v_mov_b32_dpp v41, v1 row_shr:1 row_mask:0xf bank_mask:0xf
	v_cndmask_b32_e64 v41, v41, 0, s[20:21]
	v_add_u32_e32 v1, v41, v1
	v_cmp_lt_u32_e64 s[26:27], 3, v0
	v_cmp_lt_u32_e64 s[28:29], 7, v0
	v_mov_b32_dpp v41, v1 row_shr:2 row_mask:0xf bank_mask:0xf
	v_cndmask_b32_e64 v41, 0, v41, s[22:23]
	v_add_u32_e32 v1, v1, v41
	v_bfe_i32 v81, v76, 4, 1
	v_cmp_lt_u32_e64 s[34:35], 31, v76
	v_mov_b32_dpp v41, v1 row_shr:4 row_mask:0xf bank_mask:0xf
	v_cndmask_b32_e64 v41, 0, v41, s[26:27]
	v_add_u32_e32 v1, v1, v41
	v_lshlrev_b32_e32 v70, 2, v70
	s_nop 0
	v_mov_b32_dpp v41, v1 row_shr:8 row_mask:0xf bank_mask:0xf
	v_cndmask_b32_e64 v0, 0, v41, s[28:29]
	v_add_u32_e32 v0, v1, v0
	s_nop 1
	v_mov_b32_dpp v1, v0 row_bcast:15 row_mask:0xf bank_mask:0xf
	v_and_b32_e32 v1, v81, v1
	v_add_u32_e32 v0, v0, v1
	s_nop 1
	v_mov_b32_dpp v1, v0 row_bcast:31 row_mask:0xf bank_mask:0xf
	v_cndmask_b32_e64 v1, 0, v1, s[34:35]
	v_add_u32_e32 v1, v0, v1
	s_and_saveexec_b64 s[18:19], s[16:17]
	s_cbranch_execz .LBB242_48
; %bb.47:
	ds_write_b32 v70, v1
.LBB242_48:
	s_or_b64 exec, exec, s[18:19]
	v_and_b32_e32 v0, 1, v76
	v_cmp_gt_u32_e64 s[24:25], 2, v46
	v_lshlrev_b32_e32 v41, 2, v46
	v_cmp_eq_u32_e64 s[18:19], 0, v0
	s_waitcnt lgkmcnt(0)
	s_barrier
	s_and_saveexec_b64 s[30:31], s[24:25]
	s_cbranch_execz .LBB242_50
; %bb.49:
	ds_read_b32 v0, v41
	s_waitcnt lgkmcnt(0)
	s_nop 0
	v_mov_b32_dpp v80, v0 row_shr:1 row_mask:0xf bank_mask:0xf
	v_cndmask_b32_e64 v80, v80, 0, s[18:19]
	v_add_u32_e32 v0, v80, v0
	ds_write_b32 v41, v0
.LBB242_50:
	s_or_b64 exec, exec, s[30:31]
	v_cmp_lt_u32_e64 s[30:31], 63, v46
	v_add_u32_e32 v80, -4, v70
	v_mov_b32_e32 v0, 0
	v_mov_b32_e32 v106, 0
	s_waitcnt lgkmcnt(0)
	s_barrier
	s_and_saveexec_b64 s[36:37], s[30:31]
	s_cbranch_execz .LBB242_52
; %bb.51:
	ds_read_b32 v106, v80
.LBB242_52:
	s_or_b64 exec, exec, s[36:37]
	v_add_u32_e32 v81, -1, v76
	v_and_b32_e32 v107, 64, v76
	v_cmp_lt_i32_e64 s[36:37], v81, v107
	v_cndmask_b32_e64 v81, v81, v76, s[36:37]
	v_lshlrev_b32_e32 v81, 2, v81
	s_waitcnt lgkmcnt(0)
	v_add_u32_e32 v1, v106, v1
	ds_bpermute_b32 v1, v81, v1
	v_cmp_eq_u32_e64 s[36:37], 0, v76
	v_cmp_eq_u32_e64 s[38:39], 0, v46
	v_and_or_b32 v82, v76, 63, v82
	v_lshlrev_b32_e32 v107, 1, v82
	s_waitcnt lgkmcnt(0)
	v_cndmask_b32_e64 v1, v1, v106, s[36:37]
	v_cndmask_b32_e64 v1, v1, 0, s[38:39]
	v_add_u32_e32 v38, v1, v38
	v_add_u32_e32 v39, v38, v39
	;; [unrolled: 1-line block ×3, first 2 shown]
	ds_write2_b32 v64, v1, v38 offset0:2 offset1:3
	ds_write2_b32 v69, v39, v40 offset0:2 offset1:3
	s_waitcnt lgkmcnt(0)
	s_barrier
	ds_read_b32 v1, v83 offset:8
	ds_read_b32 v38, v86 offset:8
	;; [unrolled: 1-line block ×8, first 2 shown]
	s_waitcnt lgkmcnt(7)
	v_add_u32_e32 v1, v1, v84
	s_waitcnt lgkmcnt(6)
	v_add3_u32 v38, v87, v85, v38
	s_waitcnt lgkmcnt(4)
	v_add3_u32 v84, v93, v91, v40
	v_lshlrev_b32_e32 v40, 1, v1
	v_add3_u32 v39, v90, v88, v39
	s_waitcnt lgkmcnt(0)
	s_barrier
	ds_write_b16 v40, v79
	v_lshlrev_b32_e32 v40, 1, v38
	ds_write_b16 v40, v78
	v_lshlrev_b32_e32 v40, 1, v39
	v_add3_u32 v85, v96, v94, v76
	ds_write_b16 v40, v77
	v_lshlrev_b32_e32 v40, 1, v84
	v_add3_u32 v83, v99, v97, v83
	;; [unrolled: 3-line block ×4, first 2 shown]
	ds_write_b16 v40, v73
	v_lshlrev_b32_e32 v40, 1, v86
	ds_write_b16 v40, v72
	v_lshlrev_b32_e32 v40, 1, v87
	v_lshlrev_b32_e32 v1, 3, v1
	ds_write_b16 v40, v71
	s_waitcnt lgkmcnt(0)
	s_barrier
	ds_read_u16 v77, v107
	ds_read_u16 v76, v107 offset:128
	ds_read_u16 v75, v107 offset:256
	ds_read_u16 v74, v107 offset:384
	ds_read_u16 v73, v107 offset:512
	ds_read_u16 v72, v107 offset:640
	ds_read_u16 v71, v107 offset:768
	ds_read_u16 v40, v107 offset:896
	s_waitcnt lgkmcnt(0)
	s_barrier
	ds_write_b64 v1, v[34:35]
	v_lshlrev_b32_e32 v1, 3, v38
	ds_write_b64 v1, v[36:37]
	v_lshlrev_b32_e32 v1, 3, v39
	;; [unrolled: 2-line block ×6, first 2 shown]
	s_min_u32 s40, s40, 8
	ds_write_b64 v1, v[22:23]
	v_lshlrev_b32_e32 v1, 3, v87
	s_lshl_b32 s40, -1, s40
	s_movk_i32 s52, 0x7fff
	ds_write_b64 v1, v[24:25]
	s_not_b32 s49, s40
	v_lshrrev_b16_e32 v1, 8, v77
	v_mov_b32_e32 v38, 0x80
	v_cmp_ne_u16_e64 s[40:41], s52, v77
	v_cndmask_b32_e64 v1, v38, v1, s[40:41]
	v_and_b32_sdwa v39, v1, s49 dst_sel:DWORD dst_unused:UNUSED_PAD src0_sel:WORD_0 src1_sel:DWORD
	v_lshlrev_b32_e32 v1, 1, v39
	v_add_lshl_u32 v78, v1, v68, 2
	v_and_b32_e32 v1, 1, v39
	v_lshlrev_b32_e32 v82, 3, v82
	v_add_co_u32_e64 v79, s[40:41], -1, v1
	s_waitcnt lgkmcnt(0)
	s_barrier
	ds_read2st64_b64 v[34:37], v82 offset1:1
	ds_read2st64_b64 v[30:33], v82 offset0:2 offset1:3
	ds_read2st64_b64 v[26:29], v82 offset0:4 offset1:5
	;; [unrolled: 1-line block ×3, first 2 shown]
	v_addc_co_u32_e64 v82, s[40:41], 0, -1, s[40:41]
	v_cmp_ne_u32_e64 s[40:41], 0, v1
	v_xor_b32_e32 v1, s41, v82
	v_and_b32_e32 v82, exec_hi, v1
	v_lshlrev_b32_e32 v1, 30, v39
	v_xor_b32_e32 v79, s40, v79
	v_cmp_gt_i64_e64 s[40:41], 0, v[0:1]
	v_not_b32_e32 v1, v1
	v_ashrrev_i32_e32 v1, 31, v1
	v_and_b32_e32 v79, exec_lo, v79
	v_xor_b32_e32 v83, s41, v1
	v_xor_b32_e32 v1, s40, v1
	v_and_b32_e32 v79, v79, v1
	v_lshlrev_b32_e32 v1, 29, v39
	v_cmp_gt_i64_e64 s[40:41], 0, v[0:1]
	v_not_b32_e32 v1, v1
	v_ashrrev_i32_e32 v1, 31, v1
	v_and_b32_e32 v82, v82, v83
	v_xor_b32_e32 v83, s41, v1
	v_xor_b32_e32 v1, s40, v1
	v_and_b32_e32 v79, v79, v1
	v_lshlrev_b32_e32 v1, 28, v39
	v_cmp_gt_i64_e64 s[40:41], 0, v[0:1]
	v_not_b32_e32 v1, v1
	v_ashrrev_i32_e32 v1, 31, v1
	v_and_b32_e32 v82, v82, v83
	;; [unrolled: 8-line block ×5, first 2 shown]
	v_xor_b32_e32 v83, s41, v1
	v_xor_b32_e32 v1, s40, v1
	v_and_b32_e32 v79, v79, v1
	v_lshlrev_b32_e32 v1, 24, v39
	s_waitcnt lgkmcnt(0)
	s_barrier
	ds_write2_b32 v64, v0, v0 offset0:2 offset1:3
	ds_write2_b32 v69, v0, v0 offset0:2 offset1:3
	v_cmp_gt_i64_e64 s[40:41], 0, v[0:1]
	v_not_b32_e32 v0, v1
	v_ashrrev_i32_e32 v0, 31, v0
	v_xor_b32_e32 v1, s41, v0
	v_xor_b32_e32 v0, s40, v0
	v_and_b32_e32 v82, v82, v83
	v_and_b32_e32 v0, v79, v0
	;; [unrolled: 1-line block ×3, first 2 shown]
	v_mbcnt_lo_u32_b32 v39, v0, 0
	v_mbcnt_hi_u32_b32 v79, v1, v39
	v_cmp_eq_u32_e64 s[40:41], 0, v79
	v_cmp_ne_u64_e64 s[42:43], 0, v[0:1]
	s_and_b64 s[42:43], s[42:43], s[40:41]
	s_waitcnt lgkmcnt(0)
	s_barrier
	s_waitcnt lgkmcnt(0)
	; wave barrier
	s_and_saveexec_b64 s[40:41], s[42:43]
	s_cbranch_execz .LBB242_54
; %bb.53:
	v_bcnt_u32_b32 v0, v0, 0
	v_bcnt_u32_b32 v0, v1, v0
	ds_write_b32 v78, v0 offset:8
.LBB242_54:
	s_or_b64 exec, exec, s[40:41]
	v_lshrrev_b16_e32 v0, 8, v76
	v_cmp_ne_u16_e64 s[40:41], s52, v76
	v_cndmask_b32_e64 v0, v38, v0, s[40:41]
	v_and_b32_e32 v38, s49, v0
	v_and_b32_e32 v1, 1, v38
	v_add_co_u32_e64 v39, s[40:41], -1, v1
	v_addc_co_u32_e64 v84, s[40:41], 0, -1, s[40:41]
	v_cmp_ne_u32_e64 s[40:41], 0, v1
	v_lshlrev_b32_e32 v0, 1, v38
	v_xor_b32_e32 v1, s41, v84
	v_add_lshl_u32 v83, v0, v68, 2
	v_mov_b32_e32 v0, 0
	v_and_b32_e32 v84, exec_hi, v1
	v_lshlrev_b32_e32 v1, 30, v38
	v_xor_b32_e32 v39, s40, v39
	v_cmp_gt_i64_e64 s[40:41], 0, v[0:1]
	v_not_b32_e32 v1, v1
	v_ashrrev_i32_e32 v1, 31, v1
	v_and_b32_e32 v39, exec_lo, v39
	v_xor_b32_e32 v85, s41, v1
	v_xor_b32_e32 v1, s40, v1
	v_and_b32_e32 v39, v39, v1
	v_lshlrev_b32_e32 v1, 29, v38
	v_cmp_gt_i64_e64 s[40:41], 0, v[0:1]
	v_not_b32_e32 v1, v1
	v_ashrrev_i32_e32 v1, 31, v1
	v_and_b32_e32 v84, v84, v85
	v_xor_b32_e32 v85, s41, v1
	v_xor_b32_e32 v1, s40, v1
	v_and_b32_e32 v39, v39, v1
	v_lshlrev_b32_e32 v1, 28, v38
	v_cmp_gt_i64_e64 s[40:41], 0, v[0:1]
	v_not_b32_e32 v1, v1
	v_ashrrev_i32_e32 v1, 31, v1
	v_and_b32_e32 v84, v84, v85
	;; [unrolled: 8-line block ×5, first 2 shown]
	v_xor_b32_e32 v85, s41, v1
	v_xor_b32_e32 v1, s40, v1
	v_and_b32_e32 v84, v84, v85
	v_and_b32_e32 v85, v39, v1
	v_lshlrev_b32_e32 v1, 24, v38
	v_cmp_gt_i64_e64 s[40:41], 0, v[0:1]
	v_not_b32_e32 v1, v1
	v_ashrrev_i32_e32 v1, 31, v1
	v_xor_b32_e32 v38, s41, v1
	v_xor_b32_e32 v1, s40, v1
	; wave barrier
	ds_read_b32 v82, v83 offset:8
	v_and_b32_e32 v39, v84, v38
	v_and_b32_e32 v38, v85, v1
	v_mbcnt_lo_u32_b32 v1, v38, 0
	v_mbcnt_hi_u32_b32 v84, v39, v1
	v_cmp_eq_u32_e64 s[40:41], 0, v84
	v_cmp_ne_u64_e64 s[42:43], 0, v[38:39]
	s_and_b64 s[42:43], s[42:43], s[40:41]
	; wave barrier
	s_and_saveexec_b64 s[40:41], s[42:43]
	s_cbranch_execz .LBB242_56
; %bb.55:
	v_bcnt_u32_b32 v1, v38, 0
	v_bcnt_u32_b32 v1, v39, v1
	s_waitcnt lgkmcnt(0)
	v_add_u32_e32 v1, v82, v1
	ds_write_b32 v83, v1 offset:8
.LBB242_56:
	s_or_b64 exec, exec, s[40:41]
	v_lshrrev_b16_e32 v1, 8, v75
	v_mov_b32_e32 v38, 0x80
	v_cmp_ne_u16_e64 s[40:41], s52, v75
	v_cndmask_b32_e64 v1, v38, v1, s[40:41]
	v_and_b32_e32 v39, s49, v1
	v_lshlrev_b32_e32 v1, 1, v39
	v_add_lshl_u32 v86, v1, v68, 2
	v_and_b32_e32 v1, 1, v39
	v_add_co_u32_e64 v87, s[40:41], -1, v1
	v_addc_co_u32_e64 v88, s[40:41], 0, -1, s[40:41]
	v_cmp_ne_u32_e64 s[40:41], 0, v1
	v_xor_b32_e32 v1, s41, v88
	v_and_b32_e32 v88, exec_hi, v1
	v_lshlrev_b32_e32 v1, 30, v39
	v_xor_b32_e32 v87, s40, v87
	v_cmp_gt_i64_e64 s[40:41], 0, v[0:1]
	v_not_b32_e32 v1, v1
	v_ashrrev_i32_e32 v1, 31, v1
	v_and_b32_e32 v87, exec_lo, v87
	v_xor_b32_e32 v89, s41, v1
	v_xor_b32_e32 v1, s40, v1
	v_and_b32_e32 v87, v87, v1
	v_lshlrev_b32_e32 v1, 29, v39
	v_cmp_gt_i64_e64 s[40:41], 0, v[0:1]
	v_not_b32_e32 v1, v1
	v_ashrrev_i32_e32 v1, 31, v1
	v_and_b32_e32 v88, v88, v89
	v_xor_b32_e32 v89, s41, v1
	v_xor_b32_e32 v1, s40, v1
	v_and_b32_e32 v87, v87, v1
	v_lshlrev_b32_e32 v1, 28, v39
	v_cmp_gt_i64_e64 s[40:41], 0, v[0:1]
	v_not_b32_e32 v1, v1
	v_ashrrev_i32_e32 v1, 31, v1
	v_and_b32_e32 v88, v88, v89
	;; [unrolled: 8-line block ×5, first 2 shown]
	v_xor_b32_e32 v89, s41, v1
	v_xor_b32_e32 v1, s40, v1
	v_and_b32_e32 v87, v87, v1
	v_lshlrev_b32_e32 v1, 24, v39
	v_cmp_gt_i64_e64 s[40:41], 0, v[0:1]
	v_not_b32_e32 v0, v1
	v_ashrrev_i32_e32 v0, 31, v0
	v_xor_b32_e32 v1, s41, v0
	v_xor_b32_e32 v0, s40, v0
	; wave barrier
	ds_read_b32 v85, v86 offset:8
	v_and_b32_e32 v88, v88, v89
	v_and_b32_e32 v0, v87, v0
	;; [unrolled: 1-line block ×3, first 2 shown]
	v_mbcnt_lo_u32_b32 v39, v0, 0
	v_mbcnt_hi_u32_b32 v87, v1, v39
	v_cmp_eq_u32_e64 s[40:41], 0, v87
	v_cmp_ne_u64_e64 s[42:43], 0, v[0:1]
	s_and_b64 s[42:43], s[42:43], s[40:41]
	; wave barrier
	s_and_saveexec_b64 s[40:41], s[42:43]
	s_cbranch_execz .LBB242_58
; %bb.57:
	v_bcnt_u32_b32 v0, v0, 0
	v_bcnt_u32_b32 v0, v1, v0
	s_waitcnt lgkmcnt(0)
	v_add_u32_e32 v0, v85, v0
	ds_write_b32 v86, v0 offset:8
.LBB242_58:
	s_or_b64 exec, exec, s[40:41]
	v_lshrrev_b16_e32 v0, 8, v74
	v_cmp_ne_u16_e64 s[40:41], s52, v74
	v_cndmask_b32_e64 v0, v38, v0, s[40:41]
	v_and_b32_e32 v38, s49, v0
	v_and_b32_e32 v1, 1, v38
	v_add_co_u32_e64 v39, s[40:41], -1, v1
	v_addc_co_u32_e64 v90, s[40:41], 0, -1, s[40:41]
	v_cmp_ne_u32_e64 s[40:41], 0, v1
	v_lshlrev_b32_e32 v0, 1, v38
	v_xor_b32_e32 v1, s41, v90
	v_add_lshl_u32 v89, v0, v68, 2
	v_mov_b32_e32 v0, 0
	v_and_b32_e32 v90, exec_hi, v1
	v_lshlrev_b32_e32 v1, 30, v38
	v_xor_b32_e32 v39, s40, v39
	v_cmp_gt_i64_e64 s[40:41], 0, v[0:1]
	v_not_b32_e32 v1, v1
	v_ashrrev_i32_e32 v1, 31, v1
	v_and_b32_e32 v39, exec_lo, v39
	v_xor_b32_e32 v91, s41, v1
	v_xor_b32_e32 v1, s40, v1
	v_and_b32_e32 v39, v39, v1
	v_lshlrev_b32_e32 v1, 29, v38
	v_cmp_gt_i64_e64 s[40:41], 0, v[0:1]
	v_not_b32_e32 v1, v1
	v_ashrrev_i32_e32 v1, 31, v1
	v_and_b32_e32 v90, v90, v91
	v_xor_b32_e32 v91, s41, v1
	v_xor_b32_e32 v1, s40, v1
	v_and_b32_e32 v39, v39, v1
	v_lshlrev_b32_e32 v1, 28, v38
	v_cmp_gt_i64_e64 s[40:41], 0, v[0:1]
	v_not_b32_e32 v1, v1
	v_ashrrev_i32_e32 v1, 31, v1
	v_and_b32_e32 v90, v90, v91
	;; [unrolled: 8-line block ×5, first 2 shown]
	v_xor_b32_e32 v91, s41, v1
	v_xor_b32_e32 v1, s40, v1
	v_and_b32_e32 v90, v90, v91
	v_and_b32_e32 v91, v39, v1
	v_lshlrev_b32_e32 v1, 24, v38
	v_cmp_gt_i64_e64 s[40:41], 0, v[0:1]
	v_not_b32_e32 v1, v1
	v_ashrrev_i32_e32 v1, 31, v1
	v_xor_b32_e32 v38, s41, v1
	v_xor_b32_e32 v1, s40, v1
	; wave barrier
	ds_read_b32 v88, v89 offset:8
	v_and_b32_e32 v39, v90, v38
	v_and_b32_e32 v38, v91, v1
	v_mbcnt_lo_u32_b32 v1, v38, 0
	v_mbcnt_hi_u32_b32 v90, v39, v1
	v_cmp_eq_u32_e64 s[40:41], 0, v90
	v_cmp_ne_u64_e64 s[42:43], 0, v[38:39]
	s_and_b64 s[42:43], s[42:43], s[40:41]
	; wave barrier
	s_and_saveexec_b64 s[40:41], s[42:43]
	s_cbranch_execz .LBB242_60
; %bb.59:
	v_bcnt_u32_b32 v1, v38, 0
	v_bcnt_u32_b32 v1, v39, v1
	s_waitcnt lgkmcnt(0)
	v_add_u32_e32 v1, v88, v1
	ds_write_b32 v89, v1 offset:8
.LBB242_60:
	s_or_b64 exec, exec, s[40:41]
	v_lshrrev_b16_e32 v1, 8, v73
	v_mov_b32_e32 v38, 0x80
	v_cmp_ne_u16_e64 s[40:41], s52, v73
	v_cndmask_b32_e64 v1, v38, v1, s[40:41]
	v_and_b32_e32 v39, s49, v1
	v_lshlrev_b32_e32 v1, 1, v39
	v_add_lshl_u32 v92, v1, v68, 2
	v_and_b32_e32 v1, 1, v39
	v_add_co_u32_e64 v93, s[40:41], -1, v1
	v_addc_co_u32_e64 v94, s[40:41], 0, -1, s[40:41]
	v_cmp_ne_u32_e64 s[40:41], 0, v1
	v_xor_b32_e32 v1, s41, v94
	v_and_b32_e32 v94, exec_hi, v1
	v_lshlrev_b32_e32 v1, 30, v39
	v_xor_b32_e32 v93, s40, v93
	v_cmp_gt_i64_e64 s[40:41], 0, v[0:1]
	v_not_b32_e32 v1, v1
	v_ashrrev_i32_e32 v1, 31, v1
	v_and_b32_e32 v93, exec_lo, v93
	v_xor_b32_e32 v95, s41, v1
	v_xor_b32_e32 v1, s40, v1
	v_and_b32_e32 v93, v93, v1
	v_lshlrev_b32_e32 v1, 29, v39
	v_cmp_gt_i64_e64 s[40:41], 0, v[0:1]
	v_not_b32_e32 v1, v1
	v_ashrrev_i32_e32 v1, 31, v1
	v_and_b32_e32 v94, v94, v95
	v_xor_b32_e32 v95, s41, v1
	v_xor_b32_e32 v1, s40, v1
	v_and_b32_e32 v93, v93, v1
	v_lshlrev_b32_e32 v1, 28, v39
	v_cmp_gt_i64_e64 s[40:41], 0, v[0:1]
	v_not_b32_e32 v1, v1
	v_ashrrev_i32_e32 v1, 31, v1
	v_and_b32_e32 v94, v94, v95
	;; [unrolled: 8-line block ×5, first 2 shown]
	v_xor_b32_e32 v95, s41, v1
	v_xor_b32_e32 v1, s40, v1
	v_and_b32_e32 v93, v93, v1
	v_lshlrev_b32_e32 v1, 24, v39
	v_cmp_gt_i64_e64 s[40:41], 0, v[0:1]
	v_not_b32_e32 v0, v1
	v_ashrrev_i32_e32 v0, 31, v0
	v_xor_b32_e32 v1, s41, v0
	v_xor_b32_e32 v0, s40, v0
	; wave barrier
	ds_read_b32 v91, v92 offset:8
	v_and_b32_e32 v94, v94, v95
	v_and_b32_e32 v0, v93, v0
	;; [unrolled: 1-line block ×3, first 2 shown]
	v_mbcnt_lo_u32_b32 v39, v0, 0
	v_mbcnt_hi_u32_b32 v93, v1, v39
	v_cmp_eq_u32_e64 s[40:41], 0, v93
	v_cmp_ne_u64_e64 s[42:43], 0, v[0:1]
	s_and_b64 s[42:43], s[42:43], s[40:41]
	; wave barrier
	s_and_saveexec_b64 s[40:41], s[42:43]
	s_cbranch_execz .LBB242_62
; %bb.61:
	v_bcnt_u32_b32 v0, v0, 0
	v_bcnt_u32_b32 v0, v1, v0
	s_waitcnt lgkmcnt(0)
	v_add_u32_e32 v0, v91, v0
	ds_write_b32 v92, v0 offset:8
.LBB242_62:
	s_or_b64 exec, exec, s[40:41]
	v_lshrrev_b16_e32 v0, 8, v72
	v_cmp_ne_u16_e64 s[40:41], s52, v72
	v_cndmask_b32_e64 v0, v38, v0, s[40:41]
	v_and_b32_e32 v38, s49, v0
	v_and_b32_e32 v1, 1, v38
	v_add_co_u32_e64 v39, s[40:41], -1, v1
	v_addc_co_u32_e64 v96, s[40:41], 0, -1, s[40:41]
	v_cmp_ne_u32_e64 s[40:41], 0, v1
	v_lshlrev_b32_e32 v0, 1, v38
	v_xor_b32_e32 v1, s41, v96
	v_add_lshl_u32 v95, v0, v68, 2
	v_mov_b32_e32 v0, 0
	v_and_b32_e32 v96, exec_hi, v1
	v_lshlrev_b32_e32 v1, 30, v38
	v_xor_b32_e32 v39, s40, v39
	v_cmp_gt_i64_e64 s[40:41], 0, v[0:1]
	v_not_b32_e32 v1, v1
	v_ashrrev_i32_e32 v1, 31, v1
	v_and_b32_e32 v39, exec_lo, v39
	v_xor_b32_e32 v97, s41, v1
	v_xor_b32_e32 v1, s40, v1
	v_and_b32_e32 v39, v39, v1
	v_lshlrev_b32_e32 v1, 29, v38
	v_cmp_gt_i64_e64 s[40:41], 0, v[0:1]
	v_not_b32_e32 v1, v1
	v_ashrrev_i32_e32 v1, 31, v1
	v_and_b32_e32 v96, v96, v97
	v_xor_b32_e32 v97, s41, v1
	v_xor_b32_e32 v1, s40, v1
	v_and_b32_e32 v39, v39, v1
	v_lshlrev_b32_e32 v1, 28, v38
	v_cmp_gt_i64_e64 s[40:41], 0, v[0:1]
	v_not_b32_e32 v1, v1
	v_ashrrev_i32_e32 v1, 31, v1
	v_and_b32_e32 v96, v96, v97
	;; [unrolled: 8-line block ×5, first 2 shown]
	v_xor_b32_e32 v97, s41, v1
	v_xor_b32_e32 v1, s40, v1
	v_and_b32_e32 v96, v96, v97
	v_and_b32_e32 v97, v39, v1
	v_lshlrev_b32_e32 v1, 24, v38
	v_cmp_gt_i64_e64 s[40:41], 0, v[0:1]
	v_not_b32_e32 v1, v1
	v_ashrrev_i32_e32 v1, 31, v1
	v_xor_b32_e32 v38, s41, v1
	v_xor_b32_e32 v1, s40, v1
	; wave barrier
	ds_read_b32 v94, v95 offset:8
	v_and_b32_e32 v39, v96, v38
	v_and_b32_e32 v38, v97, v1
	v_mbcnt_lo_u32_b32 v1, v38, 0
	v_mbcnt_hi_u32_b32 v96, v39, v1
	v_cmp_eq_u32_e64 s[40:41], 0, v96
	v_cmp_ne_u64_e64 s[42:43], 0, v[38:39]
	s_and_b64 s[42:43], s[42:43], s[40:41]
	; wave barrier
	s_and_saveexec_b64 s[40:41], s[42:43]
	s_cbranch_execz .LBB242_64
; %bb.63:
	v_bcnt_u32_b32 v1, v38, 0
	v_bcnt_u32_b32 v1, v39, v1
	s_waitcnt lgkmcnt(0)
	v_add_u32_e32 v1, v94, v1
	ds_write_b32 v95, v1 offset:8
.LBB242_64:
	s_or_b64 exec, exec, s[40:41]
	v_lshrrev_b16_e32 v1, 8, v71
	v_mov_b32_e32 v38, 0x80
	v_cmp_ne_u16_e64 s[40:41], s52, v71
	v_cndmask_b32_e64 v1, v38, v1, s[40:41]
	v_and_b32_e32 v39, s49, v1
	v_lshlrev_b32_e32 v1, 1, v39
	v_add_lshl_u32 v98, v1, v68, 2
	v_and_b32_e32 v1, 1, v39
	v_add_co_u32_e64 v99, s[40:41], -1, v1
	v_addc_co_u32_e64 v100, s[40:41], 0, -1, s[40:41]
	v_cmp_ne_u32_e64 s[40:41], 0, v1
	v_xor_b32_e32 v1, s41, v100
	v_and_b32_e32 v100, exec_hi, v1
	v_lshlrev_b32_e32 v1, 30, v39
	v_xor_b32_e32 v99, s40, v99
	v_cmp_gt_i64_e64 s[40:41], 0, v[0:1]
	v_not_b32_e32 v1, v1
	v_ashrrev_i32_e32 v1, 31, v1
	v_and_b32_e32 v99, exec_lo, v99
	v_xor_b32_e32 v101, s41, v1
	v_xor_b32_e32 v1, s40, v1
	v_and_b32_e32 v99, v99, v1
	v_lshlrev_b32_e32 v1, 29, v39
	v_cmp_gt_i64_e64 s[40:41], 0, v[0:1]
	v_not_b32_e32 v1, v1
	v_ashrrev_i32_e32 v1, 31, v1
	v_and_b32_e32 v100, v100, v101
	v_xor_b32_e32 v101, s41, v1
	v_xor_b32_e32 v1, s40, v1
	v_and_b32_e32 v99, v99, v1
	v_lshlrev_b32_e32 v1, 28, v39
	v_cmp_gt_i64_e64 s[40:41], 0, v[0:1]
	v_not_b32_e32 v1, v1
	v_ashrrev_i32_e32 v1, 31, v1
	v_and_b32_e32 v100, v100, v101
	;; [unrolled: 8-line block ×5, first 2 shown]
	v_xor_b32_e32 v101, s41, v1
	v_xor_b32_e32 v1, s40, v1
	v_and_b32_e32 v99, v99, v1
	v_lshlrev_b32_e32 v1, 24, v39
	v_cmp_gt_i64_e64 s[40:41], 0, v[0:1]
	v_not_b32_e32 v0, v1
	v_ashrrev_i32_e32 v0, 31, v0
	v_xor_b32_e32 v1, s41, v0
	v_xor_b32_e32 v0, s40, v0
	; wave barrier
	ds_read_b32 v97, v98 offset:8
	v_and_b32_e32 v100, v100, v101
	v_and_b32_e32 v0, v99, v0
	;; [unrolled: 1-line block ×3, first 2 shown]
	v_mbcnt_lo_u32_b32 v39, v0, 0
	v_mbcnt_hi_u32_b32 v99, v1, v39
	v_cmp_eq_u32_e64 s[40:41], 0, v99
	v_cmp_ne_u64_e64 s[42:43], 0, v[0:1]
	s_and_b64 s[42:43], s[42:43], s[40:41]
	; wave barrier
	s_and_saveexec_b64 s[40:41], s[42:43]
	s_cbranch_execz .LBB242_66
; %bb.65:
	v_bcnt_u32_b32 v0, v0, 0
	v_bcnt_u32_b32 v0, v1, v0
	s_waitcnt lgkmcnt(0)
	v_add_u32_e32 v0, v97, v0
	ds_write_b32 v98, v0 offset:8
.LBB242_66:
	s_or_b64 exec, exec, s[40:41]
	v_lshrrev_b16_e32 v0, 8, v40
	v_cmp_ne_u16_e64 s[40:41], s52, v40
	v_cndmask_b32_e64 v0, v38, v0, s[40:41]
	v_and_b32_e32 v38, s49, v0
	v_and_b32_e32 v1, 1, v38
	v_add_co_u32_e64 v39, s[40:41], -1, v1
	v_addc_co_u32_e64 v101, s[40:41], 0, -1, s[40:41]
	v_cmp_ne_u32_e64 s[40:41], 0, v1
	v_lshlrev_b32_e32 v0, 1, v38
	v_xor_b32_e32 v1, s41, v101
	v_add_lshl_u32 v100, v0, v68, 2
	v_mov_b32_e32 v0, 0
	v_and_b32_e32 v101, exec_hi, v1
	v_lshlrev_b32_e32 v1, 30, v38
	v_xor_b32_e32 v39, s40, v39
	v_cmp_gt_i64_e64 s[40:41], 0, v[0:1]
	v_not_b32_e32 v1, v1
	v_ashrrev_i32_e32 v1, 31, v1
	v_and_b32_e32 v39, exec_lo, v39
	v_xor_b32_e32 v102, s41, v1
	v_xor_b32_e32 v1, s40, v1
	v_and_b32_e32 v39, v39, v1
	v_lshlrev_b32_e32 v1, 29, v38
	v_cmp_gt_i64_e64 s[40:41], 0, v[0:1]
	v_not_b32_e32 v1, v1
	v_ashrrev_i32_e32 v1, 31, v1
	v_and_b32_e32 v101, v101, v102
	v_xor_b32_e32 v102, s41, v1
	v_xor_b32_e32 v1, s40, v1
	v_and_b32_e32 v39, v39, v1
	v_lshlrev_b32_e32 v1, 28, v38
	v_cmp_gt_i64_e64 s[40:41], 0, v[0:1]
	v_not_b32_e32 v1, v1
	v_ashrrev_i32_e32 v1, 31, v1
	v_and_b32_e32 v101, v101, v102
	;; [unrolled: 8-line block ×5, first 2 shown]
	v_xor_b32_e32 v102, s41, v1
	v_xor_b32_e32 v1, s40, v1
	v_and_b32_e32 v39, v39, v1
	v_lshlrev_b32_e32 v1, 24, v38
	v_cmp_gt_i64_e64 s[40:41], 0, v[0:1]
	v_not_b32_e32 v0, v1
	v_ashrrev_i32_e32 v0, 31, v0
	v_xor_b32_e32 v1, s41, v0
	v_xor_b32_e32 v0, s40, v0
	; wave barrier
	ds_read_b32 v68, v100 offset:8
	v_and_b32_e32 v101, v101, v102
	v_and_b32_e32 v0, v39, v0
	v_and_b32_e32 v1, v101, v1
	v_mbcnt_lo_u32_b32 v38, v0, 0
	v_mbcnt_hi_u32_b32 v101, v1, v38
	v_cmp_eq_u32_e64 s[40:41], 0, v101
	v_cmp_ne_u64_e64 s[42:43], 0, v[0:1]
	s_and_b64 s[42:43], s[42:43], s[40:41]
	; wave barrier
	s_and_saveexec_b64 s[40:41], s[42:43]
	s_cbranch_execz .LBB242_68
; %bb.67:
	v_bcnt_u32_b32 v0, v0, 0
	v_bcnt_u32_b32 v0, v1, v0
	s_waitcnt lgkmcnt(0)
	v_add_u32_e32 v0, v68, v0
	ds_write_b32 v100, v0 offset:8
.LBB242_68:
	s_or_b64 exec, exec, s[40:41]
	; wave barrier
	s_waitcnt lgkmcnt(0)
	s_barrier
	ds_read2_b32 v[38:39], v64 offset0:2 offset1:3
	ds_read2_b32 v[0:1], v69 offset0:2 offset1:3
	s_waitcnt lgkmcnt(1)
	v_add_u32_e32 v102, v39, v38
	s_waitcnt lgkmcnt(0)
	v_add3_u32 v1, v102, v0, v1
	s_nop 1
	v_mov_b32_dpp v102, v1 row_shr:1 row_mask:0xf bank_mask:0xf
	v_cndmask_b32_e64 v102, v102, 0, s[20:21]
	v_add_u32_e32 v1, v102, v1
	s_nop 1
	v_mov_b32_dpp v102, v1 row_shr:2 row_mask:0xf bank_mask:0xf
	v_cndmask_b32_e64 v102, 0, v102, s[22:23]
	v_add_u32_e32 v1, v1, v102
	;; [unrolled: 4-line block ×4, first 2 shown]
	s_nop 1
	v_mov_b32_dpp v102, v1 row_bcast:15 row_mask:0xf bank_mask:0xf
	v_cndmask_b32_e64 v102, v102, 0, vcc
	v_add_u32_e32 v1, v1, v102
	s_nop 1
	v_mov_b32_dpp v102, v1 row_bcast:31 row_mask:0xf bank_mask:0xf
	v_cndmask_b32_e64 v102, 0, v102, s[34:35]
	v_add_u32_e32 v102, v1, v102
	s_and_saveexec_b64 s[20:21], s[16:17]
	s_cbranch_execz .LBB242_70
; %bb.69:
	ds_write_b32 v70, v102
.LBB242_70:
	s_or_b64 exec, exec, s[20:21]
	s_waitcnt lgkmcnt(0)
	s_barrier
	s_and_saveexec_b64 s[16:17], s[24:25]
	s_cbranch_execz .LBB242_72
; %bb.71:
	ds_read_b32 v1, v41
	s_waitcnt lgkmcnt(0)
	s_nop 0
	v_mov_b32_dpp v70, v1 row_shr:1 row_mask:0xf bank_mask:0xf
	v_cndmask_b32_e64 v70, v70, 0, s[18:19]
	v_add_u32_e32 v1, v70, v1
	ds_write_b32 v41, v1
.LBB242_72:
	s_or_b64 exec, exec, s[16:17]
	v_mov_b32_e32 v1, 0
	v_mov_b32_e32 v41, 0
	s_waitcnt lgkmcnt(0)
	s_barrier
	s_and_saveexec_b64 s[16:17], s[30:31]
	s_cbranch_execz .LBB242_74
; %bb.73:
	ds_read_b32 v41, v80
.LBB242_74:
	s_or_b64 exec, exec, s[16:17]
	s_waitcnt lgkmcnt(0)
	v_add_u32_e32 v70, v41, v102
	ds_bpermute_b32 v70, v81, v70
	s_mov_b32 s18, 0x5040100
	s_waitcnt lgkmcnt(0)
	v_cndmask_b32_e64 v41, v70, v41, s[36:37]
	v_cndmask_b32_e64 v41, v41, 0, s[38:39]
	v_add_u32_e32 v38, v41, v38
	v_add_u32_e32 v39, v38, v39
	v_add_u32_e32 v0, v39, v0
	ds_write2_b32 v64, v41, v38 offset0:2 offset1:3
	ds_write2_b32 v69, v39, v0 offset0:2 offset1:3
	s_waitcnt lgkmcnt(0)
	s_barrier
	ds_read_b32 v0, v100 offset:8
	ds_read_b32 v38, v98 offset:8
	;; [unrolled: 1-line block ×4, first 2 shown]
	s_waitcnt lgkmcnt(3)
	v_add3_u32 v0, v101, v68, v0
	ds_read_b32 v68, v89 offset:8
	ds_read_b32 v69, v86 offset:8
	;; [unrolled: 1-line block ×4, first 2 shown]
	s_waitcnt lgkmcnt(0)
	s_barrier
	v_add3_u32 v69, v87, v85, v69
	v_add3_u32 v70, v84, v82, v70
	v_add_u32_e32 v78, v78, v79
	v_lshlrev_b32_e32 v79, 1, v78
	ds_write_b16 v79, v77
	v_lshlrev_b32_e32 v77, 1, v70
	v_add3_u32 v68, v90, v88, v68
	ds_write_b16 v77, v76
	v_lshlrev_b32_e32 v76, 1, v69
	v_add3_u32 v41, v93, v91, v41
	;; [unrolled: 3-line block ×4, first 2 shown]
	ds_write_b16 v74, v73
	v_lshlrev_b32_e32 v73, 1, v39
	ds_write_b16 v73, v72
	v_lshlrev_b32_e32 v72, 1, v38
	;; [unrolled: 2-line block ×4, first 2 shown]
	s_waitcnt lgkmcnt(0)
	s_barrier
	v_lshlrev_b32_e32 v72, 3, v41
	v_lshlrev_b32_e32 v73, 3, v39
	;; [unrolled: 1-line block ×3, first 2 shown]
	ds_read_b128 v[38:41], v40
	v_mov_b32_e32 v77, 0xffff8000
	v_lshlrev_b32_e32 v71, 3, v78
	v_lshlrev_b32_e32 v75, 3, v63
	;; [unrolled: 1-line block ×3, first 2 shown]
	s_waitcnt lgkmcnt(0)
	v_cmp_lt_i16_sdwa vcc, v38, v1 src0_sel:WORD_1 src1_sel:DWORD
	v_cndmask_b32_e32 v78, -1, v77, vcc
	v_cmp_gt_i16_e32 vcc, 0, v38
	v_lshlrev_b32_e32 v69, 3, v69
	v_lshlrev_b32_e32 v68, 3, v68
	;; [unrolled: 1-line block ×3, first 2 shown]
	v_cndmask_b32_e32 v79, -1, v77, vcc
	v_cmp_lt_i16_e32 vcc, -1, v39
	s_barrier
	ds_write_b64 v71, v[34:35]
	ds_write_b64 v70, v[36:37]
	;; [unrolled: 1-line block ×8, first 2 shown]
	s_waitcnt lgkmcnt(0)
	s_barrier
	ds_read2_b64 v[22:25], v75 offset1:1
	ds_read2_b64 v[26:29], v75 offset0:2 offset1:3
	ds_read2_b64 v[30:33], v75 offset0:4 offset1:5
	;; [unrolled: 1-line block ×3, first 2 shown]
	v_mov_b32_e32 v76, -1
	v_cndmask_b32_e64 v81, v77, -1, vcc
	v_cmp_lt_i16_sdwa vcc, v40, v1 src0_sel:WORD_1 src1_sel:DWORD
	v_cmp_gt_i16_sdwa s[16:17], v39, v76 src0_sel:WORD_1 src1_sel:DWORD
	v_cndmask_b32_e32 v0, -1, v77, vcc
	v_cmp_gt_i16_e32 vcc, 0, v40
	v_cndmask_b32_e64 v80, v77, -1, s[16:17]
	v_cndmask_b32_e32 v1, -1, v77, vcc
	v_cmp_gt_i16_sdwa s[16:17], v41, v76 src0_sel:WORD_1 src1_sel:DWORD
	v_cmp_lt_i16_e32 vcc, -1, v41
	v_cndmask_b32_e64 v68, v77, -1, s[16:17]
	v_cndmask_b32_e64 v69, v77, -1, vcc
	v_xor_b32_e32 v81, v81, v39
	v_xor_b32_sdwa v39, v80, v39 dst_sel:DWORD dst_unused:UNUSED_PAD src0_sel:DWORD src1_sel:WORD_1
	v_xor_b32_e32 v79, v79, v38
	v_xor_b32_sdwa v38, v78, v38 dst_sel:DWORD dst_unused:UNUSED_PAD src0_sel:DWORD src1_sel:WORD_1
	;; [unrolled: 2-line block ×4, first 2 shown]
	v_perm_b32 v39, v39, v81, s18
	v_perm_b32 v38, v38, v79, s18
	v_perm_b32 v41, v41, v69, s18
	v_perm_b32 v40, v0, v1, s18
	s_branch .LBB242_128
.LBB242_75:
	v_mov_b32_e32 v45, 0
	v_lshlrev_b64 v[2:3], 3, v[44:45]
	v_mov_b32_e32 v4, s47
	v_add_co_u32_e32 v2, vcc, s45, v2
	v_addc_co_u32_e32 v3, vcc, v4, v3, vcc
	global_load_dwordx2 v[2:3], v[2:3], off
	v_mov_b32_e32 v4, v45
	v_mov_b32_e32 v5, v45
	v_mov_b32_e32 v6, v45
	v_mov_b32_e32 v7, v45
	v_mov_b32_e32 v8, v45
	v_mov_b32_e32 v9, v45
	v_mov_b32_e32 v10, v45
	v_mov_b32_e32 v11, v45
	v_mov_b32_e32 v12, v45
	v_mov_b32_e32 v13, v45
	v_mov_b32_e32 v14, v45
	v_mov_b32_e32 v15, v45
	v_mov_b32_e32 v16, v45
	v_mov_b32_e32 v17, v45
	s_or_b64 exec, exec, s[16:17]
	s_and_saveexec_b64 s[16:17], s[2:3]
	s_cbranch_execz .LBB242_22
.LBB242_76:
	v_mul_lo_u32 v4, v36, s48
	v_mov_b32_e32 v5, 0
	v_lshlrev_b64 v[4:5], 3, v[4:5]
	v_mov_b32_e32 v36, s47
	v_add_co_u32_e32 v4, vcc, s45, v4
	v_addc_co_u32_e32 v5, vcc, v36, v5, vcc
	global_load_dwordx2 v[4:5], v[4:5], off
	s_or_b64 exec, exec, s[16:17]
	s_and_saveexec_b64 s[16:17], s[4:5]
	s_cbranch_execz .LBB242_23
.LBB242_77:
	v_mul_lo_u32 v6, v35, s48
	v_mov_b32_e32 v7, 0
	v_lshlrev_b64 v[6:7], 3, v[6:7]
	v_mov_b32_e32 v35, s47
	v_add_co_u32_e32 v6, vcc, s45, v6
	v_addc_co_u32_e32 v7, vcc, v35, v7, vcc
	global_load_dwordx2 v[6:7], v[6:7], off
	s_or_b64 exec, exec, s[16:17]
	s_and_saveexec_b64 s[16:17], s[6:7]
	s_cbranch_execz .LBB242_24
.LBB242_78:
	v_mul_lo_u32 v8, v33, s48
	v_mov_b32_e32 v9, 0
	v_lshlrev_b64 v[8:9], 3, v[8:9]
	v_mov_b32_e32 v33, s47
	v_add_co_u32_e32 v8, vcc, s45, v8
	v_addc_co_u32_e32 v9, vcc, v33, v9, vcc
	global_load_dwordx2 v[8:9], v[8:9], off
	s_or_b64 exec, exec, s[16:17]
	s_and_saveexec_b64 s[16:17], s[8:9]
	s_cbranch_execz .LBB242_25
.LBB242_79:
	v_mul_lo_u32 v10, v30, s48
	v_mov_b32_e32 v11, 0
	v_lshlrev_b64 v[10:11], 3, v[10:11]
	v_mov_b32_e32 v30, s47
	v_add_co_u32_e32 v10, vcc, s45, v10
	v_addc_co_u32_e32 v11, vcc, v30, v11, vcc
	global_load_dwordx2 v[10:11], v[10:11], off
	s_or_b64 exec, exec, s[16:17]
	s_and_saveexec_b64 s[16:17], s[10:11]
	s_cbranch_execz .LBB242_26
.LBB242_80:
	v_mul_lo_u32 v12, v28, s48
	v_mov_b32_e32 v13, 0
	v_lshlrev_b64 v[12:13], 3, v[12:13]
	v_mov_b32_e32 v28, s47
	v_add_co_u32_e32 v12, vcc, s45, v12
	v_addc_co_u32_e32 v13, vcc, v28, v13, vcc
	global_load_dwordx2 v[12:13], v[12:13], off
	s_or_b64 exec, exec, s[16:17]
	s_and_saveexec_b64 s[16:17], s[12:13]
	s_cbranch_execz .LBB242_27
.LBB242_81:
	v_mul_lo_u32 v14, v26, s48
	v_mov_b32_e32 v15, 0
	v_lshlrev_b64 v[14:15], 3, v[14:15]
	v_mov_b32_e32 v26, s47
	v_add_co_u32_e32 v14, vcc, s45, v14
	v_addc_co_u32_e32 v15, vcc, v26, v15, vcc
	global_load_dwordx2 v[14:15], v[14:15], off
	s_or_b64 exec, exec, s[16:17]
	s_xor_b64 s[16:17], s[34:35], -1
	s_and_saveexec_b64 s[18:19], s[14:15]
	s_cbranch_execnz .LBB242_28
	s_branch .LBB242_29
.LBB242_82:
                                        ; implicit-def: $vgpr36_vgpr37
                                        ; implicit-def: $vgpr32_vgpr33
                                        ; implicit-def: $vgpr28_vgpr29
                                        ; implicit-def: $vgpr24_vgpr25
                                        ; implicit-def: $vgpr40_vgpr41
	s_cbranch_execz .LBB242_128
; %bb.83:
	s_waitcnt lgkmcnt(3)
	v_mov_b32_e32 v22, 0
	s_waitcnt lgkmcnt(0)
	v_mov_b32_e32 v35, 0x7fff
	v_cmp_gt_i16_e32 vcc, 0, v19
	v_cmp_lt_i16_sdwa s[16:17], v19, v22 src0_sel:WORD_1 src1_sel:DWORD
	v_cndmask_b32_e64 v23, v35, 0, vcc
	v_cmp_gt_i16_e32 vcc, 0, v18
	v_cndmask_b32_e64 v25, v35, 0, s[16:17]
	v_cmp_lt_i16_sdwa s[16:17], v18, v22 src0_sel:WORD_1 src1_sel:DWORD
	v_cndmask_b32_e64 v24, v35, 0, vcc
	v_cndmask_b32_e64 v27, v35, 0, s[16:17]
	v_cmp_gt_i16_e32 vcc, 0, v21
	v_cmp_lt_i16_sdwa s[16:17], v21, v22 src0_sel:WORD_1 src1_sel:DWORD
	v_xor_b32_sdwa v25, v25, v19 dst_sel:DWORD dst_unused:UNUSED_PAD src0_sel:DWORD src1_sel:WORD_1
	v_xor_b32_e32 v19, v23, v19
	v_cndmask_b32_e64 v23, v35, 0, vcc
	v_cmp_gt_i16_e32 vcc, 0, v20
	v_cndmask_b32_e64 v28, v35, 0, s[16:17]
	v_cmp_lt_i16_sdwa s[16:17], v20, v22 src0_sel:WORD_1 src1_sel:DWORD
	v_mbcnt_hi_u32_b32 v26, -1, v67
	v_and_b32_e32 v34, 0x3c0, v46
	v_xor_b32_sdwa v27, v27, v18 dst_sel:DWORD dst_unused:UNUSED_PAD src0_sel:DWORD src1_sel:WORD_1
	v_xor_b32_e32 v18, v24, v18
	v_cndmask_b32_e64 v24, v35, 0, vcc
	v_cndmask_b32_e64 v29, v35, 0, s[16:17]
	v_add_u32_e32 v0, v26, v34
	v_xor_b32_sdwa v29, v29, v20 dst_sel:DWORD dst_unused:UNUSED_PAD src0_sel:DWORD src1_sel:WORD_1
	v_xor_b32_sdwa v28, v28, v21 dst_sel:DWORD dst_unused:UNUSED_PAD src0_sel:DWORD src1_sel:WORD_1
	v_xor_b32_e32 v20, v24, v20
	v_xor_b32_e32 v21, v23, v21
	s_mov_b32 s16, 0x5040100
	v_lshlrev_b32_e32 v1, 4, v0
	v_perm_b32 v21, v28, v21, s16
	v_perm_b32 v20, v29, v20, s16
	;; [unrolled: 1-line block ×4, first 2 shown]
	v_and_b32_e32 v36, 0x1e00, v63
	ds_write_b128 v1, v[18:21]
	v_or_b32_e32 v1, v26, v36
	v_lshlrev_b32_e32 v18, 1, v1
	v_lshlrev_b32_e32 v0, 6, v0
	; wave barrier
	ds_read_u16 v33, v18
	ds_read_u16 v32, v18 offset:128
	ds_read_u16 v31, v18 offset:256
	;; [unrolled: 1-line block ×7, first 2 shown]
	s_waitcnt lgkmcnt(0)
	s_barrier
	ds_write2_b64 v0, v[14:15], v[16:17] offset1:1
	ds_write2_b64 v0, v[10:11], v[12:13] offset0:2 offset1:3
	ds_write2_b64 v0, v[6:7], v[8:9] offset0:4 offset1:5
	;; [unrolled: 1-line block ×3, first 2 shown]
	v_lshlrev_b32_e32 v0, 3, v1
	; wave barrier
	ds_read2st64_b64 v[12:15], v0 offset1:1
	ds_read2st64_b64 v[8:11], v0 offset0:2 offset1:3
	ds_read2st64_b64 v[4:7], v0 offset0:4 offset1:5
	;; [unrolled: 1-line block ×3, first 2 shown]
	s_waitcnt lgkmcnt(0)
	s_barrier
	s_load_dword s18, s[50:51], 0xc
	s_getpc_b64 s[16:17]
	s_add_u32 s16, s16, _ZN7rocprim17ROCPRIM_400000_NS16block_radix_sortI12hip_bfloat16Lj128ELj8ElLj1ELj1ELj0ELNS0_26block_radix_rank_algorithmE1ELNS0_18block_padding_hintE2ELNS0_4arch9wavefront6targetE1EE19radix_bits_per_passE@rel32@lo+4
	s_addc_u32 s17, s17, _ZN7rocprim17ROCPRIM_400000_NS16block_radix_sortI12hip_bfloat16Lj128ELj8ElLj1ELj1ELj0ELNS0_26block_radix_rank_algorithmE1ELNS0_18block_padding_hintE2ELNS0_4arch9wavefront6targetE1EE19radix_bits_per_passE@rel32@hi+12
	s_load_dword s40, s[16:17], 0x0
	s_movk_i32 s19, 0x8000
	v_cmp_ne_u16_e32 vcc, s19, v33
	s_waitcnt lgkmcnt(0)
	s_lshr_b32 s16, s18, 16
	s_and_b32 s17, s18, 0xffff
	v_mad_u32_u24 v16, v66, s16, v65
	v_mad_u64_u32 v[16:17], s[16:17], v16, s17, v[46:47]
	s_min_u32 s16, s40, 16
	s_lshl_b32 s16, -1, s16
	v_lshrrev_b32_e32 v24, 6, v16
	s_not_b32 s18, s16
	v_cndmask_b32_e32 v16, v35, v33, vcc
	v_and_b32_sdwa v16, s18, v16 dst_sel:DWORD dst_unused:UNUSED_PAD src0_sel:DWORD src1_sel:WORD_0
	v_lshlrev_b32_e32 v17, 1, v16
	v_add_lshl_u32 v37, v24, v17, 2
	v_and_b32_e32 v17, 1, v16
	v_add_co_u32_e32 v18, vcc, -1, v17
	v_addc_co_u32_e64 v19, s[16:17], 0, -1, vcc
	v_cmp_ne_u32_e32 vcc, 0, v17
	v_lshlrev_b32_e32 v23, 30, v16
	v_xor_b32_e32 v17, vcc_hi, v19
	v_not_b32_e32 v19, v23
	v_xor_b32_e32 v18, vcc_lo, v18
	v_cmp_gt_i64_e32 vcc, 0, v[22:23]
	v_ashrrev_i32_e32 v19, 31, v19
	v_and_b32_e32 v18, exec_lo, v18
	v_xor_b32_e32 v20, vcc_hi, v19
	v_xor_b32_e32 v19, vcc_lo, v19
	v_lshlrev_b32_e32 v23, 29, v16
	v_and_b32_e32 v18, v18, v19
	v_not_b32_e32 v19, v23
	v_and_b32_e32 v17, exec_hi, v17
	v_cmp_gt_i64_e32 vcc, 0, v[22:23]
	v_ashrrev_i32_e32 v19, 31, v19
	v_and_b32_e32 v17, v17, v20
	v_xor_b32_e32 v20, vcc_hi, v19
	v_xor_b32_e32 v19, vcc_lo, v19
	v_lshlrev_b32_e32 v23, 28, v16
	v_and_b32_e32 v18, v18, v19
	v_not_b32_e32 v19, v23
	v_cmp_gt_i64_e32 vcc, 0, v[22:23]
	v_ashrrev_i32_e32 v19, 31, v19
	v_and_b32_e32 v17, v17, v20
	v_xor_b32_e32 v20, vcc_hi, v19
	v_xor_b32_e32 v19, vcc_lo, v19
	v_lshlrev_b32_e32 v23, 27, v16
	v_and_b32_e32 v18, v18, v19
	v_not_b32_e32 v19, v23
	v_cmp_gt_i64_e32 vcc, 0, v[22:23]
	v_ashrrev_i32_e32 v19, 31, v19
	v_and_b32_e32 v17, v17, v20
	v_xor_b32_e32 v20, vcc_hi, v19
	v_xor_b32_e32 v19, vcc_lo, v19
	v_lshlrev_b32_e32 v23, 26, v16
	v_and_b32_e32 v18, v18, v19
	v_not_b32_e32 v19, v23
	v_cmp_gt_i64_e32 vcc, 0, v[22:23]
	v_ashrrev_i32_e32 v19, 31, v19
	v_and_b32_e32 v17, v17, v20
	v_xor_b32_e32 v20, vcc_hi, v19
	v_xor_b32_e32 v19, vcc_lo, v19
	v_lshlrev_b32_e32 v23, 25, v16
	v_and_b32_e32 v18, v18, v19
	v_cmp_gt_i64_e32 vcc, 0, v[22:23]
	v_not_b32_e32 v19, v23
	v_lshlrev_b32_e32 v23, 24, v16
	v_ashrrev_i32_e32 v19, 31, v19
	v_not_b32_e32 v16, v23
	v_and_b32_e32 v17, v17, v20
	v_xor_b32_e32 v20, vcc_hi, v19
	v_xor_b32_e32 v19, vcc_lo, v19
	v_cmp_gt_i64_e32 vcc, 0, v[22:23]
	v_ashrrev_i32_e32 v16, 31, v16
	v_and_b32_e32 v18, v18, v19
	v_xor_b32_e32 v19, vcc_hi, v16
	v_xor_b32_e32 v16, vcc_lo, v16
	v_and_b32_e32 v17, v17, v20
	v_and_b32_e32 v16, v18, v16
	v_and_b32_e32 v17, v17, v19
	v_mbcnt_lo_u32_b32 v18, v16, 0
	v_mbcnt_hi_u32_b32 v38, v17, v18
	v_cmp_eq_u32_e32 vcc, 0, v38
	v_cmp_ne_u64_e64 s[16:17], 0, v[16:17]
	s_and_b64 s[20:21], s[16:17], vcc
	ds_write2_b32 v64, v22, v22 offset0:2 offset1:3
	ds_write2_b32 v64, v22, v22 offset0:4 offset1:5
	s_waitcnt lgkmcnt(0)
	s_barrier
	s_waitcnt lgkmcnt(0)
	; wave barrier
	s_and_saveexec_b64 s[16:17], s[20:21]
	s_cbranch_execz .LBB242_85
; %bb.84:
	v_bcnt_u32_b32 v16, v16, 0
	v_bcnt_u32_b32 v16, v17, v16
	ds_write_b32 v37, v16 offset:8
.LBB242_85:
	s_or_b64 exec, exec, s[16:17]
	v_cmp_ne_u16_e32 vcc, s19, v32
	v_cndmask_b32_e32 v16, v35, v32, vcc
	v_and_b32_sdwa v16, s18, v16 dst_sel:DWORD dst_unused:UNUSED_PAD src0_sel:DWORD src1_sel:WORD_0
	v_lshlrev_b32_e32 v17, 1, v16
	v_add_lshl_u32 v40, v24, v17, 2
	v_and_b32_e32 v17, 1, v16
	v_add_co_u32_e32 v18, vcc, -1, v17
	v_addc_co_u32_e64 v19, s[16:17], 0, -1, vcc
	v_cmp_ne_u32_e32 vcc, 0, v17
	v_lshlrev_b32_e32 v23, 30, v16
	v_xor_b32_e32 v17, vcc_hi, v19
	v_not_b32_e32 v19, v23
	v_xor_b32_e32 v18, vcc_lo, v18
	v_cmp_gt_i64_e32 vcc, 0, v[22:23]
	v_ashrrev_i32_e32 v19, 31, v19
	v_and_b32_e32 v18, exec_lo, v18
	v_xor_b32_e32 v20, vcc_hi, v19
	v_xor_b32_e32 v19, vcc_lo, v19
	v_lshlrev_b32_e32 v23, 29, v16
	v_and_b32_e32 v18, v18, v19
	v_not_b32_e32 v19, v23
	v_and_b32_e32 v17, exec_hi, v17
	v_cmp_gt_i64_e32 vcc, 0, v[22:23]
	v_ashrrev_i32_e32 v19, 31, v19
	v_and_b32_e32 v17, v17, v20
	v_xor_b32_e32 v20, vcc_hi, v19
	v_xor_b32_e32 v19, vcc_lo, v19
	v_lshlrev_b32_e32 v23, 28, v16
	v_and_b32_e32 v18, v18, v19
	v_not_b32_e32 v19, v23
	v_cmp_gt_i64_e32 vcc, 0, v[22:23]
	v_ashrrev_i32_e32 v19, 31, v19
	v_and_b32_e32 v17, v17, v20
	v_xor_b32_e32 v20, vcc_hi, v19
	v_xor_b32_e32 v19, vcc_lo, v19
	v_lshlrev_b32_e32 v23, 27, v16
	v_and_b32_e32 v18, v18, v19
	v_not_b32_e32 v19, v23
	;; [unrolled: 8-line block ×3, first 2 shown]
	v_cmp_gt_i64_e32 vcc, 0, v[22:23]
	v_ashrrev_i32_e32 v19, 31, v19
	v_and_b32_e32 v17, v17, v20
	v_xor_b32_e32 v20, vcc_hi, v19
	v_xor_b32_e32 v19, vcc_lo, v19
	v_lshlrev_b32_e32 v23, 25, v16
	v_and_b32_e32 v18, v18, v19
	v_cmp_gt_i64_e32 vcc, 0, v[22:23]
	v_not_b32_e32 v19, v23
	v_lshlrev_b32_e32 v23, 24, v16
	v_ashrrev_i32_e32 v19, 31, v19
	v_not_b32_e32 v16, v23
	v_and_b32_e32 v17, v17, v20
	v_xor_b32_e32 v20, vcc_hi, v19
	v_xor_b32_e32 v19, vcc_lo, v19
	v_cmp_gt_i64_e32 vcc, 0, v[22:23]
	v_ashrrev_i32_e32 v16, 31, v16
	v_and_b32_e32 v18, v18, v19
	v_xor_b32_e32 v19, vcc_hi, v16
	v_xor_b32_e32 v16, vcc_lo, v16
	; wave barrier
	ds_read_b32 v39, v40 offset:8
	v_and_b32_e32 v17, v17, v20
	v_and_b32_e32 v16, v18, v16
	;; [unrolled: 1-line block ×3, first 2 shown]
	v_mbcnt_lo_u32_b32 v18, v16, 0
	v_mbcnt_hi_u32_b32 v41, v17, v18
	v_cmp_eq_u32_e32 vcc, 0, v41
	v_cmp_ne_u64_e64 s[16:17], 0, v[16:17]
	s_and_b64 s[20:21], s[16:17], vcc
	; wave barrier
	s_and_saveexec_b64 s[16:17], s[20:21]
	s_cbranch_execz .LBB242_87
; %bb.86:
	v_bcnt_u32_b32 v16, v16, 0
	v_bcnt_u32_b32 v16, v17, v16
	s_waitcnt lgkmcnt(0)
	v_add_u32_e32 v16, v39, v16
	ds_write_b32 v40, v16 offset:8
.LBB242_87:
	s_or_b64 exec, exec, s[16:17]
	v_mov_b32_e32 v20, 0x7fff
	v_cmp_ne_u16_e32 vcc, s19, v31
	v_cndmask_b32_e32 v16, v20, v31, vcc
	v_and_b32_sdwa v18, s18, v16 dst_sel:DWORD dst_unused:UNUSED_PAD src0_sel:DWORD src1_sel:WORD_0
	v_and_b32_e32 v17, 1, v18
	v_add_co_u32_e32 v19, vcc, -1, v17
	v_addc_co_u32_e64 v21, s[16:17], 0, -1, vcc
	v_cmp_ne_u32_e32 vcc, 0, v17
	v_lshlrev_b32_e32 v16, 1, v18
	v_xor_b32_e32 v17, vcc_hi, v21
	v_add_lshl_u32 v66, v24, v16, 2
	v_mov_b32_e32 v16, 0
	v_and_b32_e32 v21, exec_hi, v17
	v_lshlrev_b32_e32 v17, 30, v18
	v_xor_b32_e32 v19, vcc_lo, v19
	v_cmp_gt_i64_e32 vcc, 0, v[16:17]
	v_not_b32_e32 v17, v17
	v_ashrrev_i32_e32 v17, 31, v17
	v_and_b32_e32 v19, exec_lo, v19
	v_xor_b32_e32 v22, vcc_hi, v17
	v_xor_b32_e32 v17, vcc_lo, v17
	v_and_b32_e32 v19, v19, v17
	v_lshlrev_b32_e32 v17, 29, v18
	v_cmp_gt_i64_e32 vcc, 0, v[16:17]
	v_not_b32_e32 v17, v17
	v_ashrrev_i32_e32 v17, 31, v17
	v_and_b32_e32 v21, v21, v22
	v_xor_b32_e32 v22, vcc_hi, v17
	v_xor_b32_e32 v17, vcc_lo, v17
	v_and_b32_e32 v19, v19, v17
	v_lshlrev_b32_e32 v17, 28, v18
	v_cmp_gt_i64_e32 vcc, 0, v[16:17]
	v_not_b32_e32 v17, v17
	v_ashrrev_i32_e32 v17, 31, v17
	v_and_b32_e32 v21, v21, v22
	;; [unrolled: 8-line block ×5, first 2 shown]
	v_xor_b32_e32 v22, vcc_hi, v17
	v_xor_b32_e32 v17, vcc_lo, v17
	v_and_b32_e32 v21, v21, v22
	v_and_b32_e32 v22, v19, v17
	v_lshlrev_b32_e32 v17, 24, v18
	v_cmp_gt_i64_e32 vcc, 0, v[16:17]
	v_not_b32_e32 v17, v17
	v_ashrrev_i32_e32 v17, 31, v17
	v_xor_b32_e32 v18, vcc_hi, v17
	v_xor_b32_e32 v17, vcc_lo, v17
	; wave barrier
	ds_read_b32 v65, v66 offset:8
	v_and_b32_e32 v19, v21, v18
	v_and_b32_e32 v18, v22, v17
	v_mbcnt_lo_u32_b32 v17, v18, 0
	v_mbcnt_hi_u32_b32 v67, v19, v17
	v_cmp_eq_u32_e32 vcc, 0, v67
	v_cmp_ne_u64_e64 s[16:17], 0, v[18:19]
	s_and_b64 s[20:21], s[16:17], vcc
	; wave barrier
	s_and_saveexec_b64 s[16:17], s[20:21]
	s_cbranch_execz .LBB242_89
; %bb.88:
	v_bcnt_u32_b32 v17, v18, 0
	v_bcnt_u32_b32 v17, v19, v17
	s_waitcnt lgkmcnt(0)
	v_add_u32_e32 v17, v65, v17
	ds_write_b32 v66, v17 offset:8
.LBB242_89:
	s_or_b64 exec, exec, s[16:17]
	v_cmp_ne_u16_e32 vcc, s19, v30
	v_cndmask_b32_e32 v17, v20, v30, vcc
	v_and_b32_sdwa v18, s18, v17 dst_sel:DWORD dst_unused:UNUSED_PAD src0_sel:DWORD src1_sel:WORD_0
	v_lshlrev_b32_e32 v17, 1, v18
	v_add_lshl_u32 v69, v24, v17, 2
	v_and_b32_e32 v17, 1, v18
	v_add_co_u32_e32 v19, vcc, -1, v17
	v_addc_co_u32_e64 v20, s[16:17], 0, -1, vcc
	v_cmp_ne_u32_e32 vcc, 0, v17
	v_xor_b32_e32 v17, vcc_hi, v20
	v_and_b32_e32 v20, exec_hi, v17
	v_lshlrev_b32_e32 v17, 30, v18
	v_xor_b32_e32 v19, vcc_lo, v19
	v_cmp_gt_i64_e32 vcc, 0, v[16:17]
	v_not_b32_e32 v17, v17
	v_ashrrev_i32_e32 v17, 31, v17
	v_and_b32_e32 v19, exec_lo, v19
	v_xor_b32_e32 v21, vcc_hi, v17
	v_xor_b32_e32 v17, vcc_lo, v17
	v_and_b32_e32 v19, v19, v17
	v_lshlrev_b32_e32 v17, 29, v18
	v_cmp_gt_i64_e32 vcc, 0, v[16:17]
	v_not_b32_e32 v17, v17
	v_ashrrev_i32_e32 v17, 31, v17
	v_and_b32_e32 v20, v20, v21
	v_xor_b32_e32 v21, vcc_hi, v17
	v_xor_b32_e32 v17, vcc_lo, v17
	v_and_b32_e32 v19, v19, v17
	v_lshlrev_b32_e32 v17, 28, v18
	v_cmp_gt_i64_e32 vcc, 0, v[16:17]
	v_not_b32_e32 v17, v17
	v_ashrrev_i32_e32 v17, 31, v17
	v_and_b32_e32 v20, v20, v21
	;; [unrolled: 8-line block ×5, first 2 shown]
	v_xor_b32_e32 v21, vcc_hi, v17
	v_xor_b32_e32 v17, vcc_lo, v17
	v_and_b32_e32 v19, v19, v17
	v_lshlrev_b32_e32 v17, 24, v18
	v_cmp_gt_i64_e32 vcc, 0, v[16:17]
	v_not_b32_e32 v16, v17
	v_ashrrev_i32_e32 v16, 31, v16
	v_xor_b32_e32 v17, vcc_hi, v16
	v_xor_b32_e32 v16, vcc_lo, v16
	; wave barrier
	ds_read_b32 v68, v69 offset:8
	v_and_b32_e32 v20, v20, v21
	v_and_b32_e32 v16, v19, v16
	;; [unrolled: 1-line block ×3, first 2 shown]
	v_mbcnt_lo_u32_b32 v18, v16, 0
	v_mbcnt_hi_u32_b32 v70, v17, v18
	v_cmp_eq_u32_e32 vcc, 0, v70
	v_cmp_ne_u64_e64 s[16:17], 0, v[16:17]
	s_and_b64 s[20:21], s[16:17], vcc
	; wave barrier
	s_and_saveexec_b64 s[16:17], s[20:21]
	s_cbranch_execz .LBB242_91
; %bb.90:
	v_bcnt_u32_b32 v16, v16, 0
	v_bcnt_u32_b32 v16, v17, v16
	s_waitcnt lgkmcnt(0)
	v_add_u32_e32 v16, v68, v16
	ds_write_b32 v69, v16 offset:8
.LBB242_91:
	s_or_b64 exec, exec, s[16:17]
	v_mov_b32_e32 v20, 0x7fff
	v_cmp_ne_u16_e32 vcc, s19, v29
	v_cndmask_b32_e32 v16, v20, v29, vcc
	v_and_b32_sdwa v18, s18, v16 dst_sel:DWORD dst_unused:UNUSED_PAD src0_sel:DWORD src1_sel:WORD_0
	v_and_b32_e32 v17, 1, v18
	v_add_co_u32_e32 v19, vcc, -1, v17
	v_addc_co_u32_e64 v21, s[16:17], 0, -1, vcc
	v_cmp_ne_u32_e32 vcc, 0, v17
	v_lshlrev_b32_e32 v16, 1, v18
	v_xor_b32_e32 v17, vcc_hi, v21
	v_add_lshl_u32 v72, v24, v16, 2
	v_mov_b32_e32 v16, 0
	v_and_b32_e32 v21, exec_hi, v17
	v_lshlrev_b32_e32 v17, 30, v18
	v_xor_b32_e32 v19, vcc_lo, v19
	v_cmp_gt_i64_e32 vcc, 0, v[16:17]
	v_not_b32_e32 v17, v17
	v_ashrrev_i32_e32 v17, 31, v17
	v_and_b32_e32 v19, exec_lo, v19
	v_xor_b32_e32 v22, vcc_hi, v17
	v_xor_b32_e32 v17, vcc_lo, v17
	v_and_b32_e32 v19, v19, v17
	v_lshlrev_b32_e32 v17, 29, v18
	v_cmp_gt_i64_e32 vcc, 0, v[16:17]
	v_not_b32_e32 v17, v17
	v_ashrrev_i32_e32 v17, 31, v17
	v_and_b32_e32 v21, v21, v22
	v_xor_b32_e32 v22, vcc_hi, v17
	v_xor_b32_e32 v17, vcc_lo, v17
	v_and_b32_e32 v19, v19, v17
	v_lshlrev_b32_e32 v17, 28, v18
	v_cmp_gt_i64_e32 vcc, 0, v[16:17]
	v_not_b32_e32 v17, v17
	v_ashrrev_i32_e32 v17, 31, v17
	v_and_b32_e32 v21, v21, v22
	;; [unrolled: 8-line block ×5, first 2 shown]
	v_xor_b32_e32 v22, vcc_hi, v17
	v_xor_b32_e32 v17, vcc_lo, v17
	v_and_b32_e32 v21, v21, v22
	v_and_b32_e32 v22, v19, v17
	v_lshlrev_b32_e32 v17, 24, v18
	v_cmp_gt_i64_e32 vcc, 0, v[16:17]
	v_not_b32_e32 v17, v17
	v_ashrrev_i32_e32 v17, 31, v17
	v_xor_b32_e32 v18, vcc_hi, v17
	v_xor_b32_e32 v17, vcc_lo, v17
	; wave barrier
	ds_read_b32 v71, v72 offset:8
	v_and_b32_e32 v19, v21, v18
	v_and_b32_e32 v18, v22, v17
	v_mbcnt_lo_u32_b32 v17, v18, 0
	v_mbcnt_hi_u32_b32 v73, v19, v17
	v_cmp_eq_u32_e32 vcc, 0, v73
	v_cmp_ne_u64_e64 s[16:17], 0, v[18:19]
	s_and_b64 s[20:21], s[16:17], vcc
	; wave barrier
	s_and_saveexec_b64 s[16:17], s[20:21]
	s_cbranch_execz .LBB242_93
; %bb.92:
	v_bcnt_u32_b32 v17, v18, 0
	v_bcnt_u32_b32 v17, v19, v17
	s_waitcnt lgkmcnt(0)
	v_add_u32_e32 v17, v71, v17
	ds_write_b32 v72, v17 offset:8
.LBB242_93:
	s_or_b64 exec, exec, s[16:17]
	v_cmp_ne_u16_e32 vcc, s19, v28
	v_cndmask_b32_e32 v17, v20, v28, vcc
	v_and_b32_sdwa v18, s18, v17 dst_sel:DWORD dst_unused:UNUSED_PAD src0_sel:DWORD src1_sel:WORD_0
	v_lshlrev_b32_e32 v17, 1, v18
	v_add_lshl_u32 v75, v24, v17, 2
	v_and_b32_e32 v17, 1, v18
	v_add_co_u32_e32 v19, vcc, -1, v17
	v_addc_co_u32_e64 v20, s[16:17], 0, -1, vcc
	v_cmp_ne_u32_e32 vcc, 0, v17
	v_xor_b32_e32 v17, vcc_hi, v20
	v_and_b32_e32 v20, exec_hi, v17
	v_lshlrev_b32_e32 v17, 30, v18
	v_xor_b32_e32 v19, vcc_lo, v19
	v_cmp_gt_i64_e32 vcc, 0, v[16:17]
	v_not_b32_e32 v17, v17
	v_ashrrev_i32_e32 v17, 31, v17
	v_and_b32_e32 v19, exec_lo, v19
	v_xor_b32_e32 v21, vcc_hi, v17
	v_xor_b32_e32 v17, vcc_lo, v17
	v_and_b32_e32 v19, v19, v17
	v_lshlrev_b32_e32 v17, 29, v18
	v_cmp_gt_i64_e32 vcc, 0, v[16:17]
	v_not_b32_e32 v17, v17
	v_ashrrev_i32_e32 v17, 31, v17
	v_and_b32_e32 v20, v20, v21
	v_xor_b32_e32 v21, vcc_hi, v17
	v_xor_b32_e32 v17, vcc_lo, v17
	v_and_b32_e32 v19, v19, v17
	v_lshlrev_b32_e32 v17, 28, v18
	v_cmp_gt_i64_e32 vcc, 0, v[16:17]
	v_not_b32_e32 v17, v17
	v_ashrrev_i32_e32 v17, 31, v17
	v_and_b32_e32 v20, v20, v21
	;; [unrolled: 8-line block ×5, first 2 shown]
	v_xor_b32_e32 v21, vcc_hi, v17
	v_xor_b32_e32 v17, vcc_lo, v17
	v_and_b32_e32 v19, v19, v17
	v_lshlrev_b32_e32 v17, 24, v18
	v_cmp_gt_i64_e32 vcc, 0, v[16:17]
	v_not_b32_e32 v16, v17
	v_ashrrev_i32_e32 v16, 31, v16
	v_xor_b32_e32 v17, vcc_hi, v16
	v_xor_b32_e32 v16, vcc_lo, v16
	; wave barrier
	ds_read_b32 v74, v75 offset:8
	v_and_b32_e32 v20, v20, v21
	v_and_b32_e32 v16, v19, v16
	;; [unrolled: 1-line block ×3, first 2 shown]
	v_mbcnt_lo_u32_b32 v18, v16, 0
	v_mbcnt_hi_u32_b32 v76, v17, v18
	v_cmp_eq_u32_e32 vcc, 0, v76
	v_cmp_ne_u64_e64 s[16:17], 0, v[16:17]
	s_and_b64 s[20:21], s[16:17], vcc
	; wave barrier
	s_and_saveexec_b64 s[16:17], s[20:21]
	s_cbranch_execz .LBB242_95
; %bb.94:
	v_bcnt_u32_b32 v16, v16, 0
	v_bcnt_u32_b32 v16, v17, v16
	s_waitcnt lgkmcnt(0)
	v_add_u32_e32 v16, v74, v16
	ds_write_b32 v75, v16 offset:8
.LBB242_95:
	s_or_b64 exec, exec, s[16:17]
	v_mov_b32_e32 v20, 0x7fff
	v_cmp_ne_u16_e32 vcc, s19, v27
	v_cndmask_b32_e32 v16, v20, v27, vcc
	v_and_b32_sdwa v18, s18, v16 dst_sel:DWORD dst_unused:UNUSED_PAD src0_sel:DWORD src1_sel:WORD_0
	v_and_b32_e32 v17, 1, v18
	v_add_co_u32_e32 v19, vcc, -1, v17
	v_addc_co_u32_e64 v21, s[16:17], 0, -1, vcc
	v_cmp_ne_u32_e32 vcc, 0, v17
	v_lshlrev_b32_e32 v16, 1, v18
	v_xor_b32_e32 v17, vcc_hi, v21
	v_add_lshl_u32 v78, v24, v16, 2
	v_mov_b32_e32 v16, 0
	v_and_b32_e32 v21, exec_hi, v17
	v_lshlrev_b32_e32 v17, 30, v18
	v_xor_b32_e32 v19, vcc_lo, v19
	v_cmp_gt_i64_e32 vcc, 0, v[16:17]
	v_not_b32_e32 v17, v17
	v_ashrrev_i32_e32 v17, 31, v17
	v_and_b32_e32 v19, exec_lo, v19
	v_xor_b32_e32 v22, vcc_hi, v17
	v_xor_b32_e32 v17, vcc_lo, v17
	v_and_b32_e32 v19, v19, v17
	v_lshlrev_b32_e32 v17, 29, v18
	v_cmp_gt_i64_e32 vcc, 0, v[16:17]
	v_not_b32_e32 v17, v17
	v_ashrrev_i32_e32 v17, 31, v17
	v_and_b32_e32 v21, v21, v22
	v_xor_b32_e32 v22, vcc_hi, v17
	v_xor_b32_e32 v17, vcc_lo, v17
	v_and_b32_e32 v19, v19, v17
	v_lshlrev_b32_e32 v17, 28, v18
	v_cmp_gt_i64_e32 vcc, 0, v[16:17]
	v_not_b32_e32 v17, v17
	v_ashrrev_i32_e32 v17, 31, v17
	v_and_b32_e32 v21, v21, v22
	;; [unrolled: 8-line block ×5, first 2 shown]
	v_xor_b32_e32 v22, vcc_hi, v17
	v_xor_b32_e32 v17, vcc_lo, v17
	v_and_b32_e32 v21, v21, v22
	v_and_b32_e32 v22, v19, v17
	v_lshlrev_b32_e32 v17, 24, v18
	v_cmp_gt_i64_e32 vcc, 0, v[16:17]
	v_not_b32_e32 v17, v17
	v_ashrrev_i32_e32 v17, 31, v17
	v_xor_b32_e32 v18, vcc_hi, v17
	v_xor_b32_e32 v17, vcc_lo, v17
	; wave barrier
	ds_read_b32 v77, v78 offset:8
	v_and_b32_e32 v19, v21, v18
	v_and_b32_e32 v18, v22, v17
	v_mbcnt_lo_u32_b32 v17, v18, 0
	v_mbcnt_hi_u32_b32 v79, v19, v17
	v_cmp_eq_u32_e32 vcc, 0, v79
	v_cmp_ne_u64_e64 s[16:17], 0, v[18:19]
	s_and_b64 s[20:21], s[16:17], vcc
	; wave barrier
	s_and_saveexec_b64 s[16:17], s[20:21]
	s_cbranch_execz .LBB242_97
; %bb.96:
	v_bcnt_u32_b32 v17, v18, 0
	v_bcnt_u32_b32 v17, v19, v17
	s_waitcnt lgkmcnt(0)
	v_add_u32_e32 v17, v77, v17
	ds_write_b32 v78, v17 offset:8
.LBB242_97:
	s_or_b64 exec, exec, s[16:17]
	v_cmp_ne_u16_e32 vcc, s19, v25
	v_cndmask_b32_e32 v17, v20, v25, vcc
	v_and_b32_sdwa v18, s18, v17 dst_sel:DWORD dst_unused:UNUSED_PAD src0_sel:DWORD src1_sel:WORD_0
	v_lshlrev_b32_e32 v17, 1, v18
	v_add_lshl_u32 v81, v24, v17, 2
	v_and_b32_e32 v17, 1, v18
	v_add_co_u32_e32 v19, vcc, -1, v17
	v_addc_co_u32_e64 v20, s[16:17], 0, -1, vcc
	v_cmp_ne_u32_e32 vcc, 0, v17
	v_xor_b32_e32 v17, vcc_hi, v20
	v_and_b32_e32 v20, exec_hi, v17
	v_lshlrev_b32_e32 v17, 30, v18
	v_xor_b32_e32 v19, vcc_lo, v19
	v_cmp_gt_i64_e32 vcc, 0, v[16:17]
	v_not_b32_e32 v17, v17
	v_ashrrev_i32_e32 v17, 31, v17
	v_and_b32_e32 v19, exec_lo, v19
	v_xor_b32_e32 v21, vcc_hi, v17
	v_xor_b32_e32 v17, vcc_lo, v17
	v_and_b32_e32 v19, v19, v17
	v_lshlrev_b32_e32 v17, 29, v18
	v_cmp_gt_i64_e32 vcc, 0, v[16:17]
	v_not_b32_e32 v17, v17
	v_ashrrev_i32_e32 v17, 31, v17
	v_and_b32_e32 v20, v20, v21
	v_xor_b32_e32 v21, vcc_hi, v17
	v_xor_b32_e32 v17, vcc_lo, v17
	v_and_b32_e32 v19, v19, v17
	v_lshlrev_b32_e32 v17, 28, v18
	v_cmp_gt_i64_e32 vcc, 0, v[16:17]
	v_not_b32_e32 v17, v17
	v_ashrrev_i32_e32 v17, 31, v17
	v_and_b32_e32 v20, v20, v21
	;; [unrolled: 8-line block ×5, first 2 shown]
	v_xor_b32_e32 v21, vcc_hi, v17
	v_xor_b32_e32 v17, vcc_lo, v17
	v_and_b32_e32 v19, v19, v17
	v_lshlrev_b32_e32 v17, 24, v18
	v_cmp_gt_i64_e32 vcc, 0, v[16:17]
	v_not_b32_e32 v16, v17
	v_ashrrev_i32_e32 v16, 31, v16
	v_xor_b32_e32 v17, vcc_hi, v16
	v_xor_b32_e32 v16, vcc_lo, v16
	; wave barrier
	ds_read_b32 v80, v81 offset:8
	v_and_b32_e32 v20, v20, v21
	v_and_b32_e32 v16, v19, v16
	;; [unrolled: 1-line block ×3, first 2 shown]
	v_mbcnt_lo_u32_b32 v18, v16, 0
	v_mbcnt_hi_u32_b32 v82, v17, v18
	v_cmp_eq_u32_e32 vcc, 0, v82
	v_cmp_ne_u64_e64 s[16:17], 0, v[16:17]
	v_or_b32_e32 v22, 8, v64
	v_lshrrev_b32_e32 v23, 6, v46
	v_min_u32_e32 v34, 64, v34
	s_and_b64 s[18:19], s[16:17], vcc
	; wave barrier
	s_and_saveexec_b64 s[16:17], s[18:19]
	s_cbranch_execz .LBB242_99
; %bb.98:
	v_bcnt_u32_b32 v16, v16, 0
	v_bcnt_u32_b32 v16, v17, v16
	s_waitcnt lgkmcnt(0)
	v_add_u32_e32 v16, v80, v16
	ds_write_b32 v81, v16 offset:8
.LBB242_99:
	s_or_b64 exec, exec, s[16:17]
	; wave barrier
	s_waitcnt lgkmcnt(0)
	s_barrier
	ds_read2_b32 v[18:19], v64 offset0:2 offset1:3
	ds_read2_b32 v[20:21], v22 offset0:2 offset1:3
	v_and_b32_e32 v17, 16, v26
	v_cmp_eq_u32_e32 vcc, 0, v17
	v_or_b32_e32 v17, 63, v34
	v_cmp_eq_u32_e64 s[16:17], v17, v46
	s_waitcnt lgkmcnt(1)
	v_add_u32_e32 v17, v19, v18
	v_and_b32_e32 v16, 15, v26
	s_waitcnt lgkmcnt(0)
	v_add3_u32 v17, v17, v20, v21
	v_cmp_eq_u32_e64 s[20:21], 0, v16
	v_cmp_lt_u32_e64 s[22:23], 1, v16
	v_mov_b32_dpp v21, v17 row_shr:1 row_mask:0xf bank_mask:0xf
	v_cndmask_b32_e64 v21, v21, 0, s[20:21]
	v_add_u32_e32 v17, v21, v17
	v_cmp_lt_u32_e64 s[26:27], 3, v16
	v_cmp_lt_u32_e64 s[28:29], 7, v16
	v_mov_b32_dpp v21, v17 row_shr:2 row_mask:0xf bank_mask:0xf
	v_cndmask_b32_e64 v21, 0, v21, s[22:23]
	v_add_u32_e32 v17, v17, v21
	v_bfe_i32 v35, v26, 4, 1
	v_cmp_lt_u32_e64 s[34:35], 31, v26
	v_mov_b32_dpp v21, v17 row_shr:4 row_mask:0xf bank_mask:0xf
	v_cndmask_b32_e64 v21, 0, v21, s[26:27]
	v_add_u32_e32 v17, v17, v21
	v_lshlrev_b32_e32 v23, 2, v23
	s_nop 0
	v_mov_b32_dpp v21, v17 row_shr:8 row_mask:0xf bank_mask:0xf
	v_cndmask_b32_e64 v16, 0, v21, s[28:29]
	v_add_u32_e32 v16, v17, v16
	s_nop 1
	v_mov_b32_dpp v17, v16 row_bcast:15 row_mask:0xf bank_mask:0xf
	v_and_b32_e32 v17, v35, v17
	v_add_u32_e32 v16, v16, v17
	s_nop 1
	v_mov_b32_dpp v17, v16 row_bcast:31 row_mask:0xf bank_mask:0xf
	v_cndmask_b32_e64 v17, 0, v17, s[34:35]
	v_add_u32_e32 v17, v16, v17
	s_and_saveexec_b64 s[18:19], s[16:17]
	s_cbranch_execz .LBB242_101
; %bb.100:
	ds_write_b32 v23, v17
.LBB242_101:
	s_or_b64 exec, exec, s[18:19]
	v_and_b32_e32 v16, 1, v26
	v_cmp_gt_u32_e64 s[24:25], 2, v46
	v_lshlrev_b32_e32 v21, 2, v46
	v_cmp_eq_u32_e64 s[18:19], 0, v16
	s_waitcnt lgkmcnt(0)
	s_barrier
	s_and_saveexec_b64 s[30:31], s[24:25]
	s_cbranch_execz .LBB242_103
; %bb.102:
	ds_read_b32 v16, v21
	s_waitcnt lgkmcnt(0)
	s_nop 0
	v_mov_b32_dpp v34, v16 row_shr:1 row_mask:0xf bank_mask:0xf
	v_cndmask_b32_e64 v34, v34, 0, s[18:19]
	v_add_u32_e32 v16, v34, v16
	ds_write_b32 v21, v16
.LBB242_103:
	s_or_b64 exec, exec, s[30:31]
	v_cmp_lt_u32_e64 s[30:31], 63, v46
	v_add_u32_e32 v34, -4, v23
	v_mov_b32_e32 v16, 0
	v_mov_b32_e32 v83, 0
	s_waitcnt lgkmcnt(0)
	s_barrier
	s_and_saveexec_b64 s[36:37], s[30:31]
	s_cbranch_execz .LBB242_105
; %bb.104:
	ds_read_b32 v83, v34
.LBB242_105:
	s_or_b64 exec, exec, s[36:37]
	v_add_u32_e32 v35, -1, v26
	v_and_b32_e32 v84, 64, v26
	v_cmp_lt_i32_e64 s[36:37], v35, v84
	v_cndmask_b32_e64 v35, v35, v26, s[36:37]
	v_lshlrev_b32_e32 v35, 2, v35
	s_waitcnt lgkmcnt(0)
	v_add_u32_e32 v17, v83, v17
	ds_bpermute_b32 v17, v35, v17
	v_cmp_eq_u32_e64 s[36:37], 0, v26
	v_cmp_eq_u32_e64 s[38:39], 0, v46
	v_and_or_b32 v36, v26, 63, v36
	v_lshlrev_b32_e32 v84, 1, v36
	s_waitcnt lgkmcnt(0)
	v_cndmask_b32_e64 v17, v17, v83, s[36:37]
	v_cndmask_b32_e64 v17, v17, 0, s[38:39]
	v_add_u32_e32 v18, v17, v18
	v_add_u32_e32 v19, v18, v19
	v_add_u32_e32 v20, v19, v20
	ds_write2_b32 v64, v17, v18 offset0:2 offset1:3
	ds_write2_b32 v22, v19, v20 offset0:2 offset1:3
	s_waitcnt lgkmcnt(0)
	s_barrier
	ds_read_b32 v17, v37 offset:8
	ds_read_b32 v18, v40 offset:8
	;; [unrolled: 1-line block ×8, first 2 shown]
	s_waitcnt lgkmcnt(7)
	v_add_u32_e32 v17, v17, v38
	s_waitcnt lgkmcnt(6)
	v_add3_u32 v18, v41, v39, v18
	s_waitcnt lgkmcnt(4)
	v_add3_u32 v38, v70, v68, v20
	v_lshlrev_b32_e32 v20, 1, v17
	v_add3_u32 v19, v67, v65, v19
	s_waitcnt lgkmcnt(0)
	s_barrier
	ds_write_b16 v20, v33
	v_lshlrev_b32_e32 v20, 1, v18
	ds_write_b16 v20, v32
	v_lshlrev_b32_e32 v20, 1, v19
	v_add3_u32 v39, v73, v71, v26
	ds_write_b16 v20, v31
	v_lshlrev_b32_e32 v20, 1, v38
	v_add3_u32 v37, v76, v74, v37
	;; [unrolled: 3-line block ×4, first 2 shown]
	ds_write_b16 v20, v28
	v_lshlrev_b32_e32 v20, 1, v40
	ds_write_b16 v20, v27
	v_lshlrev_b32_e32 v20, 1, v41
	v_lshlrev_b32_e32 v17, 3, v17
	s_min_u32 s40, s40, 8
	ds_write_b16 v20, v25
	s_waitcnt lgkmcnt(0)
	s_barrier
	ds_read_u16 v31, v84
	ds_read_u16 v30, v84 offset:128
	ds_read_u16 v29, v84 offset:256
	;; [unrolled: 1-line block ×7, first 2 shown]
	s_waitcnt lgkmcnt(0)
	s_barrier
	ds_write_b64 v17, v[12:13]
	v_lshlrev_b32_e32 v12, 3, v18
	s_lshl_b32 s40, -1, s40
	s_movk_i32 s50, 0x8000
	ds_write_b64 v12, v[14:15]
	v_lshlrev_b32_e32 v12, 3, v19
	s_not_b32 s49, s40
	v_lshrrev_b16_e32 v17, 8, v31
	v_mov_b32_e32 v18, 0x7f
	v_cmp_ne_u16_e64 s[40:41], s50, v31
	ds_write_b64 v12, v[8:9]
	v_lshlrev_b32_e32 v8, 3, v38
	v_cndmask_b32_e64 v17, v18, v17, s[40:41]
	ds_write_b64 v8, v[10:11]
	v_lshlrev_b32_e32 v8, 3, v39
	v_and_b32_sdwa v19, v17, s49 dst_sel:DWORD dst_unused:UNUSED_PAD src0_sel:WORD_0 src1_sel:DWORD
	ds_write_b64 v8, v[4:5]
	v_lshlrev_b32_e32 v4, 3, v37
	v_lshlrev_b32_e32 v17, 1, v19
	ds_write_b64 v4, v[6:7]
	v_lshlrev_b32_e32 v4, 3, v40
	v_add_lshl_u32 v32, v17, v24, 2
	v_and_b32_e32 v17, 1, v19
	v_lshlrev_b32_e32 v36, 3, v36
	ds_write_b64 v4, v[0:1]
	v_lshlrev_b32_e32 v0, 3, v41
	v_add_co_u32_e64 v33, s[40:41], -1, v17
	ds_write_b64 v0, v[2:3]
	s_waitcnt lgkmcnt(0)
	s_barrier
	ds_read2st64_b64 v[12:15], v36 offset1:1
	ds_read2st64_b64 v[8:11], v36 offset0:2 offset1:3
	ds_read2st64_b64 v[4:7], v36 offset0:4 offset1:5
	;; [unrolled: 1-line block ×3, first 2 shown]
	v_addc_co_u32_e64 v36, s[40:41], 0, -1, s[40:41]
	v_cmp_ne_u32_e64 s[40:41], 0, v17
	v_xor_b32_e32 v17, s41, v36
	v_and_b32_e32 v36, exec_hi, v17
	v_lshlrev_b32_e32 v17, 30, v19
	v_xor_b32_e32 v33, s40, v33
	v_cmp_gt_i64_e64 s[40:41], 0, v[16:17]
	v_not_b32_e32 v17, v17
	v_ashrrev_i32_e32 v17, 31, v17
	v_and_b32_e32 v33, exec_lo, v33
	v_xor_b32_e32 v37, s41, v17
	v_xor_b32_e32 v17, s40, v17
	v_and_b32_e32 v33, v33, v17
	v_lshlrev_b32_e32 v17, 29, v19
	v_cmp_gt_i64_e64 s[40:41], 0, v[16:17]
	v_not_b32_e32 v17, v17
	v_ashrrev_i32_e32 v17, 31, v17
	v_and_b32_e32 v36, v36, v37
	v_xor_b32_e32 v37, s41, v17
	v_xor_b32_e32 v17, s40, v17
	v_and_b32_e32 v33, v33, v17
	v_lshlrev_b32_e32 v17, 28, v19
	v_cmp_gt_i64_e64 s[40:41], 0, v[16:17]
	v_not_b32_e32 v17, v17
	v_ashrrev_i32_e32 v17, 31, v17
	v_and_b32_e32 v36, v36, v37
	;; [unrolled: 8-line block ×5, first 2 shown]
	v_xor_b32_e32 v37, s41, v17
	v_xor_b32_e32 v17, s40, v17
	v_and_b32_e32 v33, v33, v17
	v_lshlrev_b32_e32 v17, 24, v19
	s_waitcnt lgkmcnt(0)
	s_barrier
	ds_write2_b32 v64, v16, v16 offset0:2 offset1:3
	ds_write2_b32 v22, v16, v16 offset0:2 offset1:3
	v_cmp_gt_i64_e64 s[40:41], 0, v[16:17]
	v_not_b32_e32 v16, v17
	v_ashrrev_i32_e32 v16, 31, v16
	v_xor_b32_e32 v17, s41, v16
	v_xor_b32_e32 v16, s40, v16
	v_and_b32_e32 v36, v36, v37
	v_and_b32_e32 v16, v33, v16
	;; [unrolled: 1-line block ×3, first 2 shown]
	v_mbcnt_lo_u32_b32 v19, v16, 0
	v_mbcnt_hi_u32_b32 v33, v17, v19
	v_cmp_eq_u32_e64 s[40:41], 0, v33
	v_cmp_ne_u64_e64 s[42:43], 0, v[16:17]
	s_and_b64 s[42:43], s[42:43], s[40:41]
	s_waitcnt lgkmcnt(0)
	s_barrier
	s_waitcnt lgkmcnt(0)
	; wave barrier
	s_and_saveexec_b64 s[40:41], s[42:43]
	s_cbranch_execz .LBB242_107
; %bb.106:
	v_bcnt_u32_b32 v16, v16, 0
	v_bcnt_u32_b32 v16, v17, v16
	ds_write_b32 v32, v16 offset:8
.LBB242_107:
	s_or_b64 exec, exec, s[40:41]
	v_lshrrev_b16_e32 v16, 8, v30
	v_cmp_ne_u16_e64 s[40:41], s50, v30
	v_cndmask_b32_e64 v16, v18, v16, s[40:41]
	v_and_b32_e32 v18, s49, v16
	v_and_b32_e32 v17, 1, v18
	v_add_co_u32_e64 v19, s[40:41], -1, v17
	v_addc_co_u32_e64 v38, s[40:41], 0, -1, s[40:41]
	v_cmp_ne_u32_e64 s[40:41], 0, v17
	v_lshlrev_b32_e32 v16, 1, v18
	v_xor_b32_e32 v17, s41, v38
	v_add_lshl_u32 v37, v16, v24, 2
	v_mov_b32_e32 v16, 0
	v_and_b32_e32 v38, exec_hi, v17
	v_lshlrev_b32_e32 v17, 30, v18
	v_xor_b32_e32 v19, s40, v19
	v_cmp_gt_i64_e64 s[40:41], 0, v[16:17]
	v_not_b32_e32 v17, v17
	v_ashrrev_i32_e32 v17, 31, v17
	v_and_b32_e32 v19, exec_lo, v19
	v_xor_b32_e32 v39, s41, v17
	v_xor_b32_e32 v17, s40, v17
	v_and_b32_e32 v19, v19, v17
	v_lshlrev_b32_e32 v17, 29, v18
	v_cmp_gt_i64_e64 s[40:41], 0, v[16:17]
	v_not_b32_e32 v17, v17
	v_ashrrev_i32_e32 v17, 31, v17
	v_and_b32_e32 v38, v38, v39
	v_xor_b32_e32 v39, s41, v17
	v_xor_b32_e32 v17, s40, v17
	v_and_b32_e32 v19, v19, v17
	v_lshlrev_b32_e32 v17, 28, v18
	v_cmp_gt_i64_e64 s[40:41], 0, v[16:17]
	v_not_b32_e32 v17, v17
	v_ashrrev_i32_e32 v17, 31, v17
	v_and_b32_e32 v38, v38, v39
	;; [unrolled: 8-line block ×5, first 2 shown]
	v_xor_b32_e32 v39, s41, v17
	v_xor_b32_e32 v17, s40, v17
	v_and_b32_e32 v38, v38, v39
	v_and_b32_e32 v39, v19, v17
	v_lshlrev_b32_e32 v17, 24, v18
	v_cmp_gt_i64_e64 s[40:41], 0, v[16:17]
	v_not_b32_e32 v17, v17
	v_ashrrev_i32_e32 v17, 31, v17
	v_xor_b32_e32 v18, s41, v17
	v_xor_b32_e32 v17, s40, v17
	; wave barrier
	ds_read_b32 v36, v37 offset:8
	v_and_b32_e32 v19, v38, v18
	v_and_b32_e32 v18, v39, v17
	v_mbcnt_lo_u32_b32 v17, v18, 0
	v_mbcnt_hi_u32_b32 v38, v19, v17
	v_cmp_eq_u32_e64 s[40:41], 0, v38
	v_cmp_ne_u64_e64 s[42:43], 0, v[18:19]
	s_and_b64 s[42:43], s[42:43], s[40:41]
	; wave barrier
	s_and_saveexec_b64 s[40:41], s[42:43]
	s_cbranch_execz .LBB242_109
; %bb.108:
	v_bcnt_u32_b32 v17, v18, 0
	v_bcnt_u32_b32 v17, v19, v17
	s_waitcnt lgkmcnt(0)
	v_add_u32_e32 v17, v36, v17
	ds_write_b32 v37, v17 offset:8
.LBB242_109:
	s_or_b64 exec, exec, s[40:41]
	v_lshrrev_b16_e32 v17, 8, v29
	v_mov_b32_e32 v18, 0x7f
	v_cmp_ne_u16_e64 s[40:41], s50, v29
	v_cndmask_b32_e64 v17, v18, v17, s[40:41]
	v_and_b32_e32 v19, s49, v17
	v_lshlrev_b32_e32 v17, 1, v19
	v_add_lshl_u32 v40, v17, v24, 2
	v_and_b32_e32 v17, 1, v19
	v_add_co_u32_e64 v41, s[40:41], -1, v17
	v_addc_co_u32_e64 v46, s[40:41], 0, -1, s[40:41]
	v_cmp_ne_u32_e64 s[40:41], 0, v17
	v_xor_b32_e32 v17, s41, v46
	v_and_b32_e32 v46, exec_hi, v17
	v_lshlrev_b32_e32 v17, 30, v19
	v_xor_b32_e32 v41, s40, v41
	v_cmp_gt_i64_e64 s[40:41], 0, v[16:17]
	v_not_b32_e32 v17, v17
	v_ashrrev_i32_e32 v17, 31, v17
	v_and_b32_e32 v41, exec_lo, v41
	v_xor_b32_e32 v65, s41, v17
	v_xor_b32_e32 v17, s40, v17
	v_and_b32_e32 v41, v41, v17
	v_lshlrev_b32_e32 v17, 29, v19
	v_cmp_gt_i64_e64 s[40:41], 0, v[16:17]
	v_not_b32_e32 v17, v17
	v_ashrrev_i32_e32 v17, 31, v17
	v_and_b32_e32 v46, v46, v65
	v_xor_b32_e32 v65, s41, v17
	v_xor_b32_e32 v17, s40, v17
	v_and_b32_e32 v41, v41, v17
	v_lshlrev_b32_e32 v17, 28, v19
	v_cmp_gt_i64_e64 s[40:41], 0, v[16:17]
	v_not_b32_e32 v17, v17
	v_ashrrev_i32_e32 v17, 31, v17
	v_and_b32_e32 v46, v46, v65
	;; [unrolled: 8-line block ×5, first 2 shown]
	v_xor_b32_e32 v65, s41, v17
	v_xor_b32_e32 v17, s40, v17
	v_and_b32_e32 v41, v41, v17
	v_lshlrev_b32_e32 v17, 24, v19
	v_cmp_gt_i64_e64 s[40:41], 0, v[16:17]
	v_not_b32_e32 v16, v17
	v_ashrrev_i32_e32 v16, 31, v16
	v_xor_b32_e32 v17, s41, v16
	v_xor_b32_e32 v16, s40, v16
	; wave barrier
	ds_read_b32 v39, v40 offset:8
	v_and_b32_e32 v46, v46, v65
	v_and_b32_e32 v16, v41, v16
	;; [unrolled: 1-line block ×3, first 2 shown]
	v_mbcnt_lo_u32_b32 v19, v16, 0
	v_mbcnt_hi_u32_b32 v41, v17, v19
	v_cmp_eq_u32_e64 s[40:41], 0, v41
	v_cmp_ne_u64_e64 s[42:43], 0, v[16:17]
	s_and_b64 s[42:43], s[42:43], s[40:41]
	; wave barrier
	s_and_saveexec_b64 s[40:41], s[42:43]
	s_cbranch_execz .LBB242_111
; %bb.110:
	v_bcnt_u32_b32 v16, v16, 0
	v_bcnt_u32_b32 v16, v17, v16
	s_waitcnt lgkmcnt(0)
	v_add_u32_e32 v16, v39, v16
	ds_write_b32 v40, v16 offset:8
.LBB242_111:
	s_or_b64 exec, exec, s[40:41]
	v_lshrrev_b16_e32 v16, 8, v28
	v_cmp_ne_u16_e64 s[40:41], s50, v28
	v_cndmask_b32_e64 v16, v18, v16, s[40:41]
	v_and_b32_e32 v18, s49, v16
	v_and_b32_e32 v17, 1, v18
	v_add_co_u32_e64 v19, s[40:41], -1, v17
	v_addc_co_u32_e64 v66, s[40:41], 0, -1, s[40:41]
	v_cmp_ne_u32_e64 s[40:41], 0, v17
	v_lshlrev_b32_e32 v16, 1, v18
	v_xor_b32_e32 v17, s41, v66
	v_add_lshl_u32 v65, v16, v24, 2
	v_mov_b32_e32 v16, 0
	v_and_b32_e32 v66, exec_hi, v17
	v_lshlrev_b32_e32 v17, 30, v18
	v_xor_b32_e32 v19, s40, v19
	v_cmp_gt_i64_e64 s[40:41], 0, v[16:17]
	v_not_b32_e32 v17, v17
	v_ashrrev_i32_e32 v17, 31, v17
	v_and_b32_e32 v19, exec_lo, v19
	v_xor_b32_e32 v67, s41, v17
	v_xor_b32_e32 v17, s40, v17
	v_and_b32_e32 v19, v19, v17
	v_lshlrev_b32_e32 v17, 29, v18
	v_cmp_gt_i64_e64 s[40:41], 0, v[16:17]
	v_not_b32_e32 v17, v17
	v_ashrrev_i32_e32 v17, 31, v17
	v_and_b32_e32 v66, v66, v67
	v_xor_b32_e32 v67, s41, v17
	v_xor_b32_e32 v17, s40, v17
	v_and_b32_e32 v19, v19, v17
	v_lshlrev_b32_e32 v17, 28, v18
	v_cmp_gt_i64_e64 s[40:41], 0, v[16:17]
	v_not_b32_e32 v17, v17
	v_ashrrev_i32_e32 v17, 31, v17
	v_and_b32_e32 v66, v66, v67
	;; [unrolled: 8-line block ×5, first 2 shown]
	v_xor_b32_e32 v67, s41, v17
	v_xor_b32_e32 v17, s40, v17
	v_and_b32_e32 v66, v66, v67
	v_and_b32_e32 v67, v19, v17
	v_lshlrev_b32_e32 v17, 24, v18
	v_cmp_gt_i64_e64 s[40:41], 0, v[16:17]
	v_not_b32_e32 v17, v17
	v_ashrrev_i32_e32 v17, 31, v17
	v_xor_b32_e32 v18, s41, v17
	v_xor_b32_e32 v17, s40, v17
	; wave barrier
	ds_read_b32 v46, v65 offset:8
	v_and_b32_e32 v19, v66, v18
	v_and_b32_e32 v18, v67, v17
	v_mbcnt_lo_u32_b32 v17, v18, 0
	v_mbcnt_hi_u32_b32 v66, v19, v17
	v_cmp_eq_u32_e64 s[40:41], 0, v66
	v_cmp_ne_u64_e64 s[42:43], 0, v[18:19]
	s_and_b64 s[42:43], s[42:43], s[40:41]
	; wave barrier
	s_and_saveexec_b64 s[40:41], s[42:43]
	s_cbranch_execz .LBB242_113
; %bb.112:
	v_bcnt_u32_b32 v17, v18, 0
	v_bcnt_u32_b32 v17, v19, v17
	s_waitcnt lgkmcnt(0)
	v_add_u32_e32 v17, v46, v17
	ds_write_b32 v65, v17 offset:8
.LBB242_113:
	s_or_b64 exec, exec, s[40:41]
	v_lshrrev_b16_e32 v17, 8, v27
	v_mov_b32_e32 v18, 0x7f
	v_cmp_ne_u16_e64 s[40:41], s50, v27
	v_cndmask_b32_e64 v17, v18, v17, s[40:41]
	v_and_b32_e32 v19, s49, v17
	v_lshlrev_b32_e32 v17, 1, v19
	v_add_lshl_u32 v68, v17, v24, 2
	v_and_b32_e32 v17, 1, v19
	v_add_co_u32_e64 v69, s[40:41], -1, v17
	v_addc_co_u32_e64 v70, s[40:41], 0, -1, s[40:41]
	v_cmp_ne_u32_e64 s[40:41], 0, v17
	v_xor_b32_e32 v17, s41, v70
	v_and_b32_e32 v70, exec_hi, v17
	v_lshlrev_b32_e32 v17, 30, v19
	v_xor_b32_e32 v69, s40, v69
	v_cmp_gt_i64_e64 s[40:41], 0, v[16:17]
	v_not_b32_e32 v17, v17
	v_ashrrev_i32_e32 v17, 31, v17
	v_and_b32_e32 v69, exec_lo, v69
	v_xor_b32_e32 v71, s41, v17
	v_xor_b32_e32 v17, s40, v17
	v_and_b32_e32 v69, v69, v17
	v_lshlrev_b32_e32 v17, 29, v19
	v_cmp_gt_i64_e64 s[40:41], 0, v[16:17]
	v_not_b32_e32 v17, v17
	v_ashrrev_i32_e32 v17, 31, v17
	v_and_b32_e32 v70, v70, v71
	v_xor_b32_e32 v71, s41, v17
	v_xor_b32_e32 v17, s40, v17
	v_and_b32_e32 v69, v69, v17
	v_lshlrev_b32_e32 v17, 28, v19
	v_cmp_gt_i64_e64 s[40:41], 0, v[16:17]
	v_not_b32_e32 v17, v17
	v_ashrrev_i32_e32 v17, 31, v17
	v_and_b32_e32 v70, v70, v71
	;; [unrolled: 8-line block ×5, first 2 shown]
	v_xor_b32_e32 v71, s41, v17
	v_xor_b32_e32 v17, s40, v17
	v_and_b32_e32 v69, v69, v17
	v_lshlrev_b32_e32 v17, 24, v19
	v_cmp_gt_i64_e64 s[40:41], 0, v[16:17]
	v_not_b32_e32 v16, v17
	v_ashrrev_i32_e32 v16, 31, v16
	v_xor_b32_e32 v17, s41, v16
	v_xor_b32_e32 v16, s40, v16
	; wave barrier
	ds_read_b32 v67, v68 offset:8
	v_and_b32_e32 v70, v70, v71
	v_and_b32_e32 v16, v69, v16
	v_and_b32_e32 v17, v70, v17
	v_mbcnt_lo_u32_b32 v19, v16, 0
	v_mbcnt_hi_u32_b32 v69, v17, v19
	v_cmp_eq_u32_e64 s[40:41], 0, v69
	v_cmp_ne_u64_e64 s[42:43], 0, v[16:17]
	s_and_b64 s[42:43], s[42:43], s[40:41]
	; wave barrier
	s_and_saveexec_b64 s[40:41], s[42:43]
	s_cbranch_execz .LBB242_115
; %bb.114:
	v_bcnt_u32_b32 v16, v16, 0
	v_bcnt_u32_b32 v16, v17, v16
	s_waitcnt lgkmcnt(0)
	v_add_u32_e32 v16, v67, v16
	ds_write_b32 v68, v16 offset:8
.LBB242_115:
	s_or_b64 exec, exec, s[40:41]
	v_lshrrev_b16_e32 v16, 8, v26
	v_cmp_ne_u16_e64 s[40:41], s50, v26
	v_cndmask_b32_e64 v16, v18, v16, s[40:41]
	v_and_b32_e32 v18, s49, v16
	v_and_b32_e32 v17, 1, v18
	v_add_co_u32_e64 v19, s[40:41], -1, v17
	v_addc_co_u32_e64 v72, s[40:41], 0, -1, s[40:41]
	v_cmp_ne_u32_e64 s[40:41], 0, v17
	v_lshlrev_b32_e32 v16, 1, v18
	v_xor_b32_e32 v17, s41, v72
	v_add_lshl_u32 v71, v16, v24, 2
	v_mov_b32_e32 v16, 0
	v_and_b32_e32 v72, exec_hi, v17
	v_lshlrev_b32_e32 v17, 30, v18
	v_xor_b32_e32 v19, s40, v19
	v_cmp_gt_i64_e64 s[40:41], 0, v[16:17]
	v_not_b32_e32 v17, v17
	v_ashrrev_i32_e32 v17, 31, v17
	v_and_b32_e32 v19, exec_lo, v19
	v_xor_b32_e32 v73, s41, v17
	v_xor_b32_e32 v17, s40, v17
	v_and_b32_e32 v19, v19, v17
	v_lshlrev_b32_e32 v17, 29, v18
	v_cmp_gt_i64_e64 s[40:41], 0, v[16:17]
	v_not_b32_e32 v17, v17
	v_ashrrev_i32_e32 v17, 31, v17
	v_and_b32_e32 v72, v72, v73
	v_xor_b32_e32 v73, s41, v17
	v_xor_b32_e32 v17, s40, v17
	v_and_b32_e32 v19, v19, v17
	v_lshlrev_b32_e32 v17, 28, v18
	v_cmp_gt_i64_e64 s[40:41], 0, v[16:17]
	v_not_b32_e32 v17, v17
	v_ashrrev_i32_e32 v17, 31, v17
	v_and_b32_e32 v72, v72, v73
	;; [unrolled: 8-line block ×5, first 2 shown]
	v_xor_b32_e32 v73, s41, v17
	v_xor_b32_e32 v17, s40, v17
	v_and_b32_e32 v72, v72, v73
	v_and_b32_e32 v73, v19, v17
	v_lshlrev_b32_e32 v17, 24, v18
	v_cmp_gt_i64_e64 s[40:41], 0, v[16:17]
	v_not_b32_e32 v17, v17
	v_ashrrev_i32_e32 v17, 31, v17
	v_xor_b32_e32 v18, s41, v17
	v_xor_b32_e32 v17, s40, v17
	; wave barrier
	ds_read_b32 v70, v71 offset:8
	v_and_b32_e32 v19, v72, v18
	v_and_b32_e32 v18, v73, v17
	v_mbcnt_lo_u32_b32 v17, v18, 0
	v_mbcnt_hi_u32_b32 v72, v19, v17
	v_cmp_eq_u32_e64 s[40:41], 0, v72
	v_cmp_ne_u64_e64 s[42:43], 0, v[18:19]
	s_and_b64 s[42:43], s[42:43], s[40:41]
	; wave barrier
	s_and_saveexec_b64 s[40:41], s[42:43]
	s_cbranch_execz .LBB242_117
; %bb.116:
	v_bcnt_u32_b32 v17, v18, 0
	v_bcnt_u32_b32 v17, v19, v17
	s_waitcnt lgkmcnt(0)
	v_add_u32_e32 v17, v70, v17
	ds_write_b32 v71, v17 offset:8
.LBB242_117:
	s_or_b64 exec, exec, s[40:41]
	v_lshrrev_b16_e32 v17, 8, v25
	v_mov_b32_e32 v18, 0x7f
	v_cmp_ne_u16_e64 s[40:41], s50, v25
	v_cndmask_b32_e64 v17, v18, v17, s[40:41]
	v_and_b32_e32 v19, s49, v17
	v_lshlrev_b32_e32 v17, 1, v19
	v_add_lshl_u32 v74, v17, v24, 2
	v_and_b32_e32 v17, 1, v19
	v_add_co_u32_e64 v75, s[40:41], -1, v17
	v_addc_co_u32_e64 v76, s[40:41], 0, -1, s[40:41]
	v_cmp_ne_u32_e64 s[40:41], 0, v17
	v_xor_b32_e32 v17, s41, v76
	v_and_b32_e32 v76, exec_hi, v17
	v_lshlrev_b32_e32 v17, 30, v19
	v_xor_b32_e32 v75, s40, v75
	v_cmp_gt_i64_e64 s[40:41], 0, v[16:17]
	v_not_b32_e32 v17, v17
	v_ashrrev_i32_e32 v17, 31, v17
	v_and_b32_e32 v75, exec_lo, v75
	v_xor_b32_e32 v77, s41, v17
	v_xor_b32_e32 v17, s40, v17
	v_and_b32_e32 v75, v75, v17
	v_lshlrev_b32_e32 v17, 29, v19
	v_cmp_gt_i64_e64 s[40:41], 0, v[16:17]
	v_not_b32_e32 v17, v17
	v_ashrrev_i32_e32 v17, 31, v17
	v_and_b32_e32 v76, v76, v77
	v_xor_b32_e32 v77, s41, v17
	v_xor_b32_e32 v17, s40, v17
	v_and_b32_e32 v75, v75, v17
	v_lshlrev_b32_e32 v17, 28, v19
	v_cmp_gt_i64_e64 s[40:41], 0, v[16:17]
	v_not_b32_e32 v17, v17
	v_ashrrev_i32_e32 v17, 31, v17
	v_and_b32_e32 v76, v76, v77
	;; [unrolled: 8-line block ×5, first 2 shown]
	v_xor_b32_e32 v77, s41, v17
	v_xor_b32_e32 v17, s40, v17
	v_and_b32_e32 v75, v75, v17
	v_lshlrev_b32_e32 v17, 24, v19
	v_cmp_gt_i64_e64 s[40:41], 0, v[16:17]
	v_not_b32_e32 v16, v17
	v_ashrrev_i32_e32 v16, 31, v16
	v_xor_b32_e32 v17, s41, v16
	v_xor_b32_e32 v16, s40, v16
	; wave barrier
	ds_read_b32 v73, v74 offset:8
	v_and_b32_e32 v76, v76, v77
	v_and_b32_e32 v16, v75, v16
	;; [unrolled: 1-line block ×3, first 2 shown]
	v_mbcnt_lo_u32_b32 v19, v16, 0
	v_mbcnt_hi_u32_b32 v75, v17, v19
	v_cmp_eq_u32_e64 s[40:41], 0, v75
	v_cmp_ne_u64_e64 s[42:43], 0, v[16:17]
	s_and_b64 s[42:43], s[42:43], s[40:41]
	; wave barrier
	s_and_saveexec_b64 s[40:41], s[42:43]
	s_cbranch_execz .LBB242_119
; %bb.118:
	v_bcnt_u32_b32 v16, v16, 0
	v_bcnt_u32_b32 v16, v17, v16
	s_waitcnt lgkmcnt(0)
	v_add_u32_e32 v16, v73, v16
	ds_write_b32 v74, v16 offset:8
.LBB242_119:
	s_or_b64 exec, exec, s[40:41]
	v_lshrrev_b16_e32 v16, 8, v20
	v_cmp_ne_u16_e64 s[40:41], s50, v20
	v_cndmask_b32_e64 v16, v18, v16, s[40:41]
	v_and_b32_e32 v18, s49, v16
	v_and_b32_e32 v17, 1, v18
	v_add_co_u32_e64 v19, s[40:41], -1, v17
	v_addc_co_u32_e64 v77, s[40:41], 0, -1, s[40:41]
	v_cmp_ne_u32_e64 s[40:41], 0, v17
	v_lshlrev_b32_e32 v16, 1, v18
	v_xor_b32_e32 v17, s41, v77
	v_add_lshl_u32 v76, v16, v24, 2
	v_mov_b32_e32 v16, 0
	v_and_b32_e32 v77, exec_hi, v17
	v_lshlrev_b32_e32 v17, 30, v18
	v_xor_b32_e32 v19, s40, v19
	v_cmp_gt_i64_e64 s[40:41], 0, v[16:17]
	v_not_b32_e32 v17, v17
	v_ashrrev_i32_e32 v17, 31, v17
	v_and_b32_e32 v19, exec_lo, v19
	v_xor_b32_e32 v78, s41, v17
	v_xor_b32_e32 v17, s40, v17
	v_and_b32_e32 v19, v19, v17
	v_lshlrev_b32_e32 v17, 29, v18
	v_cmp_gt_i64_e64 s[40:41], 0, v[16:17]
	v_not_b32_e32 v17, v17
	v_ashrrev_i32_e32 v17, 31, v17
	v_and_b32_e32 v77, v77, v78
	v_xor_b32_e32 v78, s41, v17
	v_xor_b32_e32 v17, s40, v17
	v_and_b32_e32 v19, v19, v17
	v_lshlrev_b32_e32 v17, 28, v18
	v_cmp_gt_i64_e64 s[40:41], 0, v[16:17]
	v_not_b32_e32 v17, v17
	v_ashrrev_i32_e32 v17, 31, v17
	v_and_b32_e32 v77, v77, v78
	;; [unrolled: 8-line block ×5, first 2 shown]
	v_xor_b32_e32 v78, s41, v17
	v_xor_b32_e32 v17, s40, v17
	v_and_b32_e32 v19, v19, v17
	v_lshlrev_b32_e32 v17, 24, v18
	v_cmp_gt_i64_e64 s[40:41], 0, v[16:17]
	v_not_b32_e32 v16, v17
	v_ashrrev_i32_e32 v16, 31, v16
	v_xor_b32_e32 v17, s41, v16
	v_xor_b32_e32 v16, s40, v16
	; wave barrier
	ds_read_b32 v24, v76 offset:8
	v_and_b32_e32 v77, v77, v78
	v_and_b32_e32 v16, v19, v16
	;; [unrolled: 1-line block ×3, first 2 shown]
	v_mbcnt_lo_u32_b32 v18, v16, 0
	v_mbcnt_hi_u32_b32 v77, v17, v18
	v_cmp_eq_u32_e64 s[40:41], 0, v77
	v_cmp_ne_u64_e64 s[42:43], 0, v[16:17]
	s_and_b64 s[42:43], s[42:43], s[40:41]
	; wave barrier
	s_and_saveexec_b64 s[40:41], s[42:43]
	s_cbranch_execz .LBB242_121
; %bb.120:
	v_bcnt_u32_b32 v16, v16, 0
	v_bcnt_u32_b32 v16, v17, v16
	s_waitcnt lgkmcnt(0)
	v_add_u32_e32 v16, v24, v16
	ds_write_b32 v76, v16 offset:8
.LBB242_121:
	s_or_b64 exec, exec, s[40:41]
	; wave barrier
	s_waitcnt lgkmcnt(0)
	s_barrier
	ds_read2_b32 v[18:19], v64 offset0:2 offset1:3
	ds_read2_b32 v[16:17], v22 offset0:2 offset1:3
	s_waitcnt lgkmcnt(1)
	v_add_u32_e32 v78, v19, v18
	s_waitcnt lgkmcnt(0)
	v_add3_u32 v17, v78, v16, v17
	s_nop 1
	v_mov_b32_dpp v78, v17 row_shr:1 row_mask:0xf bank_mask:0xf
	v_cndmask_b32_e64 v78, v78, 0, s[20:21]
	v_add_u32_e32 v17, v78, v17
	s_nop 1
	v_mov_b32_dpp v78, v17 row_shr:2 row_mask:0xf bank_mask:0xf
	v_cndmask_b32_e64 v78, 0, v78, s[22:23]
	v_add_u32_e32 v17, v17, v78
	;; [unrolled: 4-line block ×4, first 2 shown]
	s_nop 1
	v_mov_b32_dpp v78, v17 row_bcast:15 row_mask:0xf bank_mask:0xf
	v_cndmask_b32_e64 v78, v78, 0, vcc
	v_add_u32_e32 v17, v17, v78
	s_nop 1
	v_mov_b32_dpp v78, v17 row_bcast:31 row_mask:0xf bank_mask:0xf
	v_cndmask_b32_e64 v78, 0, v78, s[34:35]
	v_add_u32_e32 v78, v17, v78
	s_and_saveexec_b64 s[20:21], s[16:17]
	s_cbranch_execz .LBB242_123
; %bb.122:
	ds_write_b32 v23, v78
.LBB242_123:
	s_or_b64 exec, exec, s[20:21]
	s_waitcnt lgkmcnt(0)
	s_barrier
	s_and_saveexec_b64 s[16:17], s[24:25]
	s_cbranch_execz .LBB242_125
; %bb.124:
	ds_read_b32 v17, v21
	s_waitcnt lgkmcnt(0)
	s_nop 0
	v_mov_b32_dpp v23, v17 row_shr:1 row_mask:0xf bank_mask:0xf
	v_cndmask_b32_e64 v23, v23, 0, s[18:19]
	v_add_u32_e32 v17, v23, v17
	ds_write_b32 v21, v17
.LBB242_125:
	s_or_b64 exec, exec, s[16:17]
	v_mov_b32_e32 v17, 0
	v_mov_b32_e32 v21, 0
	s_waitcnt lgkmcnt(0)
	s_barrier
	s_and_saveexec_b64 s[16:17], s[30:31]
	s_cbranch_execz .LBB242_127
; %bb.126:
	ds_read_b32 v21, v34
.LBB242_127:
	s_or_b64 exec, exec, s[16:17]
	s_waitcnt lgkmcnt(0)
	v_add_u32_e32 v23, v21, v78
	ds_bpermute_b32 v23, v35, v23
	v_lshlrev_b32_e32 v34, 3, v63
	s_mov_b32 s18, 0x5040100
	s_waitcnt lgkmcnt(0)
	v_cndmask_b32_e64 v21, v23, v21, s[36:37]
	v_cndmask_b32_e64 v21, v21, 0, s[38:39]
	v_add_u32_e32 v18, v21, v18
	v_add_u32_e32 v19, v18, v19
	;; [unrolled: 1-line block ×3, first 2 shown]
	ds_write2_b32 v64, v21, v18 offset0:2 offset1:3
	ds_write2_b32 v22, v19, v16 offset0:2 offset1:3
	s_waitcnt lgkmcnt(0)
	s_barrier
	ds_read_b32 v16, v76 offset:8
	ds_read_b32 v18, v74 offset:8
	;; [unrolled: 1-line block ×4, first 2 shown]
	s_waitcnt lgkmcnt(3)
	v_add3_u32 v16, v77, v24, v16
	ds_read_b32 v22, v65 offset:8
	ds_read_b32 v23, v40 offset:8
	;; [unrolled: 1-line block ×4, first 2 shown]
	s_waitcnt lgkmcnt(0)
	s_barrier
	v_add3_u32 v23, v41, v39, v23
	v_add3_u32 v24, v38, v36, v24
	v_add_u32_e32 v32, v32, v33
	v_lshlrev_b32_e32 v33, 1, v32
	ds_write_b16 v33, v31
	v_lshlrev_b32_e32 v31, 1, v24
	v_add3_u32 v22, v66, v46, v22
	ds_write_b16 v31, v30
	v_lshlrev_b32_e32 v30, 1, v23
	v_add3_u32 v21, v69, v67, v21
	;; [unrolled: 3-line block ×4, first 2 shown]
	ds_write_b16 v28, v27
	v_lshlrev_b32_e32 v27, 1, v19
	ds_write_b16 v27, v26
	v_lshlrev_b32_e32 v26, 1, v18
	;; [unrolled: 2-line block ×4, first 2 shown]
	s_waitcnt lgkmcnt(0)
	s_barrier
	v_lshlrev_b32_e32 v26, 3, v21
	v_lshlrev_b32_e32 v27, 3, v19
	;; [unrolled: 1-line block ×3, first 2 shown]
	ds_read_b128 v[18:21], v20
	v_mov_b32_e32 v40, -1
	v_mov_b32_e32 v41, 0x7fff
	v_lshlrev_b32_e32 v25, 3, v32
	v_lshlrev_b32_e32 v24, 3, v24
	s_waitcnt lgkmcnt(0)
	v_cmp_gt_i16_sdwa vcc, v18, v40 src0_sel:WORD_1 src1_sel:DWORD
	v_cndmask_b32_e32 v29, 0, v41, vcc
	v_cmp_lt_i16_e32 vcc, -1, v18
	v_cndmask_b32_e32 v30, 0, v41, vcc
	v_cmp_lt_i16_sdwa s[16:17], v19, v17 src0_sel:WORD_1 src1_sel:DWORD
	v_cmp_gt_i16_e32 vcc, 0, v19
	v_cndmask_b32_e64 v31, v41, 0, s[16:17]
	v_cndmask_b32_e64 v32, v41, 0, vcc
	v_lshlrev_b32_e32 v23, 3, v23
	v_lshlrev_b32_e32 v22, 3, v22
	v_xor_b32_e32 v32, v32, v19
	v_xor_b32_sdwa v19, v31, v19 dst_sel:DWORD dst_unused:UNUSED_PAD src0_sel:DWORD src1_sel:WORD_1
	v_lshlrev_b32_e32 v16, 3, v16
	v_perm_b32 v39, v19, v32, s18
	v_xor_b32_e32 v19, v30, v18
	v_xor_b32_sdwa v18, v29, v18 dst_sel:DWORD dst_unused:UNUSED_PAD src0_sel:DWORD src1_sel:WORD_1
	s_barrier
	ds_write_b64 v25, v[12:13]
	ds_write_b64 v24, v[14:15]
	ds_write_b64 v23, v[8:9]
	ds_write_b64 v22, v[10:11]
	ds_write_b64 v26, v[4:5]
	ds_write_b64 v27, v[6:7]
	ds_write_b64 v28, v[0:1]
	ds_write_b64 v16, v[2:3]
	s_waitcnt lgkmcnt(0)
	s_barrier
	ds_read2_b64 v[22:25], v34 offset1:1
	ds_read2_b64 v[26:29], v34 offset0:2 offset1:3
	ds_read2_b64 v[30:33], v34 offset0:4 offset1:5
	;; [unrolled: 1-line block ×3, first 2 shown]
	v_cmp_gt_i16_sdwa vcc, v20, v40 src0_sel:WORD_1 src1_sel:DWORD
	v_cndmask_b32_e32 v0, 0, v41, vcc
	v_cmp_lt_i16_e32 vcc, -1, v20
	v_cndmask_b32_e32 v1, 0, v41, vcc
	v_cmp_lt_i16_sdwa s[16:17], v21, v17 src0_sel:WORD_1 src1_sel:DWORD
	v_cmp_gt_i16_e32 vcc, 0, v21
	v_cndmask_b32_e64 v2, v41, 0, s[16:17]
	v_cndmask_b32_e64 v3, v41, 0, vcc
	v_xor_b32_e32 v3, v3, v21
	v_xor_b32_sdwa v2, v2, v21 dst_sel:DWORD dst_unused:UNUSED_PAD src0_sel:DWORD src1_sel:WORD_1
	v_xor_b32_e32 v1, v1, v20
	v_xor_b32_sdwa v0, v0, v20 dst_sel:DWORD dst_unused:UNUSED_PAD src0_sel:DWORD src1_sel:WORD_1
	v_perm_b32 v38, v18, v19, s18
	v_perm_b32 v41, v2, v3, s18
	;; [unrolled: 1-line block ×3, first 2 shown]
.LBB242_128:
	s_waitcnt lgkmcnt(0)
	s_barrier
	ds_write_b128 v54, v[38:41]
	s_waitcnt lgkmcnt(0)
	s_barrier
	ds_read_u16 v8, v43 offset:256
	ds_read_u16 v7, v48 offset:512
	;; [unrolled: 1-line block ×7, first 2 shown]
	v_mov_b32_e32 v43, 0
	v_lshlrev_b64 v[0:1], 1, v[42:43]
	v_mov_b32_e32 v9, s44
	v_add_co_u32_e32 v0, vcc, s33, v0
	v_addc_co_u32_e32 v1, vcc, v9, v1, vcc
	s_and_saveexec_b64 s[16:17], s[0:1]
	s_cbranch_execnz .LBB242_147
; %bb.129:
	s_or_b64 exec, exec, s[16:17]
	s_and_saveexec_b64 s[16:17], s[2:3]
	s_cbranch_execnz .LBB242_148
.LBB242_130:
	s_or_b64 exec, exec, s[16:17]
	s_and_saveexec_b64 s[16:17], s[4:5]
	s_cbranch_execnz .LBB242_149
.LBB242_131:
	s_or_b64 exec, exec, s[16:17]
	s_and_saveexec_b64 s[16:17], s[6:7]
	s_cbranch_execnz .LBB242_150
.LBB242_132:
	s_or_b64 exec, exec, s[16:17]
	s_and_saveexec_b64 s[16:17], s[8:9]
	s_cbranch_execnz .LBB242_151
.LBB242_133:
	s_or_b64 exec, exec, s[16:17]
	s_and_saveexec_b64 s[16:17], s[10:11]
	s_cbranch_execnz .LBB242_152
.LBB242_134:
	s_or_b64 exec, exec, s[16:17]
	s_and_saveexec_b64 s[16:17], s[12:13]
	s_cbranch_execnz .LBB242_153
.LBB242_135:
	s_or_b64 exec, exec, s[16:17]
	s_and_saveexec_b64 s[16:17], s[14:15]
	s_cbranch_execz .LBB242_137
.LBB242_136:
	s_mul_i32 s18, s46, 0x380
	s_mov_b32 s19, 0
	s_lshl_b64 s[18:19], s[18:19], 1
	s_waitcnt lgkmcnt(1)
	v_mov_b32_e32 v3, s19
	v_add_co_u32_e32 v0, vcc, s18, v0
	v_addc_co_u32_e32 v1, vcc, v1, v3, vcc
	s_waitcnt lgkmcnt(0)
	global_store_short v[0:1], v2, off
.LBB242_137:
	s_or_b64 exec, exec, s[16:17]
	s_waitcnt lgkmcnt(0)
	s_barrier
	ds_write2_b64 v62, v[22:23], v[24:25] offset1:1
	ds_write2_b64 v62, v[26:27], v[28:29] offset0:2 offset1:3
	ds_write2_b64 v62, v[30:31], v[32:33] offset0:4 offset1:5
	;; [unrolled: 1-line block ×3, first 2 shown]
	s_waitcnt lgkmcnt(0)
	s_barrier
	ds_read_b64 v[14:15], v45 offset:1024
	ds_read_b64 v[12:13], v56 offset:2048
	;; [unrolled: 1-line block ×7, first 2 shown]
	v_mov_b32_e32 v45, 0
	v_lshlrev_b64 v[2:3], 3, v[44:45]
	v_mov_b32_e32 v16, s47
	v_add_co_u32_e32 v2, vcc, s45, v2
	v_addc_co_u32_e32 v3, vcc, v16, v3, vcc
	s_and_saveexec_b64 s[16:17], s[0:1]
	s_cbranch_execnz .LBB242_154
; %bb.138:
	s_or_b64 exec, exec, s[16:17]
	s_and_saveexec_b64 s[0:1], s[2:3]
	s_cbranch_execnz .LBB242_155
.LBB242_139:
	s_or_b64 exec, exec, s[0:1]
	s_and_saveexec_b64 s[0:1], s[4:5]
	s_cbranch_execnz .LBB242_156
.LBB242_140:
	s_or_b64 exec, exec, s[0:1]
	s_and_saveexec_b64 s[0:1], s[6:7]
	s_cbranch_execnz .LBB242_157
.LBB242_141:
	s_or_b64 exec, exec, s[0:1]
	s_and_saveexec_b64 s[0:1], s[8:9]
	s_cbranch_execnz .LBB242_158
.LBB242_142:
	s_or_b64 exec, exec, s[0:1]
	s_and_saveexec_b64 s[0:1], s[10:11]
	s_cbranch_execnz .LBB242_159
.LBB242_143:
	s_or_b64 exec, exec, s[0:1]
	s_and_saveexec_b64 s[0:1], s[12:13]
	s_cbranch_execnz .LBB242_160
.LBB242_144:
	s_or_b64 exec, exec, s[0:1]
	s_and_saveexec_b64 s[0:1], s[14:15]
	s_cbranch_execz .LBB242_146
.LBB242_145:
	s_mul_i32 s0, s48, 0x380
	s_mov_b32 s1, 0
	s_lshl_b64 s[0:1], s[0:1], 3
	s_waitcnt lgkmcnt(1)
	v_mov_b32_e32 v4, s1
	v_add_co_u32_e32 v2, vcc, s0, v2
	v_addc_co_u32_e32 v3, vcc, v3, v4, vcc
	s_waitcnt lgkmcnt(0)
	global_store_dwordx2 v[2:3], v[0:1], off
.LBB242_146:
	s_endpgm
.LBB242_147:
	ds_read_u16 v9, v47
	s_waitcnt lgkmcnt(0)
	global_store_short v[0:1], v9, off
	s_or_b64 exec, exec, s[16:17]
	s_and_saveexec_b64 s[16:17], s[2:3]
	s_cbranch_execz .LBB242_130
.LBB242_148:
	s_lshl_b32 s18, s46, 7
	s_mov_b32 s19, 0
	s_lshl_b64 s[18:19], s[18:19], 1
	v_mov_b32_e32 v9, s19
	v_add_co_u32_e32 v10, vcc, s18, v0
	v_addc_co_u32_e32 v11, vcc, v1, v9, vcc
	s_waitcnt lgkmcnt(6)
	global_store_short v[10:11], v8, off
	s_or_b64 exec, exec, s[16:17]
	s_and_saveexec_b64 s[16:17], s[4:5]
	s_cbranch_execz .LBB242_131
.LBB242_149:
	s_lshl_b32 s18, s46, 8
	s_mov_b32 s19, 0
	s_lshl_b64 s[18:19], s[18:19], 1
	v_mov_b32_e32 v9, s19
	s_waitcnt lgkmcnt(6)
	v_add_co_u32_e32 v8, vcc, s18, v0
	v_addc_co_u32_e32 v9, vcc, v1, v9, vcc
	s_waitcnt lgkmcnt(5)
	global_store_short v[8:9], v7, off
	s_or_b64 exec, exec, s[16:17]
	s_and_saveexec_b64 s[16:17], s[6:7]
	s_cbranch_execz .LBB242_132
.LBB242_150:
	s_mul_i32 s18, s46, 0x180
	s_mov_b32 s19, 0
	s_lshl_b64 s[18:19], s[18:19], 1
	s_waitcnt lgkmcnt(5)
	v_mov_b32_e32 v7, s19
	v_add_co_u32_e32 v8, vcc, s18, v0
	v_addc_co_u32_e32 v9, vcc, v1, v7, vcc
	s_waitcnt lgkmcnt(4)
	global_store_short v[8:9], v6, off
	s_or_b64 exec, exec, s[16:17]
	s_and_saveexec_b64 s[16:17], s[8:9]
	s_cbranch_execz .LBB242_133
.LBB242_151:
	s_lshl_b32 s18, s46, 9
	s_mov_b32 s19, 0
	s_lshl_b64 s[18:19], s[18:19], 1
	s_waitcnt lgkmcnt(5)
	v_mov_b32_e32 v7, s19
	s_waitcnt lgkmcnt(4)
	v_add_co_u32_e32 v6, vcc, s18, v0
	v_addc_co_u32_e32 v7, vcc, v1, v7, vcc
	s_waitcnt lgkmcnt(3)
	global_store_short v[6:7], v5, off
	s_or_b64 exec, exec, s[16:17]
	s_and_saveexec_b64 s[16:17], s[10:11]
	s_cbranch_execz .LBB242_134
.LBB242_152:
	s_mul_i32 s18, s46, 0x280
	s_mov_b32 s19, 0
	s_lshl_b64 s[18:19], s[18:19], 1
	s_waitcnt lgkmcnt(3)
	v_mov_b32_e32 v5, s19
	v_add_co_u32_e32 v6, vcc, s18, v0
	v_addc_co_u32_e32 v7, vcc, v1, v5, vcc
	s_waitcnt lgkmcnt(2)
	global_store_short v[6:7], v4, off
	s_or_b64 exec, exec, s[16:17]
	s_and_saveexec_b64 s[16:17], s[12:13]
	s_cbranch_execz .LBB242_135
.LBB242_153:
	s_mul_i32 s18, s46, 0x300
	s_mov_b32 s19, 0
	s_lshl_b64 s[18:19], s[18:19], 1
	s_waitcnt lgkmcnt(3)
	v_mov_b32_e32 v5, s19
	s_waitcnt lgkmcnt(2)
	v_add_co_u32_e32 v4, vcc, s18, v0
	v_addc_co_u32_e32 v5, vcc, v1, v5, vcc
	s_waitcnt lgkmcnt(1)
	global_store_short v[4:5], v3, off
	s_or_b64 exec, exec, s[16:17]
	s_and_saveexec_b64 s[16:17], s[14:15]
	s_cbranch_execnz .LBB242_136
	s_branch .LBB242_137
.LBB242_154:
	ds_read_b64 v[16:17], v55
	s_waitcnt lgkmcnt(0)
	global_store_dwordx2 v[2:3], v[16:17], off
	s_or_b64 exec, exec, s[16:17]
	s_and_saveexec_b64 s[0:1], s[2:3]
	s_cbranch_execz .LBB242_139
.LBB242_155:
	s_lshl_b32 s2, s48, 7
	s_mov_b32 s3, 0
	s_lshl_b64 s[2:3], s[2:3], 3
	v_mov_b32_e32 v17, s3
	v_add_co_u32_e32 v16, vcc, s2, v2
	v_addc_co_u32_e32 v17, vcc, v3, v17, vcc
	s_waitcnt lgkmcnt(6)
	global_store_dwordx2 v[16:17], v[14:15], off
	s_or_b64 exec, exec, s[0:1]
	s_and_saveexec_b64 s[0:1], s[4:5]
	s_cbranch_execz .LBB242_140
.LBB242_156:
	s_lshl_b32 s2, s48, 8
	s_mov_b32 s3, 0
	s_lshl_b64 s[2:3], s[2:3], 3
	s_waitcnt lgkmcnt(6)
	v_mov_b32_e32 v15, s3
	v_add_co_u32_e32 v14, vcc, s2, v2
	v_addc_co_u32_e32 v15, vcc, v3, v15, vcc
	s_waitcnt lgkmcnt(5)
	global_store_dwordx2 v[14:15], v[12:13], off
	s_or_b64 exec, exec, s[0:1]
	s_and_saveexec_b64 s[0:1], s[6:7]
	s_cbranch_execz .LBB242_141
.LBB242_157:
	s_mul_i32 s2, s48, 0x180
	s_mov_b32 s3, 0
	s_lshl_b64 s[2:3], s[2:3], 3
	s_waitcnt lgkmcnt(5)
	v_mov_b32_e32 v13, s3
	v_add_co_u32_e32 v12, vcc, s2, v2
	v_addc_co_u32_e32 v13, vcc, v3, v13, vcc
	s_waitcnt lgkmcnt(4)
	global_store_dwordx2 v[12:13], v[10:11], off
	s_or_b64 exec, exec, s[0:1]
	s_and_saveexec_b64 s[0:1], s[8:9]
	s_cbranch_execz .LBB242_142
.LBB242_158:
	s_lshl_b32 s2, s48, 9
	s_mov_b32 s3, 0
	s_lshl_b64 s[2:3], s[2:3], 3
	s_waitcnt lgkmcnt(4)
	v_mov_b32_e32 v11, s3
	v_add_co_u32_e32 v10, vcc, s2, v2
	v_addc_co_u32_e32 v11, vcc, v3, v11, vcc
	s_waitcnt lgkmcnt(3)
	global_store_dwordx2 v[10:11], v[8:9], off
	s_or_b64 exec, exec, s[0:1]
	s_and_saveexec_b64 s[0:1], s[10:11]
	s_cbranch_execz .LBB242_143
.LBB242_159:
	s_mul_i32 s2, s48, 0x280
	s_mov_b32 s3, 0
	s_lshl_b64 s[2:3], s[2:3], 3
	s_waitcnt lgkmcnt(3)
	v_mov_b32_e32 v9, s3
	v_add_co_u32_e32 v8, vcc, s2, v2
	v_addc_co_u32_e32 v9, vcc, v3, v9, vcc
	s_waitcnt lgkmcnt(2)
	global_store_dwordx2 v[8:9], v[6:7], off
	s_or_b64 exec, exec, s[0:1]
	s_and_saveexec_b64 s[0:1], s[12:13]
	s_cbranch_execz .LBB242_144
.LBB242_160:
	s_mul_i32 s2, s48, 0x300
	s_mov_b32 s3, 0
	s_lshl_b64 s[2:3], s[2:3], 3
	s_waitcnt lgkmcnt(2)
	v_mov_b32_e32 v7, s3
	v_add_co_u32_e32 v6, vcc, s2, v2
	v_addc_co_u32_e32 v7, vcc, v3, v7, vcc
	s_waitcnt lgkmcnt(1)
	global_store_dwordx2 v[6:7], v[4:5], off
	s_or_b64 exec, exec, s[0:1]
	s_and_saveexec_b64 s[0:1], s[14:15]
	s_cbranch_execnz .LBB242_145
	s_branch .LBB242_146
	.section	.rodata,"a",@progbits
	.p2align	6, 0x0
	.amdhsa_kernel _ZN2at6native18radixSortKVInPlaceILin2ELin1ELi128ELi8EN3c108BFloat16EljEEvNS_4cuda6detail10TensorInfoIT3_T5_EES8_S8_S8_NS6_IT4_S8_EES8_b
		.amdhsa_group_segment_fixed_size 8448
		.amdhsa_private_segment_fixed_size 0
		.amdhsa_kernarg_size 712
		.amdhsa_user_sgpr_count 6
		.amdhsa_user_sgpr_private_segment_buffer 1
		.amdhsa_user_sgpr_dispatch_ptr 0
		.amdhsa_user_sgpr_queue_ptr 0
		.amdhsa_user_sgpr_kernarg_segment_ptr 1
		.amdhsa_user_sgpr_dispatch_id 0
		.amdhsa_user_sgpr_flat_scratch_init 0
		.amdhsa_user_sgpr_kernarg_preload_length 0
		.amdhsa_user_sgpr_kernarg_preload_offset 0
		.amdhsa_user_sgpr_private_segment_size 0
		.amdhsa_uses_dynamic_stack 0
		.amdhsa_system_sgpr_private_segment_wavefront_offset 0
		.amdhsa_system_sgpr_workgroup_id_x 1
		.amdhsa_system_sgpr_workgroup_id_y 1
		.amdhsa_system_sgpr_workgroup_id_z 1
		.amdhsa_system_sgpr_workgroup_info 0
		.amdhsa_system_vgpr_workitem_id 2
		.amdhsa_next_free_vgpr 108
		.amdhsa_next_free_sgpr 53
		.amdhsa_accum_offset 108
		.amdhsa_reserve_vcc 1
		.amdhsa_reserve_flat_scratch 0
		.amdhsa_float_round_mode_32 0
		.amdhsa_float_round_mode_16_64 0
		.amdhsa_float_denorm_mode_32 3
		.amdhsa_float_denorm_mode_16_64 3
		.amdhsa_dx10_clamp 1
		.amdhsa_ieee_mode 1
		.amdhsa_fp16_overflow 0
		.amdhsa_tg_split 0
		.amdhsa_exception_fp_ieee_invalid_op 0
		.amdhsa_exception_fp_denorm_src 0
		.amdhsa_exception_fp_ieee_div_zero 0
		.amdhsa_exception_fp_ieee_overflow 0
		.amdhsa_exception_fp_ieee_underflow 0
		.amdhsa_exception_fp_ieee_inexact 0
		.amdhsa_exception_int_div_zero 0
	.end_amdhsa_kernel
	.section	.text._ZN2at6native18radixSortKVInPlaceILin2ELin1ELi128ELi8EN3c108BFloat16EljEEvNS_4cuda6detail10TensorInfoIT3_T5_EES8_S8_S8_NS6_IT4_S8_EES8_b,"axG",@progbits,_ZN2at6native18radixSortKVInPlaceILin2ELin1ELi128ELi8EN3c108BFloat16EljEEvNS_4cuda6detail10TensorInfoIT3_T5_EES8_S8_S8_NS6_IT4_S8_EES8_b,comdat
.Lfunc_end242:
	.size	_ZN2at6native18radixSortKVInPlaceILin2ELin1ELi128ELi8EN3c108BFloat16EljEEvNS_4cuda6detail10TensorInfoIT3_T5_EES8_S8_S8_NS6_IT4_S8_EES8_b, .Lfunc_end242-_ZN2at6native18radixSortKVInPlaceILin2ELin1ELi128ELi8EN3c108BFloat16EljEEvNS_4cuda6detail10TensorInfoIT3_T5_EES8_S8_S8_NS6_IT4_S8_EES8_b
                                        ; -- End function
	.section	.AMDGPU.csdata,"",@progbits
; Kernel info:
; codeLenInByte = 21276
; NumSgprs: 57
; NumVgprs: 108
; NumAgprs: 0
; TotalNumVgprs: 108
; ScratchSize: 0
; MemoryBound: 0
; FloatMode: 240
; IeeeMode: 1
; LDSByteSize: 8448 bytes/workgroup (compile time only)
; SGPRBlocks: 7
; VGPRBlocks: 13
; NumSGPRsForWavesPerEU: 57
; NumVGPRsForWavesPerEU: 108
; AccumOffset: 108
; Occupancy: 4
; WaveLimiterHint : 1
; COMPUTE_PGM_RSRC2:SCRATCH_EN: 0
; COMPUTE_PGM_RSRC2:USER_SGPR: 6
; COMPUTE_PGM_RSRC2:TRAP_HANDLER: 0
; COMPUTE_PGM_RSRC2:TGID_X_EN: 1
; COMPUTE_PGM_RSRC2:TGID_Y_EN: 1
; COMPUTE_PGM_RSRC2:TGID_Z_EN: 1
; COMPUTE_PGM_RSRC2:TIDIG_COMP_CNT: 2
; COMPUTE_PGM_RSRC3_GFX90A:ACCUM_OFFSET: 26
; COMPUTE_PGM_RSRC3_GFX90A:TG_SPLIT: 0
	.section	.text._ZN2at6native18radixSortKVInPlaceILin2ELin1ELi32ELi4EN3c108BFloat16EljEEvNS_4cuda6detail10TensorInfoIT3_T5_EES8_S8_S8_NS6_IT4_S8_EES8_b,"axG",@progbits,_ZN2at6native18radixSortKVInPlaceILin2ELin1ELi32ELi4EN3c108BFloat16EljEEvNS_4cuda6detail10TensorInfoIT3_T5_EES8_S8_S8_NS6_IT4_S8_EES8_b,comdat
	.protected	_ZN2at6native18radixSortKVInPlaceILin2ELin1ELi32ELi4EN3c108BFloat16EljEEvNS_4cuda6detail10TensorInfoIT3_T5_EES8_S8_S8_NS6_IT4_S8_EES8_b ; -- Begin function _ZN2at6native18radixSortKVInPlaceILin2ELin1ELi32ELi4EN3c108BFloat16EljEEvNS_4cuda6detail10TensorInfoIT3_T5_EES8_S8_S8_NS6_IT4_S8_EES8_b
	.globl	_ZN2at6native18radixSortKVInPlaceILin2ELin1ELi32ELi4EN3c108BFloat16EljEEvNS_4cuda6detail10TensorInfoIT3_T5_EES8_S8_S8_NS6_IT4_S8_EES8_b
	.p2align	8
	.type	_ZN2at6native18radixSortKVInPlaceILin2ELin1ELi32ELi4EN3c108BFloat16EljEEvNS_4cuda6detail10TensorInfoIT3_T5_EES8_S8_S8_NS6_IT4_S8_EES8_b,@function
_ZN2at6native18radixSortKVInPlaceILin2ELin1ELi32ELi4EN3c108BFloat16EljEEvNS_4cuda6detail10TensorInfoIT3_T5_EES8_S8_S8_NS6_IT4_S8_EES8_b: ; @_ZN2at6native18radixSortKVInPlaceILin2ELin1ELi32ELi4EN3c108BFloat16EljEEvNS_4cuda6detail10TensorInfoIT3_T5_EES8_S8_S8_NS6_IT4_S8_EES8_b
; %bb.0:
	s_load_dwordx2 s[0:1], s[4:5], 0x1c8
	s_load_dwordx4 s[24:27], s[4:5], 0xd8
	s_waitcnt lgkmcnt(0)
	s_mul_i32 s1, s1, s8
	s_add_i32 s1, s1, s7
	s_mul_i32 s8, s1, s0
	s_add_i32 s8, s8, s6
	s_cmp_ge_u32 s8, s24
	s_cbranch_scc1 .LBB243_60
; %bb.1:
	s_load_dword s2, s[4:5], 0x1b8
	s_load_dwordx2 s[0:1], s[4:5], 0x0
	s_add_u32 s6, s4, 0xe8
	s_addc_u32 s7, s5, 0
	s_mov_b32 s11, 0
	s_waitcnt lgkmcnt(0)
	s_cmp_lt_i32 s2, 2
	s_mov_b32 s10, s8
	s_cbranch_scc1 .LBB243_4
; %bb.2:
	s_add_i32 s10, s2, -1
	s_add_i32 s9, s2, 1
	s_lshl_b64 s[2:3], s[10:11], 2
	s_add_u32 s2, s2, s6
	s_addc_u32 s3, s3, s7
	s_add_u32 s2, s2, 8
	s_addc_u32 s3, s3, 0
	s_mov_b32 s10, s8
.LBB243_3:                              ; =>This Inner Loop Header: Depth=1
	s_load_dword s12, s[2:3], 0x0
	s_load_dword s14, s[2:3], 0x64
	s_mov_b32 s13, s10
	s_waitcnt lgkmcnt(0)
	v_cvt_f32_u32_e32 v1, s12
	s_sub_i32 s10, 0, s12
	v_rcp_iflag_f32_e32 v1, v1
	v_mul_f32_e32 v1, 0x4f7ffffe, v1
	v_cvt_u32_f32_e32 v1, v1
	v_readfirstlane_b32 s15, v1
	s_mul_i32 s10, s10, s15
	s_mul_hi_u32 s10, s15, s10
	s_add_i32 s15, s15, s10
	s_mul_hi_u32 s10, s13, s15
	s_mul_i32 s15, s10, s12
	s_sub_i32 s15, s13, s15
	s_add_i32 s16, s10, 1
	s_sub_i32 s17, s15, s12
	s_cmp_ge_u32 s15, s12
	s_cselect_b32 s10, s16, s10
	s_cselect_b32 s15, s17, s15
	s_add_i32 s16, s10, 1
	s_cmp_ge_u32 s15, s12
	s_cselect_b32 s10, s16, s10
	s_mul_i32 s12, s10, s12
	s_sub_i32 s12, s13, s12
	s_mul_i32 s12, s14, s12
	s_add_i32 s9, s9, -1
	s_add_i32 s11, s12, s11
	s_add_u32 s2, s2, -4
	s_addc_u32 s3, s3, -1
	s_cmp_gt_u32 s9, 2
	s_cbranch_scc1 .LBB243_3
.LBB243_4:
	s_load_dword s2, s[4:5], 0x6c
	s_load_dwordx2 s[28:29], s[4:5], 0x1c0
	s_mov_b32 s12, 0xffff
	s_mov_b32 s3, 0
	v_mul_lo_u32 v18, v0, s26
	s_waitcnt lgkmcnt(0)
	s_mul_i32 s2, s2, s8
	s_bitcmp1_b32 s29, 0
	s_cselect_b64 s[8:9], -1, 0
	s_and_b64 s[4:5], s[8:9], exec
	s_cselect_b32 s16, s12, 0x7fff
	s_lshl_b64 s[2:3], s[2:3], 1
	s_add_u32 s27, s0, s2
	s_addc_u32 s29, s1, s3
	v_cmp_gt_u32_e64 s[0:1], s25, v0
	v_mov_b32_e32 v2, s16
	s_and_saveexec_b64 s[2:3], s[0:1]
	s_cbranch_execz .LBB243_6
; %bb.5:
	v_mov_b32_e32 v19, 0
	v_lshlrev_b64 v[2:3], 1, v[18:19]
	v_mov_b32_e32 v1, s29
	v_add_co_u32_e32 v2, vcc, s27, v2
	v_addc_co_u32_e32 v3, vcc, v1, v3, vcc
	global_load_ushort v2, v[2:3], off
.LBB243_6:
	s_or_b64 exec, exec, s[2:3]
	v_or_b32_e32 v1, 32, v0
	v_cmp_gt_u32_e64 s[2:3], s25, v1
	v_mov_b32_e32 v3, s16
	s_and_saveexec_b64 s[4:5], s[2:3]
	s_cbranch_execz .LBB243_8
; %bb.7:
	v_mul_lo_u32 v4, v1, s26
	v_mov_b32_e32 v5, 0
	v_lshlrev_b64 v[4:5], 1, v[4:5]
	v_mov_b32_e32 v3, s29
	v_add_co_u32_e32 v4, vcc, s27, v4
	v_addc_co_u32_e32 v5, vcc, v3, v5, vcc
	global_load_ushort v3, v[4:5], off
.LBB243_8:
	s_or_b64 exec, exec, s[4:5]
	s_load_dwordx2 s[12:13], s[6:7], 0x0
	v_or_b32_e32 v14, 64, v0
	v_cmp_gt_u32_e64 s[4:5], s25, v14
	v_mov_b32_e32 v4, s16
	s_and_saveexec_b64 s[14:15], s[4:5]
	s_cbranch_execz .LBB243_10
; %bb.9:
	v_mul_lo_u32 v4, v14, s26
	v_mov_b32_e32 v5, 0
	v_lshlrev_b64 v[4:5], 1, v[4:5]
	v_mov_b32_e32 v6, s29
	v_add_co_u32_e32 v4, vcc, s27, v4
	v_addc_co_u32_e32 v5, vcc, v6, v5, vcc
	global_load_ushort v4, v[4:5], off
.LBB243_10:
	s_or_b64 exec, exec, s[14:15]
	s_load_dword s17, s[6:7], 0x6c
	v_or_b32_e32 v11, 0x60, v0
	v_cmp_gt_u32_e64 s[6:7], s25, v11
	v_mov_b32_e32 v5, s16
	s_and_saveexec_b64 s[14:15], s[6:7]
	s_cbranch_execz .LBB243_12
; %bb.11:
	v_mul_lo_u32 v6, v11, s26
	v_mov_b32_e32 v7, 0
	v_lshlrev_b64 v[6:7], 1, v[6:7]
	v_mov_b32_e32 v5, s29
	v_add_co_u32_e32 v6, vcc, s27, v6
	v_addc_co_u32_e32 v7, vcc, v5, v7, vcc
	global_load_ushort v5, v[6:7], off
.LBB243_12:
	s_or_b64 exec, exec, s[14:15]
	v_lshlrev_b32_e32 v34, 1, v0
	v_lshrrev_b32_e32 v13, 5, v14
	s_waitcnt vmcnt(0)
	ds_write_b16 v34, v2
	ds_write_b16 v34, v3 offset:64
	v_and_b32_e32 v2, 2, v13
	v_lshrrev_b32_e32 v12, 5, v11
	v_add_lshl_u32 v19, v2, v0, 1
	v_and_b32_e32 v2, 2, v12
	v_lshlrev_b32_e32 v10, 2, v0
	v_lshrrev_b32_e32 v15, 3, v0
	v_add_lshl_u32 v35, v2, v0, 1
	v_and_or_b32 v2, v15, 2, v10
	v_lshlrev_b32_e32 v36, 1, v2
	s_waitcnt lgkmcnt(0)
	s_mul_i32 s10, s17, s10
	ds_write_b16 v19, v4 offset:128
	ds_write_b16 v35, v5 offset:192
	s_waitcnt lgkmcnt(0)
	; wave barrier
	s_waitcnt lgkmcnt(0)
	ds_read_b64 v[22:23], v36
	s_add_i32 s16, s10, s11
	s_mov_b32 s17, 0
	s_lshl_b64 s[10:11], s[16:17], 3
	s_mov_b32 s16, s17
	s_add_u32 s33, s12, s10
	s_mov_b32 s18, s17
	s_mov_b32 s19, s17
	;; [unrolled: 1-line block ×6, first 2 shown]
	v_pk_mov_b32 v[2:3], s[16:17], s[16:17] op_sel:[0,1]
	s_addc_u32 s38, s13, s11
	v_pk_mov_b32 v[4:5], s[18:19], s[18:19] op_sel:[0,1]
	v_pk_mov_b32 v[6:7], s[20:21], s[20:21] op_sel:[0,1]
	;; [unrolled: 1-line block ×3, first 2 shown]
	v_pk_mov_b32 v[2:3], 0, 0
	v_mul_lo_u32 v20, v0, s28
	s_waitcnt lgkmcnt(0)
	; wave barrier
	s_waitcnt lgkmcnt(0)
	s_and_saveexec_b64 s[10:11], s[0:1]
	s_cbranch_execnz .LBB243_33
; %bb.13:
	s_or_b64 exec, exec, s[10:11]
	s_and_saveexec_b64 s[10:11], s[2:3]
	s_cbranch_execnz .LBB243_34
.LBB243_14:
	s_or_b64 exec, exec, s[10:11]
	s_and_saveexec_b64 s[10:11], s[4:5]
	s_cbranch_execz .LBB243_16
.LBB243_15:
	v_mul_lo_u32 v6, v14, s28
	v_mov_b32_e32 v7, 0
	v_lshlrev_b64 v[6:7], 3, v[6:7]
	v_mov_b32_e32 v14, s38
	v_add_co_u32_e32 v6, vcc, s33, v6
	v_addc_co_u32_e32 v7, vcc, v14, v7, vcc
	global_load_dwordx2 v[6:7], v[6:7], off
.LBB243_16:
	s_or_b64 exec, exec, s[10:11]
	s_xor_b64 s[24:25], s[8:9], -1
	v_lshrrev_b32_e32 v14, 5, v1
	s_and_saveexec_b64 s[8:9], s[6:7]
	s_cbranch_execz .LBB243_18
; %bb.17:
	v_mul_lo_u32 v8, v11, s28
	v_mov_b32_e32 v9, 0
	v_lshlrev_b64 v[8:9], 3, v[8:9]
	v_mov_b32_e32 v11, s38
	v_add_co_u32_e32 v8, vcc, s33, v8
	v_addc_co_u32_e32 v9, vcc, v11, v9, vcc
	global_load_dwordx2 v[8:9], v[8:9], off
.LBB243_18:
	s_or_b64 exec, exec, s[8:9]
	v_mbcnt_lo_u32_b32 v11, -1, 0
	v_mbcnt_hi_u32_b32 v11, -1, v11
	v_lshlrev_b32_e32 v37, 3, v0
	v_add_lshl_u32 v21, v14, v0, 3
	v_add_lshl_u32 v38, v13, v0, 3
	;; [unrolled: 1-line block ×4, first 2 shown]
	s_getpc_b64 s[8:9]
	s_add_u32 s8, s8, _ZN7rocprim17ROCPRIM_400000_NS16block_radix_sortI12hip_bfloat16Lj32ELj4ElLj1ELj1ELj0ELNS0_26block_radix_rank_algorithmE1ELNS0_18block_padding_hintE2ELNS0_4arch9wavefront6targetE1EE19radix_bits_per_passE@rel32@lo+4
	s_addc_u32 s9, s9, _ZN7rocprim17ROCPRIM_400000_NS16block_radix_sortI12hip_bfloat16Lj32ELj4ElLj1ELj1ELj0ELNS0_26block_radix_rank_algorithmE1ELNS0_18block_padding_hintE2ELNS0_4arch9wavefront6targetE1EE19radix_bits_per_passE@rel32@hi+12
	v_and_b32_e32 v12, 15, v11
	s_waitcnt vmcnt(0)
	ds_write_b64 v37, v[2:3]
	ds_write_b64 v21, v[4:5] offset:256
	ds_write_b64 v38, v[6:7] offset:512
	;; [unrolled: 1-line block ×3, first 2 shown]
	s_waitcnt lgkmcnt(0)
	; wave barrier
	s_waitcnt lgkmcnt(0)
	ds_read2_b64 v[2:5], v40 offset1:1
	ds_read2_b64 v[6:9], v40 offset0:2 offset1:3
	s_load_dword s39, s[8:9], 0x0
	v_cmp_eq_u32_e64 s[10:11], 0, v12
	v_cmp_lt_u32_e64 s[12:13], 1, v12
	v_cmp_lt_u32_e64 s[14:15], 3, v12
	v_cmp_lt_u32_e64 s[16:17], 7, v12
	v_and_b32_e32 v12, 16, v11
	v_cmp_eq_u32_e64 s[18:19], 0, v12
	v_add_u32_e32 v12, -1, v11
	v_and_b32_e32 v13, 0x60, v11
	v_cmp_lt_i32_e32 vcc, v12, v13
	s_movk_i32 s8, 0x100
	v_cndmask_b32_e32 v12, v12, v11, vcc
	v_cmp_gt_u32_e64 s[8:9], s8, v0
	v_lshlrev_b32_e32 v43, 5, v0
	s_mov_b32 s40, 0
	v_cmp_eq_u32_e64 s[20:21], 31, v0
	v_lshlrev_b32_e32 v44, 2, v12
	v_cmp_eq_u32_e64 s[22:23], 0, v11
	v_lshlrev_b32_e32 v42, 1, v10
	v_lshlrev_b32_e32 v41, 3, v10
	s_and_b64 vcc, exec, s[24:25]
	v_add_u32_e64 v45, 7, 2
	s_waitcnt lgkmcnt(0)
	; wave barrier
	s_waitcnt lgkmcnt(0)
	s_cbranch_vccz .LBB243_35
; %bb.19:
	v_mov_b32_e32 v46, 0xffff8000
	v_cmp_lt_i16_e32 vcc, -1, v22
	v_cndmask_b32_e32 v10, -1, v46, vcc
	v_xor_b32_e32 v32, v10, v22
	v_mov_b32_e32 v10, -1
	v_cmp_gt_i16_sdwa vcc, v22, v10 src0_sel:WORD_1 src1_sel:DWORD
	v_cndmask_b32_e32 v11, -1, v46, vcc
	v_cmp_lt_i16_e32 vcc, -1, v23
	v_xor_b32_sdwa v57, v11, v22 dst_sel:DWORD dst_unused:UNUSED_PAD src0_sel:DWORD src1_sel:WORD_1
	v_cndmask_b32_e32 v11, -1, v46, vcc
	v_cmp_gt_i16_sdwa vcc, v23, v10 src0_sel:WORD_1 src1_sel:DWORD
	v_cndmask_b32_e32 v10, -1, v46, vcc
	v_xor_b32_e32 v33, v11, v23
	v_xor_b32_sdwa v58, v10, v23 dst_sel:DWORD dst_unused:UNUSED_PAD src0_sel:DWORD src1_sel:WORD_1
	v_and_b32_e32 v47, 14, v45
	v_mov_b32_e32 v48, 0
	s_movk_i32 s41, 0x7fff
	s_movk_i32 s42, 0xe0
	v_pk_mov_b32 v[10:11], v[2:3], v[2:3] op_sel:[0,1]
	v_pk_mov_b32 v[12:13], v[4:5], v[4:5] op_sel:[0,1]
	;; [unrolled: 1-line block ×4, first 2 shown]
	s_branch .LBB243_21
.LBB243_20:                             ;   in Loop: Header=BB243_21 Depth=1
	v_lshlrev_b32_e32 v10, 1, v53
	s_waitcnt lgkmcnt(0)
	; wave barrier
	ds_write_b16 v10, v52
	v_lshlrev_b32_e32 v10, 1, v54
	ds_write_b16 v10, v51
	v_lshlrev_b32_e32 v10, 1, v55
	;; [unrolled: 2-line block ×4, first 2 shown]
	s_waitcnt lgkmcnt(0)
	; wave barrier
	s_waitcnt lgkmcnt(0)
	ds_read_b64 v[32:33], v42
	s_waitcnt lgkmcnt(0)
	; wave barrier
	s_waitcnt lgkmcnt(0)
	ds_write_b64 v10, v[30:31]
	v_lshlrev_b32_e32 v10, 3, v54
	ds_write_b64 v10, v[28:29]
	v_lshlrev_b32_e32 v10, 3, v55
	;; [unrolled: 2-line block ×3, first 2 shown]
	ds_write_b64 v10, v[24:25]
	s_waitcnt lgkmcnt(0)
	; wave barrier
	s_waitcnt lgkmcnt(0)
	ds_read2_b64 v[10:13], v41 offset1:1
	ds_read2_b64 v[14:17], v41 offset0:2 offset1:3
	s_add_i32 s40, s40, 4
	v_lshrrev_b32_e32 v57, 16, v32
	v_lshrrev_b32_e32 v58, 16, v33
	s_waitcnt lgkmcnt(0)
	; wave barrier
	s_waitcnt lgkmcnt(0)
	s_cbranch_execz .LBB243_32
.LBB243_21:                             ; =>This Loop Header: Depth=1
                                        ;     Child Loop BB243_24 Depth 2
	v_pk_mov_b32 v[24:25], v[16:17], v[16:17] op_sel:[0,1]
	v_pk_mov_b32 v[26:27], v[14:15], v[14:15] op_sel:[0,1]
	;; [unrolled: 1-line block ×4, first 2 shown]
	v_mov_b32_e32 v52, v32
	v_mov_b32_e32 v51, v57
	;; [unrolled: 1-line block ×4, first 2 shown]
	s_and_saveexec_b64 s[24:25], s[8:9]
	s_cbranch_execz .LBB243_28
; %bb.22:                               ;   in Loop: Header=BB243_21 Depth=1
	s_mov_b32 s43, 0
	s_mov_b64 s[30:31], 0
	v_pk_mov_b32 v[10:11], v[0:1], v[0:1] op_sel:[0,1]
	s_branch .LBB243_24
.LBB243_23:                             ;   in Loop: Header=BB243_24 Depth=2
	s_or_b64 exec, exec, s[36:37]
	s_add_i32 s43, s43, 2
	v_cmp_eq_u32_e32 vcc, s43, v47
	v_add_u32_e32 v11, 64, v11
	s_or_b64 s[30:31], vcc, s[30:31]
	v_add_u32_e32 v10, 64, v10
	s_andn2_b64 exec, exec, s[30:31]
	s_cbranch_execz .LBB243_28
.LBB243_24:                             ;   Parent Loop BB243_21 Depth=1
                                        ; =>  This Inner Loop Header: Depth=2
	s_or_b32 s34, s43, 1
	v_cmp_le_u32_e64 s[34:35], s34, 7
	v_cmp_le_u32_e64 s[44:45], s43, 7
	s_and_saveexec_b64 s[36:37], s[44:45]
	s_cbranch_execz .LBB243_26
; %bb.25:                               ;   in Loop: Header=BB243_24 Depth=2
	v_lshlrev_b32_e32 v12, 2, v10
	ds_write_b32 v12, v48
.LBB243_26:                             ;   in Loop: Header=BB243_24 Depth=2
	s_or_b64 exec, exec, s[36:37]
	s_and_saveexec_b64 s[36:37], s[34:35]
	s_cbranch_execz .LBB243_23
; %bb.27:                               ;   in Loop: Header=BB243_24 Depth=2
	v_lshlrev_b32_e32 v12, 2, v11
	ds_write_b32 v12, v48
	s_branch .LBB243_23
.LBB243_28:                             ;   in Loop: Header=BB243_21 Depth=1
	s_or_b64 exec, exec, s[24:25]
	s_sub_i32 s24, 16, s40
	s_min_u32 s24, s39, s24
	v_cmp_ne_u16_e32 vcc, s41, v52
	s_lshl_b32 s24, -1, s24
	v_cndmask_b32_e32 v10, v46, v52, vcc
	s_not_b32 s24, s24
	v_lshrrev_b32_sdwa v10, s40, v10 dst_sel:DWORD dst_unused:UNUSED_PAD src0_sel:DWORD src1_sel:WORD_0
	v_and_b32_e32 v10, s24, v10
	v_lshrrev_b32_e32 v11, 3, v10
	v_lshlrev_b32_e32 v10, 5, v10
	v_and_or_b32 v10, v10, s42, v0
	v_lshlrev_b32_e32 v10, 1, v10
	v_add_lshl_u32 v33, v10, v11, 1
	ds_read_u16 v32, v33
	v_cmp_ne_u16_e32 vcc, s41, v51
	s_waitcnt lgkmcnt(0)
	v_add_u16_e32 v10, 1, v32
	ds_write_b16 v33, v10
	v_cndmask_b32_e32 v10, v46, v51, vcc
	v_lshrrev_b32_sdwa v10, s40, v10 dst_sel:DWORD dst_unused:UNUSED_PAD src0_sel:DWORD src1_sel:WORD_0
	v_and_b32_e32 v10, s24, v10
	v_lshrrev_b32_e32 v11, 3, v10
	v_lshlrev_b32_e32 v10, 5, v10
	v_and_or_b32 v10, v10, s42, v0
	v_lshlrev_b32_e32 v10, 1, v10
	v_add_lshl_u32 v53, v10, v11, 1
	ds_read_u16 v54, v53
	v_cmp_ne_u16_e32 vcc, s41, v50
	s_waitcnt lgkmcnt(0)
	v_add_u16_e32 v10, 1, v54
	ds_write_b16 v53, v10
	v_cndmask_b32_e32 v10, v46, v50, vcc
	v_lshrrev_b32_sdwa v10, s40, v10 dst_sel:DWORD dst_unused:UNUSED_PAD src0_sel:DWORD src1_sel:WORD_0
	v_and_b32_e32 v10, s24, v10
	v_lshrrev_b32_e32 v11, 3, v10
	v_lshlrev_b32_e32 v10, 5, v10
	v_and_or_b32 v10, v10, s42, v0
	v_lshlrev_b32_e32 v10, 1, v10
	v_add_lshl_u32 v56, v10, v11, 1
	ds_read_u16 v55, v56
	v_cmp_ne_u16_e32 vcc, s41, v49
	s_waitcnt lgkmcnt(0)
	v_add_u16_e32 v10, 1, v55
	ds_write_b16 v56, v10
	v_cndmask_b32_e32 v10, v46, v49, vcc
	v_lshrrev_b32_sdwa v10, s40, v10 dst_sel:DWORD dst_unused:UNUSED_PAD src0_sel:DWORD src1_sel:WORD_0
	v_and_b32_e32 v10, s24, v10
	v_lshrrev_b32_e32 v11, 3, v10
	v_lshlrev_b32_e32 v10, 5, v10
	v_and_or_b32 v10, v10, s42, v0
	v_lshlrev_b32_e32 v10, 1, v10
	v_add_lshl_u32 v58, v10, v11, 1
	ds_read_u16 v57, v58
	s_waitcnt lgkmcnt(0)
	v_add_u16_e32 v10, 1, v57
	ds_write_b16 v58, v10
	s_waitcnt lgkmcnt(0)
	; wave barrier
	s_waitcnt lgkmcnt(0)
	ds_read2_b32 v[16:17], v43 offset1:1
	ds_read2_b32 v[14:15], v43 offset0:2 offset1:3
	ds_read2_b32 v[10:11], v43 offset0:4 offset1:5
	;; [unrolled: 1-line block ×3, first 2 shown]
	s_waitcnt lgkmcnt(3)
	v_add_u32_e32 v59, v17, v16
	s_waitcnt lgkmcnt(2)
	v_add3_u32 v59, v59, v14, v15
	s_waitcnt lgkmcnt(1)
	v_add3_u32 v59, v59, v10, v11
	;; [unrolled: 2-line block ×3, first 2 shown]
	s_nop 1
	v_mov_b32_dpp v59, v13 row_shr:1 row_mask:0xf bank_mask:0xf
	v_cndmask_b32_e64 v59, v59, 0, s[10:11]
	v_add_u32_e32 v13, v59, v13
	s_nop 1
	v_mov_b32_dpp v59, v13 row_shr:2 row_mask:0xf bank_mask:0xf
	v_cndmask_b32_e64 v59, 0, v59, s[12:13]
	v_add_u32_e32 v13, v13, v59
	;; [unrolled: 4-line block ×4, first 2 shown]
	s_nop 1
	v_mov_b32_dpp v59, v13 row_bcast:15 row_mask:0xf bank_mask:0xf
	v_cndmask_b32_e64 v59, v59, 0, s[18:19]
	v_add_u32_e32 v13, v13, v59
	s_and_saveexec_b64 s[24:25], s[20:21]
	s_cbranch_execz .LBB243_30
; %bb.29:                               ;   in Loop: Header=BB243_21 Depth=1
	ds_write_b32 v48, v13 offset:1024
.LBB243_30:                             ;   in Loop: Header=BB243_21 Depth=1
	s_or_b64 exec, exec, s[24:25]
	ds_bpermute_b32 v13, v44, v13
	s_waitcnt lgkmcnt(0)
	; wave barrier
	s_waitcnt lgkmcnt(0)
	ds_read_b32 v59, v48 offset:1024
	s_cmp_gt_u32 s40, 11
	v_cndmask_b32_e64 v13, v13, 0, s[22:23]
	s_waitcnt lgkmcnt(0)
	v_lshl_add_u32 v13, v59, 16, v13
	v_add_u32_e32 v16, v13, v16
	v_add_u32_e32 v17, v16, v17
	ds_write2_b32 v43, v13, v16 offset1:1
	v_add_u32_e32 v13, v17, v14
	v_add_u32_e32 v14, v13, v15
	;; [unrolled: 1-line block ×5, first 2 shown]
	ds_write2_b32 v43, v17, v13 offset0:2 offset1:3
	ds_write2_b32 v43, v14, v10 offset0:4 offset1:5
	;; [unrolled: 1-line block ×3, first 2 shown]
	s_waitcnt lgkmcnt(0)
	; wave barrier
	s_waitcnt lgkmcnt(0)
	ds_read_u16 v10, v33
	ds_read_u16 v11, v53
	;; [unrolled: 1-line block ×4, first 2 shown]
	s_waitcnt lgkmcnt(3)
	v_add_u32_sdwa v53, v10, v32 dst_sel:DWORD dst_unused:UNUSED_PAD src0_sel:DWORD src1_sel:WORD_0
	s_waitcnt lgkmcnt(2)
	v_add_u32_sdwa v54, v11, v54 dst_sel:DWORD dst_unused:UNUSED_PAD src0_sel:DWORD src1_sel:WORD_0
	;; [unrolled: 2-line block ×4, first 2 shown]
	s_cbranch_scc0 .LBB243_20
; %bb.31:
                                        ; implicit-def: $vgpr16_vgpr17
                                        ; implicit-def: $vgpr12_vgpr13
                                        ; implicit-def: $sgpr40
                                        ; implicit-def: $vgpr32
                                        ; implicit-def: $vgpr57
                                        ; implicit-def: $vgpr58
.LBB243_32:
	v_lshlrev_b32_e32 v10, 1, v53
	s_waitcnt lgkmcnt(0)
	; wave barrier
	ds_write_b16 v10, v52
	v_lshlrev_b32_e32 v10, 1, v54
	ds_write_b16 v10, v51
	v_lshlrev_b32_e32 v10, 1, v55
	;; [unrolled: 2-line block ×3, first 2 shown]
	ds_write_b16 v10, v49
	s_waitcnt lgkmcnt(0)
	; wave barrier
	s_waitcnt lgkmcnt(0)
	ds_read_b64 v[32:33], v42
	v_lshlrev_b32_e32 v10, 3, v53
	v_lshlrev_b32_e32 v11, 3, v54
	v_lshlrev_b32_e32 v12, 3, v55
	v_lshlrev_b32_e32 v13, 3, v56
	s_waitcnt lgkmcnt(0)
	; wave barrier
	s_waitcnt lgkmcnt(0)
	ds_write_b64 v10, v[30:31]
	ds_write_b64 v11, v[28:29]
	;; [unrolled: 1-line block ×4, first 2 shown]
	v_mov_b32_e32 v25, 0xffff8000
	v_cmp_gt_i16_e32 vcc, 0, v32
	v_mov_b32_e32 v27, 0
	s_waitcnt lgkmcnt(0)
	; wave barrier
	s_waitcnt lgkmcnt(0)
	ds_read2_b64 v[10:13], v41 offset1:1
	ds_read2_b64 v[14:17], v41 offset0:2 offset1:3
	v_mov_b32_e32 v24, -1
	v_cndmask_b32_e32 v26, -1, v25, vcc
	v_cmp_lt_i16_sdwa vcc, v32, v27 src0_sel:WORD_1 src1_sel:DWORD
	v_cndmask_b32_e32 v27, -1, v25, vcc
	v_cmp_lt_i16_e32 vcc, -1, v33
	v_cmp_gt_i16_sdwa s[24:25], v33, v24 src0_sel:WORD_1 src1_sel:DWORD
	v_cndmask_b32_e64 v28, v25, -1, vcc
	v_cndmask_b32_e64 v24, v25, -1, s[24:25]
	v_xor_b32_sdwa v24, v24, v33 dst_sel:DWORD dst_unused:UNUSED_PAD src0_sel:DWORD src1_sel:WORD_1
	v_xor_b32_e32 v25, v28, v33
	s_mov_b32 s24, 0x5040100
	v_perm_b32 v25, v24, v25, s24
	v_xor_b32_sdwa v24, v27, v32 dst_sel:DWORD dst_unused:UNUSED_PAD src0_sel:DWORD src1_sel:WORD_1
	v_xor_b32_e32 v26, v26, v32
	v_perm_b32 v24, v24, v26, s24
	s_branch .LBB243_50
.LBB243_33:
	v_mov_b32_e32 v21, 0
	v_lshlrev_b64 v[2:3], 3, v[20:21]
	v_mov_b32_e32 v4, s38
	v_add_co_u32_e32 v2, vcc, s33, v2
	v_addc_co_u32_e32 v3, vcc, v4, v3, vcc
	global_load_dwordx2 v[2:3], v[2:3], off
	v_mov_b32_e32 v4, v21
	v_mov_b32_e32 v5, v21
	;; [unrolled: 1-line block ×6, first 2 shown]
	s_or_b64 exec, exec, s[10:11]
	s_and_saveexec_b64 s[10:11], s[2:3]
	s_cbranch_execz .LBB243_14
.LBB243_34:
	v_mul_lo_u32 v4, v1, s28
	v_mov_b32_e32 v5, 0
	v_lshlrev_b64 v[4:5], 3, v[4:5]
	v_mov_b32_e32 v16, s38
	v_add_co_u32_e32 v4, vcc, s33, v4
	v_addc_co_u32_e32 v5, vcc, v16, v5, vcc
	global_load_dwordx2 v[4:5], v[4:5], off
	s_or_b64 exec, exec, s[10:11]
	s_and_saveexec_b64 s[10:11], s[4:5]
	s_cbranch_execnz .LBB243_15
	s_branch .LBB243_16
.LBB243_35:
                                        ; implicit-def: $vgpr16_vgpr17
                                        ; implicit-def: $vgpr12_vgpr13
                                        ; implicit-def: $vgpr24_vgpr25
	s_cbranch_execz .LBB243_50
; %bb.36:
	v_mov_b32_e32 v26, 0x7fff
	v_cmp_gt_i16_e32 vcc, 0, v22
	v_mov_b32_e32 v27, 0
	s_waitcnt lgkmcnt(1)
	v_cndmask_b32_e64 v10, v26, 0, vcc
	v_cmp_lt_i16_sdwa s[24:25], v22, v27 src0_sel:WORD_1 src1_sel:DWORD
	v_xor_b32_e32 v24, v10, v22
	v_cndmask_b32_e64 v10, v26, 0, s[24:25]
	v_cmp_gt_i16_e32 vcc, 0, v23
	v_cmp_lt_i16_sdwa s[24:25], v23, v27 src0_sel:WORD_1 src1_sel:DWORD
	v_xor_b32_sdwa v46, v10, v22 dst_sel:DWORD dst_unused:UNUSED_PAD src0_sel:DWORD src1_sel:WORD_1
	v_cndmask_b32_e64 v10, v26, 0, vcc
	v_cndmask_b32_e64 v11, v26, 0, s[24:25]
	s_mov_b32 s24, 0x5040100
	v_perm_b32 v10, v11, v10, s24
	s_mov_b32 s40, 0
	v_xor_b32_e32 v25, v10, v23
	v_and_b32_e32 v22, 14, v45
	s_movk_i32 s41, 0x8000
	s_movk_i32 s42, 0xe0
	s_branch .LBB243_38
.LBB243_37:                             ;   in Loop: Header=BB243_38 Depth=1
	v_lshlrev_b32_e32 v2, 1, v30
	s_waitcnt lgkmcnt(0)
	; wave barrier
	ds_write_b16 v2, v28
	v_lshlrev_b32_e32 v2, 1, v31
	ds_write_b16 v2, v23
	v_lshlrev_b32_e32 v2, 1, v32
	;; [unrolled: 2-line block ×4, first 2 shown]
	s_waitcnt lgkmcnt(0)
	; wave barrier
	s_waitcnt lgkmcnt(0)
	ds_read_b64 v[24:25], v42
	s_waitcnt lgkmcnt(0)
	; wave barrier
	s_waitcnt lgkmcnt(0)
	ds_write_b64 v2, v[16:17]
	v_lshlrev_b32_e32 v2, 3, v31
	ds_write_b64 v2, v[14:15]
	v_lshlrev_b32_e32 v2, 3, v32
	;; [unrolled: 2-line block ×3, first 2 shown]
	ds_write_b64 v2, v[10:11]
	s_waitcnt lgkmcnt(0)
	; wave barrier
	s_waitcnt lgkmcnt(0)
	ds_read2_b64 v[2:5], v41 offset1:1
	ds_read2_b64 v[6:9], v41 offset0:2 offset1:3
	s_add_i32 s40, s40, 4
	v_lshrrev_b32_e32 v46, 16, v24
	s_waitcnt lgkmcnt(0)
	; wave barrier
	s_waitcnt lgkmcnt(0)
	s_cbranch_execz .LBB243_49
.LBB243_38:                             ; =>This Loop Header: Depth=1
                                        ;     Child Loop BB243_41 Depth 2
	v_pk_mov_b32 v[10:11], v[8:9], v[8:9] op_sel:[0,1]
	v_pk_mov_b32 v[12:13], v[6:7], v[6:7] op_sel:[0,1]
	s_waitcnt lgkmcnt(0)
	v_pk_mov_b32 v[14:15], v[4:5], v[4:5] op_sel:[0,1]
	v_pk_mov_b32 v[16:17], v[2:3], v[2:3] op_sel:[0,1]
	v_mov_b32_e32 v28, v24
	v_mov_b32_e32 v23, v46
	s_and_saveexec_b64 s[24:25], s[8:9]
	s_cbranch_execz .LBB243_45
; %bb.39:                               ;   in Loop: Header=BB243_38 Depth=1
	s_mov_b32 s43, 0
	s_mov_b64 s[30:31], 0
	v_pk_mov_b32 v[2:3], v[0:1], v[0:1] op_sel:[0,1]
	s_branch .LBB243_41
.LBB243_40:                             ;   in Loop: Header=BB243_41 Depth=2
	s_or_b64 exec, exec, s[36:37]
	s_add_i32 s43, s43, 2
	v_cmp_eq_u32_e32 vcc, s43, v22
	v_add_u32_e32 v3, 64, v3
	s_or_b64 s[30:31], vcc, s[30:31]
	v_add_u32_e32 v2, 64, v2
	s_andn2_b64 exec, exec, s[30:31]
	s_cbranch_execz .LBB243_45
.LBB243_41:                             ;   Parent Loop BB243_38 Depth=1
                                        ; =>  This Inner Loop Header: Depth=2
	s_or_b32 s34, s43, 1
	v_cmp_le_u32_e64 s[34:35], s34, 7
	v_cmp_le_u32_e64 s[44:45], s43, 7
	s_and_saveexec_b64 s[36:37], s[44:45]
	s_cbranch_execz .LBB243_43
; %bb.42:                               ;   in Loop: Header=BB243_41 Depth=2
	v_lshlrev_b32_e32 v4, 2, v2
	ds_write_b32 v4, v27
.LBB243_43:                             ;   in Loop: Header=BB243_41 Depth=2
	s_or_b64 exec, exec, s[36:37]
	s_and_saveexec_b64 s[36:37], s[34:35]
	s_cbranch_execz .LBB243_40
; %bb.44:                               ;   in Loop: Header=BB243_41 Depth=2
	v_lshlrev_b32_e32 v4, 2, v3
	ds_write_b32 v4, v27
	s_branch .LBB243_40
.LBB243_45:                             ;   in Loop: Header=BB243_38 Depth=1
	s_or_b64 exec, exec, s[24:25]
	s_sub_i32 s24, 16, s40
	s_min_u32 s24, s39, s24
	v_cmp_ne_u16_e32 vcc, s41, v28
	s_lshl_b32 s24, -1, s24
	v_cndmask_b32_e32 v2, v26, v28, vcc
	s_not_b32 s24, s24
	v_lshrrev_b32_sdwa v2, s40, v2 dst_sel:DWORD dst_unused:UNUSED_PAD src0_sel:DWORD src1_sel:WORD_0
	v_and_b32_e32 v2, s24, v2
	v_lshrrev_b32_e32 v3, 3, v2
	v_lshlrev_b32_e32 v2, 5, v2
	v_and_or_b32 v2, v2, s42, v0
	v_lshlrev_b32_e32 v2, 1, v2
	v_add_lshl_u32 v30, v2, v3, 1
	ds_read_u16 v24, v30
	v_cmp_ne_u16_e32 vcc, s41, v23
	v_lshrrev_b32_e32 v29, 16, v25
	s_waitcnt lgkmcnt(0)
	v_add_u16_e32 v2, 1, v24
	ds_write_b16 v30, v2
	v_cndmask_b32_e32 v2, v26, v23, vcc
	v_lshrrev_b32_sdwa v2, s40, v2 dst_sel:DWORD dst_unused:UNUSED_PAD src0_sel:DWORD src1_sel:WORD_0
	v_and_b32_e32 v2, s24, v2
	v_lshrrev_b32_e32 v3, 3, v2
	v_lshlrev_b32_e32 v2, 5, v2
	v_and_or_b32 v2, v2, s42, v0
	v_lshlrev_b32_e32 v2, 1, v2
	v_add_lshl_u32 v32, v2, v3, 1
	ds_read_u16 v31, v32
	v_cmp_ne_u16_e32 vcc, s41, v25
	s_waitcnt lgkmcnt(0)
	v_add_u16_e32 v2, 1, v31
	ds_write_b16 v32, v2
	v_cndmask_b32_e32 v2, v26, v25, vcc
	v_lshrrev_b32_sdwa v2, s40, v2 dst_sel:DWORD dst_unused:UNUSED_PAD src0_sel:DWORD src1_sel:WORD_0
	v_and_b32_e32 v2, s24, v2
	v_lshrrev_b32_e32 v3, 3, v2
	v_lshlrev_b32_e32 v2, 5, v2
	v_and_or_b32 v2, v2, s42, v0
	v_lshlrev_b32_e32 v2, 1, v2
	v_add_lshl_u32 v45, v2, v3, 1
	ds_read_u16 v33, v45
	v_cmp_ne_u16_e32 vcc, s41, v29
	s_waitcnt lgkmcnt(0)
	v_add_u16_e32 v2, 1, v33
	ds_write_b16 v45, v2
	v_cndmask_b32_e32 v2, v26, v29, vcc
	v_lshrrev_b32_sdwa v2, s40, v2 dst_sel:DWORD dst_unused:UNUSED_PAD src0_sel:DWORD src1_sel:WORD_0
	v_and_b32_e32 v2, s24, v2
	v_lshrrev_b32_e32 v3, 3, v2
	v_lshlrev_b32_e32 v2, 5, v2
	v_and_or_b32 v2, v2, s42, v0
	v_lshlrev_b32_e32 v2, 1, v2
	v_add_lshl_u32 v47, v2, v3, 1
	ds_read_u16 v46, v47
	s_waitcnt lgkmcnt(0)
	v_add_u16_e32 v2, 1, v46
	ds_write_b16 v47, v2
	s_waitcnt lgkmcnt(0)
	; wave barrier
	s_waitcnt lgkmcnt(0)
	ds_read2_b32 v[8:9], v43 offset1:1
	ds_read2_b32 v[6:7], v43 offset0:2 offset1:3
	ds_read2_b32 v[2:3], v43 offset0:4 offset1:5
	;; [unrolled: 1-line block ×3, first 2 shown]
	s_waitcnt lgkmcnt(3)
	v_add_u32_e32 v48, v9, v8
	s_waitcnt lgkmcnt(2)
	v_add3_u32 v48, v48, v6, v7
	s_waitcnt lgkmcnt(1)
	v_add3_u32 v48, v48, v2, v3
	;; [unrolled: 2-line block ×3, first 2 shown]
	s_nop 1
	v_mov_b32_dpp v48, v5 row_shr:1 row_mask:0xf bank_mask:0xf
	v_cndmask_b32_e64 v48, v48, 0, s[10:11]
	v_add_u32_e32 v5, v48, v5
	s_nop 1
	v_mov_b32_dpp v48, v5 row_shr:2 row_mask:0xf bank_mask:0xf
	v_cndmask_b32_e64 v48, 0, v48, s[12:13]
	v_add_u32_e32 v5, v5, v48
	;; [unrolled: 4-line block ×4, first 2 shown]
	s_nop 1
	v_mov_b32_dpp v48, v5 row_bcast:15 row_mask:0xf bank_mask:0xf
	v_cndmask_b32_e64 v48, v48, 0, s[18:19]
	v_add_u32_e32 v5, v5, v48
	s_and_saveexec_b64 s[24:25], s[20:21]
	s_cbranch_execz .LBB243_47
; %bb.46:                               ;   in Loop: Header=BB243_38 Depth=1
	ds_write_b32 v27, v5 offset:1024
.LBB243_47:                             ;   in Loop: Header=BB243_38 Depth=1
	s_or_b64 exec, exec, s[24:25]
	ds_bpermute_b32 v5, v44, v5
	s_waitcnt lgkmcnt(0)
	; wave barrier
	s_waitcnt lgkmcnt(0)
	ds_read_b32 v48, v27 offset:1024
	s_cmp_gt_u32 s40, 11
	v_cndmask_b32_e64 v5, v5, 0, s[22:23]
	s_waitcnt lgkmcnt(0)
	v_lshl_add_u32 v5, v48, 16, v5
	v_add_u32_e32 v8, v5, v8
	v_add_u32_e32 v9, v8, v9
	ds_write2_b32 v43, v5, v8 offset1:1
	v_add_u32_e32 v5, v9, v6
	v_add_u32_e32 v6, v5, v7
	;; [unrolled: 1-line block ×5, first 2 shown]
	ds_write2_b32 v43, v9, v5 offset0:2 offset1:3
	ds_write2_b32 v43, v6, v2 offset0:4 offset1:5
	;; [unrolled: 1-line block ×3, first 2 shown]
	s_waitcnt lgkmcnt(0)
	; wave barrier
	s_waitcnt lgkmcnt(0)
	ds_read_u16 v2, v30
	ds_read_u16 v3, v32
	;; [unrolled: 1-line block ×4, first 2 shown]
	v_mov_b32_e32 v45, v25
	s_waitcnt lgkmcnt(3)
	v_add_u32_sdwa v30, v2, v24 dst_sel:DWORD dst_unused:UNUSED_PAD src0_sel:DWORD src1_sel:WORD_0
	s_waitcnt lgkmcnt(2)
	v_add_u32_sdwa v31, v3, v31 dst_sel:DWORD dst_unused:UNUSED_PAD src0_sel:DWORD src1_sel:WORD_0
	s_waitcnt lgkmcnt(1)
	v_add_u32_sdwa v32, v4, v33 dst_sel:DWORD dst_unused:UNUSED_PAD src0_sel:DWORD src1_sel:WORD_0
	s_waitcnt lgkmcnt(0)
	v_add_u32_sdwa v33, v5, v46 dst_sel:DWORD dst_unused:UNUSED_PAD src0_sel:DWORD src1_sel:WORD_0
	s_cbranch_scc0 .LBB243_37
; %bb.48:
                                        ; implicit-def: $vgpr8_vgpr9
                                        ; implicit-def: $vgpr4_vgpr5
                                        ; implicit-def: $vgpr25
                                        ; implicit-def: $sgpr40
                                        ; implicit-def: $vgpr46
.LBB243_49:
	v_lshlrev_b32_e32 v0, 1, v30
	s_waitcnt lgkmcnt(0)
	; wave barrier
	ds_write_b16 v0, v28
	v_lshlrev_b32_e32 v0, 1, v31
	ds_write_b16 v0, v23
	v_lshlrev_b32_e32 v0, 1, v32
	;; [unrolled: 2-line block ×3, first 2 shown]
	ds_write_b16 v0, v29
	s_waitcnt lgkmcnt(0)
	; wave barrier
	s_waitcnt lgkmcnt(0)
	ds_read_b64 v[0:1], v42
	v_lshlrev_b32_e32 v2, 3, v30
	v_lshlrev_b32_e32 v3, 3, v31
	;; [unrolled: 1-line block ×4, first 2 shown]
	s_waitcnt lgkmcnt(0)
	; wave barrier
	s_waitcnt lgkmcnt(0)
	ds_write_b64 v2, v[16:17]
	ds_write_b64 v3, v[14:15]
	;; [unrolled: 1-line block ×4, first 2 shown]
	v_mov_b32_e32 v3, 0x7fff
	v_cmp_lt_i16_e32 vcc, -1, v0
	v_mov_b32_e32 v5, -1
	s_waitcnt lgkmcnt(0)
	; wave barrier
	s_waitcnt lgkmcnt(0)
	ds_read2_b64 v[10:13], v41 offset1:1
	ds_read2_b64 v[14:17], v41 offset0:2 offset1:3
	v_mov_b32_e32 v2, 0
	v_cndmask_b32_e32 v4, 0, v3, vcc
	v_cmp_gt_i16_sdwa vcc, v0, v5 src0_sel:WORD_1 src1_sel:DWORD
	v_cndmask_b32_e32 v5, 0, v3, vcc
	v_cmp_gt_i16_e32 vcc, 0, v1
	v_cmp_lt_i16_sdwa s[8:9], v1, v2 src0_sel:WORD_1 src1_sel:DWORD
	v_cndmask_b32_e64 v6, v3, 0, vcc
	v_cndmask_b32_e64 v2, v3, 0, s[8:9]
	v_xor_b32_sdwa v2, v2, v1 dst_sel:DWORD dst_unused:UNUSED_PAD src0_sel:DWORD src1_sel:WORD_1
	v_xor_b32_e32 v1, v6, v1
	s_mov_b32 s8, 0x5040100
	v_perm_b32 v25, v2, v1, s8
	v_xor_b32_sdwa v1, v5, v0 dst_sel:DWORD dst_unused:UNUSED_PAD src0_sel:DWORD src1_sel:WORD_1
	v_xor_b32_e32 v0, v4, v0
	v_perm_b32 v24, v1, v0, s8
.LBB243_50:
	s_waitcnt lgkmcnt(0)
	; wave barrier
	s_waitcnt lgkmcnt(0)
	ds_write_b64 v36, v[24:25]
	s_waitcnt lgkmcnt(0)
	; wave barrier
	s_waitcnt lgkmcnt(0)
	ds_read_u16 v4, v34 offset:64
	ds_read_u16 v3, v19 offset:128
	ds_read_u16 v2, v35 offset:192
	v_mov_b32_e32 v19, 0
	v_lshlrev_b64 v[0:1], 1, v[18:19]
	v_mov_b32_e32 v5, s29
	v_add_co_u32_e32 v0, vcc, s27, v0
	v_addc_co_u32_e32 v1, vcc, v5, v1, vcc
	s_and_saveexec_b64 s[8:9], s[0:1]
	s_cbranch_execnz .LBB243_61
; %bb.51:
	s_or_b64 exec, exec, s[8:9]
	s_and_saveexec_b64 s[8:9], s[2:3]
	s_cbranch_execnz .LBB243_62
.LBB243_52:
	s_or_b64 exec, exec, s[8:9]
	s_and_saveexec_b64 s[8:9], s[4:5]
	s_cbranch_execnz .LBB243_63
.LBB243_53:
	s_or_b64 exec, exec, s[8:9]
	s_and_saveexec_b64 s[8:9], s[6:7]
	s_cbranch_execz .LBB243_55
.LBB243_54:
	s_mul_i32 s10, s26, 0x60
	s_mov_b32 s11, 0
	s_lshl_b64 s[10:11], s[10:11], 1
	s_waitcnt lgkmcnt(1)
	v_mov_b32_e32 v3, s11
	v_add_co_u32_e32 v0, vcc, s10, v0
	v_addc_co_u32_e32 v1, vcc, v1, v3, vcc
	s_waitcnt lgkmcnt(0)
	global_store_short v[0:1], v2, off
.LBB243_55:
	s_or_b64 exec, exec, s[8:9]
	s_waitcnt lgkmcnt(0)
	; wave barrier
	s_waitcnt lgkmcnt(0)
	ds_write2_b64 v40, v[10:11], v[12:13] offset1:1
	ds_write2_b64 v40, v[14:15], v[16:17] offset0:2 offset1:3
	s_waitcnt lgkmcnt(0)
	; wave barrier
	s_waitcnt lgkmcnt(0)
	ds_read_b64 v[6:7], v21 offset:256
	ds_read_b64 v[4:5], v38 offset:512
	;; [unrolled: 1-line block ×3, first 2 shown]
	v_mov_b32_e32 v21, 0
	v_lshlrev_b64 v[2:3], 3, v[20:21]
	v_mov_b32_e32 v8, s38
	v_add_co_u32_e32 v2, vcc, s33, v2
	v_addc_co_u32_e32 v3, vcc, v8, v3, vcc
	s_and_saveexec_b64 s[8:9], s[0:1]
	s_cbranch_execnz .LBB243_64
; %bb.56:
	s_or_b64 exec, exec, s[8:9]
	s_and_saveexec_b64 s[0:1], s[2:3]
	s_cbranch_execnz .LBB243_65
.LBB243_57:
	s_or_b64 exec, exec, s[0:1]
	s_and_saveexec_b64 s[0:1], s[4:5]
	s_cbranch_execnz .LBB243_66
.LBB243_58:
	s_or_b64 exec, exec, s[0:1]
	s_and_saveexec_b64 s[0:1], s[6:7]
	s_cbranch_execz .LBB243_60
.LBB243_59:
	s_mul_i32 s0, s28, 0x60
	s_mov_b32 s1, 0
	s_lshl_b64 s[0:1], s[0:1], 3
	s_waitcnt lgkmcnt(1)
	v_mov_b32_e32 v4, s1
	v_add_co_u32_e32 v2, vcc, s0, v2
	v_addc_co_u32_e32 v3, vcc, v3, v4, vcc
	s_waitcnt lgkmcnt(0)
	global_store_dwordx2 v[2:3], v[0:1], off
.LBB243_60:
	s_endpgm
.LBB243_61:
	ds_read_u16 v5, v34
	s_waitcnt lgkmcnt(0)
	global_store_short v[0:1], v5, off
	s_or_b64 exec, exec, s[8:9]
	s_and_saveexec_b64 s[8:9], s[2:3]
	s_cbranch_execz .LBB243_52
.LBB243_62:
	s_lshl_b32 s10, s26, 5
	s_mov_b32 s11, 0
	s_lshl_b64 s[10:11], s[10:11], 1
	v_mov_b32_e32 v5, s11
	v_add_co_u32_e32 v6, vcc, s10, v0
	v_addc_co_u32_e32 v7, vcc, v1, v5, vcc
	s_waitcnt lgkmcnt(2)
	global_store_short v[6:7], v4, off
	s_or_b64 exec, exec, s[8:9]
	s_and_saveexec_b64 s[8:9], s[4:5]
	s_cbranch_execz .LBB243_53
.LBB243_63:
	s_lshl_b32 s10, s26, 6
	s_mov_b32 s11, 0
	s_lshl_b64 s[10:11], s[10:11], 1
	v_mov_b32_e32 v5, s11
	s_waitcnt lgkmcnt(2)
	v_add_co_u32_e32 v4, vcc, s10, v0
	v_addc_co_u32_e32 v5, vcc, v1, v5, vcc
	s_waitcnt lgkmcnt(1)
	global_store_short v[4:5], v3, off
	s_or_b64 exec, exec, s[8:9]
	s_and_saveexec_b64 s[8:9], s[6:7]
	s_cbranch_execnz .LBB243_54
	s_branch .LBB243_55
.LBB243_64:
	ds_read_b64 v[8:9], v37
	s_waitcnt lgkmcnt(0)
	global_store_dwordx2 v[2:3], v[8:9], off
	s_or_b64 exec, exec, s[8:9]
	s_and_saveexec_b64 s[0:1], s[2:3]
	s_cbranch_execz .LBB243_57
.LBB243_65:
	s_lshl_b32 s2, s28, 5
	s_mov_b32 s3, 0
	s_lshl_b64 s[2:3], s[2:3], 3
	v_mov_b32_e32 v9, s3
	v_add_co_u32_e32 v8, vcc, s2, v2
	v_addc_co_u32_e32 v9, vcc, v3, v9, vcc
	s_waitcnt lgkmcnt(2)
	global_store_dwordx2 v[8:9], v[6:7], off
	s_or_b64 exec, exec, s[0:1]
	s_and_saveexec_b64 s[0:1], s[4:5]
	s_cbranch_execz .LBB243_58
.LBB243_66:
	s_lshl_b32 s2, s28, 6
	s_mov_b32 s3, 0
	s_lshl_b64 s[2:3], s[2:3], 3
	s_waitcnt lgkmcnt(2)
	v_mov_b32_e32 v7, s3
	v_add_co_u32_e32 v6, vcc, s2, v2
	v_addc_co_u32_e32 v7, vcc, v3, v7, vcc
	s_waitcnt lgkmcnt(1)
	global_store_dwordx2 v[6:7], v[4:5], off
	s_or_b64 exec, exec, s[0:1]
	s_and_saveexec_b64 s[0:1], s[6:7]
	s_cbranch_execnz .LBB243_59
	s_branch .LBB243_60
	.section	.rodata,"a",@progbits
	.p2align	6, 0x0
	.amdhsa_kernel _ZN2at6native18radixSortKVInPlaceILin2ELin1ELi32ELi4EN3c108BFloat16EljEEvNS_4cuda6detail10TensorInfoIT3_T5_EES8_S8_S8_NS6_IT4_S8_EES8_b
		.amdhsa_group_segment_fixed_size 1056
		.amdhsa_private_segment_fixed_size 0
		.amdhsa_kernarg_size 712
		.amdhsa_user_sgpr_count 6
		.amdhsa_user_sgpr_private_segment_buffer 1
		.amdhsa_user_sgpr_dispatch_ptr 0
		.amdhsa_user_sgpr_queue_ptr 0
		.amdhsa_user_sgpr_kernarg_segment_ptr 1
		.amdhsa_user_sgpr_dispatch_id 0
		.amdhsa_user_sgpr_flat_scratch_init 0
		.amdhsa_user_sgpr_kernarg_preload_length 0
		.amdhsa_user_sgpr_kernarg_preload_offset 0
		.amdhsa_user_sgpr_private_segment_size 0
		.amdhsa_uses_dynamic_stack 0
		.amdhsa_system_sgpr_private_segment_wavefront_offset 0
		.amdhsa_system_sgpr_workgroup_id_x 1
		.amdhsa_system_sgpr_workgroup_id_y 1
		.amdhsa_system_sgpr_workgroup_id_z 1
		.amdhsa_system_sgpr_workgroup_info 0
		.amdhsa_system_vgpr_workitem_id 0
		.amdhsa_next_free_vgpr 60
		.amdhsa_next_free_sgpr 46
		.amdhsa_accum_offset 60
		.amdhsa_reserve_vcc 1
		.amdhsa_reserve_flat_scratch 0
		.amdhsa_float_round_mode_32 0
		.amdhsa_float_round_mode_16_64 0
		.amdhsa_float_denorm_mode_32 3
		.amdhsa_float_denorm_mode_16_64 3
		.amdhsa_dx10_clamp 1
		.amdhsa_ieee_mode 1
		.amdhsa_fp16_overflow 0
		.amdhsa_tg_split 0
		.amdhsa_exception_fp_ieee_invalid_op 0
		.amdhsa_exception_fp_denorm_src 0
		.amdhsa_exception_fp_ieee_div_zero 0
		.amdhsa_exception_fp_ieee_overflow 0
		.amdhsa_exception_fp_ieee_underflow 0
		.amdhsa_exception_fp_ieee_inexact 0
		.amdhsa_exception_int_div_zero 0
	.end_amdhsa_kernel
	.section	.text._ZN2at6native18radixSortKVInPlaceILin2ELin1ELi32ELi4EN3c108BFloat16EljEEvNS_4cuda6detail10TensorInfoIT3_T5_EES8_S8_S8_NS6_IT4_S8_EES8_b,"axG",@progbits,_ZN2at6native18radixSortKVInPlaceILin2ELin1ELi32ELi4EN3c108BFloat16EljEEvNS_4cuda6detail10TensorInfoIT3_T5_EES8_S8_S8_NS6_IT4_S8_EES8_b,comdat
.Lfunc_end243:
	.size	_ZN2at6native18radixSortKVInPlaceILin2ELin1ELi32ELi4EN3c108BFloat16EljEEvNS_4cuda6detail10TensorInfoIT3_T5_EES8_S8_S8_NS6_IT4_S8_EES8_b, .Lfunc_end243-_ZN2at6native18radixSortKVInPlaceILin2ELin1ELi32ELi4EN3c108BFloat16EljEEvNS_4cuda6detail10TensorInfoIT3_T5_EES8_S8_S8_NS6_IT4_S8_EES8_b
                                        ; -- End function
	.section	.AMDGPU.csdata,"",@progbits
; Kernel info:
; codeLenInByte = 4932
; NumSgprs: 50
; NumVgprs: 60
; NumAgprs: 0
; TotalNumVgprs: 60
; ScratchSize: 0
; MemoryBound: 0
; FloatMode: 240
; IeeeMode: 1
; LDSByteSize: 1056 bytes/workgroup (compile time only)
; SGPRBlocks: 6
; VGPRBlocks: 7
; NumSGPRsForWavesPerEU: 50
; NumVGPRsForWavesPerEU: 60
; AccumOffset: 60
; Occupancy: 8
; WaveLimiterHint : 1
; COMPUTE_PGM_RSRC2:SCRATCH_EN: 0
; COMPUTE_PGM_RSRC2:USER_SGPR: 6
; COMPUTE_PGM_RSRC2:TRAP_HANDLER: 0
; COMPUTE_PGM_RSRC2:TGID_X_EN: 1
; COMPUTE_PGM_RSRC2:TGID_Y_EN: 1
; COMPUTE_PGM_RSRC2:TGID_Z_EN: 1
; COMPUTE_PGM_RSRC2:TIDIG_COMP_CNT: 0
; COMPUTE_PGM_RSRC3_GFX90A:ACCUM_OFFSET: 14
; COMPUTE_PGM_RSRC3_GFX90A:TG_SPLIT: 0
	.section	.text._ZN2at6native18radixSortKVInPlaceILin2ELin1ELi16ELi2EN3c108BFloat16EljEEvNS_4cuda6detail10TensorInfoIT3_T5_EES8_S8_S8_NS6_IT4_S8_EES8_b,"axG",@progbits,_ZN2at6native18radixSortKVInPlaceILin2ELin1ELi16ELi2EN3c108BFloat16EljEEvNS_4cuda6detail10TensorInfoIT3_T5_EES8_S8_S8_NS6_IT4_S8_EES8_b,comdat
	.protected	_ZN2at6native18radixSortKVInPlaceILin2ELin1ELi16ELi2EN3c108BFloat16EljEEvNS_4cuda6detail10TensorInfoIT3_T5_EES8_S8_S8_NS6_IT4_S8_EES8_b ; -- Begin function _ZN2at6native18radixSortKVInPlaceILin2ELin1ELi16ELi2EN3c108BFloat16EljEEvNS_4cuda6detail10TensorInfoIT3_T5_EES8_S8_S8_NS6_IT4_S8_EES8_b
	.globl	_ZN2at6native18radixSortKVInPlaceILin2ELin1ELi16ELi2EN3c108BFloat16EljEEvNS_4cuda6detail10TensorInfoIT3_T5_EES8_S8_S8_NS6_IT4_S8_EES8_b
	.p2align	8
	.type	_ZN2at6native18radixSortKVInPlaceILin2ELin1ELi16ELi2EN3c108BFloat16EljEEvNS_4cuda6detail10TensorInfoIT3_T5_EES8_S8_S8_NS6_IT4_S8_EES8_b,@function
_ZN2at6native18radixSortKVInPlaceILin2ELin1ELi16ELi2EN3c108BFloat16EljEEvNS_4cuda6detail10TensorInfoIT3_T5_EES8_S8_S8_NS6_IT4_S8_EES8_b: ; @_ZN2at6native18radixSortKVInPlaceILin2ELin1ELi16ELi2EN3c108BFloat16EljEEvNS_4cuda6detail10TensorInfoIT3_T5_EES8_S8_S8_NS6_IT4_S8_EES8_b
; %bb.0:
	s_load_dwordx2 s[0:1], s[4:5], 0x1c8
	s_load_dwordx4 s[16:19], s[4:5], 0xd8
	s_waitcnt lgkmcnt(0)
	s_mul_i32 s1, s1, s8
	s_add_i32 s1, s1, s7
	s_mul_i32 s10, s1, s0
	s_add_i32 s10, s10, s6
	s_cmp_ge_u32 s10, s16
	s_cbranch_scc1 .LBB244_50
; %bb.1:
	s_load_dword s8, s[4:5], 0x1b8
	s_load_dwordx2 s[0:1], s[4:5], 0x0
	s_add_u32 s2, s4, 0xe8
	s_addc_u32 s3, s5, 0
	s_mov_b32 s7, 0
	s_waitcnt lgkmcnt(0)
	s_cmp_lt_i32 s8, 2
	s_mov_b32 s6, s10
	s_cbranch_scc1 .LBB244_4
; %bb.2:
	s_add_i32 s6, s8, -1
	s_add_i32 s11, s8, 1
	s_lshl_b64 s[8:9], s[6:7], 2
	s_add_u32 s6, s8, s2
	s_addc_u32 s9, s9, s3
	s_add_u32 s8, s6, 8
	s_addc_u32 s9, s9, 0
	s_mov_b32 s6, s10
.LBB244_3:                              ; =>This Inner Loop Header: Depth=1
	s_load_dword s12, s[8:9], 0x0
	s_load_dword s14, s[8:9], 0x64
	s_mov_b32 s13, s6
	s_waitcnt lgkmcnt(0)
	v_cvt_f32_u32_e32 v1, s12
	s_sub_i32 s6, 0, s12
	v_rcp_iflag_f32_e32 v1, v1
	v_mul_f32_e32 v1, 0x4f7ffffe, v1
	v_cvt_u32_f32_e32 v1, v1
	v_readfirstlane_b32 s15, v1
	s_mul_i32 s6, s6, s15
	s_mul_hi_u32 s6, s15, s6
	s_add_i32 s15, s15, s6
	s_mul_hi_u32 s6, s13, s15
	s_mul_i32 s15, s6, s12
	s_sub_i32 s15, s13, s15
	s_add_i32 s16, s6, 1
	s_sub_i32 s19, s15, s12
	s_cmp_ge_u32 s15, s12
	s_cselect_b32 s6, s16, s6
	s_cselect_b32 s15, s19, s15
	s_add_i32 s16, s6, 1
	s_cmp_ge_u32 s15, s12
	s_cselect_b32 s6, s16, s6
	s_mul_i32 s12, s6, s12
	s_sub_i32 s12, s13, s12
	s_mul_i32 s12, s14, s12
	s_add_i32 s11, s11, -1
	s_add_i32 s7, s12, s7
	s_add_u32 s8, s8, -4
	s_addc_u32 s9, s9, -1
	s_cmp_gt_u32 s11, 2
	s_cbranch_scc1 .LBB244_3
.LBB244_4:
	s_load_dword s8, s[4:5], 0x6c
	s_load_dwordx2 s[20:21], s[4:5], 0x1c0
	s_mov_b32 s14, 0xffff
	s_mov_b32 s11, 0
	v_mul_lo_u32 v10, v0, s18
	s_waitcnt lgkmcnt(0)
	s_mul_i32 s10, s8, s10
	s_bitcmp1_b32 s21, 0
	s_load_dwordx2 s[8:9], s[2:3], 0x0
	s_cselect_b64 s[4:5], -1, 0
	s_and_b64 s[12:13], s[4:5], exec
	s_cselect_b32 s12, s14, 0x7fff
	s_lshl_b64 s[10:11], s[10:11], 1
	s_add_u32 s19, s0, s10
	s_addc_u32 s21, s1, s11
	v_cmp_gt_u32_e64 s[0:1], s17, v0
	v_mov_b32_e32 v2, s12
	s_and_saveexec_b64 s[10:11], s[0:1]
	s_cbranch_execz .LBB244_6
; %bb.5:
	v_mov_b32_e32 v11, 0
	v_lshlrev_b64 v[2:3], 1, v[10:11]
	v_mov_b32_e32 v1, s21
	v_add_co_u32_e32 v2, vcc, s19, v2
	v_addc_co_u32_e32 v3, vcc, v1, v3, vcc
	global_load_ushort v2, v[2:3], off
.LBB244_6:
	s_or_b64 exec, exec, s[10:11]
	s_load_dword s13, s[2:3], 0x6c
	v_or_b32_e32 v1, 16, v0
	v_cmp_gt_u32_e64 s[2:3], s17, v1
	v_mov_b32_e32 v3, s12
	s_and_saveexec_b64 s[10:11], s[2:3]
	s_cbranch_execz .LBB244_8
; %bb.7:
	v_mul_lo_u32 v4, v1, s18
	v_mov_b32_e32 v5, 0
	v_lshlrev_b64 v[4:5], 1, v[4:5]
	v_mov_b32_e32 v3, s21
	v_add_co_u32_e32 v4, vcc, s19, v4
	v_addc_co_u32_e32 v5, vcc, v3, v5, vcc
	global_load_ushort v3, v[4:5], off
.LBB244_8:
	s_or_b64 exec, exec, s[10:11]
	v_lshlrev_b32_e32 v22, 1, v0
	v_lshlrev_b32_e32 v11, 2, v0
	s_waitcnt lgkmcnt(0)
	s_mul_i32 s6, s13, s6
	s_waitcnt vmcnt(0)
	ds_write_b16 v22, v2
	ds_write_b16 v22, v3 offset:32
	s_waitcnt lgkmcnt(0)
	; wave barrier
	s_waitcnt lgkmcnt(0)
	ds_read_u16 v28, v11
	ds_read_u16 v27, v11 offset:2
	s_add_i32 s12, s6, s7
	s_mov_b32 s13, 0
	s_lshl_b64 s[6:7], s[12:13], 3
	s_mov_b32 s12, s13
	s_add_u32 s30, s8, s6
	s_mov_b32 s14, s13
	s_mov_b32 s15, s13
	v_pk_mov_b32 v[2:3], s[12:13], s[12:13] op_sel:[0,1]
	s_addc_u32 s31, s9, s7
	v_pk_mov_b32 v[4:5], s[14:15], s[14:15] op_sel:[0,1]
	v_pk_mov_b32 v[2:3], 0, 0
	v_mul_lo_u32 v12, v0, s20
	s_waitcnt lgkmcnt(0)
	; wave barrier
	s_waitcnt lgkmcnt(0)
	s_and_saveexec_b64 s[6:7], s[0:1]
	s_cbranch_execz .LBB244_10
; %bb.9:
	v_mov_b32_e32 v13, 0
	v_lshlrev_b64 v[2:3], 3, v[12:13]
	v_mov_b32_e32 v4, s31
	v_add_co_u32_e32 v2, vcc, s30, v2
	v_addc_co_u32_e32 v3, vcc, v4, v3, vcc
	global_load_dwordx2 v[2:3], v[2:3], off
	v_mov_b32_e32 v4, v13
	v_mov_b32_e32 v5, v13
.LBB244_10:
	s_or_b64 exec, exec, s[6:7]
	s_xor_b64 s[22:23], s[4:5], -1
	s_and_saveexec_b64 s[4:5], s[2:3]
	s_cbranch_execz .LBB244_12
; %bb.11:
	v_mul_lo_u32 v4, v1, s20
	v_mov_b32_e32 v5, 0
	v_lshlrev_b64 v[4:5], 3, v[4:5]
	v_mov_b32_e32 v6, s31
	v_add_co_u32_e32 v4, vcc, s30, v4
	v_addc_co_u32_e32 v5, vcc, v6, v5, vcc
	global_load_dwordx2 v[4:5], v[4:5], off
.LBB244_12:
	s_or_b64 exec, exec, s[4:5]
	v_mbcnt_lo_u32_b32 v6, -1, 0
	v_lshlrev_b32_e32 v23, 3, v0
	v_lshlrev_b32_e32 v13, 3, v22
	s_getpc_b64 s[4:5]
	s_add_u32 s4, s4, _ZN7rocprim17ROCPRIM_400000_NS16block_radix_sortI12hip_bfloat16Lj16ELj2ElLj1ELj1ELj0ELNS0_26block_radix_rank_algorithmE1ELNS0_18block_padding_hintE2ELNS0_4arch9wavefront6targetE1EE19radix_bits_per_passE@rel32@lo+4
	s_addc_u32 s5, s5, _ZN7rocprim17ROCPRIM_400000_NS16block_radix_sortI12hip_bfloat16Lj16ELj2ElLj1ELj1ELj0ELNS0_26block_radix_rank_algorithmE1ELNS0_18block_padding_hintE2ELNS0_4arch9wavefront6targetE1EE19radix_bits_per_passE@rel32@hi+12
	v_mbcnt_hi_u32_b32 v6, -1, v6
	s_waitcnt vmcnt(0)
	ds_write2_b64 v23, v[2:3], v[4:5] offset1:16
	s_waitcnt lgkmcnt(0)
	; wave barrier
	s_waitcnt lgkmcnt(0)
	ds_read2_b64 v[2:5], v13 offset1:1
	s_load_dword s33, s[4:5], 0x0
	v_and_b32_e32 v7, 15, v6
	v_cmp_eq_u32_e64 s[6:7], 0, v7
	v_cmp_lt_u32_e64 s[8:9], 1, v7
	v_cmp_lt_u32_e64 s[10:11], 3, v7
	;; [unrolled: 1-line block ×3, first 2 shown]
	v_add_u32_e32 v7, -1, v6
	v_and_b32_e32 v8, 0x70, v6
	v_cmp_lt_i32_e32 vcc, v7, v8
	s_movk_i32 s4, 0x80
	v_cndmask_b32_e32 v7, v7, v6, vcc
	v_cmp_gt_u32_e64 s[4:5], s4, v0
	v_lshlrev_b32_e32 v24, 5, v0
	s_mov_b32 s34, 0
	v_cmp_eq_u32_e64 s[14:15], 15, v0
	s_movk_i32 s35, 0x70
	v_lshlrev_b32_e32 v26, 2, v7
	v_cmp_eq_u32_e64 s[16:17], 0, v6
	v_lshlrev_b32_e32 v25, 1, v22
	s_and_b64 vcc, exec, s[22:23]
	v_add_u32_e64 v29, 7, 2
	s_waitcnt lgkmcnt(0)
	; wave barrier
	s_waitcnt lgkmcnt(0)
	s_cbranch_vccz .LBB244_27
; %bb.13:
	v_mov_b32_e32 v30, 0xffff8000
	v_cmp_lt_i16_e32 vcc, -1, v28
	v_cndmask_b32_e32 v6, -1, v30, vcc
	v_cmp_lt_i16_e32 vcc, -1, v27
	v_xor_b32_e32 v20, v6, v28
	v_cndmask_b32_e32 v6, -1, v30, vcc
	v_xor_b32_e32 v21, v6, v27
	v_and_b32_e32 v31, 14, v29
	v_mov_b32_e32 v32, 0
	s_movk_i32 s36, 0x7fff
	v_pk_mov_b32 v[6:7], v[2:3], v[2:3] op_sel:[0,1]
	v_pk_mov_b32 v[8:9], v[4:5], v[4:5] op_sel:[0,1]
	s_branch .LBB244_15
.LBB244_14:                             ;   in Loop: Header=BB244_15 Depth=1
	v_lshlrev_b32_e32 v6, 1, v18
	s_waitcnt lgkmcnt(0)
	; wave barrier
	ds_write_b16 v6, v34
	v_lshlrev_b32_e32 v6, 1, v19
	ds_write_b16 v6, v33
	v_lshlrev_b32_e32 v6, 3, v18
	s_waitcnt lgkmcnt(0)
	; wave barrier
	s_waitcnt lgkmcnt(0)
	ds_read_u16 v20, v25
	ds_read_u16 v21, v25 offset:2
	s_waitcnt lgkmcnt(0)
	; wave barrier
	s_waitcnt lgkmcnt(0)
	ds_write_b64 v6, v[16:17]
	v_lshlrev_b32_e32 v6, 3, v19
	ds_write_b64 v6, v[14:15]
	s_waitcnt lgkmcnt(0)
	; wave barrier
	s_waitcnt lgkmcnt(0)
	ds_read2_b64 v[6:9], v13 offset1:1
	s_add_i32 s34, s34, 4
	s_waitcnt lgkmcnt(0)
	; wave barrier
	s_waitcnt lgkmcnt(0)
	s_cbranch_execz .LBB244_26
.LBB244_15:                             ; =>This Loop Header: Depth=1
                                        ;     Child Loop BB244_18 Depth 2
	v_pk_mov_b32 v[14:15], v[8:9], v[8:9] op_sel:[0,1]
	v_pk_mov_b32 v[16:17], v[6:7], v[6:7] op_sel:[0,1]
	v_mov_b32_e32 v34, v20
	v_mov_b32_e32 v33, v21
	s_and_saveexec_b64 s[22:23], s[4:5]
	s_cbranch_execz .LBB244_22
; %bb.16:                               ;   in Loop: Header=BB244_15 Depth=1
	s_mov_b32 s37, 0
	s_mov_b64 s[24:25], 0
	v_pk_mov_b32 v[6:7], v[0:1], v[0:1] op_sel:[0,1]
	s_branch .LBB244_18
.LBB244_17:                             ;   in Loop: Header=BB244_18 Depth=2
	s_or_b64 exec, exec, s[28:29]
	s_add_i32 s37, s37, 2
	v_cmp_eq_u32_e32 vcc, s37, v31
	v_add_u32_e32 v7, 32, v7
	s_or_b64 s[24:25], vcc, s[24:25]
	v_add_u32_e32 v6, 32, v6
	s_andn2_b64 exec, exec, s[24:25]
	s_cbranch_execz .LBB244_22
.LBB244_18:                             ;   Parent Loop BB244_15 Depth=1
                                        ; =>  This Inner Loop Header: Depth=2
	s_or_b32 s26, s37, 1
	v_cmp_le_u32_e64 s[26:27], s26, 7
	v_cmp_le_u32_e64 s[38:39], s37, 7
	s_and_saveexec_b64 s[28:29], s[38:39]
	s_cbranch_execz .LBB244_20
; %bb.19:                               ;   in Loop: Header=BB244_18 Depth=2
	v_lshlrev_b32_e32 v8, 2, v6
	ds_write_b32 v8, v32
.LBB244_20:                             ;   in Loop: Header=BB244_18 Depth=2
	s_or_b64 exec, exec, s[28:29]
	s_and_saveexec_b64 s[28:29], s[26:27]
	s_cbranch_execz .LBB244_17
; %bb.21:                               ;   in Loop: Header=BB244_18 Depth=2
	v_lshlrev_b32_e32 v8, 2, v7
	ds_write_b32 v8, v32
	s_branch .LBB244_17
.LBB244_22:                             ;   in Loop: Header=BB244_15 Depth=1
	s_or_b64 exec, exec, s[22:23]
	s_sub_i32 s22, 16, s34
	s_min_u32 s22, s33, s22
	v_cmp_ne_u16_e32 vcc, s36, v34
	s_lshl_b32 s22, -1, s22
	v_cndmask_b32_e32 v6, v30, v34, vcc
	s_not_b32 s22, s22
	v_lshrrev_b32_sdwa v6, s34, v6 dst_sel:DWORD dst_unused:UNUSED_PAD src0_sel:DWORD src1_sel:WORD_0
	v_and_b32_e32 v6, s22, v6
	v_lshrrev_b32_e32 v7, 3, v6
	v_lshlrev_b32_e32 v6, 4, v6
	v_and_or_b32 v6, v6, s35, v0
	v_lshlrev_b32_e32 v6, 1, v6
	v_add_lshl_u32 v36, v6, v7, 1
	ds_read_u16 v35, v36
	v_cmp_ne_u16_e32 vcc, s36, v33
	s_waitcnt lgkmcnt(0)
	v_add_u16_e32 v6, 1, v35
	ds_write_b16 v36, v6
	v_cndmask_b32_e32 v6, v30, v33, vcc
	v_lshrrev_b32_sdwa v6, s34, v6 dst_sel:DWORD dst_unused:UNUSED_PAD src0_sel:DWORD src1_sel:WORD_0
	v_and_b32_e32 v6, s22, v6
	v_lshrrev_b32_e32 v7, 3, v6
	v_lshlrev_b32_e32 v6, 4, v6
	v_and_or_b32 v6, v6, s35, v0
	v_lshlrev_b32_e32 v6, 1, v6
	v_add_lshl_u32 v38, v6, v7, 1
	ds_read_u16 v37, v38
	s_waitcnt lgkmcnt(0)
	v_add_u16_e32 v6, 1, v37
	ds_write_b16 v38, v6
	s_waitcnt lgkmcnt(0)
	; wave barrier
	s_waitcnt lgkmcnt(0)
	ds_read2_b32 v[20:21], v24 offset1:1
	ds_read2_b32 v[18:19], v24 offset0:2 offset1:3
	ds_read2_b32 v[6:7], v24 offset0:4 offset1:5
	;; [unrolled: 1-line block ×3, first 2 shown]
	s_waitcnt lgkmcnt(3)
	v_add_u32_e32 v39, v21, v20
	s_waitcnt lgkmcnt(2)
	v_add3_u32 v39, v39, v18, v19
	s_waitcnt lgkmcnt(1)
	v_add3_u32 v39, v39, v6, v7
	;; [unrolled: 2-line block ×3, first 2 shown]
	s_nop 1
	v_mov_b32_dpp v39, v9 row_shr:1 row_mask:0xf bank_mask:0xf
	v_cndmask_b32_e64 v39, v39, 0, s[6:7]
	v_add_u32_e32 v9, v39, v9
	s_nop 1
	v_mov_b32_dpp v39, v9 row_shr:2 row_mask:0xf bank_mask:0xf
	v_cndmask_b32_e64 v39, 0, v39, s[8:9]
	v_add_u32_e32 v9, v9, v39
	;; [unrolled: 4-line block ×4, first 2 shown]
	s_and_saveexec_b64 s[22:23], s[14:15]
	s_cbranch_execz .LBB244_24
; %bb.23:                               ;   in Loop: Header=BB244_15 Depth=1
	ds_write_b32 v32, v9 offset:512
.LBB244_24:                             ;   in Loop: Header=BB244_15 Depth=1
	s_or_b64 exec, exec, s[22:23]
	ds_bpermute_b32 v9, v26, v9
	s_waitcnt lgkmcnt(0)
	; wave barrier
	s_waitcnt lgkmcnt(0)
	ds_read_b32 v39, v32 offset:512
	s_cmp_gt_u32 s34, 11
	v_cndmask_b32_e64 v9, v9, 0, s[16:17]
	s_waitcnt lgkmcnt(0)
	v_lshl_add_u32 v9, v39, 16, v9
	v_add_u32_e32 v20, v9, v20
	v_add_u32_e32 v21, v20, v21
	ds_write2_b32 v24, v9, v20 offset1:1
	v_add_u32_e32 v9, v21, v18
	v_add_u32_e32 v18, v9, v19
	;; [unrolled: 1-line block ×5, first 2 shown]
	ds_write2_b32 v24, v21, v9 offset0:2 offset1:3
	ds_write2_b32 v24, v18, v6 offset0:4 offset1:5
	;; [unrolled: 1-line block ×3, first 2 shown]
	s_waitcnt lgkmcnt(0)
	; wave barrier
	s_waitcnt lgkmcnt(0)
	ds_read_u16 v6, v36
	ds_read_u16 v7, v38
	s_waitcnt lgkmcnt(1)
	v_add_u32_sdwa v18, v6, v35 dst_sel:DWORD dst_unused:UNUSED_PAD src0_sel:DWORD src1_sel:WORD_0
	s_waitcnt lgkmcnt(0)
	v_add_u32_sdwa v19, v7, v37 dst_sel:DWORD dst_unused:UNUSED_PAD src0_sel:DWORD src1_sel:WORD_0
	s_cbranch_scc0 .LBB244_14
; %bb.25:
                                        ; implicit-def: $vgpr8_vgpr9
                                        ; implicit-def: $sgpr34
                                        ; implicit-def: $vgpr20
                                        ; implicit-def: $vgpr21
.LBB244_26:
	v_lshlrev_b32_e32 v6, 1, v18
	s_waitcnt lgkmcnt(0)
	; wave barrier
	ds_write_b16 v6, v34
	v_lshlrev_b32_e32 v6, 1, v19
	ds_write_b16 v6, v33
	s_waitcnt lgkmcnt(0)
	; wave barrier
	s_waitcnt lgkmcnt(0)
	v_lshlrev_b32_e32 v6, 3, v18
	ds_read_b32 v18, v25
	v_lshlrev_b32_e32 v7, 3, v19
	s_waitcnt lgkmcnt(0)
	; wave barrier
	s_waitcnt lgkmcnt(0)
	ds_write_b64 v6, v[16:17]
	ds_write_b64 v7, v[14:15]
	s_waitcnt lgkmcnt(0)
	; wave barrier
	s_waitcnt lgkmcnt(0)
	ds_read2_b64 v[6:9], v13 offset1:1
	v_mov_b32_e32 v14, -1
	v_mov_b32_e32 v15, 0xffff8000
	v_cmp_lt_i16_e32 vcc, -1, v18
	v_cmp_gt_i16_sdwa s[22:23], v18, v14 src0_sel:WORD_1 src1_sel:DWORD
	v_cndmask_b32_e64 v16, v15, -1, vcc
	v_cndmask_b32_e64 v14, v15, -1, s[22:23]
	s_mov_b32 s22, 0x5040100
	v_perm_b32 v14, v14, v16, s22
	v_xor_b32_e32 v14, v14, v18
	s_branch .LBB244_42
.LBB244_27:
                                        ; implicit-def: $vgpr8_vgpr9
                                        ; implicit-def: $vgpr14
	s_cbranch_execz .LBB244_42
; %bb.28:
	v_mov_b32_e32 v18, 0x7fff
	v_cmp_gt_i16_e32 vcc, 0, v28
	s_waitcnt lgkmcnt(0)
	v_cndmask_b32_e64 v6, v18, 0, vcc
	v_cmp_gt_i16_e32 vcc, 0, v27
	v_xor_b32_e32 v16, v6, v28
	v_cndmask_b32_e64 v6, v18, 0, vcc
	s_mov_b32 s34, 0
	v_xor_b32_e32 v17, v6, v27
	v_and_b32_e32 v19, 14, v29
	v_mov_b32_e32 v20, 0
	s_movk_i32 s35, 0x8000
	s_movk_i32 s36, 0x70
	s_branch .LBB244_30
.LBB244_29:                             ;   in Loop: Header=BB244_30 Depth=1
	v_lshlrev_b32_e32 v2, 1, v14
	s_waitcnt lgkmcnt(0)
	; wave barrier
	ds_write_b16 v2, v27
	v_lshlrev_b32_e32 v2, 1, v15
	ds_write_b16 v2, v21
	v_lshlrev_b32_e32 v2, 3, v14
	s_waitcnt lgkmcnt(0)
	; wave barrier
	s_waitcnt lgkmcnt(0)
	ds_read_u16 v16, v25
	ds_read_u16 v17, v25 offset:2
	s_waitcnt lgkmcnt(0)
	; wave barrier
	s_waitcnt lgkmcnt(0)
	ds_write_b64 v2, v[8:9]
	v_lshlrev_b32_e32 v2, 3, v15
	ds_write_b64 v2, v[6:7]
	s_waitcnt lgkmcnt(0)
	; wave barrier
	s_waitcnt lgkmcnt(0)
	ds_read2_b64 v[2:5], v13 offset1:1
	s_add_i32 s34, s34, 4
	s_waitcnt lgkmcnt(0)
	; wave barrier
	s_waitcnt lgkmcnt(0)
	s_cbranch_execz .LBB244_41
.LBB244_30:                             ; =>This Loop Header: Depth=1
                                        ;     Child Loop BB244_33 Depth 2
	v_pk_mov_b32 v[6:7], v[4:5], v[4:5] op_sel:[0,1]
	v_pk_mov_b32 v[8:9], v[2:3], v[2:3] op_sel:[0,1]
	v_mov_b32_e32 v27, v16
	v_mov_b32_e32 v21, v17
	s_and_saveexec_b64 s[22:23], s[4:5]
	s_cbranch_execz .LBB244_37
; %bb.31:                               ;   in Loop: Header=BB244_30 Depth=1
	s_mov_b32 s37, 0
	s_mov_b64 s[24:25], 0
	v_pk_mov_b32 v[2:3], v[0:1], v[0:1] op_sel:[0,1]
	s_branch .LBB244_33
.LBB244_32:                             ;   in Loop: Header=BB244_33 Depth=2
	s_or_b64 exec, exec, s[28:29]
	s_add_i32 s37, s37, 2
	v_cmp_eq_u32_e32 vcc, s37, v19
	v_add_u32_e32 v3, 32, v3
	s_or_b64 s[24:25], vcc, s[24:25]
	v_add_u32_e32 v2, 32, v2
	s_andn2_b64 exec, exec, s[24:25]
	s_cbranch_execz .LBB244_37
.LBB244_33:                             ;   Parent Loop BB244_30 Depth=1
                                        ; =>  This Inner Loop Header: Depth=2
	s_or_b32 s26, s37, 1
	v_cmp_le_u32_e64 s[26:27], s26, 7
	v_cmp_le_u32_e64 s[38:39], s37, 7
	s_and_saveexec_b64 s[28:29], s[38:39]
	s_cbranch_execz .LBB244_35
; %bb.34:                               ;   in Loop: Header=BB244_33 Depth=2
	v_lshlrev_b32_e32 v4, 2, v2
	ds_write_b32 v4, v20
.LBB244_35:                             ;   in Loop: Header=BB244_33 Depth=2
	s_or_b64 exec, exec, s[28:29]
	s_and_saveexec_b64 s[28:29], s[26:27]
	s_cbranch_execz .LBB244_32
; %bb.36:                               ;   in Loop: Header=BB244_33 Depth=2
	v_lshlrev_b32_e32 v4, 2, v3
	ds_write_b32 v4, v20
	s_branch .LBB244_32
.LBB244_37:                             ;   in Loop: Header=BB244_30 Depth=1
	s_or_b64 exec, exec, s[22:23]
	s_sub_i32 s22, 16, s34
	s_min_u32 s22, s33, s22
	v_cmp_ne_u16_e32 vcc, s35, v27
	s_lshl_b32 s22, -1, s22
	v_cndmask_b32_e32 v2, v18, v27, vcc
	s_not_b32 s22, s22
	v_lshrrev_b32_sdwa v2, s34, v2 dst_sel:DWORD dst_unused:UNUSED_PAD src0_sel:DWORD src1_sel:WORD_0
	v_and_b32_e32 v2, s22, v2
	v_lshrrev_b32_e32 v3, 3, v2
	v_lshlrev_b32_e32 v2, 4, v2
	v_and_or_b32 v2, v2, s36, v0
	v_lshlrev_b32_e32 v2, 1, v2
	v_add_lshl_u32 v29, v2, v3, 1
	ds_read_u16 v28, v29
	v_cmp_ne_u16_e32 vcc, s35, v21
	s_waitcnt lgkmcnt(0)
	v_add_u16_e32 v2, 1, v28
	ds_write_b16 v29, v2
	v_cndmask_b32_e32 v2, v18, v21, vcc
	v_lshrrev_b32_sdwa v2, s34, v2 dst_sel:DWORD dst_unused:UNUSED_PAD src0_sel:DWORD src1_sel:WORD_0
	v_and_b32_e32 v2, s22, v2
	v_lshrrev_b32_e32 v3, 3, v2
	v_lshlrev_b32_e32 v2, 4, v2
	v_and_or_b32 v2, v2, s36, v0
	v_lshlrev_b32_e32 v2, 1, v2
	v_add_lshl_u32 v31, v2, v3, 1
	ds_read_u16 v30, v31
	s_waitcnt lgkmcnt(0)
	v_add_u16_e32 v2, 1, v30
	ds_write_b16 v31, v2
	s_waitcnt lgkmcnt(0)
	; wave barrier
	s_waitcnt lgkmcnt(0)
	ds_read2_b32 v[16:17], v24 offset1:1
	ds_read2_b32 v[14:15], v24 offset0:2 offset1:3
	ds_read2_b32 v[2:3], v24 offset0:4 offset1:5
	;; [unrolled: 1-line block ×3, first 2 shown]
	s_waitcnt lgkmcnt(3)
	v_add_u32_e32 v32, v17, v16
	s_waitcnt lgkmcnt(2)
	v_add3_u32 v32, v32, v14, v15
	s_waitcnt lgkmcnt(1)
	v_add3_u32 v32, v32, v2, v3
	;; [unrolled: 2-line block ×3, first 2 shown]
	s_nop 1
	v_mov_b32_dpp v32, v5 row_shr:1 row_mask:0xf bank_mask:0xf
	v_cndmask_b32_e64 v32, v32, 0, s[6:7]
	v_add_u32_e32 v5, v32, v5
	s_nop 1
	v_mov_b32_dpp v32, v5 row_shr:2 row_mask:0xf bank_mask:0xf
	v_cndmask_b32_e64 v32, 0, v32, s[8:9]
	v_add_u32_e32 v5, v5, v32
	;; [unrolled: 4-line block ×4, first 2 shown]
	s_and_saveexec_b64 s[22:23], s[14:15]
	s_cbranch_execz .LBB244_39
; %bb.38:                               ;   in Loop: Header=BB244_30 Depth=1
	ds_write_b32 v20, v5 offset:512
.LBB244_39:                             ;   in Loop: Header=BB244_30 Depth=1
	s_or_b64 exec, exec, s[22:23]
	ds_bpermute_b32 v5, v26, v5
	s_waitcnt lgkmcnt(0)
	; wave barrier
	s_waitcnt lgkmcnt(0)
	ds_read_b32 v32, v20 offset:512
	s_cmp_gt_u32 s34, 11
	v_cndmask_b32_e64 v5, v5, 0, s[16:17]
	s_waitcnt lgkmcnt(0)
	v_lshl_add_u32 v5, v32, 16, v5
	v_add_u32_e32 v16, v5, v16
	v_add_u32_e32 v17, v16, v17
	ds_write2_b32 v24, v5, v16 offset1:1
	v_add_u32_e32 v5, v17, v14
	v_add_u32_e32 v14, v5, v15
	;; [unrolled: 1-line block ×5, first 2 shown]
	ds_write2_b32 v24, v17, v5 offset0:2 offset1:3
	ds_write2_b32 v24, v14, v2 offset0:4 offset1:5
	;; [unrolled: 1-line block ×3, first 2 shown]
	s_waitcnt lgkmcnt(0)
	; wave barrier
	s_waitcnt lgkmcnt(0)
	ds_read_u16 v2, v29
	ds_read_u16 v3, v31
	s_waitcnt lgkmcnt(1)
	v_add_u32_sdwa v14, v2, v28 dst_sel:DWORD dst_unused:UNUSED_PAD src0_sel:DWORD src1_sel:WORD_0
	s_waitcnt lgkmcnt(0)
	v_add_u32_sdwa v15, v3, v30 dst_sel:DWORD dst_unused:UNUSED_PAD src0_sel:DWORD src1_sel:WORD_0
	s_cbranch_scc0 .LBB244_29
; %bb.40:
                                        ; implicit-def: $vgpr4_vgpr5
                                        ; implicit-def: $sgpr34
                                        ; implicit-def: $vgpr16
                                        ; implicit-def: $vgpr17
.LBB244_41:
	v_lshlrev_b32_e32 v0, 1, v14
	s_waitcnt lgkmcnt(0)
	; wave barrier
	ds_write_b16 v0, v27
	v_lshlrev_b32_e32 v0, 1, v15
	ds_write_b16 v0, v21
	s_waitcnt lgkmcnt(0)
	; wave barrier
	s_waitcnt lgkmcnt(0)
	ds_read_b32 v2, v25
	v_lshlrev_b32_e32 v0, 3, v14
	v_lshlrev_b32_e32 v1, 3, v15
	s_waitcnt lgkmcnt(0)
	; wave barrier
	s_waitcnt lgkmcnt(0)
	ds_write_b64 v0, v[8:9]
	ds_write_b64 v1, v[6:7]
	s_waitcnt lgkmcnt(0)
	; wave barrier
	s_waitcnt lgkmcnt(0)
	ds_read2_b64 v[6:9], v13 offset1:1
	v_mov_b32_e32 v0, 0
	v_mov_b32_e32 v1, 0x7fff
	v_cmp_gt_i16_e32 vcc, 0, v2
	v_cmp_lt_i16_sdwa s[4:5], v2, v0 src0_sel:WORD_1 src1_sel:DWORD
	v_cndmask_b32_e64 v3, v1, 0, vcc
	v_cndmask_b32_e64 v0, v1, 0, s[4:5]
	s_mov_b32 s4, 0x5040100
	v_perm_b32 v0, v0, v3, s4
	v_xor_b32_e32 v14, v0, v2
.LBB244_42:
	s_waitcnt lgkmcnt(0)
	; wave barrier
	s_waitcnt lgkmcnt(0)
	ds_write_b32 v11, v14
	s_waitcnt lgkmcnt(0)
	; wave barrier
	s_waitcnt lgkmcnt(0)
	ds_read_u16 v2, v22 offset:32
	v_mov_b32_e32 v11, 0
	v_lshlrev_b64 v[0:1], 1, v[10:11]
	v_mov_b32_e32 v3, s21
	v_add_co_u32_e32 v0, vcc, s19, v0
	v_addc_co_u32_e32 v1, vcc, v3, v1, vcc
	s_and_saveexec_b64 s[4:5], s[0:1]
	s_cbranch_execz .LBB244_44
; %bb.43:
	ds_read_u16 v3, v22
	s_waitcnt lgkmcnt(0)
	global_store_short v[0:1], v3, off
.LBB244_44:
	s_or_b64 exec, exec, s[4:5]
	s_and_saveexec_b64 s[4:5], s[2:3]
	s_cbranch_execz .LBB244_46
; %bb.45:
	s_lshl_b32 s6, s18, 4
	s_mov_b32 s7, 0
	s_lshl_b64 s[6:7], s[6:7], 1
	v_mov_b32_e32 v3, s7
	v_add_co_u32_e32 v0, vcc, s6, v0
	v_addc_co_u32_e32 v1, vcc, v1, v3, vcc
	s_waitcnt lgkmcnt(0)
	global_store_short v[0:1], v2, off
.LBB244_46:
	s_or_b64 exec, exec, s[4:5]
	s_waitcnt lgkmcnt(0)
	; wave barrier
	s_waitcnt lgkmcnt(0)
	ds_write2_b64 v13, v[6:7], v[8:9] offset1:1
	s_waitcnt lgkmcnt(0)
	; wave barrier
	s_waitcnt lgkmcnt(0)
	ds_read_b64 v[0:1], v23 offset:128
	v_mov_b32_e32 v13, 0
	v_lshlrev_b64 v[2:3], 3, v[12:13]
	v_mov_b32_e32 v4, s31
	v_add_co_u32_e32 v2, vcc, s30, v2
	v_addc_co_u32_e32 v3, vcc, v4, v3, vcc
	s_and_saveexec_b64 s[4:5], s[0:1]
	s_cbranch_execz .LBB244_48
; %bb.47:
	ds_read_b64 v[4:5], v23
	s_waitcnt lgkmcnt(0)
	global_store_dwordx2 v[2:3], v[4:5], off
.LBB244_48:
	s_or_b64 exec, exec, s[4:5]
	s_and_saveexec_b64 s[0:1], s[2:3]
	s_cbranch_execz .LBB244_50
; %bb.49:
	s_lshl_b32 s0, s20, 4
	s_mov_b32 s1, 0
	s_lshl_b64 s[0:1], s[0:1], 3
	v_mov_b32_e32 v4, s1
	v_add_co_u32_e32 v2, vcc, s0, v2
	v_addc_co_u32_e32 v3, vcc, v3, v4, vcc
	s_waitcnt lgkmcnt(0)
	global_store_dwordx2 v[2:3], v[0:1], off
.LBB244_50:
	s_endpgm
	.section	.rodata,"a",@progbits
	.p2align	6, 0x0
	.amdhsa_kernel _ZN2at6native18radixSortKVInPlaceILin2ELin1ELi16ELi2EN3c108BFloat16EljEEvNS_4cuda6detail10TensorInfoIT3_T5_EES8_S8_S8_NS6_IT4_S8_EES8_b
		.amdhsa_group_segment_fixed_size 528
		.amdhsa_private_segment_fixed_size 0
		.amdhsa_kernarg_size 712
		.amdhsa_user_sgpr_count 6
		.amdhsa_user_sgpr_private_segment_buffer 1
		.amdhsa_user_sgpr_dispatch_ptr 0
		.amdhsa_user_sgpr_queue_ptr 0
		.amdhsa_user_sgpr_kernarg_segment_ptr 1
		.amdhsa_user_sgpr_dispatch_id 0
		.amdhsa_user_sgpr_flat_scratch_init 0
		.amdhsa_user_sgpr_kernarg_preload_length 0
		.amdhsa_user_sgpr_kernarg_preload_offset 0
		.amdhsa_user_sgpr_private_segment_size 0
		.amdhsa_uses_dynamic_stack 0
		.amdhsa_system_sgpr_private_segment_wavefront_offset 0
		.amdhsa_system_sgpr_workgroup_id_x 1
		.amdhsa_system_sgpr_workgroup_id_y 1
		.amdhsa_system_sgpr_workgroup_id_z 1
		.amdhsa_system_sgpr_workgroup_info 0
		.amdhsa_system_vgpr_workitem_id 0
		.amdhsa_next_free_vgpr 40
		.amdhsa_next_free_sgpr 40
		.amdhsa_accum_offset 40
		.amdhsa_reserve_vcc 1
		.amdhsa_reserve_flat_scratch 0
		.amdhsa_float_round_mode_32 0
		.amdhsa_float_round_mode_16_64 0
		.amdhsa_float_denorm_mode_32 3
		.amdhsa_float_denorm_mode_16_64 3
		.amdhsa_dx10_clamp 1
		.amdhsa_ieee_mode 1
		.amdhsa_fp16_overflow 0
		.amdhsa_tg_split 0
		.amdhsa_exception_fp_ieee_invalid_op 0
		.amdhsa_exception_fp_denorm_src 0
		.amdhsa_exception_fp_ieee_div_zero 0
		.amdhsa_exception_fp_ieee_overflow 0
		.amdhsa_exception_fp_ieee_underflow 0
		.amdhsa_exception_fp_ieee_inexact 0
		.amdhsa_exception_int_div_zero 0
	.end_amdhsa_kernel
	.section	.text._ZN2at6native18radixSortKVInPlaceILin2ELin1ELi16ELi2EN3c108BFloat16EljEEvNS_4cuda6detail10TensorInfoIT3_T5_EES8_S8_S8_NS6_IT4_S8_EES8_b,"axG",@progbits,_ZN2at6native18radixSortKVInPlaceILin2ELin1ELi16ELi2EN3c108BFloat16EljEEvNS_4cuda6detail10TensorInfoIT3_T5_EES8_S8_S8_NS6_IT4_S8_EES8_b,comdat
.Lfunc_end244:
	.size	_ZN2at6native18radixSortKVInPlaceILin2ELin1ELi16ELi2EN3c108BFloat16EljEEvNS_4cuda6detail10TensorInfoIT3_T5_EES8_S8_S8_NS6_IT4_S8_EES8_b, .Lfunc_end244-_ZN2at6native18radixSortKVInPlaceILin2ELin1ELi16ELi2EN3c108BFloat16EljEEvNS_4cuda6detail10TensorInfoIT3_T5_EES8_S8_S8_NS6_IT4_S8_EES8_b
                                        ; -- End function
	.section	.AMDGPU.csdata,"",@progbits
; Kernel info:
; codeLenInByte = 3232
; NumSgprs: 44
; NumVgprs: 40
; NumAgprs: 0
; TotalNumVgprs: 40
; ScratchSize: 0
; MemoryBound: 0
; FloatMode: 240
; IeeeMode: 1
; LDSByteSize: 528 bytes/workgroup (compile time only)
; SGPRBlocks: 5
; VGPRBlocks: 4
; NumSGPRsForWavesPerEU: 44
; NumVGPRsForWavesPerEU: 40
; AccumOffset: 40
; Occupancy: 8
; WaveLimiterHint : 1
; COMPUTE_PGM_RSRC2:SCRATCH_EN: 0
; COMPUTE_PGM_RSRC2:USER_SGPR: 6
; COMPUTE_PGM_RSRC2:TRAP_HANDLER: 0
; COMPUTE_PGM_RSRC2:TGID_X_EN: 1
; COMPUTE_PGM_RSRC2:TGID_Y_EN: 1
; COMPUTE_PGM_RSRC2:TGID_Z_EN: 1
; COMPUTE_PGM_RSRC2:TIDIG_COMP_CNT: 0
; COMPUTE_PGM_RSRC3_GFX90A:ACCUM_OFFSET: 9
; COMPUTE_PGM_RSRC3_GFX90A:TG_SPLIT: 0
	.section	.text._ZN2at6native18radixSortKVInPlaceILi2ELin1ELi512ELi8EN3c108BFloat16EljEEvNS_4cuda6detail10TensorInfoIT3_T5_EES8_S8_S8_NS6_IT4_S8_EES8_b,"axG",@progbits,_ZN2at6native18radixSortKVInPlaceILi2ELin1ELi512ELi8EN3c108BFloat16EljEEvNS_4cuda6detail10TensorInfoIT3_T5_EES8_S8_S8_NS6_IT4_S8_EES8_b,comdat
	.protected	_ZN2at6native18radixSortKVInPlaceILi2ELin1ELi512ELi8EN3c108BFloat16EljEEvNS_4cuda6detail10TensorInfoIT3_T5_EES8_S8_S8_NS6_IT4_S8_EES8_b ; -- Begin function _ZN2at6native18radixSortKVInPlaceILi2ELin1ELi512ELi8EN3c108BFloat16EljEEvNS_4cuda6detail10TensorInfoIT3_T5_EES8_S8_S8_NS6_IT4_S8_EES8_b
	.globl	_ZN2at6native18radixSortKVInPlaceILi2ELin1ELi512ELi8EN3c108BFloat16EljEEvNS_4cuda6detail10TensorInfoIT3_T5_EES8_S8_S8_NS6_IT4_S8_EES8_b
	.p2align	8
	.type	_ZN2at6native18radixSortKVInPlaceILi2ELin1ELi512ELi8EN3c108BFloat16EljEEvNS_4cuda6detail10TensorInfoIT3_T5_EES8_S8_S8_NS6_IT4_S8_EES8_b,@function
_ZN2at6native18radixSortKVInPlaceILi2ELin1ELi512ELi8EN3c108BFloat16EljEEvNS_4cuda6detail10TensorInfoIT3_T5_EES8_S8_S8_NS6_IT4_S8_EES8_b: ; @_ZN2at6native18radixSortKVInPlaceILi2ELin1ELi512ELi8EN3c108BFloat16EljEEvNS_4cuda6detail10TensorInfoIT3_T5_EES8_S8_S8_NS6_IT4_S8_EES8_b
; %bb.0:
	s_load_dwordx2 s[0:1], s[4:5], 0x1c8
	s_load_dwordx4 s[48:51], s[4:5], 0xd8
	s_add_u32 s54, s4, 0x1c8
	s_addc_u32 s55, s5, 0
	s_waitcnt lgkmcnt(0)
	s_mul_i32 s1, s1, s8
	s_add_i32 s1, s1, s7
	s_mul_i32 s8, s1, s0
	s_add_i32 s8, s8, s6
	s_cmp_ge_u32 s8, s48
	s_cbranch_scc1 .LBB245_146
; %bb.1:
	s_load_dword s9, s[4:5], 0xc
	s_load_dwordx2 s[0:1], s[4:5], 0x6c
	s_load_dword s6, s[4:5], 0x1b8
	s_add_u32 s14, s4, 0xe8
	s_load_dwordx2 s[2:3], s[4:5], 0x0
	s_waitcnt lgkmcnt(0)
	v_cvt_f32_u32_e32 v1, s9
	s_addc_u32 s15, s5, 0
	s_sub_i32 s7, 0, s9
	s_mov_b32 s17, 0
	v_rcp_iflag_f32_e32 v1, v1
	s_mov_b32 s16, s8
	v_mul_f32_e32 v1, 0x4f7ffffe, v1
	v_cvt_u32_f32_e32 v1, v1
	v_readfirstlane_b32 s10, v1
	s_mul_i32 s7, s7, s10
	s_mul_hi_u32 s7, s10, s7
	s_add_i32 s10, s10, s7
	s_mul_hi_u32 s10, s8, s10
	s_cmp_lt_i32 s6, 2
	s_cbranch_scc1 .LBB245_4
; %bb.2:
	s_add_i32 s16, s6, -1
	s_add_i32 s11, s6, 1
	s_lshl_b64 s[6:7], s[16:17], 2
	s_add_u32 s6, s6, s14
	s_addc_u32 s7, s7, s15
	s_add_u32 s6, s6, 8
	s_addc_u32 s7, s7, 0
	s_mov_b32 s16, s8
.LBB245_3:                              ; =>This Inner Loop Header: Depth=1
	s_load_dword s12, s[6:7], 0x0
	s_load_dword s18, s[6:7], 0x64
	s_mov_b32 s13, s16
	s_waitcnt lgkmcnt(0)
	v_cvt_f32_u32_e32 v1, s12
	s_sub_i32 s16, 0, s12
	v_rcp_iflag_f32_e32 v1, v1
	v_mul_f32_e32 v1, 0x4f7ffffe, v1
	v_cvt_u32_f32_e32 v1, v1
	v_readfirstlane_b32 s19, v1
	s_mul_i32 s16, s16, s19
	s_mul_hi_u32 s16, s19, s16
	s_add_i32 s19, s19, s16
	s_mul_hi_u32 s16, s13, s19
	s_mul_i32 s19, s16, s12
	s_sub_i32 s19, s13, s19
	s_add_i32 s20, s16, 1
	s_sub_i32 s21, s19, s12
	s_cmp_ge_u32 s19, s12
	s_cselect_b32 s16, s20, s16
	s_cselect_b32 s19, s21, s19
	s_add_i32 s20, s16, 1
	s_cmp_ge_u32 s19, s12
	s_cselect_b32 s16, s20, s16
	s_mul_i32 s12, s16, s12
	s_sub_i32 s12, s13, s12
	s_mul_i32 s12, s18, s12
	s_add_i32 s11, s11, -1
	s_add_i32 s17, s12, s17
	s_add_u32 s6, s6, -4
	s_addc_u32 s7, s7, -1
	s_cmp_gt_u32 s11, 2
	s_cbranch_scc1 .LBB245_3
.LBB245_4:
	s_mul_i32 s6, s10, s9
	s_sub_i32 s6, s8, s6
	s_add_i32 s7, s10, 1
	s_sub_i32 s11, s6, s9
	s_cmp_ge_u32 s6, s9
	s_cselect_b32 s7, s7, s10
	s_cselect_b32 s6, s11, s6
	s_add_i32 s10, s7, 1
	s_cmp_ge_u32 s6, s9
	s_cselect_b32 s6, s10, s7
	s_load_dwordx2 s[52:53], s[4:5], 0x1c0
	s_mul_i32 s7, s6, s9
	s_sub_i32 s4, s8, s7
	s_mul_i32 s4, s4, s1
	s_mul_i32 s0, s6, s0
	s_add_i32 s0, s0, s4
	s_waitcnt lgkmcnt(0)
	s_bitcmp1_b32 s53, 0
	s_cselect_b64 s[34:35], -1, 0
	s_mov_b32 s1, 0xffff
	s_and_b64 s[4:5], s[34:35], exec
	s_cselect_b32 s22, s1, 0x7fff
	s_mov_b32 s1, 0
	s_lshl_b64 s[0:1], s[0:1], 1
	s_add_u32 s33, s2, s0
	v_and_b32_e32 v46, 0x3ff, v0
	s_addc_u32 s48, s3, s1
	v_cmp_gt_u32_e64 s[0:1], s49, v46
	v_mov_b32_e32 v1, s22
	v_mul_lo_u32 v42, v46, s50
	s_and_saveexec_b64 s[2:3], s[0:1]
	s_cbranch_execz .LBB245_6
; %bb.5:
	v_mov_b32_e32 v43, 0
	v_lshlrev_b64 v[2:3], 1, v[42:43]
	v_mov_b32_e32 v1, s48
	v_add_co_u32_e32 v2, vcc, s33, v2
	v_addc_co_u32_e32 v3, vcc, v1, v3, vcc
	global_load_ushort v1, v[2:3], off
.LBB245_6:
	s_or_b64 exec, exec, s[2:3]
	v_add_u32_e32 v36, 0x200, v46
	v_cmp_gt_u32_e64 s[2:3], s49, v36
	v_mov_b32_e32 v2, s22
	s_and_saveexec_b64 s[4:5], s[2:3]
	s_cbranch_execz .LBB245_8
; %bb.7:
	v_mul_lo_u32 v2, v36, s50
	v_mov_b32_e32 v3, 0
	v_lshlrev_b64 v[2:3], 1, v[2:3]
	v_mov_b32_e32 v4, s48
	v_add_co_u32_e32 v2, vcc, s33, v2
	v_addc_co_u32_e32 v3, vcc, v4, v3, vcc
	global_load_ushort v2, v[2:3], off
.LBB245_8:
	s_or_b64 exec, exec, s[4:5]
	v_or_b32_e32 v35, 0x400, v46
	v_cmp_gt_u32_e64 s[4:5], s49, v35
	v_mov_b32_e32 v3, s22
	s_and_saveexec_b64 s[6:7], s[4:5]
	s_cbranch_execz .LBB245_10
; %bb.9:
	v_mul_lo_u32 v4, v35, s50
	v_mov_b32_e32 v5, 0
	v_lshlrev_b64 v[4:5], 1, v[4:5]
	v_mov_b32_e32 v3, s48
	v_add_co_u32_e32 v4, vcc, s33, v4
	v_addc_co_u32_e32 v5, vcc, v3, v5, vcc
	global_load_ushort v3, v[4:5], off
.LBB245_10:
	s_or_b64 exec, exec, s[6:7]
	v_add_u32_e32 v33, 0x600, v46
	v_cmp_gt_u32_e64 s[6:7], s49, v33
	v_mov_b32_e32 v4, s22
	s_and_saveexec_b64 s[8:9], s[6:7]
	s_cbranch_execz .LBB245_12
; %bb.11:
	v_mul_lo_u32 v4, v33, s50
	v_mov_b32_e32 v5, 0
	v_lshlrev_b64 v[4:5], 1, v[4:5]
	v_mov_b32_e32 v6, s48
	v_add_co_u32_e32 v4, vcc, s33, v4
	v_addc_co_u32_e32 v5, vcc, v6, v5, vcc
	global_load_ushort v4, v[4:5], off
.LBB245_12:
	s_or_b64 exec, exec, s[8:9]
	v_or_b32_e32 v30, 0x800, v46
	v_cmp_gt_u32_e64 s[8:9], s49, v30
	v_mov_b32_e32 v5, s22
	s_and_saveexec_b64 s[10:11], s[8:9]
	s_cbranch_execz .LBB245_14
; %bb.13:
	v_mul_lo_u32 v6, v30, s50
	v_mov_b32_e32 v7, 0
	v_lshlrev_b64 v[6:7], 1, v[6:7]
	v_mov_b32_e32 v5, s48
	v_add_co_u32_e32 v6, vcc, s33, v6
	v_addc_co_u32_e32 v7, vcc, v5, v7, vcc
	global_load_ushort v5, v[6:7], off
.LBB245_14:
	s_or_b64 exec, exec, s[10:11]
	v_add_u32_e32 v28, 0xa00, v46
	v_cmp_gt_u32_e64 s[10:11], s49, v28
	v_mov_b32_e32 v6, s22
	s_and_saveexec_b64 s[12:13], s[10:11]
	s_cbranch_execz .LBB245_16
; %bb.15:
	v_mul_lo_u32 v6, v28, s50
	v_mov_b32_e32 v7, 0
	v_lshlrev_b64 v[6:7], 1, v[6:7]
	v_mov_b32_e32 v8, s48
	v_add_co_u32_e32 v6, vcc, s33, v6
	v_addc_co_u32_e32 v7, vcc, v8, v7, vcc
	global_load_ushort v6, v[6:7], off
.LBB245_16:
	s_or_b64 exec, exec, s[12:13]
	s_load_dwordx2 s[18:19], s[14:15], 0x0
	v_or_b32_e32 v26, 0xc00, v46
	v_cmp_gt_u32_e64 s[12:13], s49, v26
	v_mov_b32_e32 v7, s22
	s_and_saveexec_b64 s[20:21], s[12:13]
	s_cbranch_execz .LBB245_18
; %bb.17:
	v_mul_lo_u32 v8, v26, s50
	v_mov_b32_e32 v9, 0
	v_lshlrev_b64 v[8:9], 1, v[8:9]
	v_mov_b32_e32 v7, s48
	v_add_co_u32_e32 v8, vcc, s33, v8
	v_addc_co_u32_e32 v9, vcc, v7, v9, vcc
	global_load_ushort v7, v[8:9], off
.LBB245_18:
	s_or_b64 exec, exec, s[20:21]
	s_load_dword s23, s[14:15], 0x6c
	v_add_u32_e32 v22, 0xe00, v46
	v_cmp_gt_u32_e64 s[14:15], s49, v22
	v_mov_b32_e32 v8, s22
	s_and_saveexec_b64 s[20:21], s[14:15]
	s_cbranch_execz .LBB245_20
; %bb.19:
	v_mul_lo_u32 v8, v22, s50
	v_mov_b32_e32 v9, 0
	v_lshlrev_b64 v[8:9], 1, v[8:9]
	v_mov_b32_e32 v10, s48
	v_add_co_u32_e32 v8, vcc, s33, v8
	v_addc_co_u32_e32 v9, vcc, v10, v9, vcc
	global_load_ushort v8, v[8:9], off
.LBB245_20:
	s_or_b64 exec, exec, s[20:21]
	v_lshrrev_b32_e32 v34, 5, v46
	v_and_b32_e32 v9, 30, v34
	v_add_lshl_u32 v47, v9, v46, 1
	v_lshrrev_b32_e32 v32, 5, v36
	s_waitcnt vmcnt(0)
	ds_write_b16 v47, v1
	v_and_b32_e32 v1, 62, v32
	v_lshrrev_b32_e32 v31, 5, v35
	v_add_lshl_u32 v43, v1, v46, 1
	v_and_b32_e32 v1, 62, v31
	v_lshrrev_b32_e32 v29, 5, v33
	v_add_lshl_u32 v48, v1, v46, 1
	;; [unrolled: 3-line block ×5, first 2 shown]
	v_and_b32_e32 v1, 0x7e, v23
	v_add_lshl_u32 v52, v1, v46, 1
	v_lshrrev_b32_e32 v1, 5, v22
	ds_write_b16 v43, v2 offset:1024
	v_and_b32_e32 v2, 0xfe, v1
	v_lshrrev_b32_e32 v24, 2, v46
	v_add_lshl_u32 v53, v2, v46, 1
	v_lshlrev_b32_e32 v63, 3, v46
	v_and_b32_e32 v2, 0xfe, v24
	s_waitcnt lgkmcnt(0)
	s_mul_i32 s16, s23, s16
	v_add_lshl_u32 v54, v2, v63, 1
	s_add_i32 s16, s16, s17
	s_mov_b32 s17, 0
	ds_write_b16 v48, v3 offset:2048
	ds_write_b16 v49, v4 offset:3072
	;; [unrolled: 1-line block ×6, first 2 shown]
	s_waitcnt lgkmcnt(0)
	s_barrier
	ds_read_b128 v[18:21], v54
	s_lshl_b64 s[20:21], s[16:17], 3
	s_add_u32 s49, s18, s20
	s_mov_b32 s16, s17
	s_addc_u32 s51, s19, s21
	s_mov_b32 s18, s17
	s_mov_b32 s19, s17
	s_mov_b32 s20, s17
	s_mov_b32 s21, s17
	s_mov_b32 s22, s17
	s_mov_b32 s23, s17
	s_mov_b32 s24, s17
	s_mov_b32 s25, s17
	s_mov_b32 s26, s17
	s_mov_b32 s27, s17
	s_mov_b32 s28, s17
	s_mov_b32 s29, s17
	s_mov_b32 s30, s17
	s_mov_b32 s31, s17
	v_pk_mov_b32 v[2:3], s[16:17], s[16:17] op_sel:[0,1]
	v_pk_mov_b32 v[4:5], s[18:19], s[18:19] op_sel:[0,1]
	;; [unrolled: 1-line block ×8, first 2 shown]
	v_pk_mov_b32 v[2:3], 0, 0
	v_mul_lo_u32 v44, v46, s52
	s_waitcnt lgkmcnt(0)
	s_barrier
	s_and_saveexec_b64 s[16:17], s[0:1]
	s_cbranch_execnz .LBB245_75
; %bb.21:
	s_or_b64 exec, exec, s[16:17]
	s_and_saveexec_b64 s[16:17], s[2:3]
	s_cbranch_execnz .LBB245_76
.LBB245_22:
	s_or_b64 exec, exec, s[16:17]
	s_and_saveexec_b64 s[16:17], s[4:5]
	s_cbranch_execnz .LBB245_77
.LBB245_23:
	s_or_b64 exec, exec, s[16:17]
	s_and_saveexec_b64 s[16:17], s[6:7]
	s_cbranch_execnz .LBB245_78
.LBB245_24:
	s_or_b64 exec, exec, s[16:17]
	s_and_saveexec_b64 s[16:17], s[8:9]
	s_cbranch_execnz .LBB245_79
.LBB245_25:
	s_or_b64 exec, exec, s[16:17]
	s_and_saveexec_b64 s[16:17], s[10:11]
	s_cbranch_execnz .LBB245_80
.LBB245_26:
	s_or_b64 exec, exec, s[16:17]
	s_and_saveexec_b64 s[16:17], s[12:13]
	s_cbranch_execnz .LBB245_81
.LBB245_27:
	s_or_b64 exec, exec, s[16:17]
	s_xor_b64 s[16:17], s[34:35], -1
	s_and_saveexec_b64 s[18:19], s[14:15]
	s_cbranch_execz .LBB245_29
.LBB245_28:
	v_mul_lo_u32 v16, v22, s52
	v_mov_b32_e32 v17, 0
	v_lshlrev_b64 v[16:17], 3, v[16:17]
	v_mov_b32_e32 v22, s51
	v_add_co_u32_e32 v16, vcc, s49, v16
	v_addc_co_u32_e32 v17, vcc, v22, v17, vcc
	global_load_dwordx2 v[16:17], v[16:17], off
.LBB245_29:
	s_or_b64 exec, exec, s[18:19]
	v_add_lshl_u32 v55, v34, v46, 3
	v_add_lshl_u32 v45, v32, v46, 3
	;; [unrolled: 1-line block ×9, first 2 shown]
	s_waitcnt vmcnt(0)
	ds_write_b64 v55, v[2:3]
	ds_write_b64 v45, v[4:5] offset:4096
	ds_write_b64 v56, v[6:7] offset:8192
	;; [unrolled: 1-line block ×7, first 2 shown]
	s_waitcnt lgkmcnt(0)
	s_barrier
	ds_read2_b64 v[14:17], v62 offset1:1
	ds_read2_b64 v[10:13], v62 offset0:2 offset1:3
	ds_read2_b64 v[6:9], v62 offset0:4 offset1:5
	;; [unrolled: 1-line block ×3, first 2 shown]
	s_and_b64 vcc, exec, s[16:17]
	v_bfe_u32 v65, v0, 10, 10
	v_bfe_u32 v66, v0, 20, 10
	v_mbcnt_lo_u32_b32 v67, -1, 0
	v_lshlrev_b32_e32 v64, 4, v46
	s_waitcnt lgkmcnt(0)
	s_barrier
	s_cbranch_vccz .LBB245_82
; %bb.30:
	s_movk_i32 s16, 0x8000
	v_pk_ashrrev_i16 v24, 15, v18 op_sel_hi:[0,1]
	v_or_b32_e32 v25, 0xffff8000, v24
	v_or_b32_sdwa v24, v24, s16 dst_sel:DWORD dst_unused:UNUSED_PAD src0_sel:WORD_1 src1_sel:DWORD
	v_pk_ashrrev_i16 v22, 15, v19 op_sel_hi:[0,1]
	v_xor_b32_sdwa v26, v24, v18 dst_sel:DWORD dst_unused:UNUSED_PAD src0_sel:DWORD src1_sel:WORD_1
	v_pk_ashrrev_i16 v24, 15, v21 op_sel_hi:[0,1]
	v_pk_ashrrev_i16 v28, 15, v20 op_sel_hi:[0,1]
	v_mbcnt_hi_u32_b32 v76, -1, v67
	v_and_b32_e32 v40, 0x3c0, v46
	v_or_b32_e32 v23, 0xffff8000, v22
	v_or_b32_sdwa v22, v22, s16 dst_sel:DWORD dst_unused:UNUSED_PAD src0_sel:WORD_1 src1_sel:DWORD
	v_xor_b32_e32 v27, v25, v18
	v_or_b32_e32 v25, 0xffff8000, v24
	v_or_b32_e32 v29, 0xffff8000, v28
	v_or_b32_sdwa v24, v24, s16 dst_sel:DWORD dst_unused:UNUSED_PAD src0_sel:WORD_1 src1_sel:DWORD
	v_or_b32_sdwa v28, v28, s16 dst_sel:DWORD dst_unused:UNUSED_PAD src0_sel:WORD_1 src1_sel:DWORD
	v_add_u32_e32 v0, v76, v40
	v_xor_b32_sdwa v22, v22, v19 dst_sel:DWORD dst_unused:UNUSED_PAD src0_sel:DWORD src1_sel:WORD_1
	v_xor_b32_e32 v23, v23, v19
	v_xor_b32_sdwa v28, v28, v20 dst_sel:DWORD dst_unused:UNUSED_PAD src0_sel:DWORD src1_sel:WORD_1
	v_xor_b32_sdwa v24, v24, v21 dst_sel:DWORD dst_unused:UNUSED_PAD src0_sel:DWORD src1_sel:WORD_1
	v_xor_b32_e32 v29, v29, v20
	v_xor_b32_e32 v25, v25, v21
	s_mov_b32 s16, 0x5040100
	v_lshlrev_b32_e32 v1, 4, v0
	v_perm_b32 v25, v24, v25, s16
	v_perm_b32 v24, v28, v29, s16
	;; [unrolled: 1-line block ×4, first 2 shown]
	v_and_b32_e32 v82, 0x1e00, v63
	ds_write_b128 v1, v[22:25]
	v_or_b32_e32 v1, v76, v82
	v_lshlrev_b32_e32 v22, 1, v1
	v_lshlrev_b32_e32 v0, 6, v0
	; wave barrier
	ds_read_u16 v79, v22
	ds_read_u16 v78, v22 offset:128
	ds_read_u16 v77, v22 offset:256
	;; [unrolled: 1-line block ×7, first 2 shown]
	s_waitcnt lgkmcnt(0)
	s_barrier
	ds_write2_b64 v0, v[14:15], v[16:17] offset1:1
	ds_write2_b64 v0, v[10:11], v[12:13] offset0:2 offset1:3
	ds_write2_b64 v0, v[6:7], v[8:9] offset0:4 offset1:5
	;; [unrolled: 1-line block ×3, first 2 shown]
	v_lshlrev_b32_e32 v0, 3, v1
	; wave barrier
	ds_read2st64_b64 v[34:37], v0 offset1:1
	ds_read2st64_b64 v[30:33], v0 offset0:2 offset1:3
	ds_read2st64_b64 v[26:29], v0 offset0:4 offset1:5
	;; [unrolled: 1-line block ×3, first 2 shown]
	s_waitcnt lgkmcnt(0)
	s_barrier
	s_load_dword s18, s[54:55], 0xc
	s_getpc_b64 s[16:17]
	s_add_u32 s16, s16, _ZN7rocprim17ROCPRIM_400000_NS16block_radix_sortI12hip_bfloat16Lj512ELj8ElLj1ELj1ELj0ELNS0_26block_radix_rank_algorithmE1ELNS0_18block_padding_hintE2ELNS0_4arch9wavefront6targetE1EE19radix_bits_per_passE@rel32@lo+4
	s_addc_u32 s17, s17, _ZN7rocprim17ROCPRIM_400000_NS16block_radix_sortI12hip_bfloat16Lj512ELj8ElLj1ELj1ELj0ELNS0_26block_radix_rank_algorithmE1ELNS0_18block_padding_hintE2ELNS0_4arch9wavefront6targetE1EE19radix_bits_per_passE@rel32@hi+12
	s_load_dword s44, s[16:17], 0x0
	s_movk_i32 s19, 0x7fff
	v_mov_b32_e32 v41, 0xffff8000
	s_waitcnt lgkmcnt(0)
	s_lshr_b32 s16, s18, 16
	s_and_b32 s17, s18, 0xffff
	v_mad_u32_u24 v1, v66, s16, v65
	v_mad_u64_u32 v[38:39], s[16:17], v1, s17, v[46:47]
	s_min_u32 s16, s44, 16
	s_lshl_b32 s16, -1, s16
	v_cmp_ne_u16_e32 vcc, s19, v79
	s_not_b32 s18, s16
	v_cndmask_b32_e32 v1, v41, v79, vcc
	v_lshrrev_b32_e32 v68, 6, v38
	v_and_b32_sdwa v38, s18, v1 dst_sel:DWORD dst_unused:UNUSED_PAD src0_sel:DWORD src1_sel:WORD_0
	v_lshlrev_b32_e32 v1, 3, v38
	v_add_lshl_u32 v83, v68, v1, 2
	v_and_b32_e32 v1, 1, v38
	v_add_co_u32_e32 v39, vcc, -1, v1
	v_addc_co_u32_e64 v69, s[16:17], 0, -1, vcc
	v_cmp_ne_u32_e32 vcc, 0, v1
	v_xor_b32_e32 v1, vcc_hi, v69
	v_mov_b32_e32 v0, 0
	v_and_b32_e32 v69, exec_hi, v1
	v_lshlrev_b32_e32 v1, 30, v38
	v_xor_b32_e32 v39, vcc_lo, v39
	v_cmp_gt_i64_e32 vcc, 0, v[0:1]
	v_not_b32_e32 v1, v1
	v_ashrrev_i32_e32 v1, 31, v1
	v_and_b32_e32 v39, exec_lo, v39
	v_xor_b32_e32 v70, vcc_hi, v1
	v_xor_b32_e32 v1, vcc_lo, v1
	v_and_b32_e32 v39, v39, v1
	v_lshlrev_b32_e32 v1, 29, v38
	v_cmp_gt_i64_e32 vcc, 0, v[0:1]
	v_not_b32_e32 v1, v1
	v_ashrrev_i32_e32 v1, 31, v1
	v_and_b32_e32 v69, v69, v70
	v_xor_b32_e32 v70, vcc_hi, v1
	v_xor_b32_e32 v1, vcc_lo, v1
	v_and_b32_e32 v39, v39, v1
	v_lshlrev_b32_e32 v1, 28, v38
	v_cmp_gt_i64_e32 vcc, 0, v[0:1]
	v_not_b32_e32 v1, v1
	v_ashrrev_i32_e32 v1, 31, v1
	v_and_b32_e32 v69, v69, v70
	;; [unrolled: 8-line block ×5, first 2 shown]
	v_xor_b32_e32 v70, vcc_hi, v1
	v_xor_b32_e32 v1, vcc_lo, v1
	v_and_b32_e32 v69, v69, v70
	v_and_b32_e32 v70, v39, v1
	v_lshlrev_b32_e32 v1, 24, v38
	v_cmp_gt_i64_e32 vcc, 0, v[0:1]
	v_not_b32_e32 v1, v1
	v_ashrrev_i32_e32 v1, 31, v1
	v_xor_b32_e32 v38, vcc_hi, v1
	v_xor_b32_e32 v1, vcc_lo, v1
	v_and_b32_e32 v39, v69, v38
	v_and_b32_e32 v38, v70, v1
	v_mbcnt_lo_u32_b32 v1, v38, 0
	v_mbcnt_hi_u32_b32 v84, v39, v1
	v_cmp_eq_u32_e32 vcc, 0, v84
	v_cmp_ne_u64_e64 s[16:17], 0, v[38:39]
	s_and_b64 s[20:21], s[16:17], vcc
	ds_write2_b32 v64, v0, v0 offset0:8 offset1:9
	ds_write2_b32 v64, v0, v0 offset0:10 offset1:11
	s_waitcnt lgkmcnt(0)
	s_barrier
	s_waitcnt lgkmcnt(0)
	; wave barrier
	s_and_saveexec_b64 s[16:17], s[20:21]
	s_cbranch_execz .LBB245_32
; %bb.31:
	v_bcnt_u32_b32 v1, v38, 0
	v_bcnt_u32_b32 v1, v39, v1
	ds_write_b32 v83, v1 offset:32
.LBB245_32:
	s_or_b64 exec, exec, s[16:17]
	v_cmp_ne_u16_e32 vcc, s19, v78
	v_cndmask_b32_e32 v1, v41, v78, vcc
	v_and_b32_sdwa v38, s18, v1 dst_sel:DWORD dst_unused:UNUSED_PAD src0_sel:DWORD src1_sel:WORD_0
	v_lshlrev_b32_e32 v1, 3, v38
	v_add_lshl_u32 v86, v68, v1, 2
	v_and_b32_e32 v1, 1, v38
	v_add_co_u32_e32 v39, vcc, -1, v1
	v_addc_co_u32_e64 v41, s[16:17], 0, -1, vcc
	v_cmp_ne_u32_e32 vcc, 0, v1
	v_xor_b32_e32 v1, vcc_hi, v41
	v_and_b32_e32 v41, exec_hi, v1
	v_lshlrev_b32_e32 v1, 30, v38
	v_xor_b32_e32 v39, vcc_lo, v39
	v_cmp_gt_i64_e32 vcc, 0, v[0:1]
	v_not_b32_e32 v1, v1
	v_ashrrev_i32_e32 v1, 31, v1
	v_and_b32_e32 v39, exec_lo, v39
	v_xor_b32_e32 v69, vcc_hi, v1
	v_xor_b32_e32 v1, vcc_lo, v1
	v_and_b32_e32 v39, v39, v1
	v_lshlrev_b32_e32 v1, 29, v38
	v_cmp_gt_i64_e32 vcc, 0, v[0:1]
	v_not_b32_e32 v1, v1
	v_ashrrev_i32_e32 v1, 31, v1
	v_and_b32_e32 v41, v41, v69
	v_xor_b32_e32 v69, vcc_hi, v1
	v_xor_b32_e32 v1, vcc_lo, v1
	v_and_b32_e32 v39, v39, v1
	v_lshlrev_b32_e32 v1, 28, v38
	v_cmp_gt_i64_e32 vcc, 0, v[0:1]
	v_not_b32_e32 v1, v1
	v_ashrrev_i32_e32 v1, 31, v1
	v_and_b32_e32 v41, v41, v69
	;; [unrolled: 8-line block ×5, first 2 shown]
	v_xor_b32_e32 v69, vcc_hi, v1
	v_xor_b32_e32 v1, vcc_lo, v1
	v_and_b32_e32 v39, v39, v1
	v_lshlrev_b32_e32 v1, 24, v38
	v_cmp_gt_i64_e32 vcc, 0, v[0:1]
	v_not_b32_e32 v0, v1
	v_ashrrev_i32_e32 v0, 31, v0
	v_xor_b32_e32 v1, vcc_hi, v0
	v_xor_b32_e32 v0, vcc_lo, v0
	; wave barrier
	ds_read_b32 v85, v86 offset:32
	v_and_b32_e32 v41, v41, v69
	v_and_b32_e32 v0, v39, v0
	;; [unrolled: 1-line block ×3, first 2 shown]
	v_mbcnt_lo_u32_b32 v38, v0, 0
	v_mbcnt_hi_u32_b32 v87, v1, v38
	v_cmp_eq_u32_e32 vcc, 0, v87
	v_cmp_ne_u64_e64 s[16:17], 0, v[0:1]
	s_and_b64 s[20:21], s[16:17], vcc
	; wave barrier
	s_and_saveexec_b64 s[16:17], s[20:21]
	s_cbranch_execz .LBB245_34
; %bb.33:
	v_bcnt_u32_b32 v0, v0, 0
	v_bcnt_u32_b32 v0, v1, v0
	s_waitcnt lgkmcnt(0)
	v_add_u32_e32 v0, v85, v0
	ds_write_b32 v86, v0 offset:32
.LBB245_34:
	s_or_b64 exec, exec, s[16:17]
	v_mov_b32_e32 v41, 0xffff8000
	v_cmp_ne_u16_e32 vcc, s19, v77
	v_cndmask_b32_e32 v0, v41, v77, vcc
	v_and_b32_sdwa v38, s18, v0 dst_sel:DWORD dst_unused:UNUSED_PAD src0_sel:DWORD src1_sel:WORD_0
	v_and_b32_e32 v1, 1, v38
	v_add_co_u32_e32 v39, vcc, -1, v1
	v_addc_co_u32_e64 v69, s[16:17], 0, -1, vcc
	v_cmp_ne_u32_e32 vcc, 0, v1
	v_lshlrev_b32_e32 v0, 3, v38
	v_xor_b32_e32 v1, vcc_hi, v69
	v_add_lshl_u32 v89, v68, v0, 2
	v_mov_b32_e32 v0, 0
	v_and_b32_e32 v69, exec_hi, v1
	v_lshlrev_b32_e32 v1, 30, v38
	v_xor_b32_e32 v39, vcc_lo, v39
	v_cmp_gt_i64_e32 vcc, 0, v[0:1]
	v_not_b32_e32 v1, v1
	v_ashrrev_i32_e32 v1, 31, v1
	v_and_b32_e32 v39, exec_lo, v39
	v_xor_b32_e32 v70, vcc_hi, v1
	v_xor_b32_e32 v1, vcc_lo, v1
	v_and_b32_e32 v39, v39, v1
	v_lshlrev_b32_e32 v1, 29, v38
	v_cmp_gt_i64_e32 vcc, 0, v[0:1]
	v_not_b32_e32 v1, v1
	v_ashrrev_i32_e32 v1, 31, v1
	v_and_b32_e32 v69, v69, v70
	v_xor_b32_e32 v70, vcc_hi, v1
	v_xor_b32_e32 v1, vcc_lo, v1
	v_and_b32_e32 v39, v39, v1
	v_lshlrev_b32_e32 v1, 28, v38
	v_cmp_gt_i64_e32 vcc, 0, v[0:1]
	v_not_b32_e32 v1, v1
	v_ashrrev_i32_e32 v1, 31, v1
	v_and_b32_e32 v69, v69, v70
	;; [unrolled: 8-line block ×5, first 2 shown]
	v_xor_b32_e32 v70, vcc_hi, v1
	v_xor_b32_e32 v1, vcc_lo, v1
	v_and_b32_e32 v69, v69, v70
	v_and_b32_e32 v70, v39, v1
	v_lshlrev_b32_e32 v1, 24, v38
	v_cmp_gt_i64_e32 vcc, 0, v[0:1]
	v_not_b32_e32 v1, v1
	v_ashrrev_i32_e32 v1, 31, v1
	v_xor_b32_e32 v38, vcc_hi, v1
	v_xor_b32_e32 v1, vcc_lo, v1
	; wave barrier
	ds_read_b32 v88, v89 offset:32
	v_and_b32_e32 v39, v69, v38
	v_and_b32_e32 v38, v70, v1
	v_mbcnt_lo_u32_b32 v1, v38, 0
	v_mbcnt_hi_u32_b32 v90, v39, v1
	v_cmp_eq_u32_e32 vcc, 0, v90
	v_cmp_ne_u64_e64 s[16:17], 0, v[38:39]
	s_and_b64 s[20:21], s[16:17], vcc
	; wave barrier
	s_and_saveexec_b64 s[16:17], s[20:21]
	s_cbranch_execz .LBB245_36
; %bb.35:
	v_bcnt_u32_b32 v1, v38, 0
	v_bcnt_u32_b32 v1, v39, v1
	s_waitcnt lgkmcnt(0)
	v_add_u32_e32 v1, v88, v1
	ds_write_b32 v89, v1 offset:32
.LBB245_36:
	s_or_b64 exec, exec, s[16:17]
	v_cmp_ne_u16_e32 vcc, s19, v75
	v_cndmask_b32_e32 v1, v41, v75, vcc
	v_and_b32_sdwa v38, s18, v1 dst_sel:DWORD dst_unused:UNUSED_PAD src0_sel:DWORD src1_sel:WORD_0
	v_lshlrev_b32_e32 v1, 3, v38
	v_add_lshl_u32 v92, v68, v1, 2
	v_and_b32_e32 v1, 1, v38
	v_add_co_u32_e32 v39, vcc, -1, v1
	v_addc_co_u32_e64 v41, s[16:17], 0, -1, vcc
	v_cmp_ne_u32_e32 vcc, 0, v1
	v_xor_b32_e32 v1, vcc_hi, v41
	v_and_b32_e32 v41, exec_hi, v1
	v_lshlrev_b32_e32 v1, 30, v38
	v_xor_b32_e32 v39, vcc_lo, v39
	v_cmp_gt_i64_e32 vcc, 0, v[0:1]
	v_not_b32_e32 v1, v1
	v_ashrrev_i32_e32 v1, 31, v1
	v_and_b32_e32 v39, exec_lo, v39
	v_xor_b32_e32 v69, vcc_hi, v1
	v_xor_b32_e32 v1, vcc_lo, v1
	v_and_b32_e32 v39, v39, v1
	v_lshlrev_b32_e32 v1, 29, v38
	v_cmp_gt_i64_e32 vcc, 0, v[0:1]
	v_not_b32_e32 v1, v1
	v_ashrrev_i32_e32 v1, 31, v1
	v_and_b32_e32 v41, v41, v69
	v_xor_b32_e32 v69, vcc_hi, v1
	v_xor_b32_e32 v1, vcc_lo, v1
	v_and_b32_e32 v39, v39, v1
	v_lshlrev_b32_e32 v1, 28, v38
	v_cmp_gt_i64_e32 vcc, 0, v[0:1]
	v_not_b32_e32 v1, v1
	v_ashrrev_i32_e32 v1, 31, v1
	v_and_b32_e32 v41, v41, v69
	;; [unrolled: 8-line block ×5, first 2 shown]
	v_xor_b32_e32 v69, vcc_hi, v1
	v_xor_b32_e32 v1, vcc_lo, v1
	v_and_b32_e32 v39, v39, v1
	v_lshlrev_b32_e32 v1, 24, v38
	v_cmp_gt_i64_e32 vcc, 0, v[0:1]
	v_not_b32_e32 v0, v1
	v_ashrrev_i32_e32 v0, 31, v0
	v_xor_b32_e32 v1, vcc_hi, v0
	v_xor_b32_e32 v0, vcc_lo, v0
	; wave barrier
	ds_read_b32 v91, v92 offset:32
	v_and_b32_e32 v41, v41, v69
	v_and_b32_e32 v0, v39, v0
	;; [unrolled: 1-line block ×3, first 2 shown]
	v_mbcnt_lo_u32_b32 v38, v0, 0
	v_mbcnt_hi_u32_b32 v93, v1, v38
	v_cmp_eq_u32_e32 vcc, 0, v93
	v_cmp_ne_u64_e64 s[16:17], 0, v[0:1]
	s_and_b64 s[20:21], s[16:17], vcc
	; wave barrier
	s_and_saveexec_b64 s[16:17], s[20:21]
	s_cbranch_execz .LBB245_38
; %bb.37:
	v_bcnt_u32_b32 v0, v0, 0
	v_bcnt_u32_b32 v0, v1, v0
	s_waitcnt lgkmcnt(0)
	v_add_u32_e32 v0, v91, v0
	ds_write_b32 v92, v0 offset:32
.LBB245_38:
	s_or_b64 exec, exec, s[16:17]
	v_mov_b32_e32 v41, 0xffff8000
	v_cmp_ne_u16_e32 vcc, s19, v74
	v_cndmask_b32_e32 v0, v41, v74, vcc
	v_and_b32_sdwa v38, s18, v0 dst_sel:DWORD dst_unused:UNUSED_PAD src0_sel:DWORD src1_sel:WORD_0
	v_and_b32_e32 v1, 1, v38
	v_add_co_u32_e32 v39, vcc, -1, v1
	v_addc_co_u32_e64 v69, s[16:17], 0, -1, vcc
	v_cmp_ne_u32_e32 vcc, 0, v1
	v_lshlrev_b32_e32 v0, 3, v38
	v_xor_b32_e32 v1, vcc_hi, v69
	v_add_lshl_u32 v95, v68, v0, 2
	v_mov_b32_e32 v0, 0
	v_and_b32_e32 v69, exec_hi, v1
	v_lshlrev_b32_e32 v1, 30, v38
	v_xor_b32_e32 v39, vcc_lo, v39
	v_cmp_gt_i64_e32 vcc, 0, v[0:1]
	v_not_b32_e32 v1, v1
	v_ashrrev_i32_e32 v1, 31, v1
	v_and_b32_e32 v39, exec_lo, v39
	v_xor_b32_e32 v70, vcc_hi, v1
	v_xor_b32_e32 v1, vcc_lo, v1
	v_and_b32_e32 v39, v39, v1
	v_lshlrev_b32_e32 v1, 29, v38
	v_cmp_gt_i64_e32 vcc, 0, v[0:1]
	v_not_b32_e32 v1, v1
	v_ashrrev_i32_e32 v1, 31, v1
	v_and_b32_e32 v69, v69, v70
	v_xor_b32_e32 v70, vcc_hi, v1
	v_xor_b32_e32 v1, vcc_lo, v1
	v_and_b32_e32 v39, v39, v1
	v_lshlrev_b32_e32 v1, 28, v38
	v_cmp_gt_i64_e32 vcc, 0, v[0:1]
	v_not_b32_e32 v1, v1
	v_ashrrev_i32_e32 v1, 31, v1
	v_and_b32_e32 v69, v69, v70
	;; [unrolled: 8-line block ×5, first 2 shown]
	v_xor_b32_e32 v70, vcc_hi, v1
	v_xor_b32_e32 v1, vcc_lo, v1
	v_and_b32_e32 v69, v69, v70
	v_and_b32_e32 v70, v39, v1
	v_lshlrev_b32_e32 v1, 24, v38
	v_cmp_gt_i64_e32 vcc, 0, v[0:1]
	v_not_b32_e32 v1, v1
	v_ashrrev_i32_e32 v1, 31, v1
	v_xor_b32_e32 v38, vcc_hi, v1
	v_xor_b32_e32 v1, vcc_lo, v1
	; wave barrier
	ds_read_b32 v94, v95 offset:32
	v_and_b32_e32 v39, v69, v38
	v_and_b32_e32 v38, v70, v1
	v_mbcnt_lo_u32_b32 v1, v38, 0
	v_mbcnt_hi_u32_b32 v96, v39, v1
	v_cmp_eq_u32_e32 vcc, 0, v96
	v_cmp_ne_u64_e64 s[16:17], 0, v[38:39]
	s_and_b64 s[20:21], s[16:17], vcc
	; wave barrier
	s_and_saveexec_b64 s[16:17], s[20:21]
	s_cbranch_execz .LBB245_40
; %bb.39:
	v_bcnt_u32_b32 v1, v38, 0
	v_bcnt_u32_b32 v1, v39, v1
	s_waitcnt lgkmcnt(0)
	v_add_u32_e32 v1, v94, v1
	ds_write_b32 v95, v1 offset:32
.LBB245_40:
	s_or_b64 exec, exec, s[16:17]
	v_cmp_ne_u16_e32 vcc, s19, v73
	v_cndmask_b32_e32 v1, v41, v73, vcc
	v_and_b32_sdwa v38, s18, v1 dst_sel:DWORD dst_unused:UNUSED_PAD src0_sel:DWORD src1_sel:WORD_0
	v_lshlrev_b32_e32 v1, 3, v38
	v_add_lshl_u32 v98, v68, v1, 2
	v_and_b32_e32 v1, 1, v38
	v_add_co_u32_e32 v39, vcc, -1, v1
	v_addc_co_u32_e64 v41, s[16:17], 0, -1, vcc
	v_cmp_ne_u32_e32 vcc, 0, v1
	v_xor_b32_e32 v1, vcc_hi, v41
	v_and_b32_e32 v41, exec_hi, v1
	v_lshlrev_b32_e32 v1, 30, v38
	v_xor_b32_e32 v39, vcc_lo, v39
	v_cmp_gt_i64_e32 vcc, 0, v[0:1]
	v_not_b32_e32 v1, v1
	v_ashrrev_i32_e32 v1, 31, v1
	v_and_b32_e32 v39, exec_lo, v39
	v_xor_b32_e32 v69, vcc_hi, v1
	v_xor_b32_e32 v1, vcc_lo, v1
	v_and_b32_e32 v39, v39, v1
	v_lshlrev_b32_e32 v1, 29, v38
	v_cmp_gt_i64_e32 vcc, 0, v[0:1]
	v_not_b32_e32 v1, v1
	v_ashrrev_i32_e32 v1, 31, v1
	v_and_b32_e32 v41, v41, v69
	v_xor_b32_e32 v69, vcc_hi, v1
	v_xor_b32_e32 v1, vcc_lo, v1
	v_and_b32_e32 v39, v39, v1
	v_lshlrev_b32_e32 v1, 28, v38
	v_cmp_gt_i64_e32 vcc, 0, v[0:1]
	v_not_b32_e32 v1, v1
	v_ashrrev_i32_e32 v1, 31, v1
	v_and_b32_e32 v41, v41, v69
	;; [unrolled: 8-line block ×5, first 2 shown]
	v_xor_b32_e32 v69, vcc_hi, v1
	v_xor_b32_e32 v1, vcc_lo, v1
	v_and_b32_e32 v39, v39, v1
	v_lshlrev_b32_e32 v1, 24, v38
	v_cmp_gt_i64_e32 vcc, 0, v[0:1]
	v_not_b32_e32 v0, v1
	v_ashrrev_i32_e32 v0, 31, v0
	v_xor_b32_e32 v1, vcc_hi, v0
	v_xor_b32_e32 v0, vcc_lo, v0
	; wave barrier
	ds_read_b32 v97, v98 offset:32
	v_and_b32_e32 v41, v41, v69
	v_and_b32_e32 v0, v39, v0
	;; [unrolled: 1-line block ×3, first 2 shown]
	v_mbcnt_lo_u32_b32 v38, v0, 0
	v_mbcnt_hi_u32_b32 v99, v1, v38
	v_cmp_eq_u32_e32 vcc, 0, v99
	v_cmp_ne_u64_e64 s[16:17], 0, v[0:1]
	s_and_b64 s[20:21], s[16:17], vcc
	; wave barrier
	s_and_saveexec_b64 s[16:17], s[20:21]
	s_cbranch_execz .LBB245_42
; %bb.41:
	v_bcnt_u32_b32 v0, v0, 0
	v_bcnt_u32_b32 v0, v1, v0
	s_waitcnt lgkmcnt(0)
	v_add_u32_e32 v0, v97, v0
	ds_write_b32 v98, v0 offset:32
.LBB245_42:
	s_or_b64 exec, exec, s[16:17]
	v_mov_b32_e32 v41, 0xffff8000
	v_cmp_ne_u16_e32 vcc, s19, v72
	v_cndmask_b32_e32 v0, v41, v72, vcc
	v_and_b32_sdwa v38, s18, v0 dst_sel:DWORD dst_unused:UNUSED_PAD src0_sel:DWORD src1_sel:WORD_0
	v_and_b32_e32 v1, 1, v38
	v_add_co_u32_e32 v39, vcc, -1, v1
	v_addc_co_u32_e64 v69, s[16:17], 0, -1, vcc
	v_cmp_ne_u32_e32 vcc, 0, v1
	v_lshlrev_b32_e32 v0, 3, v38
	v_xor_b32_e32 v1, vcc_hi, v69
	v_add_lshl_u32 v101, v68, v0, 2
	v_mov_b32_e32 v0, 0
	v_and_b32_e32 v69, exec_hi, v1
	v_lshlrev_b32_e32 v1, 30, v38
	v_xor_b32_e32 v39, vcc_lo, v39
	v_cmp_gt_i64_e32 vcc, 0, v[0:1]
	v_not_b32_e32 v1, v1
	v_ashrrev_i32_e32 v1, 31, v1
	v_and_b32_e32 v39, exec_lo, v39
	v_xor_b32_e32 v70, vcc_hi, v1
	v_xor_b32_e32 v1, vcc_lo, v1
	v_and_b32_e32 v39, v39, v1
	v_lshlrev_b32_e32 v1, 29, v38
	v_cmp_gt_i64_e32 vcc, 0, v[0:1]
	v_not_b32_e32 v1, v1
	v_ashrrev_i32_e32 v1, 31, v1
	v_and_b32_e32 v69, v69, v70
	v_xor_b32_e32 v70, vcc_hi, v1
	v_xor_b32_e32 v1, vcc_lo, v1
	v_and_b32_e32 v39, v39, v1
	v_lshlrev_b32_e32 v1, 28, v38
	v_cmp_gt_i64_e32 vcc, 0, v[0:1]
	v_not_b32_e32 v1, v1
	v_ashrrev_i32_e32 v1, 31, v1
	v_and_b32_e32 v69, v69, v70
	;; [unrolled: 8-line block ×5, first 2 shown]
	v_xor_b32_e32 v70, vcc_hi, v1
	v_xor_b32_e32 v1, vcc_lo, v1
	v_and_b32_e32 v69, v69, v70
	v_and_b32_e32 v70, v39, v1
	v_lshlrev_b32_e32 v1, 24, v38
	v_cmp_gt_i64_e32 vcc, 0, v[0:1]
	v_not_b32_e32 v1, v1
	v_ashrrev_i32_e32 v1, 31, v1
	v_xor_b32_e32 v38, vcc_hi, v1
	v_xor_b32_e32 v1, vcc_lo, v1
	; wave barrier
	ds_read_b32 v100, v101 offset:32
	v_and_b32_e32 v39, v69, v38
	v_and_b32_e32 v38, v70, v1
	v_mbcnt_lo_u32_b32 v1, v38, 0
	v_mbcnt_hi_u32_b32 v102, v39, v1
	v_cmp_eq_u32_e32 vcc, 0, v102
	v_cmp_ne_u64_e64 s[16:17], 0, v[38:39]
	s_and_b64 s[20:21], s[16:17], vcc
	; wave barrier
	s_and_saveexec_b64 s[16:17], s[20:21]
	s_cbranch_execz .LBB245_44
; %bb.43:
	v_bcnt_u32_b32 v1, v38, 0
	v_bcnt_u32_b32 v1, v39, v1
	s_waitcnt lgkmcnt(0)
	v_add_u32_e32 v1, v100, v1
	ds_write_b32 v101, v1 offset:32
.LBB245_44:
	s_or_b64 exec, exec, s[16:17]
	v_cmp_ne_u16_e32 vcc, s19, v71
	v_cndmask_b32_e32 v1, v41, v71, vcc
	v_and_b32_sdwa v38, s18, v1 dst_sel:DWORD dst_unused:UNUSED_PAD src0_sel:DWORD src1_sel:WORD_0
	v_lshlrev_b32_e32 v1, 3, v38
	v_add_lshl_u32 v104, v68, v1, 2
	v_and_b32_e32 v1, 1, v38
	v_add_co_u32_e32 v39, vcc, -1, v1
	v_min_u32_e32 v80, 0x1c0, v40
	v_addc_co_u32_e64 v40, s[16:17], 0, -1, vcc
	v_cmp_ne_u32_e32 vcc, 0, v1
	v_xor_b32_e32 v1, vcc_hi, v40
	v_and_b32_e32 v40, exec_hi, v1
	v_lshlrev_b32_e32 v1, 30, v38
	v_xor_b32_e32 v39, vcc_lo, v39
	v_cmp_gt_i64_e32 vcc, 0, v[0:1]
	v_not_b32_e32 v1, v1
	v_ashrrev_i32_e32 v1, 31, v1
	v_and_b32_e32 v39, exec_lo, v39
	v_xor_b32_e32 v41, vcc_hi, v1
	v_xor_b32_e32 v1, vcc_lo, v1
	v_and_b32_e32 v39, v39, v1
	v_lshlrev_b32_e32 v1, 29, v38
	v_cmp_gt_i64_e32 vcc, 0, v[0:1]
	v_not_b32_e32 v1, v1
	v_ashrrev_i32_e32 v1, 31, v1
	v_and_b32_e32 v40, v40, v41
	v_xor_b32_e32 v41, vcc_hi, v1
	v_xor_b32_e32 v1, vcc_lo, v1
	v_and_b32_e32 v39, v39, v1
	v_lshlrev_b32_e32 v1, 28, v38
	v_cmp_gt_i64_e32 vcc, 0, v[0:1]
	v_not_b32_e32 v1, v1
	v_ashrrev_i32_e32 v1, 31, v1
	v_and_b32_e32 v40, v40, v41
	;; [unrolled: 8-line block ×5, first 2 shown]
	v_xor_b32_e32 v41, vcc_hi, v1
	v_xor_b32_e32 v1, vcc_lo, v1
	v_and_b32_e32 v39, v39, v1
	v_lshlrev_b32_e32 v1, 24, v38
	v_cmp_gt_i64_e32 vcc, 0, v[0:1]
	v_not_b32_e32 v0, v1
	v_ashrrev_i32_e32 v0, 31, v0
	v_xor_b32_e32 v1, vcc_hi, v0
	v_xor_b32_e32 v0, vcc_lo, v0
	; wave barrier
	ds_read_b32 v103, v104 offset:32
	v_and_b32_e32 v40, v40, v41
	v_and_b32_e32 v0, v39, v0
	;; [unrolled: 1-line block ×3, first 2 shown]
	v_mbcnt_lo_u32_b32 v38, v0, 0
	v_mbcnt_hi_u32_b32 v105, v1, v38
	v_cmp_eq_u32_e32 vcc, 0, v105
	v_cmp_ne_u64_e64 s[16:17], 0, v[0:1]
	v_add_u32_e32 v69, 32, v64
	v_lshrrev_b32_e32 v70, 6, v46
	s_and_b64 s[18:19], s[16:17], vcc
	; wave barrier
	s_and_saveexec_b64 s[16:17], s[18:19]
	s_cbranch_execz .LBB245_46
; %bb.45:
	v_bcnt_u32_b32 v0, v0, 0
	v_bcnt_u32_b32 v0, v1, v0
	s_waitcnt lgkmcnt(0)
	v_add_u32_e32 v0, v103, v0
	ds_write_b32 v104, v0 offset:32
.LBB245_46:
	s_or_b64 exec, exec, s[16:17]
	; wave barrier
	s_waitcnt lgkmcnt(0)
	s_barrier
	ds_read2_b32 v[38:39], v64 offset0:8 offset1:9
	ds_read2_b32 v[40:41], v69 offset0:2 offset1:3
	v_and_b32_e32 v1, 16, v76
	v_cmp_eq_u32_e32 vcc, 0, v1
	v_or_b32_e32 v1, 63, v80
	v_cmp_eq_u32_e64 s[16:17], v1, v46
	s_waitcnt lgkmcnt(1)
	v_add_u32_e32 v1, v39, v38
	v_and_b32_e32 v0, 15, v76
	s_waitcnt lgkmcnt(0)
	v_add3_u32 v1, v1, v40, v41
	v_cmp_eq_u32_e64 s[24:25], 0, v0
	v_cmp_lt_u32_e64 s[26:27], 1, v0
	v_mov_b32_dpp v41, v1 row_shr:1 row_mask:0xf bank_mask:0xf
	v_cndmask_b32_e64 v41, v41, 0, s[24:25]
	v_add_u32_e32 v1, v41, v1
	v_cmp_lt_u32_e64 s[30:31], 3, v0
	v_cmp_lt_u32_e64 s[34:35], 7, v0
	v_mov_b32_dpp v41, v1 row_shr:2 row_mask:0xf bank_mask:0xf
	v_cndmask_b32_e64 v41, 0, v41, s[26:27]
	v_add_u32_e32 v1, v1, v41
	v_bfe_i32 v81, v76, 4, 1
	v_cmp_lt_u32_e64 s[36:37], 31, v76
	v_mov_b32_dpp v41, v1 row_shr:4 row_mask:0xf bank_mask:0xf
	v_cndmask_b32_e64 v41, 0, v41, s[30:31]
	v_add_u32_e32 v1, v1, v41
	v_lshlrev_b32_e32 v70, 2, v70
	s_nop 0
	v_mov_b32_dpp v41, v1 row_shr:8 row_mask:0xf bank_mask:0xf
	v_cndmask_b32_e64 v0, 0, v41, s[34:35]
	v_add_u32_e32 v0, v1, v0
	s_nop 1
	v_mov_b32_dpp v1, v0 row_bcast:15 row_mask:0xf bank_mask:0xf
	v_and_b32_e32 v1, v81, v1
	v_add_u32_e32 v0, v0, v1
	s_nop 1
	v_mov_b32_dpp v1, v0 row_bcast:31 row_mask:0xf bank_mask:0xf
	v_cndmask_b32_e64 v1, 0, v1, s[36:37]
	v_add_u32_e32 v1, v0, v1
	s_and_saveexec_b64 s[18:19], s[16:17]
	s_cbranch_execz .LBB245_48
; %bb.47:
	ds_write_b32 v70, v1
.LBB245_48:
	s_or_b64 exec, exec, s[18:19]
	v_and_b32_e32 v0, 7, v76
	v_cmp_gt_u32_e64 s[28:29], 8, v46
	v_lshlrev_b32_e32 v41, 2, v46
	v_cmp_eq_u32_e64 s[22:23], 0, v0
	v_cmp_lt_u32_e64 s[20:21], 1, v0
	v_cmp_lt_u32_e64 s[18:19], 3, v0
	s_waitcnt lgkmcnt(0)
	s_barrier
	s_and_saveexec_b64 s[38:39], s[28:29]
	s_cbranch_execz .LBB245_50
; %bb.49:
	ds_read_b32 v0, v41
	s_waitcnt lgkmcnt(0)
	s_nop 0
	v_mov_b32_dpp v80, v0 row_shr:1 row_mask:0xf bank_mask:0xf
	v_cndmask_b32_e64 v80, v80, 0, s[22:23]
	v_add_u32_e32 v0, v80, v0
	s_nop 1
	v_mov_b32_dpp v80, v0 row_shr:2 row_mask:0xf bank_mask:0xf
	v_cndmask_b32_e64 v80, 0, v80, s[20:21]
	v_add_u32_e32 v0, v0, v80
	;; [unrolled: 4-line block ×3, first 2 shown]
	ds_write_b32 v41, v0
.LBB245_50:
	s_or_b64 exec, exec, s[38:39]
	v_cmp_lt_u32_e64 s[38:39], 63, v46
	v_add_u32_e32 v80, -4, v70
	v_mov_b32_e32 v0, 0
	v_mov_b32_e32 v106, 0
	s_waitcnt lgkmcnt(0)
	s_barrier
	s_and_saveexec_b64 s[40:41], s[38:39]
	s_cbranch_execz .LBB245_52
; %bb.51:
	ds_read_b32 v106, v80
.LBB245_52:
	s_or_b64 exec, exec, s[40:41]
	v_add_u32_e32 v81, -1, v76
	v_and_b32_e32 v107, 64, v76
	v_cmp_lt_i32_e64 s[40:41], v81, v107
	v_cndmask_b32_e64 v81, v81, v76, s[40:41]
	v_lshlrev_b32_e32 v81, 2, v81
	s_waitcnt lgkmcnt(0)
	v_add_u32_e32 v1, v106, v1
	ds_bpermute_b32 v1, v81, v1
	v_cmp_eq_u32_e64 s[40:41], 0, v76
	v_cmp_eq_u32_e64 s[42:43], 0, v46
	v_and_or_b32 v82, v76, 63, v82
	v_lshlrev_b32_e32 v107, 1, v82
	s_waitcnt lgkmcnt(0)
	v_cndmask_b32_e64 v1, v1, v106, s[40:41]
	v_cndmask_b32_e64 v1, v1, 0, s[42:43]
	v_add_u32_e32 v38, v1, v38
	v_add_u32_e32 v39, v38, v39
	;; [unrolled: 1-line block ×3, first 2 shown]
	ds_write2_b32 v64, v1, v38 offset0:8 offset1:9
	ds_write2_b32 v69, v39, v40 offset0:2 offset1:3
	s_waitcnt lgkmcnt(0)
	s_barrier
	ds_read_b32 v1, v83 offset:32
	ds_read_b32 v38, v86 offset:32
	;; [unrolled: 1-line block ×8, first 2 shown]
	s_waitcnt lgkmcnt(7)
	v_add_u32_e32 v1, v1, v84
	s_waitcnt lgkmcnt(6)
	v_add3_u32 v38, v87, v85, v38
	s_waitcnt lgkmcnt(4)
	v_add3_u32 v84, v93, v91, v40
	v_lshlrev_b32_e32 v40, 1, v1
	v_add3_u32 v39, v90, v88, v39
	s_waitcnt lgkmcnt(0)
	s_barrier
	ds_write_b16 v40, v79
	v_lshlrev_b32_e32 v40, 1, v38
	ds_write_b16 v40, v78
	v_lshlrev_b32_e32 v40, 1, v39
	v_add3_u32 v85, v96, v94, v76
	ds_write_b16 v40, v77
	v_lshlrev_b32_e32 v40, 1, v84
	v_add3_u32 v83, v99, v97, v83
	ds_write_b16 v40, v75
	v_lshlrev_b32_e32 v40, 1, v85
	v_add3_u32 v86, v102, v100, v86
	ds_write_b16 v40, v74
	v_lshlrev_b32_e32 v40, 1, v83
	v_add3_u32 v87, v105, v103, v89
	ds_write_b16 v40, v73
	v_lshlrev_b32_e32 v40, 1, v86
	ds_write_b16 v40, v72
	v_lshlrev_b32_e32 v40, 1, v87
	v_lshlrev_b32_e32 v1, 3, v1
	ds_write_b16 v40, v71
	s_waitcnt lgkmcnt(0)
	s_barrier
	ds_read_u16 v77, v107
	ds_read_u16 v76, v107 offset:128
	ds_read_u16 v75, v107 offset:256
	;; [unrolled: 1-line block ×7, first 2 shown]
	s_waitcnt lgkmcnt(0)
	s_barrier
	ds_write_b64 v1, v[34:35]
	v_lshlrev_b32_e32 v1, 3, v38
	ds_write_b64 v1, v[36:37]
	v_lshlrev_b32_e32 v1, 3, v39
	;; [unrolled: 2-line block ×6, first 2 shown]
	s_min_u32 s44, s44, 8
	ds_write_b64 v1, v[22:23]
	v_lshlrev_b32_e32 v1, 3, v87
	s_lshl_b32 s44, -1, s44
	s_movk_i32 s56, 0x7fff
	ds_write_b64 v1, v[24:25]
	s_not_b32 s53, s44
	v_lshrrev_b16_e32 v1, 8, v77
	v_mov_b32_e32 v38, 0x80
	v_cmp_ne_u16_e64 s[44:45], s56, v77
	v_cndmask_b32_e64 v1, v38, v1, s[44:45]
	v_and_b32_sdwa v39, v1, s53 dst_sel:DWORD dst_unused:UNUSED_PAD src0_sel:WORD_0 src1_sel:DWORD
	v_lshlrev_b32_e32 v1, 3, v39
	v_add_lshl_u32 v78, v1, v68, 2
	v_and_b32_e32 v1, 1, v39
	v_lshlrev_b32_e32 v82, 3, v82
	v_add_co_u32_e64 v79, s[44:45], -1, v1
	s_waitcnt lgkmcnt(0)
	s_barrier
	ds_read2st64_b64 v[34:37], v82 offset1:1
	ds_read2st64_b64 v[30:33], v82 offset0:2 offset1:3
	ds_read2st64_b64 v[26:29], v82 offset0:4 offset1:5
	;; [unrolled: 1-line block ×3, first 2 shown]
	v_addc_co_u32_e64 v82, s[44:45], 0, -1, s[44:45]
	v_cmp_ne_u32_e64 s[44:45], 0, v1
	v_xor_b32_e32 v1, s45, v82
	v_and_b32_e32 v82, exec_hi, v1
	v_lshlrev_b32_e32 v1, 30, v39
	v_xor_b32_e32 v79, s44, v79
	v_cmp_gt_i64_e64 s[44:45], 0, v[0:1]
	v_not_b32_e32 v1, v1
	v_ashrrev_i32_e32 v1, 31, v1
	v_and_b32_e32 v79, exec_lo, v79
	v_xor_b32_e32 v83, s45, v1
	v_xor_b32_e32 v1, s44, v1
	v_and_b32_e32 v79, v79, v1
	v_lshlrev_b32_e32 v1, 29, v39
	v_cmp_gt_i64_e64 s[44:45], 0, v[0:1]
	v_not_b32_e32 v1, v1
	v_ashrrev_i32_e32 v1, 31, v1
	v_and_b32_e32 v82, v82, v83
	v_xor_b32_e32 v83, s45, v1
	v_xor_b32_e32 v1, s44, v1
	v_and_b32_e32 v79, v79, v1
	v_lshlrev_b32_e32 v1, 28, v39
	v_cmp_gt_i64_e64 s[44:45], 0, v[0:1]
	v_not_b32_e32 v1, v1
	v_ashrrev_i32_e32 v1, 31, v1
	v_and_b32_e32 v82, v82, v83
	;; [unrolled: 8-line block ×5, first 2 shown]
	v_xor_b32_e32 v83, s45, v1
	v_xor_b32_e32 v1, s44, v1
	v_and_b32_e32 v79, v79, v1
	v_lshlrev_b32_e32 v1, 24, v39
	s_waitcnt lgkmcnt(0)
	s_barrier
	ds_write2_b32 v64, v0, v0 offset0:8 offset1:9
	ds_write2_b32 v69, v0, v0 offset0:2 offset1:3
	v_cmp_gt_i64_e64 s[44:45], 0, v[0:1]
	v_not_b32_e32 v0, v1
	v_ashrrev_i32_e32 v0, 31, v0
	v_xor_b32_e32 v1, s45, v0
	v_xor_b32_e32 v0, s44, v0
	v_and_b32_e32 v82, v82, v83
	v_and_b32_e32 v0, v79, v0
	;; [unrolled: 1-line block ×3, first 2 shown]
	v_mbcnt_lo_u32_b32 v39, v0, 0
	v_mbcnt_hi_u32_b32 v79, v1, v39
	v_cmp_eq_u32_e64 s[44:45], 0, v79
	v_cmp_ne_u64_e64 s[46:47], 0, v[0:1]
	s_and_b64 s[46:47], s[46:47], s[44:45]
	s_waitcnt lgkmcnt(0)
	s_barrier
	s_waitcnt lgkmcnt(0)
	; wave barrier
	s_and_saveexec_b64 s[44:45], s[46:47]
	s_cbranch_execz .LBB245_54
; %bb.53:
	v_bcnt_u32_b32 v0, v0, 0
	v_bcnt_u32_b32 v0, v1, v0
	ds_write_b32 v78, v0 offset:32
.LBB245_54:
	s_or_b64 exec, exec, s[44:45]
	v_lshrrev_b16_e32 v0, 8, v76
	v_cmp_ne_u16_e64 s[44:45], s56, v76
	v_cndmask_b32_e64 v0, v38, v0, s[44:45]
	v_and_b32_e32 v38, s53, v0
	v_and_b32_e32 v1, 1, v38
	v_add_co_u32_e64 v39, s[44:45], -1, v1
	v_addc_co_u32_e64 v84, s[44:45], 0, -1, s[44:45]
	v_cmp_ne_u32_e64 s[44:45], 0, v1
	v_lshlrev_b32_e32 v0, 3, v38
	v_xor_b32_e32 v1, s45, v84
	v_add_lshl_u32 v83, v0, v68, 2
	v_mov_b32_e32 v0, 0
	v_and_b32_e32 v84, exec_hi, v1
	v_lshlrev_b32_e32 v1, 30, v38
	v_xor_b32_e32 v39, s44, v39
	v_cmp_gt_i64_e64 s[44:45], 0, v[0:1]
	v_not_b32_e32 v1, v1
	v_ashrrev_i32_e32 v1, 31, v1
	v_and_b32_e32 v39, exec_lo, v39
	v_xor_b32_e32 v85, s45, v1
	v_xor_b32_e32 v1, s44, v1
	v_and_b32_e32 v39, v39, v1
	v_lshlrev_b32_e32 v1, 29, v38
	v_cmp_gt_i64_e64 s[44:45], 0, v[0:1]
	v_not_b32_e32 v1, v1
	v_ashrrev_i32_e32 v1, 31, v1
	v_and_b32_e32 v84, v84, v85
	v_xor_b32_e32 v85, s45, v1
	v_xor_b32_e32 v1, s44, v1
	v_and_b32_e32 v39, v39, v1
	v_lshlrev_b32_e32 v1, 28, v38
	v_cmp_gt_i64_e64 s[44:45], 0, v[0:1]
	v_not_b32_e32 v1, v1
	v_ashrrev_i32_e32 v1, 31, v1
	v_and_b32_e32 v84, v84, v85
	v_xor_b32_e32 v85, s45, v1
	v_xor_b32_e32 v1, s44, v1
	v_and_b32_e32 v39, v39, v1
	v_lshlrev_b32_e32 v1, 27, v38
	v_cmp_gt_i64_e64 s[44:45], 0, v[0:1]
	v_not_b32_e32 v1, v1
	v_ashrrev_i32_e32 v1, 31, v1
	v_and_b32_e32 v84, v84, v85
	v_xor_b32_e32 v85, s45, v1
	v_xor_b32_e32 v1, s44, v1
	v_and_b32_e32 v39, v39, v1
	v_lshlrev_b32_e32 v1, 26, v38
	v_cmp_gt_i64_e64 s[44:45], 0, v[0:1]
	v_not_b32_e32 v1, v1
	v_ashrrev_i32_e32 v1, 31, v1
	v_and_b32_e32 v84, v84, v85
	v_xor_b32_e32 v85, s45, v1
	v_xor_b32_e32 v1, s44, v1
	v_and_b32_e32 v39, v39, v1
	v_lshlrev_b32_e32 v1, 25, v38
	v_cmp_gt_i64_e64 s[44:45], 0, v[0:1]
	v_not_b32_e32 v1, v1
	v_ashrrev_i32_e32 v1, 31, v1
	v_and_b32_e32 v84, v84, v85
	v_xor_b32_e32 v85, s45, v1
	v_xor_b32_e32 v1, s44, v1
	v_and_b32_e32 v84, v84, v85
	v_and_b32_e32 v85, v39, v1
	v_lshlrev_b32_e32 v1, 24, v38
	v_cmp_gt_i64_e64 s[44:45], 0, v[0:1]
	v_not_b32_e32 v1, v1
	v_ashrrev_i32_e32 v1, 31, v1
	v_xor_b32_e32 v38, s45, v1
	v_xor_b32_e32 v1, s44, v1
	; wave barrier
	ds_read_b32 v82, v83 offset:32
	v_and_b32_e32 v39, v84, v38
	v_and_b32_e32 v38, v85, v1
	v_mbcnt_lo_u32_b32 v1, v38, 0
	v_mbcnt_hi_u32_b32 v84, v39, v1
	v_cmp_eq_u32_e64 s[44:45], 0, v84
	v_cmp_ne_u64_e64 s[46:47], 0, v[38:39]
	s_and_b64 s[46:47], s[46:47], s[44:45]
	; wave barrier
	s_and_saveexec_b64 s[44:45], s[46:47]
	s_cbranch_execz .LBB245_56
; %bb.55:
	v_bcnt_u32_b32 v1, v38, 0
	v_bcnt_u32_b32 v1, v39, v1
	s_waitcnt lgkmcnt(0)
	v_add_u32_e32 v1, v82, v1
	ds_write_b32 v83, v1 offset:32
.LBB245_56:
	s_or_b64 exec, exec, s[44:45]
	v_lshrrev_b16_e32 v1, 8, v75
	v_mov_b32_e32 v38, 0x80
	v_cmp_ne_u16_e64 s[44:45], s56, v75
	v_cndmask_b32_e64 v1, v38, v1, s[44:45]
	v_and_b32_e32 v39, s53, v1
	v_lshlrev_b32_e32 v1, 3, v39
	v_add_lshl_u32 v86, v1, v68, 2
	v_and_b32_e32 v1, 1, v39
	v_add_co_u32_e64 v87, s[44:45], -1, v1
	v_addc_co_u32_e64 v88, s[44:45], 0, -1, s[44:45]
	v_cmp_ne_u32_e64 s[44:45], 0, v1
	v_xor_b32_e32 v1, s45, v88
	v_and_b32_e32 v88, exec_hi, v1
	v_lshlrev_b32_e32 v1, 30, v39
	v_xor_b32_e32 v87, s44, v87
	v_cmp_gt_i64_e64 s[44:45], 0, v[0:1]
	v_not_b32_e32 v1, v1
	v_ashrrev_i32_e32 v1, 31, v1
	v_and_b32_e32 v87, exec_lo, v87
	v_xor_b32_e32 v89, s45, v1
	v_xor_b32_e32 v1, s44, v1
	v_and_b32_e32 v87, v87, v1
	v_lshlrev_b32_e32 v1, 29, v39
	v_cmp_gt_i64_e64 s[44:45], 0, v[0:1]
	v_not_b32_e32 v1, v1
	v_ashrrev_i32_e32 v1, 31, v1
	v_and_b32_e32 v88, v88, v89
	v_xor_b32_e32 v89, s45, v1
	v_xor_b32_e32 v1, s44, v1
	v_and_b32_e32 v87, v87, v1
	v_lshlrev_b32_e32 v1, 28, v39
	v_cmp_gt_i64_e64 s[44:45], 0, v[0:1]
	v_not_b32_e32 v1, v1
	v_ashrrev_i32_e32 v1, 31, v1
	v_and_b32_e32 v88, v88, v89
	;; [unrolled: 8-line block ×5, first 2 shown]
	v_xor_b32_e32 v89, s45, v1
	v_xor_b32_e32 v1, s44, v1
	v_and_b32_e32 v87, v87, v1
	v_lshlrev_b32_e32 v1, 24, v39
	v_cmp_gt_i64_e64 s[44:45], 0, v[0:1]
	v_not_b32_e32 v0, v1
	v_ashrrev_i32_e32 v0, 31, v0
	v_xor_b32_e32 v1, s45, v0
	v_xor_b32_e32 v0, s44, v0
	; wave barrier
	ds_read_b32 v85, v86 offset:32
	v_and_b32_e32 v88, v88, v89
	v_and_b32_e32 v0, v87, v0
	;; [unrolled: 1-line block ×3, first 2 shown]
	v_mbcnt_lo_u32_b32 v39, v0, 0
	v_mbcnt_hi_u32_b32 v87, v1, v39
	v_cmp_eq_u32_e64 s[44:45], 0, v87
	v_cmp_ne_u64_e64 s[46:47], 0, v[0:1]
	s_and_b64 s[46:47], s[46:47], s[44:45]
	; wave barrier
	s_and_saveexec_b64 s[44:45], s[46:47]
	s_cbranch_execz .LBB245_58
; %bb.57:
	v_bcnt_u32_b32 v0, v0, 0
	v_bcnt_u32_b32 v0, v1, v0
	s_waitcnt lgkmcnt(0)
	v_add_u32_e32 v0, v85, v0
	ds_write_b32 v86, v0 offset:32
.LBB245_58:
	s_or_b64 exec, exec, s[44:45]
	v_lshrrev_b16_e32 v0, 8, v74
	v_cmp_ne_u16_e64 s[44:45], s56, v74
	v_cndmask_b32_e64 v0, v38, v0, s[44:45]
	v_and_b32_e32 v38, s53, v0
	v_and_b32_e32 v1, 1, v38
	v_add_co_u32_e64 v39, s[44:45], -1, v1
	v_addc_co_u32_e64 v90, s[44:45], 0, -1, s[44:45]
	v_cmp_ne_u32_e64 s[44:45], 0, v1
	v_lshlrev_b32_e32 v0, 3, v38
	v_xor_b32_e32 v1, s45, v90
	v_add_lshl_u32 v89, v0, v68, 2
	v_mov_b32_e32 v0, 0
	v_and_b32_e32 v90, exec_hi, v1
	v_lshlrev_b32_e32 v1, 30, v38
	v_xor_b32_e32 v39, s44, v39
	v_cmp_gt_i64_e64 s[44:45], 0, v[0:1]
	v_not_b32_e32 v1, v1
	v_ashrrev_i32_e32 v1, 31, v1
	v_and_b32_e32 v39, exec_lo, v39
	v_xor_b32_e32 v91, s45, v1
	v_xor_b32_e32 v1, s44, v1
	v_and_b32_e32 v39, v39, v1
	v_lshlrev_b32_e32 v1, 29, v38
	v_cmp_gt_i64_e64 s[44:45], 0, v[0:1]
	v_not_b32_e32 v1, v1
	v_ashrrev_i32_e32 v1, 31, v1
	v_and_b32_e32 v90, v90, v91
	v_xor_b32_e32 v91, s45, v1
	v_xor_b32_e32 v1, s44, v1
	v_and_b32_e32 v39, v39, v1
	v_lshlrev_b32_e32 v1, 28, v38
	v_cmp_gt_i64_e64 s[44:45], 0, v[0:1]
	v_not_b32_e32 v1, v1
	v_ashrrev_i32_e32 v1, 31, v1
	v_and_b32_e32 v90, v90, v91
	;; [unrolled: 8-line block ×5, first 2 shown]
	v_xor_b32_e32 v91, s45, v1
	v_xor_b32_e32 v1, s44, v1
	v_and_b32_e32 v90, v90, v91
	v_and_b32_e32 v91, v39, v1
	v_lshlrev_b32_e32 v1, 24, v38
	v_cmp_gt_i64_e64 s[44:45], 0, v[0:1]
	v_not_b32_e32 v1, v1
	v_ashrrev_i32_e32 v1, 31, v1
	v_xor_b32_e32 v38, s45, v1
	v_xor_b32_e32 v1, s44, v1
	; wave barrier
	ds_read_b32 v88, v89 offset:32
	v_and_b32_e32 v39, v90, v38
	v_and_b32_e32 v38, v91, v1
	v_mbcnt_lo_u32_b32 v1, v38, 0
	v_mbcnt_hi_u32_b32 v90, v39, v1
	v_cmp_eq_u32_e64 s[44:45], 0, v90
	v_cmp_ne_u64_e64 s[46:47], 0, v[38:39]
	s_and_b64 s[46:47], s[46:47], s[44:45]
	; wave barrier
	s_and_saveexec_b64 s[44:45], s[46:47]
	s_cbranch_execz .LBB245_60
; %bb.59:
	v_bcnt_u32_b32 v1, v38, 0
	v_bcnt_u32_b32 v1, v39, v1
	s_waitcnt lgkmcnt(0)
	v_add_u32_e32 v1, v88, v1
	ds_write_b32 v89, v1 offset:32
.LBB245_60:
	s_or_b64 exec, exec, s[44:45]
	v_lshrrev_b16_e32 v1, 8, v73
	v_mov_b32_e32 v38, 0x80
	v_cmp_ne_u16_e64 s[44:45], s56, v73
	v_cndmask_b32_e64 v1, v38, v1, s[44:45]
	v_and_b32_e32 v39, s53, v1
	v_lshlrev_b32_e32 v1, 3, v39
	v_add_lshl_u32 v92, v1, v68, 2
	v_and_b32_e32 v1, 1, v39
	v_add_co_u32_e64 v93, s[44:45], -1, v1
	v_addc_co_u32_e64 v94, s[44:45], 0, -1, s[44:45]
	v_cmp_ne_u32_e64 s[44:45], 0, v1
	v_xor_b32_e32 v1, s45, v94
	v_and_b32_e32 v94, exec_hi, v1
	v_lshlrev_b32_e32 v1, 30, v39
	v_xor_b32_e32 v93, s44, v93
	v_cmp_gt_i64_e64 s[44:45], 0, v[0:1]
	v_not_b32_e32 v1, v1
	v_ashrrev_i32_e32 v1, 31, v1
	v_and_b32_e32 v93, exec_lo, v93
	v_xor_b32_e32 v95, s45, v1
	v_xor_b32_e32 v1, s44, v1
	v_and_b32_e32 v93, v93, v1
	v_lshlrev_b32_e32 v1, 29, v39
	v_cmp_gt_i64_e64 s[44:45], 0, v[0:1]
	v_not_b32_e32 v1, v1
	v_ashrrev_i32_e32 v1, 31, v1
	v_and_b32_e32 v94, v94, v95
	v_xor_b32_e32 v95, s45, v1
	v_xor_b32_e32 v1, s44, v1
	v_and_b32_e32 v93, v93, v1
	v_lshlrev_b32_e32 v1, 28, v39
	v_cmp_gt_i64_e64 s[44:45], 0, v[0:1]
	v_not_b32_e32 v1, v1
	v_ashrrev_i32_e32 v1, 31, v1
	v_and_b32_e32 v94, v94, v95
	;; [unrolled: 8-line block ×5, first 2 shown]
	v_xor_b32_e32 v95, s45, v1
	v_xor_b32_e32 v1, s44, v1
	v_and_b32_e32 v93, v93, v1
	v_lshlrev_b32_e32 v1, 24, v39
	v_cmp_gt_i64_e64 s[44:45], 0, v[0:1]
	v_not_b32_e32 v0, v1
	v_ashrrev_i32_e32 v0, 31, v0
	v_xor_b32_e32 v1, s45, v0
	v_xor_b32_e32 v0, s44, v0
	; wave barrier
	ds_read_b32 v91, v92 offset:32
	v_and_b32_e32 v94, v94, v95
	v_and_b32_e32 v0, v93, v0
	;; [unrolled: 1-line block ×3, first 2 shown]
	v_mbcnt_lo_u32_b32 v39, v0, 0
	v_mbcnt_hi_u32_b32 v93, v1, v39
	v_cmp_eq_u32_e64 s[44:45], 0, v93
	v_cmp_ne_u64_e64 s[46:47], 0, v[0:1]
	s_and_b64 s[46:47], s[46:47], s[44:45]
	; wave barrier
	s_and_saveexec_b64 s[44:45], s[46:47]
	s_cbranch_execz .LBB245_62
; %bb.61:
	v_bcnt_u32_b32 v0, v0, 0
	v_bcnt_u32_b32 v0, v1, v0
	s_waitcnt lgkmcnt(0)
	v_add_u32_e32 v0, v91, v0
	ds_write_b32 v92, v0 offset:32
.LBB245_62:
	s_or_b64 exec, exec, s[44:45]
	v_lshrrev_b16_e32 v0, 8, v72
	v_cmp_ne_u16_e64 s[44:45], s56, v72
	v_cndmask_b32_e64 v0, v38, v0, s[44:45]
	v_and_b32_e32 v38, s53, v0
	v_and_b32_e32 v1, 1, v38
	v_add_co_u32_e64 v39, s[44:45], -1, v1
	v_addc_co_u32_e64 v96, s[44:45], 0, -1, s[44:45]
	v_cmp_ne_u32_e64 s[44:45], 0, v1
	v_lshlrev_b32_e32 v0, 3, v38
	v_xor_b32_e32 v1, s45, v96
	v_add_lshl_u32 v95, v0, v68, 2
	v_mov_b32_e32 v0, 0
	v_and_b32_e32 v96, exec_hi, v1
	v_lshlrev_b32_e32 v1, 30, v38
	v_xor_b32_e32 v39, s44, v39
	v_cmp_gt_i64_e64 s[44:45], 0, v[0:1]
	v_not_b32_e32 v1, v1
	v_ashrrev_i32_e32 v1, 31, v1
	v_and_b32_e32 v39, exec_lo, v39
	v_xor_b32_e32 v97, s45, v1
	v_xor_b32_e32 v1, s44, v1
	v_and_b32_e32 v39, v39, v1
	v_lshlrev_b32_e32 v1, 29, v38
	v_cmp_gt_i64_e64 s[44:45], 0, v[0:1]
	v_not_b32_e32 v1, v1
	v_ashrrev_i32_e32 v1, 31, v1
	v_and_b32_e32 v96, v96, v97
	v_xor_b32_e32 v97, s45, v1
	v_xor_b32_e32 v1, s44, v1
	v_and_b32_e32 v39, v39, v1
	v_lshlrev_b32_e32 v1, 28, v38
	v_cmp_gt_i64_e64 s[44:45], 0, v[0:1]
	v_not_b32_e32 v1, v1
	v_ashrrev_i32_e32 v1, 31, v1
	v_and_b32_e32 v96, v96, v97
	;; [unrolled: 8-line block ×5, first 2 shown]
	v_xor_b32_e32 v97, s45, v1
	v_xor_b32_e32 v1, s44, v1
	v_and_b32_e32 v96, v96, v97
	v_and_b32_e32 v97, v39, v1
	v_lshlrev_b32_e32 v1, 24, v38
	v_cmp_gt_i64_e64 s[44:45], 0, v[0:1]
	v_not_b32_e32 v1, v1
	v_ashrrev_i32_e32 v1, 31, v1
	v_xor_b32_e32 v38, s45, v1
	v_xor_b32_e32 v1, s44, v1
	; wave barrier
	ds_read_b32 v94, v95 offset:32
	v_and_b32_e32 v39, v96, v38
	v_and_b32_e32 v38, v97, v1
	v_mbcnt_lo_u32_b32 v1, v38, 0
	v_mbcnt_hi_u32_b32 v96, v39, v1
	v_cmp_eq_u32_e64 s[44:45], 0, v96
	v_cmp_ne_u64_e64 s[46:47], 0, v[38:39]
	s_and_b64 s[46:47], s[46:47], s[44:45]
	; wave barrier
	s_and_saveexec_b64 s[44:45], s[46:47]
	s_cbranch_execz .LBB245_64
; %bb.63:
	v_bcnt_u32_b32 v1, v38, 0
	v_bcnt_u32_b32 v1, v39, v1
	s_waitcnt lgkmcnt(0)
	v_add_u32_e32 v1, v94, v1
	ds_write_b32 v95, v1 offset:32
.LBB245_64:
	s_or_b64 exec, exec, s[44:45]
	v_lshrrev_b16_e32 v1, 8, v71
	v_mov_b32_e32 v38, 0x80
	v_cmp_ne_u16_e64 s[44:45], s56, v71
	v_cndmask_b32_e64 v1, v38, v1, s[44:45]
	v_and_b32_e32 v39, s53, v1
	v_lshlrev_b32_e32 v1, 3, v39
	v_add_lshl_u32 v98, v1, v68, 2
	v_and_b32_e32 v1, 1, v39
	v_add_co_u32_e64 v99, s[44:45], -1, v1
	v_addc_co_u32_e64 v100, s[44:45], 0, -1, s[44:45]
	v_cmp_ne_u32_e64 s[44:45], 0, v1
	v_xor_b32_e32 v1, s45, v100
	v_and_b32_e32 v100, exec_hi, v1
	v_lshlrev_b32_e32 v1, 30, v39
	v_xor_b32_e32 v99, s44, v99
	v_cmp_gt_i64_e64 s[44:45], 0, v[0:1]
	v_not_b32_e32 v1, v1
	v_ashrrev_i32_e32 v1, 31, v1
	v_and_b32_e32 v99, exec_lo, v99
	v_xor_b32_e32 v101, s45, v1
	v_xor_b32_e32 v1, s44, v1
	v_and_b32_e32 v99, v99, v1
	v_lshlrev_b32_e32 v1, 29, v39
	v_cmp_gt_i64_e64 s[44:45], 0, v[0:1]
	v_not_b32_e32 v1, v1
	v_ashrrev_i32_e32 v1, 31, v1
	v_and_b32_e32 v100, v100, v101
	v_xor_b32_e32 v101, s45, v1
	v_xor_b32_e32 v1, s44, v1
	v_and_b32_e32 v99, v99, v1
	v_lshlrev_b32_e32 v1, 28, v39
	v_cmp_gt_i64_e64 s[44:45], 0, v[0:1]
	v_not_b32_e32 v1, v1
	v_ashrrev_i32_e32 v1, 31, v1
	v_and_b32_e32 v100, v100, v101
	;; [unrolled: 8-line block ×5, first 2 shown]
	v_xor_b32_e32 v101, s45, v1
	v_xor_b32_e32 v1, s44, v1
	v_and_b32_e32 v99, v99, v1
	v_lshlrev_b32_e32 v1, 24, v39
	v_cmp_gt_i64_e64 s[44:45], 0, v[0:1]
	v_not_b32_e32 v0, v1
	v_ashrrev_i32_e32 v0, 31, v0
	v_xor_b32_e32 v1, s45, v0
	v_xor_b32_e32 v0, s44, v0
	; wave barrier
	ds_read_b32 v97, v98 offset:32
	v_and_b32_e32 v100, v100, v101
	v_and_b32_e32 v0, v99, v0
	;; [unrolled: 1-line block ×3, first 2 shown]
	v_mbcnt_lo_u32_b32 v39, v0, 0
	v_mbcnt_hi_u32_b32 v99, v1, v39
	v_cmp_eq_u32_e64 s[44:45], 0, v99
	v_cmp_ne_u64_e64 s[46:47], 0, v[0:1]
	s_and_b64 s[46:47], s[46:47], s[44:45]
	; wave barrier
	s_and_saveexec_b64 s[44:45], s[46:47]
	s_cbranch_execz .LBB245_66
; %bb.65:
	v_bcnt_u32_b32 v0, v0, 0
	v_bcnt_u32_b32 v0, v1, v0
	s_waitcnt lgkmcnt(0)
	v_add_u32_e32 v0, v97, v0
	ds_write_b32 v98, v0 offset:32
.LBB245_66:
	s_or_b64 exec, exec, s[44:45]
	v_lshrrev_b16_e32 v0, 8, v40
	v_cmp_ne_u16_e64 s[44:45], s56, v40
	v_cndmask_b32_e64 v0, v38, v0, s[44:45]
	v_and_b32_e32 v38, s53, v0
	v_and_b32_e32 v1, 1, v38
	v_add_co_u32_e64 v39, s[44:45], -1, v1
	v_addc_co_u32_e64 v101, s[44:45], 0, -1, s[44:45]
	v_cmp_ne_u32_e64 s[44:45], 0, v1
	v_lshlrev_b32_e32 v0, 3, v38
	v_xor_b32_e32 v1, s45, v101
	v_add_lshl_u32 v100, v0, v68, 2
	v_mov_b32_e32 v0, 0
	v_and_b32_e32 v101, exec_hi, v1
	v_lshlrev_b32_e32 v1, 30, v38
	v_xor_b32_e32 v39, s44, v39
	v_cmp_gt_i64_e64 s[44:45], 0, v[0:1]
	v_not_b32_e32 v1, v1
	v_ashrrev_i32_e32 v1, 31, v1
	v_and_b32_e32 v39, exec_lo, v39
	v_xor_b32_e32 v102, s45, v1
	v_xor_b32_e32 v1, s44, v1
	v_and_b32_e32 v39, v39, v1
	v_lshlrev_b32_e32 v1, 29, v38
	v_cmp_gt_i64_e64 s[44:45], 0, v[0:1]
	v_not_b32_e32 v1, v1
	v_ashrrev_i32_e32 v1, 31, v1
	v_and_b32_e32 v101, v101, v102
	v_xor_b32_e32 v102, s45, v1
	v_xor_b32_e32 v1, s44, v1
	v_and_b32_e32 v39, v39, v1
	v_lshlrev_b32_e32 v1, 28, v38
	v_cmp_gt_i64_e64 s[44:45], 0, v[0:1]
	v_not_b32_e32 v1, v1
	v_ashrrev_i32_e32 v1, 31, v1
	v_and_b32_e32 v101, v101, v102
	;; [unrolled: 8-line block ×5, first 2 shown]
	v_xor_b32_e32 v102, s45, v1
	v_xor_b32_e32 v1, s44, v1
	v_and_b32_e32 v39, v39, v1
	v_lshlrev_b32_e32 v1, 24, v38
	v_cmp_gt_i64_e64 s[44:45], 0, v[0:1]
	v_not_b32_e32 v0, v1
	v_ashrrev_i32_e32 v0, 31, v0
	v_xor_b32_e32 v1, s45, v0
	v_xor_b32_e32 v0, s44, v0
	; wave barrier
	ds_read_b32 v68, v100 offset:32
	v_and_b32_e32 v101, v101, v102
	v_and_b32_e32 v0, v39, v0
	;; [unrolled: 1-line block ×3, first 2 shown]
	v_mbcnt_lo_u32_b32 v38, v0, 0
	v_mbcnt_hi_u32_b32 v101, v1, v38
	v_cmp_eq_u32_e64 s[44:45], 0, v101
	v_cmp_ne_u64_e64 s[46:47], 0, v[0:1]
	s_and_b64 s[46:47], s[46:47], s[44:45]
	; wave barrier
	s_and_saveexec_b64 s[44:45], s[46:47]
	s_cbranch_execz .LBB245_68
; %bb.67:
	v_bcnt_u32_b32 v0, v0, 0
	v_bcnt_u32_b32 v0, v1, v0
	s_waitcnt lgkmcnt(0)
	v_add_u32_e32 v0, v68, v0
	ds_write_b32 v100, v0 offset:32
.LBB245_68:
	s_or_b64 exec, exec, s[44:45]
	; wave barrier
	s_waitcnt lgkmcnt(0)
	s_barrier
	ds_read2_b32 v[38:39], v64 offset0:8 offset1:9
	ds_read2_b32 v[0:1], v69 offset0:2 offset1:3
	s_waitcnt lgkmcnt(1)
	v_add_u32_e32 v102, v39, v38
	s_waitcnt lgkmcnt(0)
	v_add3_u32 v1, v102, v0, v1
	s_nop 1
	v_mov_b32_dpp v102, v1 row_shr:1 row_mask:0xf bank_mask:0xf
	v_cndmask_b32_e64 v102, v102, 0, s[24:25]
	v_add_u32_e32 v1, v102, v1
	s_nop 1
	v_mov_b32_dpp v102, v1 row_shr:2 row_mask:0xf bank_mask:0xf
	v_cndmask_b32_e64 v102, 0, v102, s[26:27]
	v_add_u32_e32 v1, v1, v102
	;; [unrolled: 4-line block ×4, first 2 shown]
	s_nop 1
	v_mov_b32_dpp v102, v1 row_bcast:15 row_mask:0xf bank_mask:0xf
	v_cndmask_b32_e64 v102, v102, 0, vcc
	v_add_u32_e32 v1, v1, v102
	s_nop 1
	v_mov_b32_dpp v102, v1 row_bcast:31 row_mask:0xf bank_mask:0xf
	v_cndmask_b32_e64 v102, 0, v102, s[36:37]
	v_add_u32_e32 v102, v1, v102
	s_and_saveexec_b64 s[24:25], s[16:17]
	s_cbranch_execz .LBB245_70
; %bb.69:
	ds_write_b32 v70, v102
.LBB245_70:
	s_or_b64 exec, exec, s[24:25]
	s_waitcnt lgkmcnt(0)
	s_barrier
	s_and_saveexec_b64 s[16:17], s[28:29]
	s_cbranch_execz .LBB245_72
; %bb.71:
	ds_read_b32 v1, v41
	s_waitcnt lgkmcnt(0)
	s_nop 0
	v_mov_b32_dpp v70, v1 row_shr:1 row_mask:0xf bank_mask:0xf
	v_cndmask_b32_e64 v70, v70, 0, s[22:23]
	v_add_u32_e32 v1, v70, v1
	s_nop 1
	v_mov_b32_dpp v70, v1 row_shr:2 row_mask:0xf bank_mask:0xf
	v_cndmask_b32_e64 v70, 0, v70, s[20:21]
	v_add_u32_e32 v1, v1, v70
	;; [unrolled: 4-line block ×3, first 2 shown]
	ds_write_b32 v41, v1
.LBB245_72:
	s_or_b64 exec, exec, s[16:17]
	v_mov_b32_e32 v1, 0
	v_mov_b32_e32 v41, 0
	s_waitcnt lgkmcnt(0)
	s_barrier
	s_and_saveexec_b64 s[16:17], s[38:39]
	s_cbranch_execz .LBB245_74
; %bb.73:
	ds_read_b32 v41, v80
.LBB245_74:
	s_or_b64 exec, exec, s[16:17]
	s_waitcnt lgkmcnt(0)
	v_add_u32_e32 v70, v41, v102
	ds_bpermute_b32 v70, v81, v70
	s_mov_b32 s18, 0x5040100
	s_waitcnt lgkmcnt(0)
	v_cndmask_b32_e64 v41, v70, v41, s[40:41]
	v_cndmask_b32_e64 v41, v41, 0, s[42:43]
	v_add_u32_e32 v38, v41, v38
	v_add_u32_e32 v39, v38, v39
	;; [unrolled: 1-line block ×3, first 2 shown]
	ds_write2_b32 v64, v41, v38 offset0:8 offset1:9
	ds_write2_b32 v69, v39, v0 offset0:2 offset1:3
	s_waitcnt lgkmcnt(0)
	s_barrier
	ds_read_b32 v0, v100 offset:32
	ds_read_b32 v38, v98 offset:32
	;; [unrolled: 1-line block ×4, first 2 shown]
	s_waitcnt lgkmcnt(3)
	v_add3_u32 v0, v101, v68, v0
	ds_read_b32 v68, v89 offset:32
	ds_read_b32 v69, v86 offset:32
	;; [unrolled: 1-line block ×4, first 2 shown]
	s_waitcnt lgkmcnt(0)
	s_barrier
	v_add3_u32 v69, v87, v85, v69
	v_add3_u32 v70, v84, v82, v70
	v_add_u32_e32 v78, v78, v79
	v_lshlrev_b32_e32 v79, 1, v78
	ds_write_b16 v79, v77
	v_lshlrev_b32_e32 v77, 1, v70
	v_add3_u32 v68, v90, v88, v68
	ds_write_b16 v77, v76
	v_lshlrev_b32_e32 v76, 1, v69
	v_add3_u32 v41, v93, v91, v41
	;; [unrolled: 3-line block ×4, first 2 shown]
	ds_write_b16 v74, v73
	v_lshlrev_b32_e32 v73, 1, v39
	ds_write_b16 v73, v72
	v_lshlrev_b32_e32 v72, 1, v38
	;; [unrolled: 2-line block ×4, first 2 shown]
	s_waitcnt lgkmcnt(0)
	s_barrier
	v_lshlrev_b32_e32 v72, 3, v41
	v_lshlrev_b32_e32 v73, 3, v39
	;; [unrolled: 1-line block ×3, first 2 shown]
	ds_read_b128 v[38:41], v40
	v_mov_b32_e32 v77, 0xffff8000
	v_lshlrev_b32_e32 v71, 3, v78
	v_lshlrev_b32_e32 v75, 3, v63
	;; [unrolled: 1-line block ×3, first 2 shown]
	s_waitcnt lgkmcnt(0)
	v_cmp_lt_i16_sdwa vcc, v38, v1 src0_sel:WORD_1 src1_sel:DWORD
	v_cndmask_b32_e32 v78, -1, v77, vcc
	v_cmp_gt_i16_e32 vcc, 0, v38
	v_lshlrev_b32_e32 v69, 3, v69
	v_lshlrev_b32_e32 v68, 3, v68
	;; [unrolled: 1-line block ×3, first 2 shown]
	v_cndmask_b32_e32 v79, -1, v77, vcc
	v_cmp_lt_i16_e32 vcc, -1, v39
	s_barrier
	ds_write_b64 v71, v[34:35]
	ds_write_b64 v70, v[36:37]
	;; [unrolled: 1-line block ×8, first 2 shown]
	s_waitcnt lgkmcnt(0)
	s_barrier
	ds_read2_b64 v[22:25], v75 offset1:1
	ds_read2_b64 v[26:29], v75 offset0:2 offset1:3
	ds_read2_b64 v[30:33], v75 offset0:4 offset1:5
	;; [unrolled: 1-line block ×3, first 2 shown]
	v_mov_b32_e32 v76, -1
	v_cndmask_b32_e64 v81, v77, -1, vcc
	v_cmp_lt_i16_sdwa vcc, v40, v1 src0_sel:WORD_1 src1_sel:DWORD
	v_cmp_gt_i16_sdwa s[16:17], v39, v76 src0_sel:WORD_1 src1_sel:DWORD
	v_cndmask_b32_e32 v0, -1, v77, vcc
	v_cmp_gt_i16_e32 vcc, 0, v40
	v_cndmask_b32_e64 v80, v77, -1, s[16:17]
	v_cndmask_b32_e32 v1, -1, v77, vcc
	v_cmp_gt_i16_sdwa s[16:17], v41, v76 src0_sel:WORD_1 src1_sel:DWORD
	v_cmp_lt_i16_e32 vcc, -1, v41
	v_cndmask_b32_e64 v68, v77, -1, s[16:17]
	v_cndmask_b32_e64 v69, v77, -1, vcc
	v_xor_b32_e32 v81, v81, v39
	v_xor_b32_sdwa v39, v80, v39 dst_sel:DWORD dst_unused:UNUSED_PAD src0_sel:DWORD src1_sel:WORD_1
	v_xor_b32_e32 v79, v79, v38
	v_xor_b32_sdwa v38, v78, v38 dst_sel:DWORD dst_unused:UNUSED_PAD src0_sel:DWORD src1_sel:WORD_1
	;; [unrolled: 2-line block ×4, first 2 shown]
	v_perm_b32 v39, v39, v81, s18
	v_perm_b32 v38, v38, v79, s18
	;; [unrolled: 1-line block ×4, first 2 shown]
	s_branch .LBB245_128
.LBB245_75:
	v_mov_b32_e32 v45, 0
	v_lshlrev_b64 v[2:3], 3, v[44:45]
	v_mov_b32_e32 v4, s51
	v_add_co_u32_e32 v2, vcc, s49, v2
	v_addc_co_u32_e32 v3, vcc, v4, v3, vcc
	global_load_dwordx2 v[2:3], v[2:3], off
	v_mov_b32_e32 v4, v45
	v_mov_b32_e32 v5, v45
	;; [unrolled: 1-line block ×14, first 2 shown]
	s_or_b64 exec, exec, s[16:17]
	s_and_saveexec_b64 s[16:17], s[2:3]
	s_cbranch_execz .LBB245_22
.LBB245_76:
	v_mul_lo_u32 v4, v36, s52
	v_mov_b32_e32 v5, 0
	v_lshlrev_b64 v[4:5], 3, v[4:5]
	v_mov_b32_e32 v36, s51
	v_add_co_u32_e32 v4, vcc, s49, v4
	v_addc_co_u32_e32 v5, vcc, v36, v5, vcc
	global_load_dwordx2 v[4:5], v[4:5], off
	s_or_b64 exec, exec, s[16:17]
	s_and_saveexec_b64 s[16:17], s[4:5]
	s_cbranch_execz .LBB245_23
.LBB245_77:
	v_mul_lo_u32 v6, v35, s52
	v_mov_b32_e32 v7, 0
	v_lshlrev_b64 v[6:7], 3, v[6:7]
	v_mov_b32_e32 v35, s51
	v_add_co_u32_e32 v6, vcc, s49, v6
	v_addc_co_u32_e32 v7, vcc, v35, v7, vcc
	global_load_dwordx2 v[6:7], v[6:7], off
	s_or_b64 exec, exec, s[16:17]
	s_and_saveexec_b64 s[16:17], s[6:7]
	s_cbranch_execz .LBB245_24
.LBB245_78:
	v_mul_lo_u32 v8, v33, s52
	v_mov_b32_e32 v9, 0
	v_lshlrev_b64 v[8:9], 3, v[8:9]
	v_mov_b32_e32 v33, s51
	v_add_co_u32_e32 v8, vcc, s49, v8
	v_addc_co_u32_e32 v9, vcc, v33, v9, vcc
	global_load_dwordx2 v[8:9], v[8:9], off
	s_or_b64 exec, exec, s[16:17]
	s_and_saveexec_b64 s[16:17], s[8:9]
	s_cbranch_execz .LBB245_25
.LBB245_79:
	v_mul_lo_u32 v10, v30, s52
	v_mov_b32_e32 v11, 0
	v_lshlrev_b64 v[10:11], 3, v[10:11]
	v_mov_b32_e32 v30, s51
	v_add_co_u32_e32 v10, vcc, s49, v10
	v_addc_co_u32_e32 v11, vcc, v30, v11, vcc
	global_load_dwordx2 v[10:11], v[10:11], off
	s_or_b64 exec, exec, s[16:17]
	s_and_saveexec_b64 s[16:17], s[10:11]
	s_cbranch_execz .LBB245_26
.LBB245_80:
	v_mul_lo_u32 v12, v28, s52
	v_mov_b32_e32 v13, 0
	v_lshlrev_b64 v[12:13], 3, v[12:13]
	v_mov_b32_e32 v28, s51
	v_add_co_u32_e32 v12, vcc, s49, v12
	v_addc_co_u32_e32 v13, vcc, v28, v13, vcc
	global_load_dwordx2 v[12:13], v[12:13], off
	s_or_b64 exec, exec, s[16:17]
	s_and_saveexec_b64 s[16:17], s[12:13]
	s_cbranch_execz .LBB245_27
.LBB245_81:
	v_mul_lo_u32 v14, v26, s52
	v_mov_b32_e32 v15, 0
	v_lshlrev_b64 v[14:15], 3, v[14:15]
	v_mov_b32_e32 v26, s51
	v_add_co_u32_e32 v14, vcc, s49, v14
	v_addc_co_u32_e32 v15, vcc, v26, v15, vcc
	global_load_dwordx2 v[14:15], v[14:15], off
	s_or_b64 exec, exec, s[16:17]
	s_xor_b64 s[16:17], s[34:35], -1
	s_and_saveexec_b64 s[18:19], s[14:15]
	s_cbranch_execnz .LBB245_28
	s_branch .LBB245_29
.LBB245_82:
                                        ; implicit-def: $vgpr36_vgpr37
                                        ; implicit-def: $vgpr32_vgpr33
                                        ; implicit-def: $vgpr28_vgpr29
                                        ; implicit-def: $vgpr24_vgpr25
                                        ; implicit-def: $vgpr40_vgpr41
	s_cbranch_execz .LBB245_128
; %bb.83:
	s_waitcnt lgkmcnt(3)
	v_mov_b32_e32 v22, 0
	s_waitcnt lgkmcnt(0)
	v_mov_b32_e32 v35, 0x7fff
	v_cmp_gt_i16_e32 vcc, 0, v19
	v_cmp_lt_i16_sdwa s[16:17], v19, v22 src0_sel:WORD_1 src1_sel:DWORD
	v_cndmask_b32_e64 v23, v35, 0, vcc
	v_cmp_gt_i16_e32 vcc, 0, v18
	v_cndmask_b32_e64 v25, v35, 0, s[16:17]
	v_cmp_lt_i16_sdwa s[16:17], v18, v22 src0_sel:WORD_1 src1_sel:DWORD
	v_cndmask_b32_e64 v24, v35, 0, vcc
	v_cndmask_b32_e64 v27, v35, 0, s[16:17]
	v_cmp_gt_i16_e32 vcc, 0, v21
	v_cmp_lt_i16_sdwa s[16:17], v21, v22 src0_sel:WORD_1 src1_sel:DWORD
	v_xor_b32_sdwa v25, v25, v19 dst_sel:DWORD dst_unused:UNUSED_PAD src0_sel:DWORD src1_sel:WORD_1
	v_xor_b32_e32 v19, v23, v19
	v_cndmask_b32_e64 v23, v35, 0, vcc
	v_cmp_gt_i16_e32 vcc, 0, v20
	v_cndmask_b32_e64 v28, v35, 0, s[16:17]
	v_cmp_lt_i16_sdwa s[16:17], v20, v22 src0_sel:WORD_1 src1_sel:DWORD
	v_mbcnt_hi_u32_b32 v26, -1, v67
	v_and_b32_e32 v34, 0x3c0, v46
	v_xor_b32_sdwa v27, v27, v18 dst_sel:DWORD dst_unused:UNUSED_PAD src0_sel:DWORD src1_sel:WORD_1
	v_xor_b32_e32 v18, v24, v18
	v_cndmask_b32_e64 v24, v35, 0, vcc
	v_cndmask_b32_e64 v29, v35, 0, s[16:17]
	v_add_u32_e32 v0, v26, v34
	v_xor_b32_sdwa v29, v29, v20 dst_sel:DWORD dst_unused:UNUSED_PAD src0_sel:DWORD src1_sel:WORD_1
	v_xor_b32_sdwa v28, v28, v21 dst_sel:DWORD dst_unused:UNUSED_PAD src0_sel:DWORD src1_sel:WORD_1
	v_xor_b32_e32 v20, v24, v20
	v_xor_b32_e32 v21, v23, v21
	s_mov_b32 s16, 0x5040100
	v_lshlrev_b32_e32 v1, 4, v0
	v_perm_b32 v21, v28, v21, s16
	v_perm_b32 v20, v29, v20, s16
	;; [unrolled: 1-line block ×4, first 2 shown]
	v_and_b32_e32 v36, 0x1e00, v63
	ds_write_b128 v1, v[18:21]
	v_or_b32_e32 v1, v26, v36
	v_lshlrev_b32_e32 v18, 1, v1
	v_lshlrev_b32_e32 v0, 6, v0
	; wave barrier
	ds_read_u16 v33, v18
	ds_read_u16 v32, v18 offset:128
	ds_read_u16 v31, v18 offset:256
	;; [unrolled: 1-line block ×7, first 2 shown]
	s_waitcnt lgkmcnt(0)
	s_barrier
	ds_write2_b64 v0, v[14:15], v[16:17] offset1:1
	ds_write2_b64 v0, v[10:11], v[12:13] offset0:2 offset1:3
	ds_write2_b64 v0, v[6:7], v[8:9] offset0:4 offset1:5
	;; [unrolled: 1-line block ×3, first 2 shown]
	v_lshlrev_b32_e32 v0, 3, v1
	; wave barrier
	ds_read2st64_b64 v[12:15], v0 offset1:1
	ds_read2st64_b64 v[8:11], v0 offset0:2 offset1:3
	ds_read2st64_b64 v[4:7], v0 offset0:4 offset1:5
	;; [unrolled: 1-line block ×3, first 2 shown]
	s_waitcnt lgkmcnt(0)
	s_barrier
	s_load_dword s18, s[54:55], 0xc
	s_getpc_b64 s[16:17]
	s_add_u32 s16, s16, _ZN7rocprim17ROCPRIM_400000_NS16block_radix_sortI12hip_bfloat16Lj512ELj8ElLj1ELj1ELj0ELNS0_26block_radix_rank_algorithmE1ELNS0_18block_padding_hintE2ELNS0_4arch9wavefront6targetE1EE19radix_bits_per_passE@rel32@lo+4
	s_addc_u32 s17, s17, _ZN7rocprim17ROCPRIM_400000_NS16block_radix_sortI12hip_bfloat16Lj512ELj8ElLj1ELj1ELj0ELNS0_26block_radix_rank_algorithmE1ELNS0_18block_padding_hintE2ELNS0_4arch9wavefront6targetE1EE19radix_bits_per_passE@rel32@hi+12
	s_load_dword s44, s[16:17], 0x0
	s_movk_i32 s19, 0x8000
	v_cmp_ne_u16_e32 vcc, s19, v33
	s_waitcnt lgkmcnt(0)
	s_lshr_b32 s16, s18, 16
	s_and_b32 s17, s18, 0xffff
	v_mad_u32_u24 v16, v66, s16, v65
	v_mad_u64_u32 v[16:17], s[16:17], v16, s17, v[46:47]
	s_min_u32 s16, s44, 16
	s_lshl_b32 s16, -1, s16
	v_lshrrev_b32_e32 v24, 6, v16
	s_not_b32 s18, s16
	v_cndmask_b32_e32 v16, v35, v33, vcc
	v_and_b32_sdwa v16, s18, v16 dst_sel:DWORD dst_unused:UNUSED_PAD src0_sel:DWORD src1_sel:WORD_0
	v_lshlrev_b32_e32 v17, 3, v16
	v_add_lshl_u32 v37, v24, v17, 2
	v_and_b32_e32 v17, 1, v16
	v_add_co_u32_e32 v18, vcc, -1, v17
	v_addc_co_u32_e64 v19, s[16:17], 0, -1, vcc
	v_cmp_ne_u32_e32 vcc, 0, v17
	v_lshlrev_b32_e32 v23, 30, v16
	v_xor_b32_e32 v17, vcc_hi, v19
	v_not_b32_e32 v19, v23
	v_xor_b32_e32 v18, vcc_lo, v18
	v_cmp_gt_i64_e32 vcc, 0, v[22:23]
	v_ashrrev_i32_e32 v19, 31, v19
	v_and_b32_e32 v18, exec_lo, v18
	v_xor_b32_e32 v20, vcc_hi, v19
	v_xor_b32_e32 v19, vcc_lo, v19
	v_lshlrev_b32_e32 v23, 29, v16
	v_and_b32_e32 v18, v18, v19
	v_not_b32_e32 v19, v23
	v_and_b32_e32 v17, exec_hi, v17
	v_cmp_gt_i64_e32 vcc, 0, v[22:23]
	v_ashrrev_i32_e32 v19, 31, v19
	v_and_b32_e32 v17, v17, v20
	v_xor_b32_e32 v20, vcc_hi, v19
	v_xor_b32_e32 v19, vcc_lo, v19
	v_lshlrev_b32_e32 v23, 28, v16
	v_and_b32_e32 v18, v18, v19
	v_not_b32_e32 v19, v23
	v_cmp_gt_i64_e32 vcc, 0, v[22:23]
	v_ashrrev_i32_e32 v19, 31, v19
	v_and_b32_e32 v17, v17, v20
	v_xor_b32_e32 v20, vcc_hi, v19
	v_xor_b32_e32 v19, vcc_lo, v19
	v_lshlrev_b32_e32 v23, 27, v16
	v_and_b32_e32 v18, v18, v19
	v_not_b32_e32 v19, v23
	;; [unrolled: 8-line block ×3, first 2 shown]
	v_cmp_gt_i64_e32 vcc, 0, v[22:23]
	v_ashrrev_i32_e32 v19, 31, v19
	v_and_b32_e32 v17, v17, v20
	v_xor_b32_e32 v20, vcc_hi, v19
	v_xor_b32_e32 v19, vcc_lo, v19
	v_lshlrev_b32_e32 v23, 25, v16
	v_and_b32_e32 v18, v18, v19
	v_cmp_gt_i64_e32 vcc, 0, v[22:23]
	v_not_b32_e32 v19, v23
	v_lshlrev_b32_e32 v23, 24, v16
	v_ashrrev_i32_e32 v19, 31, v19
	v_not_b32_e32 v16, v23
	v_and_b32_e32 v17, v17, v20
	v_xor_b32_e32 v20, vcc_hi, v19
	v_xor_b32_e32 v19, vcc_lo, v19
	v_cmp_gt_i64_e32 vcc, 0, v[22:23]
	v_ashrrev_i32_e32 v16, 31, v16
	v_and_b32_e32 v18, v18, v19
	v_xor_b32_e32 v19, vcc_hi, v16
	v_xor_b32_e32 v16, vcc_lo, v16
	v_and_b32_e32 v17, v17, v20
	v_and_b32_e32 v16, v18, v16
	;; [unrolled: 1-line block ×3, first 2 shown]
	v_mbcnt_lo_u32_b32 v18, v16, 0
	v_mbcnt_hi_u32_b32 v38, v17, v18
	v_cmp_eq_u32_e32 vcc, 0, v38
	v_cmp_ne_u64_e64 s[16:17], 0, v[16:17]
	s_and_b64 s[20:21], s[16:17], vcc
	ds_write2_b32 v64, v22, v22 offset0:8 offset1:9
	ds_write2_b32 v64, v22, v22 offset0:10 offset1:11
	s_waitcnt lgkmcnt(0)
	s_barrier
	s_waitcnt lgkmcnt(0)
	; wave barrier
	s_and_saveexec_b64 s[16:17], s[20:21]
	s_cbranch_execz .LBB245_85
; %bb.84:
	v_bcnt_u32_b32 v16, v16, 0
	v_bcnt_u32_b32 v16, v17, v16
	ds_write_b32 v37, v16 offset:32
.LBB245_85:
	s_or_b64 exec, exec, s[16:17]
	v_cmp_ne_u16_e32 vcc, s19, v32
	v_cndmask_b32_e32 v16, v35, v32, vcc
	v_and_b32_sdwa v16, s18, v16 dst_sel:DWORD dst_unused:UNUSED_PAD src0_sel:DWORD src1_sel:WORD_0
	v_lshlrev_b32_e32 v17, 3, v16
	v_add_lshl_u32 v40, v24, v17, 2
	v_and_b32_e32 v17, 1, v16
	v_add_co_u32_e32 v18, vcc, -1, v17
	v_addc_co_u32_e64 v19, s[16:17], 0, -1, vcc
	v_cmp_ne_u32_e32 vcc, 0, v17
	v_lshlrev_b32_e32 v23, 30, v16
	v_xor_b32_e32 v17, vcc_hi, v19
	v_not_b32_e32 v19, v23
	v_xor_b32_e32 v18, vcc_lo, v18
	v_cmp_gt_i64_e32 vcc, 0, v[22:23]
	v_ashrrev_i32_e32 v19, 31, v19
	v_and_b32_e32 v18, exec_lo, v18
	v_xor_b32_e32 v20, vcc_hi, v19
	v_xor_b32_e32 v19, vcc_lo, v19
	v_lshlrev_b32_e32 v23, 29, v16
	v_and_b32_e32 v18, v18, v19
	v_not_b32_e32 v19, v23
	v_and_b32_e32 v17, exec_hi, v17
	v_cmp_gt_i64_e32 vcc, 0, v[22:23]
	v_ashrrev_i32_e32 v19, 31, v19
	v_and_b32_e32 v17, v17, v20
	v_xor_b32_e32 v20, vcc_hi, v19
	v_xor_b32_e32 v19, vcc_lo, v19
	v_lshlrev_b32_e32 v23, 28, v16
	v_and_b32_e32 v18, v18, v19
	v_not_b32_e32 v19, v23
	v_cmp_gt_i64_e32 vcc, 0, v[22:23]
	v_ashrrev_i32_e32 v19, 31, v19
	v_and_b32_e32 v17, v17, v20
	v_xor_b32_e32 v20, vcc_hi, v19
	v_xor_b32_e32 v19, vcc_lo, v19
	v_lshlrev_b32_e32 v23, 27, v16
	v_and_b32_e32 v18, v18, v19
	v_not_b32_e32 v19, v23
	;; [unrolled: 8-line block ×3, first 2 shown]
	v_cmp_gt_i64_e32 vcc, 0, v[22:23]
	v_ashrrev_i32_e32 v19, 31, v19
	v_and_b32_e32 v17, v17, v20
	v_xor_b32_e32 v20, vcc_hi, v19
	v_xor_b32_e32 v19, vcc_lo, v19
	v_lshlrev_b32_e32 v23, 25, v16
	v_and_b32_e32 v18, v18, v19
	v_cmp_gt_i64_e32 vcc, 0, v[22:23]
	v_not_b32_e32 v19, v23
	v_lshlrev_b32_e32 v23, 24, v16
	v_ashrrev_i32_e32 v19, 31, v19
	v_not_b32_e32 v16, v23
	v_and_b32_e32 v17, v17, v20
	v_xor_b32_e32 v20, vcc_hi, v19
	v_xor_b32_e32 v19, vcc_lo, v19
	v_cmp_gt_i64_e32 vcc, 0, v[22:23]
	v_ashrrev_i32_e32 v16, 31, v16
	v_and_b32_e32 v18, v18, v19
	v_xor_b32_e32 v19, vcc_hi, v16
	v_xor_b32_e32 v16, vcc_lo, v16
	; wave barrier
	ds_read_b32 v39, v40 offset:32
	v_and_b32_e32 v17, v17, v20
	v_and_b32_e32 v16, v18, v16
	;; [unrolled: 1-line block ×3, first 2 shown]
	v_mbcnt_lo_u32_b32 v18, v16, 0
	v_mbcnt_hi_u32_b32 v41, v17, v18
	v_cmp_eq_u32_e32 vcc, 0, v41
	v_cmp_ne_u64_e64 s[16:17], 0, v[16:17]
	s_and_b64 s[20:21], s[16:17], vcc
	; wave barrier
	s_and_saveexec_b64 s[16:17], s[20:21]
	s_cbranch_execz .LBB245_87
; %bb.86:
	v_bcnt_u32_b32 v16, v16, 0
	v_bcnt_u32_b32 v16, v17, v16
	s_waitcnt lgkmcnt(0)
	v_add_u32_e32 v16, v39, v16
	ds_write_b32 v40, v16 offset:32
.LBB245_87:
	s_or_b64 exec, exec, s[16:17]
	v_mov_b32_e32 v20, 0x7fff
	v_cmp_ne_u16_e32 vcc, s19, v31
	v_cndmask_b32_e32 v16, v20, v31, vcc
	v_and_b32_sdwa v18, s18, v16 dst_sel:DWORD dst_unused:UNUSED_PAD src0_sel:DWORD src1_sel:WORD_0
	v_and_b32_e32 v17, 1, v18
	v_add_co_u32_e32 v19, vcc, -1, v17
	v_addc_co_u32_e64 v21, s[16:17], 0, -1, vcc
	v_cmp_ne_u32_e32 vcc, 0, v17
	v_lshlrev_b32_e32 v16, 3, v18
	v_xor_b32_e32 v17, vcc_hi, v21
	v_add_lshl_u32 v66, v24, v16, 2
	v_mov_b32_e32 v16, 0
	v_and_b32_e32 v21, exec_hi, v17
	v_lshlrev_b32_e32 v17, 30, v18
	v_xor_b32_e32 v19, vcc_lo, v19
	v_cmp_gt_i64_e32 vcc, 0, v[16:17]
	v_not_b32_e32 v17, v17
	v_ashrrev_i32_e32 v17, 31, v17
	v_and_b32_e32 v19, exec_lo, v19
	v_xor_b32_e32 v22, vcc_hi, v17
	v_xor_b32_e32 v17, vcc_lo, v17
	v_and_b32_e32 v19, v19, v17
	v_lshlrev_b32_e32 v17, 29, v18
	v_cmp_gt_i64_e32 vcc, 0, v[16:17]
	v_not_b32_e32 v17, v17
	v_ashrrev_i32_e32 v17, 31, v17
	v_and_b32_e32 v21, v21, v22
	v_xor_b32_e32 v22, vcc_hi, v17
	v_xor_b32_e32 v17, vcc_lo, v17
	v_and_b32_e32 v19, v19, v17
	v_lshlrev_b32_e32 v17, 28, v18
	v_cmp_gt_i64_e32 vcc, 0, v[16:17]
	v_not_b32_e32 v17, v17
	v_ashrrev_i32_e32 v17, 31, v17
	v_and_b32_e32 v21, v21, v22
	;; [unrolled: 8-line block ×5, first 2 shown]
	v_xor_b32_e32 v22, vcc_hi, v17
	v_xor_b32_e32 v17, vcc_lo, v17
	v_and_b32_e32 v21, v21, v22
	v_and_b32_e32 v22, v19, v17
	v_lshlrev_b32_e32 v17, 24, v18
	v_cmp_gt_i64_e32 vcc, 0, v[16:17]
	v_not_b32_e32 v17, v17
	v_ashrrev_i32_e32 v17, 31, v17
	v_xor_b32_e32 v18, vcc_hi, v17
	v_xor_b32_e32 v17, vcc_lo, v17
	; wave barrier
	ds_read_b32 v65, v66 offset:32
	v_and_b32_e32 v19, v21, v18
	v_and_b32_e32 v18, v22, v17
	v_mbcnt_lo_u32_b32 v17, v18, 0
	v_mbcnt_hi_u32_b32 v67, v19, v17
	v_cmp_eq_u32_e32 vcc, 0, v67
	v_cmp_ne_u64_e64 s[16:17], 0, v[18:19]
	s_and_b64 s[20:21], s[16:17], vcc
	; wave barrier
	s_and_saveexec_b64 s[16:17], s[20:21]
	s_cbranch_execz .LBB245_89
; %bb.88:
	v_bcnt_u32_b32 v17, v18, 0
	v_bcnt_u32_b32 v17, v19, v17
	s_waitcnt lgkmcnt(0)
	v_add_u32_e32 v17, v65, v17
	ds_write_b32 v66, v17 offset:32
.LBB245_89:
	s_or_b64 exec, exec, s[16:17]
	v_cmp_ne_u16_e32 vcc, s19, v30
	v_cndmask_b32_e32 v17, v20, v30, vcc
	v_and_b32_sdwa v18, s18, v17 dst_sel:DWORD dst_unused:UNUSED_PAD src0_sel:DWORD src1_sel:WORD_0
	v_lshlrev_b32_e32 v17, 3, v18
	v_add_lshl_u32 v69, v24, v17, 2
	v_and_b32_e32 v17, 1, v18
	v_add_co_u32_e32 v19, vcc, -1, v17
	v_addc_co_u32_e64 v20, s[16:17], 0, -1, vcc
	v_cmp_ne_u32_e32 vcc, 0, v17
	v_xor_b32_e32 v17, vcc_hi, v20
	v_and_b32_e32 v20, exec_hi, v17
	v_lshlrev_b32_e32 v17, 30, v18
	v_xor_b32_e32 v19, vcc_lo, v19
	v_cmp_gt_i64_e32 vcc, 0, v[16:17]
	v_not_b32_e32 v17, v17
	v_ashrrev_i32_e32 v17, 31, v17
	v_and_b32_e32 v19, exec_lo, v19
	v_xor_b32_e32 v21, vcc_hi, v17
	v_xor_b32_e32 v17, vcc_lo, v17
	v_and_b32_e32 v19, v19, v17
	v_lshlrev_b32_e32 v17, 29, v18
	v_cmp_gt_i64_e32 vcc, 0, v[16:17]
	v_not_b32_e32 v17, v17
	v_ashrrev_i32_e32 v17, 31, v17
	v_and_b32_e32 v20, v20, v21
	v_xor_b32_e32 v21, vcc_hi, v17
	v_xor_b32_e32 v17, vcc_lo, v17
	v_and_b32_e32 v19, v19, v17
	v_lshlrev_b32_e32 v17, 28, v18
	v_cmp_gt_i64_e32 vcc, 0, v[16:17]
	v_not_b32_e32 v17, v17
	v_ashrrev_i32_e32 v17, 31, v17
	v_and_b32_e32 v20, v20, v21
	;; [unrolled: 8-line block ×5, first 2 shown]
	v_xor_b32_e32 v21, vcc_hi, v17
	v_xor_b32_e32 v17, vcc_lo, v17
	v_and_b32_e32 v19, v19, v17
	v_lshlrev_b32_e32 v17, 24, v18
	v_cmp_gt_i64_e32 vcc, 0, v[16:17]
	v_not_b32_e32 v16, v17
	v_ashrrev_i32_e32 v16, 31, v16
	v_xor_b32_e32 v17, vcc_hi, v16
	v_xor_b32_e32 v16, vcc_lo, v16
	; wave barrier
	ds_read_b32 v68, v69 offset:32
	v_and_b32_e32 v20, v20, v21
	v_and_b32_e32 v16, v19, v16
	;; [unrolled: 1-line block ×3, first 2 shown]
	v_mbcnt_lo_u32_b32 v18, v16, 0
	v_mbcnt_hi_u32_b32 v70, v17, v18
	v_cmp_eq_u32_e32 vcc, 0, v70
	v_cmp_ne_u64_e64 s[16:17], 0, v[16:17]
	s_and_b64 s[20:21], s[16:17], vcc
	; wave barrier
	s_and_saveexec_b64 s[16:17], s[20:21]
	s_cbranch_execz .LBB245_91
; %bb.90:
	v_bcnt_u32_b32 v16, v16, 0
	v_bcnt_u32_b32 v16, v17, v16
	s_waitcnt lgkmcnt(0)
	v_add_u32_e32 v16, v68, v16
	ds_write_b32 v69, v16 offset:32
.LBB245_91:
	s_or_b64 exec, exec, s[16:17]
	v_mov_b32_e32 v20, 0x7fff
	v_cmp_ne_u16_e32 vcc, s19, v29
	v_cndmask_b32_e32 v16, v20, v29, vcc
	v_and_b32_sdwa v18, s18, v16 dst_sel:DWORD dst_unused:UNUSED_PAD src0_sel:DWORD src1_sel:WORD_0
	v_and_b32_e32 v17, 1, v18
	v_add_co_u32_e32 v19, vcc, -1, v17
	v_addc_co_u32_e64 v21, s[16:17], 0, -1, vcc
	v_cmp_ne_u32_e32 vcc, 0, v17
	v_lshlrev_b32_e32 v16, 3, v18
	v_xor_b32_e32 v17, vcc_hi, v21
	v_add_lshl_u32 v72, v24, v16, 2
	v_mov_b32_e32 v16, 0
	v_and_b32_e32 v21, exec_hi, v17
	v_lshlrev_b32_e32 v17, 30, v18
	v_xor_b32_e32 v19, vcc_lo, v19
	v_cmp_gt_i64_e32 vcc, 0, v[16:17]
	v_not_b32_e32 v17, v17
	v_ashrrev_i32_e32 v17, 31, v17
	v_and_b32_e32 v19, exec_lo, v19
	v_xor_b32_e32 v22, vcc_hi, v17
	v_xor_b32_e32 v17, vcc_lo, v17
	v_and_b32_e32 v19, v19, v17
	v_lshlrev_b32_e32 v17, 29, v18
	v_cmp_gt_i64_e32 vcc, 0, v[16:17]
	v_not_b32_e32 v17, v17
	v_ashrrev_i32_e32 v17, 31, v17
	v_and_b32_e32 v21, v21, v22
	v_xor_b32_e32 v22, vcc_hi, v17
	v_xor_b32_e32 v17, vcc_lo, v17
	v_and_b32_e32 v19, v19, v17
	v_lshlrev_b32_e32 v17, 28, v18
	v_cmp_gt_i64_e32 vcc, 0, v[16:17]
	v_not_b32_e32 v17, v17
	v_ashrrev_i32_e32 v17, 31, v17
	v_and_b32_e32 v21, v21, v22
	v_xor_b32_e32 v22, vcc_hi, v17
	v_xor_b32_e32 v17, vcc_lo, v17
	v_and_b32_e32 v19, v19, v17
	v_lshlrev_b32_e32 v17, 27, v18
	v_cmp_gt_i64_e32 vcc, 0, v[16:17]
	v_not_b32_e32 v17, v17
	v_ashrrev_i32_e32 v17, 31, v17
	v_and_b32_e32 v21, v21, v22
	v_xor_b32_e32 v22, vcc_hi, v17
	v_xor_b32_e32 v17, vcc_lo, v17
	v_and_b32_e32 v19, v19, v17
	v_lshlrev_b32_e32 v17, 26, v18
	v_cmp_gt_i64_e32 vcc, 0, v[16:17]
	v_not_b32_e32 v17, v17
	v_ashrrev_i32_e32 v17, 31, v17
	v_and_b32_e32 v21, v21, v22
	v_xor_b32_e32 v22, vcc_hi, v17
	v_xor_b32_e32 v17, vcc_lo, v17
	v_and_b32_e32 v19, v19, v17
	v_lshlrev_b32_e32 v17, 25, v18
	v_cmp_gt_i64_e32 vcc, 0, v[16:17]
	v_not_b32_e32 v17, v17
	v_ashrrev_i32_e32 v17, 31, v17
	v_and_b32_e32 v21, v21, v22
	v_xor_b32_e32 v22, vcc_hi, v17
	v_xor_b32_e32 v17, vcc_lo, v17
	v_and_b32_e32 v21, v21, v22
	v_and_b32_e32 v22, v19, v17
	v_lshlrev_b32_e32 v17, 24, v18
	v_cmp_gt_i64_e32 vcc, 0, v[16:17]
	v_not_b32_e32 v17, v17
	v_ashrrev_i32_e32 v17, 31, v17
	v_xor_b32_e32 v18, vcc_hi, v17
	v_xor_b32_e32 v17, vcc_lo, v17
	; wave barrier
	ds_read_b32 v71, v72 offset:32
	v_and_b32_e32 v19, v21, v18
	v_and_b32_e32 v18, v22, v17
	v_mbcnt_lo_u32_b32 v17, v18, 0
	v_mbcnt_hi_u32_b32 v73, v19, v17
	v_cmp_eq_u32_e32 vcc, 0, v73
	v_cmp_ne_u64_e64 s[16:17], 0, v[18:19]
	s_and_b64 s[20:21], s[16:17], vcc
	; wave barrier
	s_and_saveexec_b64 s[16:17], s[20:21]
	s_cbranch_execz .LBB245_93
; %bb.92:
	v_bcnt_u32_b32 v17, v18, 0
	v_bcnt_u32_b32 v17, v19, v17
	s_waitcnt lgkmcnt(0)
	v_add_u32_e32 v17, v71, v17
	ds_write_b32 v72, v17 offset:32
.LBB245_93:
	s_or_b64 exec, exec, s[16:17]
	v_cmp_ne_u16_e32 vcc, s19, v28
	v_cndmask_b32_e32 v17, v20, v28, vcc
	v_and_b32_sdwa v18, s18, v17 dst_sel:DWORD dst_unused:UNUSED_PAD src0_sel:DWORD src1_sel:WORD_0
	v_lshlrev_b32_e32 v17, 3, v18
	v_add_lshl_u32 v75, v24, v17, 2
	v_and_b32_e32 v17, 1, v18
	v_add_co_u32_e32 v19, vcc, -1, v17
	v_addc_co_u32_e64 v20, s[16:17], 0, -1, vcc
	v_cmp_ne_u32_e32 vcc, 0, v17
	v_xor_b32_e32 v17, vcc_hi, v20
	v_and_b32_e32 v20, exec_hi, v17
	v_lshlrev_b32_e32 v17, 30, v18
	v_xor_b32_e32 v19, vcc_lo, v19
	v_cmp_gt_i64_e32 vcc, 0, v[16:17]
	v_not_b32_e32 v17, v17
	v_ashrrev_i32_e32 v17, 31, v17
	v_and_b32_e32 v19, exec_lo, v19
	v_xor_b32_e32 v21, vcc_hi, v17
	v_xor_b32_e32 v17, vcc_lo, v17
	v_and_b32_e32 v19, v19, v17
	v_lshlrev_b32_e32 v17, 29, v18
	v_cmp_gt_i64_e32 vcc, 0, v[16:17]
	v_not_b32_e32 v17, v17
	v_ashrrev_i32_e32 v17, 31, v17
	v_and_b32_e32 v20, v20, v21
	v_xor_b32_e32 v21, vcc_hi, v17
	v_xor_b32_e32 v17, vcc_lo, v17
	v_and_b32_e32 v19, v19, v17
	v_lshlrev_b32_e32 v17, 28, v18
	v_cmp_gt_i64_e32 vcc, 0, v[16:17]
	v_not_b32_e32 v17, v17
	v_ashrrev_i32_e32 v17, 31, v17
	v_and_b32_e32 v20, v20, v21
	;; [unrolled: 8-line block ×5, first 2 shown]
	v_xor_b32_e32 v21, vcc_hi, v17
	v_xor_b32_e32 v17, vcc_lo, v17
	v_and_b32_e32 v19, v19, v17
	v_lshlrev_b32_e32 v17, 24, v18
	v_cmp_gt_i64_e32 vcc, 0, v[16:17]
	v_not_b32_e32 v16, v17
	v_ashrrev_i32_e32 v16, 31, v16
	v_xor_b32_e32 v17, vcc_hi, v16
	v_xor_b32_e32 v16, vcc_lo, v16
	; wave barrier
	ds_read_b32 v74, v75 offset:32
	v_and_b32_e32 v20, v20, v21
	v_and_b32_e32 v16, v19, v16
	;; [unrolled: 1-line block ×3, first 2 shown]
	v_mbcnt_lo_u32_b32 v18, v16, 0
	v_mbcnt_hi_u32_b32 v76, v17, v18
	v_cmp_eq_u32_e32 vcc, 0, v76
	v_cmp_ne_u64_e64 s[16:17], 0, v[16:17]
	s_and_b64 s[20:21], s[16:17], vcc
	; wave barrier
	s_and_saveexec_b64 s[16:17], s[20:21]
	s_cbranch_execz .LBB245_95
; %bb.94:
	v_bcnt_u32_b32 v16, v16, 0
	v_bcnt_u32_b32 v16, v17, v16
	s_waitcnt lgkmcnt(0)
	v_add_u32_e32 v16, v74, v16
	ds_write_b32 v75, v16 offset:32
.LBB245_95:
	s_or_b64 exec, exec, s[16:17]
	v_mov_b32_e32 v20, 0x7fff
	v_cmp_ne_u16_e32 vcc, s19, v27
	v_cndmask_b32_e32 v16, v20, v27, vcc
	v_and_b32_sdwa v18, s18, v16 dst_sel:DWORD dst_unused:UNUSED_PAD src0_sel:DWORD src1_sel:WORD_0
	v_and_b32_e32 v17, 1, v18
	v_add_co_u32_e32 v19, vcc, -1, v17
	v_addc_co_u32_e64 v21, s[16:17], 0, -1, vcc
	v_cmp_ne_u32_e32 vcc, 0, v17
	v_lshlrev_b32_e32 v16, 3, v18
	v_xor_b32_e32 v17, vcc_hi, v21
	v_add_lshl_u32 v78, v24, v16, 2
	v_mov_b32_e32 v16, 0
	v_and_b32_e32 v21, exec_hi, v17
	v_lshlrev_b32_e32 v17, 30, v18
	v_xor_b32_e32 v19, vcc_lo, v19
	v_cmp_gt_i64_e32 vcc, 0, v[16:17]
	v_not_b32_e32 v17, v17
	v_ashrrev_i32_e32 v17, 31, v17
	v_and_b32_e32 v19, exec_lo, v19
	v_xor_b32_e32 v22, vcc_hi, v17
	v_xor_b32_e32 v17, vcc_lo, v17
	v_and_b32_e32 v19, v19, v17
	v_lshlrev_b32_e32 v17, 29, v18
	v_cmp_gt_i64_e32 vcc, 0, v[16:17]
	v_not_b32_e32 v17, v17
	v_ashrrev_i32_e32 v17, 31, v17
	v_and_b32_e32 v21, v21, v22
	v_xor_b32_e32 v22, vcc_hi, v17
	v_xor_b32_e32 v17, vcc_lo, v17
	v_and_b32_e32 v19, v19, v17
	v_lshlrev_b32_e32 v17, 28, v18
	v_cmp_gt_i64_e32 vcc, 0, v[16:17]
	v_not_b32_e32 v17, v17
	v_ashrrev_i32_e32 v17, 31, v17
	v_and_b32_e32 v21, v21, v22
	;; [unrolled: 8-line block ×5, first 2 shown]
	v_xor_b32_e32 v22, vcc_hi, v17
	v_xor_b32_e32 v17, vcc_lo, v17
	v_and_b32_e32 v21, v21, v22
	v_and_b32_e32 v22, v19, v17
	v_lshlrev_b32_e32 v17, 24, v18
	v_cmp_gt_i64_e32 vcc, 0, v[16:17]
	v_not_b32_e32 v17, v17
	v_ashrrev_i32_e32 v17, 31, v17
	v_xor_b32_e32 v18, vcc_hi, v17
	v_xor_b32_e32 v17, vcc_lo, v17
	; wave barrier
	ds_read_b32 v77, v78 offset:32
	v_and_b32_e32 v19, v21, v18
	v_and_b32_e32 v18, v22, v17
	v_mbcnt_lo_u32_b32 v17, v18, 0
	v_mbcnt_hi_u32_b32 v79, v19, v17
	v_cmp_eq_u32_e32 vcc, 0, v79
	v_cmp_ne_u64_e64 s[16:17], 0, v[18:19]
	s_and_b64 s[20:21], s[16:17], vcc
	; wave barrier
	s_and_saveexec_b64 s[16:17], s[20:21]
	s_cbranch_execz .LBB245_97
; %bb.96:
	v_bcnt_u32_b32 v17, v18, 0
	v_bcnt_u32_b32 v17, v19, v17
	s_waitcnt lgkmcnt(0)
	v_add_u32_e32 v17, v77, v17
	ds_write_b32 v78, v17 offset:32
.LBB245_97:
	s_or_b64 exec, exec, s[16:17]
	v_cmp_ne_u16_e32 vcc, s19, v25
	v_cndmask_b32_e32 v17, v20, v25, vcc
	v_and_b32_sdwa v18, s18, v17 dst_sel:DWORD dst_unused:UNUSED_PAD src0_sel:DWORD src1_sel:WORD_0
	v_lshlrev_b32_e32 v17, 3, v18
	v_add_lshl_u32 v81, v24, v17, 2
	v_and_b32_e32 v17, 1, v18
	v_add_co_u32_e32 v19, vcc, -1, v17
	v_addc_co_u32_e64 v20, s[16:17], 0, -1, vcc
	v_cmp_ne_u32_e32 vcc, 0, v17
	v_xor_b32_e32 v17, vcc_hi, v20
	v_and_b32_e32 v20, exec_hi, v17
	v_lshlrev_b32_e32 v17, 30, v18
	v_xor_b32_e32 v19, vcc_lo, v19
	v_cmp_gt_i64_e32 vcc, 0, v[16:17]
	v_not_b32_e32 v17, v17
	v_ashrrev_i32_e32 v17, 31, v17
	v_and_b32_e32 v19, exec_lo, v19
	v_xor_b32_e32 v21, vcc_hi, v17
	v_xor_b32_e32 v17, vcc_lo, v17
	v_and_b32_e32 v19, v19, v17
	v_lshlrev_b32_e32 v17, 29, v18
	v_cmp_gt_i64_e32 vcc, 0, v[16:17]
	v_not_b32_e32 v17, v17
	v_ashrrev_i32_e32 v17, 31, v17
	v_and_b32_e32 v20, v20, v21
	v_xor_b32_e32 v21, vcc_hi, v17
	v_xor_b32_e32 v17, vcc_lo, v17
	v_and_b32_e32 v19, v19, v17
	v_lshlrev_b32_e32 v17, 28, v18
	v_cmp_gt_i64_e32 vcc, 0, v[16:17]
	v_not_b32_e32 v17, v17
	v_ashrrev_i32_e32 v17, 31, v17
	v_and_b32_e32 v20, v20, v21
	;; [unrolled: 8-line block ×5, first 2 shown]
	v_xor_b32_e32 v21, vcc_hi, v17
	v_xor_b32_e32 v17, vcc_lo, v17
	v_and_b32_e32 v19, v19, v17
	v_lshlrev_b32_e32 v17, 24, v18
	v_cmp_gt_i64_e32 vcc, 0, v[16:17]
	v_not_b32_e32 v16, v17
	v_ashrrev_i32_e32 v16, 31, v16
	v_xor_b32_e32 v17, vcc_hi, v16
	v_xor_b32_e32 v16, vcc_lo, v16
	; wave barrier
	ds_read_b32 v80, v81 offset:32
	v_and_b32_e32 v20, v20, v21
	v_and_b32_e32 v16, v19, v16
	;; [unrolled: 1-line block ×3, first 2 shown]
	v_mbcnt_lo_u32_b32 v18, v16, 0
	v_mbcnt_hi_u32_b32 v82, v17, v18
	v_cmp_eq_u32_e32 vcc, 0, v82
	v_cmp_ne_u64_e64 s[16:17], 0, v[16:17]
	v_add_u32_e32 v22, 32, v64
	v_lshrrev_b32_e32 v23, 6, v46
	v_min_u32_e32 v34, 0x1c0, v34
	s_and_b64 s[18:19], s[16:17], vcc
	; wave barrier
	s_and_saveexec_b64 s[16:17], s[18:19]
	s_cbranch_execz .LBB245_99
; %bb.98:
	v_bcnt_u32_b32 v16, v16, 0
	v_bcnt_u32_b32 v16, v17, v16
	s_waitcnt lgkmcnt(0)
	v_add_u32_e32 v16, v80, v16
	ds_write_b32 v81, v16 offset:32
.LBB245_99:
	s_or_b64 exec, exec, s[16:17]
	; wave barrier
	s_waitcnt lgkmcnt(0)
	s_barrier
	ds_read2_b32 v[18:19], v64 offset0:8 offset1:9
	ds_read2_b32 v[20:21], v22 offset0:2 offset1:3
	v_and_b32_e32 v17, 16, v26
	v_cmp_eq_u32_e32 vcc, 0, v17
	v_or_b32_e32 v17, 63, v34
	v_cmp_eq_u32_e64 s[16:17], v17, v46
	s_waitcnt lgkmcnt(1)
	v_add_u32_e32 v17, v19, v18
	v_and_b32_e32 v16, 15, v26
	s_waitcnt lgkmcnt(0)
	v_add3_u32 v17, v17, v20, v21
	v_cmp_eq_u32_e64 s[24:25], 0, v16
	v_cmp_lt_u32_e64 s[26:27], 1, v16
	v_mov_b32_dpp v21, v17 row_shr:1 row_mask:0xf bank_mask:0xf
	v_cndmask_b32_e64 v21, v21, 0, s[24:25]
	v_add_u32_e32 v17, v21, v17
	v_cmp_lt_u32_e64 s[30:31], 3, v16
	v_cmp_lt_u32_e64 s[34:35], 7, v16
	v_mov_b32_dpp v21, v17 row_shr:2 row_mask:0xf bank_mask:0xf
	v_cndmask_b32_e64 v21, 0, v21, s[26:27]
	v_add_u32_e32 v17, v17, v21
	v_bfe_i32 v35, v26, 4, 1
	v_cmp_lt_u32_e64 s[36:37], 31, v26
	v_mov_b32_dpp v21, v17 row_shr:4 row_mask:0xf bank_mask:0xf
	v_cndmask_b32_e64 v21, 0, v21, s[30:31]
	v_add_u32_e32 v17, v17, v21
	v_lshlrev_b32_e32 v23, 2, v23
	s_nop 0
	v_mov_b32_dpp v21, v17 row_shr:8 row_mask:0xf bank_mask:0xf
	v_cndmask_b32_e64 v16, 0, v21, s[34:35]
	v_add_u32_e32 v16, v17, v16
	s_nop 1
	v_mov_b32_dpp v17, v16 row_bcast:15 row_mask:0xf bank_mask:0xf
	v_and_b32_e32 v17, v35, v17
	v_add_u32_e32 v16, v16, v17
	s_nop 1
	v_mov_b32_dpp v17, v16 row_bcast:31 row_mask:0xf bank_mask:0xf
	v_cndmask_b32_e64 v17, 0, v17, s[36:37]
	v_add_u32_e32 v17, v16, v17
	s_and_saveexec_b64 s[18:19], s[16:17]
	s_cbranch_execz .LBB245_101
; %bb.100:
	ds_write_b32 v23, v17
.LBB245_101:
	s_or_b64 exec, exec, s[18:19]
	v_and_b32_e32 v16, 7, v26
	v_cmp_gt_u32_e64 s[28:29], 8, v46
	v_lshlrev_b32_e32 v21, 2, v46
	v_cmp_eq_u32_e64 s[22:23], 0, v16
	v_cmp_lt_u32_e64 s[20:21], 1, v16
	v_cmp_lt_u32_e64 s[18:19], 3, v16
	s_waitcnt lgkmcnt(0)
	s_barrier
	s_and_saveexec_b64 s[38:39], s[28:29]
	s_cbranch_execz .LBB245_103
; %bb.102:
	ds_read_b32 v16, v21
	s_waitcnt lgkmcnt(0)
	s_nop 0
	v_mov_b32_dpp v34, v16 row_shr:1 row_mask:0xf bank_mask:0xf
	v_cndmask_b32_e64 v34, v34, 0, s[22:23]
	v_add_u32_e32 v16, v34, v16
	s_nop 1
	v_mov_b32_dpp v34, v16 row_shr:2 row_mask:0xf bank_mask:0xf
	v_cndmask_b32_e64 v34, 0, v34, s[20:21]
	v_add_u32_e32 v16, v16, v34
	s_nop 1
	v_mov_b32_dpp v34, v16 row_shr:4 row_mask:0xf bank_mask:0xf
	v_cndmask_b32_e64 v34, 0, v34, s[18:19]
	v_add_u32_e32 v16, v16, v34
	ds_write_b32 v21, v16
.LBB245_103:
	s_or_b64 exec, exec, s[38:39]
	v_cmp_lt_u32_e64 s[38:39], 63, v46
	v_add_u32_e32 v34, -4, v23
	v_mov_b32_e32 v16, 0
	v_mov_b32_e32 v83, 0
	s_waitcnt lgkmcnt(0)
	s_barrier
	s_and_saveexec_b64 s[40:41], s[38:39]
	s_cbranch_execz .LBB245_105
; %bb.104:
	ds_read_b32 v83, v34
.LBB245_105:
	s_or_b64 exec, exec, s[40:41]
	v_add_u32_e32 v35, -1, v26
	v_and_b32_e32 v84, 64, v26
	v_cmp_lt_i32_e64 s[40:41], v35, v84
	v_cndmask_b32_e64 v35, v35, v26, s[40:41]
	v_lshlrev_b32_e32 v35, 2, v35
	s_waitcnt lgkmcnt(0)
	v_add_u32_e32 v17, v83, v17
	ds_bpermute_b32 v17, v35, v17
	v_cmp_eq_u32_e64 s[40:41], 0, v26
	v_cmp_eq_u32_e64 s[42:43], 0, v46
	v_and_or_b32 v36, v26, 63, v36
	v_lshlrev_b32_e32 v84, 1, v36
	s_waitcnt lgkmcnt(0)
	v_cndmask_b32_e64 v17, v17, v83, s[40:41]
	v_cndmask_b32_e64 v17, v17, 0, s[42:43]
	v_add_u32_e32 v18, v17, v18
	v_add_u32_e32 v19, v18, v19
	;; [unrolled: 1-line block ×3, first 2 shown]
	ds_write2_b32 v64, v17, v18 offset0:8 offset1:9
	ds_write2_b32 v22, v19, v20 offset0:2 offset1:3
	s_waitcnt lgkmcnt(0)
	s_barrier
	ds_read_b32 v17, v37 offset:32
	ds_read_b32 v18, v40 offset:32
	;; [unrolled: 1-line block ×8, first 2 shown]
	s_waitcnt lgkmcnt(7)
	v_add_u32_e32 v17, v17, v38
	s_waitcnt lgkmcnt(6)
	v_add3_u32 v18, v41, v39, v18
	s_waitcnt lgkmcnt(4)
	v_add3_u32 v38, v70, v68, v20
	v_lshlrev_b32_e32 v20, 1, v17
	v_add3_u32 v19, v67, v65, v19
	s_waitcnt lgkmcnt(0)
	s_barrier
	ds_write_b16 v20, v33
	v_lshlrev_b32_e32 v20, 1, v18
	ds_write_b16 v20, v32
	v_lshlrev_b32_e32 v20, 1, v19
	v_add3_u32 v39, v73, v71, v26
	ds_write_b16 v20, v31
	v_lshlrev_b32_e32 v20, 1, v38
	v_add3_u32 v37, v76, v74, v37
	;; [unrolled: 3-line block ×4, first 2 shown]
	ds_write_b16 v20, v28
	v_lshlrev_b32_e32 v20, 1, v40
	ds_write_b16 v20, v27
	v_lshlrev_b32_e32 v20, 1, v41
	v_lshlrev_b32_e32 v17, 3, v17
	s_min_u32 s44, s44, 8
	ds_write_b16 v20, v25
	s_waitcnt lgkmcnt(0)
	s_barrier
	ds_read_u16 v31, v84
	ds_read_u16 v30, v84 offset:128
	ds_read_u16 v29, v84 offset:256
	;; [unrolled: 1-line block ×7, first 2 shown]
	s_waitcnt lgkmcnt(0)
	s_barrier
	ds_write_b64 v17, v[12:13]
	v_lshlrev_b32_e32 v12, 3, v18
	s_lshl_b32 s44, -1, s44
	s_movk_i32 s54, 0x8000
	ds_write_b64 v12, v[14:15]
	v_lshlrev_b32_e32 v12, 3, v19
	s_not_b32 s53, s44
	v_lshrrev_b16_e32 v17, 8, v31
	v_mov_b32_e32 v18, 0x7f
	v_cmp_ne_u16_e64 s[44:45], s54, v31
	ds_write_b64 v12, v[8:9]
	v_lshlrev_b32_e32 v8, 3, v38
	v_cndmask_b32_e64 v17, v18, v17, s[44:45]
	ds_write_b64 v8, v[10:11]
	v_lshlrev_b32_e32 v8, 3, v39
	v_and_b32_sdwa v19, v17, s53 dst_sel:DWORD dst_unused:UNUSED_PAD src0_sel:WORD_0 src1_sel:DWORD
	ds_write_b64 v8, v[4:5]
	v_lshlrev_b32_e32 v4, 3, v37
	v_lshlrev_b32_e32 v17, 3, v19
	ds_write_b64 v4, v[6:7]
	v_lshlrev_b32_e32 v4, 3, v40
	v_add_lshl_u32 v32, v17, v24, 2
	v_and_b32_e32 v17, 1, v19
	v_lshlrev_b32_e32 v36, 3, v36
	ds_write_b64 v4, v[0:1]
	v_lshlrev_b32_e32 v0, 3, v41
	v_add_co_u32_e64 v33, s[44:45], -1, v17
	ds_write_b64 v0, v[2:3]
	s_waitcnt lgkmcnt(0)
	s_barrier
	ds_read2st64_b64 v[12:15], v36 offset1:1
	ds_read2st64_b64 v[8:11], v36 offset0:2 offset1:3
	ds_read2st64_b64 v[4:7], v36 offset0:4 offset1:5
	;; [unrolled: 1-line block ×3, first 2 shown]
	v_addc_co_u32_e64 v36, s[44:45], 0, -1, s[44:45]
	v_cmp_ne_u32_e64 s[44:45], 0, v17
	v_xor_b32_e32 v17, s45, v36
	v_and_b32_e32 v36, exec_hi, v17
	v_lshlrev_b32_e32 v17, 30, v19
	v_xor_b32_e32 v33, s44, v33
	v_cmp_gt_i64_e64 s[44:45], 0, v[16:17]
	v_not_b32_e32 v17, v17
	v_ashrrev_i32_e32 v17, 31, v17
	v_and_b32_e32 v33, exec_lo, v33
	v_xor_b32_e32 v37, s45, v17
	v_xor_b32_e32 v17, s44, v17
	v_and_b32_e32 v33, v33, v17
	v_lshlrev_b32_e32 v17, 29, v19
	v_cmp_gt_i64_e64 s[44:45], 0, v[16:17]
	v_not_b32_e32 v17, v17
	v_ashrrev_i32_e32 v17, 31, v17
	v_and_b32_e32 v36, v36, v37
	v_xor_b32_e32 v37, s45, v17
	v_xor_b32_e32 v17, s44, v17
	v_and_b32_e32 v33, v33, v17
	v_lshlrev_b32_e32 v17, 28, v19
	v_cmp_gt_i64_e64 s[44:45], 0, v[16:17]
	v_not_b32_e32 v17, v17
	v_ashrrev_i32_e32 v17, 31, v17
	v_and_b32_e32 v36, v36, v37
	;; [unrolled: 8-line block ×5, first 2 shown]
	v_xor_b32_e32 v37, s45, v17
	v_xor_b32_e32 v17, s44, v17
	v_and_b32_e32 v33, v33, v17
	v_lshlrev_b32_e32 v17, 24, v19
	s_waitcnt lgkmcnt(0)
	s_barrier
	ds_write2_b32 v64, v16, v16 offset0:8 offset1:9
	ds_write2_b32 v22, v16, v16 offset0:2 offset1:3
	v_cmp_gt_i64_e64 s[44:45], 0, v[16:17]
	v_not_b32_e32 v16, v17
	v_ashrrev_i32_e32 v16, 31, v16
	v_xor_b32_e32 v17, s45, v16
	v_xor_b32_e32 v16, s44, v16
	v_and_b32_e32 v36, v36, v37
	v_and_b32_e32 v16, v33, v16
	;; [unrolled: 1-line block ×3, first 2 shown]
	v_mbcnt_lo_u32_b32 v19, v16, 0
	v_mbcnt_hi_u32_b32 v33, v17, v19
	v_cmp_eq_u32_e64 s[44:45], 0, v33
	v_cmp_ne_u64_e64 s[46:47], 0, v[16:17]
	s_and_b64 s[46:47], s[46:47], s[44:45]
	s_waitcnt lgkmcnt(0)
	s_barrier
	s_waitcnt lgkmcnt(0)
	; wave barrier
	s_and_saveexec_b64 s[44:45], s[46:47]
	s_cbranch_execz .LBB245_107
; %bb.106:
	v_bcnt_u32_b32 v16, v16, 0
	v_bcnt_u32_b32 v16, v17, v16
	ds_write_b32 v32, v16 offset:32
.LBB245_107:
	s_or_b64 exec, exec, s[44:45]
	v_lshrrev_b16_e32 v16, 8, v30
	v_cmp_ne_u16_e64 s[44:45], s54, v30
	v_cndmask_b32_e64 v16, v18, v16, s[44:45]
	v_and_b32_e32 v18, s53, v16
	v_and_b32_e32 v17, 1, v18
	v_add_co_u32_e64 v19, s[44:45], -1, v17
	v_addc_co_u32_e64 v38, s[44:45], 0, -1, s[44:45]
	v_cmp_ne_u32_e64 s[44:45], 0, v17
	v_lshlrev_b32_e32 v16, 3, v18
	v_xor_b32_e32 v17, s45, v38
	v_add_lshl_u32 v37, v16, v24, 2
	v_mov_b32_e32 v16, 0
	v_and_b32_e32 v38, exec_hi, v17
	v_lshlrev_b32_e32 v17, 30, v18
	v_xor_b32_e32 v19, s44, v19
	v_cmp_gt_i64_e64 s[44:45], 0, v[16:17]
	v_not_b32_e32 v17, v17
	v_ashrrev_i32_e32 v17, 31, v17
	v_and_b32_e32 v19, exec_lo, v19
	v_xor_b32_e32 v39, s45, v17
	v_xor_b32_e32 v17, s44, v17
	v_and_b32_e32 v19, v19, v17
	v_lshlrev_b32_e32 v17, 29, v18
	v_cmp_gt_i64_e64 s[44:45], 0, v[16:17]
	v_not_b32_e32 v17, v17
	v_ashrrev_i32_e32 v17, 31, v17
	v_and_b32_e32 v38, v38, v39
	v_xor_b32_e32 v39, s45, v17
	v_xor_b32_e32 v17, s44, v17
	v_and_b32_e32 v19, v19, v17
	v_lshlrev_b32_e32 v17, 28, v18
	v_cmp_gt_i64_e64 s[44:45], 0, v[16:17]
	v_not_b32_e32 v17, v17
	v_ashrrev_i32_e32 v17, 31, v17
	v_and_b32_e32 v38, v38, v39
	v_xor_b32_e32 v39, s45, v17
	v_xor_b32_e32 v17, s44, v17
	v_and_b32_e32 v19, v19, v17
	v_lshlrev_b32_e32 v17, 27, v18
	v_cmp_gt_i64_e64 s[44:45], 0, v[16:17]
	v_not_b32_e32 v17, v17
	v_ashrrev_i32_e32 v17, 31, v17
	v_and_b32_e32 v38, v38, v39
	v_xor_b32_e32 v39, s45, v17
	v_xor_b32_e32 v17, s44, v17
	v_and_b32_e32 v19, v19, v17
	v_lshlrev_b32_e32 v17, 26, v18
	v_cmp_gt_i64_e64 s[44:45], 0, v[16:17]
	v_not_b32_e32 v17, v17
	v_ashrrev_i32_e32 v17, 31, v17
	v_and_b32_e32 v38, v38, v39
	v_xor_b32_e32 v39, s45, v17
	v_xor_b32_e32 v17, s44, v17
	v_and_b32_e32 v19, v19, v17
	v_lshlrev_b32_e32 v17, 25, v18
	v_cmp_gt_i64_e64 s[44:45], 0, v[16:17]
	v_not_b32_e32 v17, v17
	v_ashrrev_i32_e32 v17, 31, v17
	v_and_b32_e32 v38, v38, v39
	v_xor_b32_e32 v39, s45, v17
	v_xor_b32_e32 v17, s44, v17
	v_and_b32_e32 v38, v38, v39
	v_and_b32_e32 v39, v19, v17
	v_lshlrev_b32_e32 v17, 24, v18
	v_cmp_gt_i64_e64 s[44:45], 0, v[16:17]
	v_not_b32_e32 v17, v17
	v_ashrrev_i32_e32 v17, 31, v17
	v_xor_b32_e32 v18, s45, v17
	v_xor_b32_e32 v17, s44, v17
	; wave barrier
	ds_read_b32 v36, v37 offset:32
	v_and_b32_e32 v19, v38, v18
	v_and_b32_e32 v18, v39, v17
	v_mbcnt_lo_u32_b32 v17, v18, 0
	v_mbcnt_hi_u32_b32 v38, v19, v17
	v_cmp_eq_u32_e64 s[44:45], 0, v38
	v_cmp_ne_u64_e64 s[46:47], 0, v[18:19]
	s_and_b64 s[46:47], s[46:47], s[44:45]
	; wave barrier
	s_and_saveexec_b64 s[44:45], s[46:47]
	s_cbranch_execz .LBB245_109
; %bb.108:
	v_bcnt_u32_b32 v17, v18, 0
	v_bcnt_u32_b32 v17, v19, v17
	s_waitcnt lgkmcnt(0)
	v_add_u32_e32 v17, v36, v17
	ds_write_b32 v37, v17 offset:32
.LBB245_109:
	s_or_b64 exec, exec, s[44:45]
	v_lshrrev_b16_e32 v17, 8, v29
	v_mov_b32_e32 v18, 0x7f
	v_cmp_ne_u16_e64 s[44:45], s54, v29
	v_cndmask_b32_e64 v17, v18, v17, s[44:45]
	v_and_b32_e32 v19, s53, v17
	v_lshlrev_b32_e32 v17, 3, v19
	v_add_lshl_u32 v40, v17, v24, 2
	v_and_b32_e32 v17, 1, v19
	v_add_co_u32_e64 v41, s[44:45], -1, v17
	v_addc_co_u32_e64 v46, s[44:45], 0, -1, s[44:45]
	v_cmp_ne_u32_e64 s[44:45], 0, v17
	v_xor_b32_e32 v17, s45, v46
	v_and_b32_e32 v46, exec_hi, v17
	v_lshlrev_b32_e32 v17, 30, v19
	v_xor_b32_e32 v41, s44, v41
	v_cmp_gt_i64_e64 s[44:45], 0, v[16:17]
	v_not_b32_e32 v17, v17
	v_ashrrev_i32_e32 v17, 31, v17
	v_and_b32_e32 v41, exec_lo, v41
	v_xor_b32_e32 v65, s45, v17
	v_xor_b32_e32 v17, s44, v17
	v_and_b32_e32 v41, v41, v17
	v_lshlrev_b32_e32 v17, 29, v19
	v_cmp_gt_i64_e64 s[44:45], 0, v[16:17]
	v_not_b32_e32 v17, v17
	v_ashrrev_i32_e32 v17, 31, v17
	v_and_b32_e32 v46, v46, v65
	v_xor_b32_e32 v65, s45, v17
	v_xor_b32_e32 v17, s44, v17
	v_and_b32_e32 v41, v41, v17
	v_lshlrev_b32_e32 v17, 28, v19
	v_cmp_gt_i64_e64 s[44:45], 0, v[16:17]
	v_not_b32_e32 v17, v17
	v_ashrrev_i32_e32 v17, 31, v17
	v_and_b32_e32 v46, v46, v65
	;; [unrolled: 8-line block ×5, first 2 shown]
	v_xor_b32_e32 v65, s45, v17
	v_xor_b32_e32 v17, s44, v17
	v_and_b32_e32 v41, v41, v17
	v_lshlrev_b32_e32 v17, 24, v19
	v_cmp_gt_i64_e64 s[44:45], 0, v[16:17]
	v_not_b32_e32 v16, v17
	v_ashrrev_i32_e32 v16, 31, v16
	v_xor_b32_e32 v17, s45, v16
	v_xor_b32_e32 v16, s44, v16
	; wave barrier
	ds_read_b32 v39, v40 offset:32
	v_and_b32_e32 v46, v46, v65
	v_and_b32_e32 v16, v41, v16
	;; [unrolled: 1-line block ×3, first 2 shown]
	v_mbcnt_lo_u32_b32 v19, v16, 0
	v_mbcnt_hi_u32_b32 v41, v17, v19
	v_cmp_eq_u32_e64 s[44:45], 0, v41
	v_cmp_ne_u64_e64 s[46:47], 0, v[16:17]
	s_and_b64 s[46:47], s[46:47], s[44:45]
	; wave barrier
	s_and_saveexec_b64 s[44:45], s[46:47]
	s_cbranch_execz .LBB245_111
; %bb.110:
	v_bcnt_u32_b32 v16, v16, 0
	v_bcnt_u32_b32 v16, v17, v16
	s_waitcnt lgkmcnt(0)
	v_add_u32_e32 v16, v39, v16
	ds_write_b32 v40, v16 offset:32
.LBB245_111:
	s_or_b64 exec, exec, s[44:45]
	v_lshrrev_b16_e32 v16, 8, v28
	v_cmp_ne_u16_e64 s[44:45], s54, v28
	v_cndmask_b32_e64 v16, v18, v16, s[44:45]
	v_and_b32_e32 v18, s53, v16
	v_and_b32_e32 v17, 1, v18
	v_add_co_u32_e64 v19, s[44:45], -1, v17
	v_addc_co_u32_e64 v66, s[44:45], 0, -1, s[44:45]
	v_cmp_ne_u32_e64 s[44:45], 0, v17
	v_lshlrev_b32_e32 v16, 3, v18
	v_xor_b32_e32 v17, s45, v66
	v_add_lshl_u32 v65, v16, v24, 2
	v_mov_b32_e32 v16, 0
	v_and_b32_e32 v66, exec_hi, v17
	v_lshlrev_b32_e32 v17, 30, v18
	v_xor_b32_e32 v19, s44, v19
	v_cmp_gt_i64_e64 s[44:45], 0, v[16:17]
	v_not_b32_e32 v17, v17
	v_ashrrev_i32_e32 v17, 31, v17
	v_and_b32_e32 v19, exec_lo, v19
	v_xor_b32_e32 v67, s45, v17
	v_xor_b32_e32 v17, s44, v17
	v_and_b32_e32 v19, v19, v17
	v_lshlrev_b32_e32 v17, 29, v18
	v_cmp_gt_i64_e64 s[44:45], 0, v[16:17]
	v_not_b32_e32 v17, v17
	v_ashrrev_i32_e32 v17, 31, v17
	v_and_b32_e32 v66, v66, v67
	v_xor_b32_e32 v67, s45, v17
	v_xor_b32_e32 v17, s44, v17
	v_and_b32_e32 v19, v19, v17
	v_lshlrev_b32_e32 v17, 28, v18
	v_cmp_gt_i64_e64 s[44:45], 0, v[16:17]
	v_not_b32_e32 v17, v17
	v_ashrrev_i32_e32 v17, 31, v17
	v_and_b32_e32 v66, v66, v67
	;; [unrolled: 8-line block ×5, first 2 shown]
	v_xor_b32_e32 v67, s45, v17
	v_xor_b32_e32 v17, s44, v17
	v_and_b32_e32 v66, v66, v67
	v_and_b32_e32 v67, v19, v17
	v_lshlrev_b32_e32 v17, 24, v18
	v_cmp_gt_i64_e64 s[44:45], 0, v[16:17]
	v_not_b32_e32 v17, v17
	v_ashrrev_i32_e32 v17, 31, v17
	v_xor_b32_e32 v18, s45, v17
	v_xor_b32_e32 v17, s44, v17
	; wave barrier
	ds_read_b32 v46, v65 offset:32
	v_and_b32_e32 v19, v66, v18
	v_and_b32_e32 v18, v67, v17
	v_mbcnt_lo_u32_b32 v17, v18, 0
	v_mbcnt_hi_u32_b32 v66, v19, v17
	v_cmp_eq_u32_e64 s[44:45], 0, v66
	v_cmp_ne_u64_e64 s[46:47], 0, v[18:19]
	s_and_b64 s[46:47], s[46:47], s[44:45]
	; wave barrier
	s_and_saveexec_b64 s[44:45], s[46:47]
	s_cbranch_execz .LBB245_113
; %bb.112:
	v_bcnt_u32_b32 v17, v18, 0
	v_bcnt_u32_b32 v17, v19, v17
	s_waitcnt lgkmcnt(0)
	v_add_u32_e32 v17, v46, v17
	ds_write_b32 v65, v17 offset:32
.LBB245_113:
	s_or_b64 exec, exec, s[44:45]
	v_lshrrev_b16_e32 v17, 8, v27
	v_mov_b32_e32 v18, 0x7f
	v_cmp_ne_u16_e64 s[44:45], s54, v27
	v_cndmask_b32_e64 v17, v18, v17, s[44:45]
	v_and_b32_e32 v19, s53, v17
	v_lshlrev_b32_e32 v17, 3, v19
	v_add_lshl_u32 v68, v17, v24, 2
	v_and_b32_e32 v17, 1, v19
	v_add_co_u32_e64 v69, s[44:45], -1, v17
	v_addc_co_u32_e64 v70, s[44:45], 0, -1, s[44:45]
	v_cmp_ne_u32_e64 s[44:45], 0, v17
	v_xor_b32_e32 v17, s45, v70
	v_and_b32_e32 v70, exec_hi, v17
	v_lshlrev_b32_e32 v17, 30, v19
	v_xor_b32_e32 v69, s44, v69
	v_cmp_gt_i64_e64 s[44:45], 0, v[16:17]
	v_not_b32_e32 v17, v17
	v_ashrrev_i32_e32 v17, 31, v17
	v_and_b32_e32 v69, exec_lo, v69
	v_xor_b32_e32 v71, s45, v17
	v_xor_b32_e32 v17, s44, v17
	v_and_b32_e32 v69, v69, v17
	v_lshlrev_b32_e32 v17, 29, v19
	v_cmp_gt_i64_e64 s[44:45], 0, v[16:17]
	v_not_b32_e32 v17, v17
	v_ashrrev_i32_e32 v17, 31, v17
	v_and_b32_e32 v70, v70, v71
	v_xor_b32_e32 v71, s45, v17
	v_xor_b32_e32 v17, s44, v17
	v_and_b32_e32 v69, v69, v17
	v_lshlrev_b32_e32 v17, 28, v19
	v_cmp_gt_i64_e64 s[44:45], 0, v[16:17]
	v_not_b32_e32 v17, v17
	v_ashrrev_i32_e32 v17, 31, v17
	v_and_b32_e32 v70, v70, v71
	;; [unrolled: 8-line block ×5, first 2 shown]
	v_xor_b32_e32 v71, s45, v17
	v_xor_b32_e32 v17, s44, v17
	v_and_b32_e32 v69, v69, v17
	v_lshlrev_b32_e32 v17, 24, v19
	v_cmp_gt_i64_e64 s[44:45], 0, v[16:17]
	v_not_b32_e32 v16, v17
	v_ashrrev_i32_e32 v16, 31, v16
	v_xor_b32_e32 v17, s45, v16
	v_xor_b32_e32 v16, s44, v16
	; wave barrier
	ds_read_b32 v67, v68 offset:32
	v_and_b32_e32 v70, v70, v71
	v_and_b32_e32 v16, v69, v16
	;; [unrolled: 1-line block ×3, first 2 shown]
	v_mbcnt_lo_u32_b32 v19, v16, 0
	v_mbcnt_hi_u32_b32 v69, v17, v19
	v_cmp_eq_u32_e64 s[44:45], 0, v69
	v_cmp_ne_u64_e64 s[46:47], 0, v[16:17]
	s_and_b64 s[46:47], s[46:47], s[44:45]
	; wave barrier
	s_and_saveexec_b64 s[44:45], s[46:47]
	s_cbranch_execz .LBB245_115
; %bb.114:
	v_bcnt_u32_b32 v16, v16, 0
	v_bcnt_u32_b32 v16, v17, v16
	s_waitcnt lgkmcnt(0)
	v_add_u32_e32 v16, v67, v16
	ds_write_b32 v68, v16 offset:32
.LBB245_115:
	s_or_b64 exec, exec, s[44:45]
	v_lshrrev_b16_e32 v16, 8, v26
	v_cmp_ne_u16_e64 s[44:45], s54, v26
	v_cndmask_b32_e64 v16, v18, v16, s[44:45]
	v_and_b32_e32 v18, s53, v16
	v_and_b32_e32 v17, 1, v18
	v_add_co_u32_e64 v19, s[44:45], -1, v17
	v_addc_co_u32_e64 v72, s[44:45], 0, -1, s[44:45]
	v_cmp_ne_u32_e64 s[44:45], 0, v17
	v_lshlrev_b32_e32 v16, 3, v18
	v_xor_b32_e32 v17, s45, v72
	v_add_lshl_u32 v71, v16, v24, 2
	v_mov_b32_e32 v16, 0
	v_and_b32_e32 v72, exec_hi, v17
	v_lshlrev_b32_e32 v17, 30, v18
	v_xor_b32_e32 v19, s44, v19
	v_cmp_gt_i64_e64 s[44:45], 0, v[16:17]
	v_not_b32_e32 v17, v17
	v_ashrrev_i32_e32 v17, 31, v17
	v_and_b32_e32 v19, exec_lo, v19
	v_xor_b32_e32 v73, s45, v17
	v_xor_b32_e32 v17, s44, v17
	v_and_b32_e32 v19, v19, v17
	v_lshlrev_b32_e32 v17, 29, v18
	v_cmp_gt_i64_e64 s[44:45], 0, v[16:17]
	v_not_b32_e32 v17, v17
	v_ashrrev_i32_e32 v17, 31, v17
	v_and_b32_e32 v72, v72, v73
	v_xor_b32_e32 v73, s45, v17
	v_xor_b32_e32 v17, s44, v17
	v_and_b32_e32 v19, v19, v17
	v_lshlrev_b32_e32 v17, 28, v18
	v_cmp_gt_i64_e64 s[44:45], 0, v[16:17]
	v_not_b32_e32 v17, v17
	v_ashrrev_i32_e32 v17, 31, v17
	v_and_b32_e32 v72, v72, v73
	;; [unrolled: 8-line block ×5, first 2 shown]
	v_xor_b32_e32 v73, s45, v17
	v_xor_b32_e32 v17, s44, v17
	v_and_b32_e32 v72, v72, v73
	v_and_b32_e32 v73, v19, v17
	v_lshlrev_b32_e32 v17, 24, v18
	v_cmp_gt_i64_e64 s[44:45], 0, v[16:17]
	v_not_b32_e32 v17, v17
	v_ashrrev_i32_e32 v17, 31, v17
	v_xor_b32_e32 v18, s45, v17
	v_xor_b32_e32 v17, s44, v17
	; wave barrier
	ds_read_b32 v70, v71 offset:32
	v_and_b32_e32 v19, v72, v18
	v_and_b32_e32 v18, v73, v17
	v_mbcnt_lo_u32_b32 v17, v18, 0
	v_mbcnt_hi_u32_b32 v72, v19, v17
	v_cmp_eq_u32_e64 s[44:45], 0, v72
	v_cmp_ne_u64_e64 s[46:47], 0, v[18:19]
	s_and_b64 s[46:47], s[46:47], s[44:45]
	; wave barrier
	s_and_saveexec_b64 s[44:45], s[46:47]
	s_cbranch_execz .LBB245_117
; %bb.116:
	v_bcnt_u32_b32 v17, v18, 0
	v_bcnt_u32_b32 v17, v19, v17
	s_waitcnt lgkmcnt(0)
	v_add_u32_e32 v17, v70, v17
	ds_write_b32 v71, v17 offset:32
.LBB245_117:
	s_or_b64 exec, exec, s[44:45]
	v_lshrrev_b16_e32 v17, 8, v25
	v_mov_b32_e32 v18, 0x7f
	v_cmp_ne_u16_e64 s[44:45], s54, v25
	v_cndmask_b32_e64 v17, v18, v17, s[44:45]
	v_and_b32_e32 v19, s53, v17
	v_lshlrev_b32_e32 v17, 3, v19
	v_add_lshl_u32 v74, v17, v24, 2
	v_and_b32_e32 v17, 1, v19
	v_add_co_u32_e64 v75, s[44:45], -1, v17
	v_addc_co_u32_e64 v76, s[44:45], 0, -1, s[44:45]
	v_cmp_ne_u32_e64 s[44:45], 0, v17
	v_xor_b32_e32 v17, s45, v76
	v_and_b32_e32 v76, exec_hi, v17
	v_lshlrev_b32_e32 v17, 30, v19
	v_xor_b32_e32 v75, s44, v75
	v_cmp_gt_i64_e64 s[44:45], 0, v[16:17]
	v_not_b32_e32 v17, v17
	v_ashrrev_i32_e32 v17, 31, v17
	v_and_b32_e32 v75, exec_lo, v75
	v_xor_b32_e32 v77, s45, v17
	v_xor_b32_e32 v17, s44, v17
	v_and_b32_e32 v75, v75, v17
	v_lshlrev_b32_e32 v17, 29, v19
	v_cmp_gt_i64_e64 s[44:45], 0, v[16:17]
	v_not_b32_e32 v17, v17
	v_ashrrev_i32_e32 v17, 31, v17
	v_and_b32_e32 v76, v76, v77
	v_xor_b32_e32 v77, s45, v17
	v_xor_b32_e32 v17, s44, v17
	v_and_b32_e32 v75, v75, v17
	v_lshlrev_b32_e32 v17, 28, v19
	v_cmp_gt_i64_e64 s[44:45], 0, v[16:17]
	v_not_b32_e32 v17, v17
	v_ashrrev_i32_e32 v17, 31, v17
	v_and_b32_e32 v76, v76, v77
	;; [unrolled: 8-line block ×5, first 2 shown]
	v_xor_b32_e32 v77, s45, v17
	v_xor_b32_e32 v17, s44, v17
	v_and_b32_e32 v75, v75, v17
	v_lshlrev_b32_e32 v17, 24, v19
	v_cmp_gt_i64_e64 s[44:45], 0, v[16:17]
	v_not_b32_e32 v16, v17
	v_ashrrev_i32_e32 v16, 31, v16
	v_xor_b32_e32 v17, s45, v16
	v_xor_b32_e32 v16, s44, v16
	; wave barrier
	ds_read_b32 v73, v74 offset:32
	v_and_b32_e32 v76, v76, v77
	v_and_b32_e32 v16, v75, v16
	;; [unrolled: 1-line block ×3, first 2 shown]
	v_mbcnt_lo_u32_b32 v19, v16, 0
	v_mbcnt_hi_u32_b32 v75, v17, v19
	v_cmp_eq_u32_e64 s[44:45], 0, v75
	v_cmp_ne_u64_e64 s[46:47], 0, v[16:17]
	s_and_b64 s[46:47], s[46:47], s[44:45]
	; wave barrier
	s_and_saveexec_b64 s[44:45], s[46:47]
	s_cbranch_execz .LBB245_119
; %bb.118:
	v_bcnt_u32_b32 v16, v16, 0
	v_bcnt_u32_b32 v16, v17, v16
	s_waitcnt lgkmcnt(0)
	v_add_u32_e32 v16, v73, v16
	ds_write_b32 v74, v16 offset:32
.LBB245_119:
	s_or_b64 exec, exec, s[44:45]
	v_lshrrev_b16_e32 v16, 8, v20
	v_cmp_ne_u16_e64 s[44:45], s54, v20
	v_cndmask_b32_e64 v16, v18, v16, s[44:45]
	v_and_b32_e32 v18, s53, v16
	v_and_b32_e32 v17, 1, v18
	v_add_co_u32_e64 v19, s[44:45], -1, v17
	v_addc_co_u32_e64 v77, s[44:45], 0, -1, s[44:45]
	v_cmp_ne_u32_e64 s[44:45], 0, v17
	v_lshlrev_b32_e32 v16, 3, v18
	v_xor_b32_e32 v17, s45, v77
	v_add_lshl_u32 v76, v16, v24, 2
	v_mov_b32_e32 v16, 0
	v_and_b32_e32 v77, exec_hi, v17
	v_lshlrev_b32_e32 v17, 30, v18
	v_xor_b32_e32 v19, s44, v19
	v_cmp_gt_i64_e64 s[44:45], 0, v[16:17]
	v_not_b32_e32 v17, v17
	v_ashrrev_i32_e32 v17, 31, v17
	v_and_b32_e32 v19, exec_lo, v19
	v_xor_b32_e32 v78, s45, v17
	v_xor_b32_e32 v17, s44, v17
	v_and_b32_e32 v19, v19, v17
	v_lshlrev_b32_e32 v17, 29, v18
	v_cmp_gt_i64_e64 s[44:45], 0, v[16:17]
	v_not_b32_e32 v17, v17
	v_ashrrev_i32_e32 v17, 31, v17
	v_and_b32_e32 v77, v77, v78
	v_xor_b32_e32 v78, s45, v17
	v_xor_b32_e32 v17, s44, v17
	v_and_b32_e32 v19, v19, v17
	v_lshlrev_b32_e32 v17, 28, v18
	v_cmp_gt_i64_e64 s[44:45], 0, v[16:17]
	v_not_b32_e32 v17, v17
	v_ashrrev_i32_e32 v17, 31, v17
	v_and_b32_e32 v77, v77, v78
	;; [unrolled: 8-line block ×5, first 2 shown]
	v_xor_b32_e32 v78, s45, v17
	v_xor_b32_e32 v17, s44, v17
	v_and_b32_e32 v19, v19, v17
	v_lshlrev_b32_e32 v17, 24, v18
	v_cmp_gt_i64_e64 s[44:45], 0, v[16:17]
	v_not_b32_e32 v16, v17
	v_ashrrev_i32_e32 v16, 31, v16
	v_xor_b32_e32 v17, s45, v16
	v_xor_b32_e32 v16, s44, v16
	; wave barrier
	ds_read_b32 v24, v76 offset:32
	v_and_b32_e32 v77, v77, v78
	v_and_b32_e32 v16, v19, v16
	;; [unrolled: 1-line block ×3, first 2 shown]
	v_mbcnt_lo_u32_b32 v18, v16, 0
	v_mbcnt_hi_u32_b32 v77, v17, v18
	v_cmp_eq_u32_e64 s[44:45], 0, v77
	v_cmp_ne_u64_e64 s[46:47], 0, v[16:17]
	s_and_b64 s[46:47], s[46:47], s[44:45]
	; wave barrier
	s_and_saveexec_b64 s[44:45], s[46:47]
	s_cbranch_execz .LBB245_121
; %bb.120:
	v_bcnt_u32_b32 v16, v16, 0
	v_bcnt_u32_b32 v16, v17, v16
	s_waitcnt lgkmcnt(0)
	v_add_u32_e32 v16, v24, v16
	ds_write_b32 v76, v16 offset:32
.LBB245_121:
	s_or_b64 exec, exec, s[44:45]
	; wave barrier
	s_waitcnt lgkmcnt(0)
	s_barrier
	ds_read2_b32 v[18:19], v64 offset0:8 offset1:9
	ds_read2_b32 v[16:17], v22 offset0:2 offset1:3
	s_waitcnt lgkmcnt(1)
	v_add_u32_e32 v78, v19, v18
	s_waitcnt lgkmcnt(0)
	v_add3_u32 v17, v78, v16, v17
	s_nop 1
	v_mov_b32_dpp v78, v17 row_shr:1 row_mask:0xf bank_mask:0xf
	v_cndmask_b32_e64 v78, v78, 0, s[24:25]
	v_add_u32_e32 v17, v78, v17
	s_nop 1
	v_mov_b32_dpp v78, v17 row_shr:2 row_mask:0xf bank_mask:0xf
	v_cndmask_b32_e64 v78, 0, v78, s[26:27]
	v_add_u32_e32 v17, v17, v78
	;; [unrolled: 4-line block ×4, first 2 shown]
	s_nop 1
	v_mov_b32_dpp v78, v17 row_bcast:15 row_mask:0xf bank_mask:0xf
	v_cndmask_b32_e64 v78, v78, 0, vcc
	v_add_u32_e32 v17, v17, v78
	s_nop 1
	v_mov_b32_dpp v78, v17 row_bcast:31 row_mask:0xf bank_mask:0xf
	v_cndmask_b32_e64 v78, 0, v78, s[36:37]
	v_add_u32_e32 v78, v17, v78
	s_and_saveexec_b64 s[24:25], s[16:17]
	s_cbranch_execz .LBB245_123
; %bb.122:
	ds_write_b32 v23, v78
.LBB245_123:
	s_or_b64 exec, exec, s[24:25]
	s_waitcnt lgkmcnt(0)
	s_barrier
	s_and_saveexec_b64 s[16:17], s[28:29]
	s_cbranch_execz .LBB245_125
; %bb.124:
	ds_read_b32 v17, v21
	s_waitcnt lgkmcnt(0)
	s_nop 0
	v_mov_b32_dpp v23, v17 row_shr:1 row_mask:0xf bank_mask:0xf
	v_cndmask_b32_e64 v23, v23, 0, s[22:23]
	v_add_u32_e32 v17, v23, v17
	s_nop 1
	v_mov_b32_dpp v23, v17 row_shr:2 row_mask:0xf bank_mask:0xf
	v_cndmask_b32_e64 v23, 0, v23, s[20:21]
	v_add_u32_e32 v17, v17, v23
	;; [unrolled: 4-line block ×3, first 2 shown]
	ds_write_b32 v21, v17
.LBB245_125:
	s_or_b64 exec, exec, s[16:17]
	v_mov_b32_e32 v17, 0
	v_mov_b32_e32 v21, 0
	s_waitcnt lgkmcnt(0)
	s_barrier
	s_and_saveexec_b64 s[16:17], s[38:39]
	s_cbranch_execz .LBB245_127
; %bb.126:
	ds_read_b32 v21, v34
.LBB245_127:
	s_or_b64 exec, exec, s[16:17]
	s_waitcnt lgkmcnt(0)
	v_add_u32_e32 v23, v21, v78
	ds_bpermute_b32 v23, v35, v23
	v_lshlrev_b32_e32 v34, 3, v63
	s_mov_b32 s18, 0x5040100
	s_waitcnt lgkmcnt(0)
	v_cndmask_b32_e64 v21, v23, v21, s[40:41]
	v_cndmask_b32_e64 v21, v21, 0, s[42:43]
	v_add_u32_e32 v18, v21, v18
	v_add_u32_e32 v19, v18, v19
	v_add_u32_e32 v16, v19, v16
	ds_write2_b32 v64, v21, v18 offset0:8 offset1:9
	ds_write2_b32 v22, v19, v16 offset0:2 offset1:3
	s_waitcnt lgkmcnt(0)
	s_barrier
	ds_read_b32 v16, v76 offset:32
	ds_read_b32 v18, v74 offset:32
	;; [unrolled: 1-line block ×4, first 2 shown]
	s_waitcnt lgkmcnt(3)
	v_add3_u32 v16, v77, v24, v16
	ds_read_b32 v22, v65 offset:32
	ds_read_b32 v23, v40 offset:32
	;; [unrolled: 1-line block ×4, first 2 shown]
	s_waitcnt lgkmcnt(0)
	s_barrier
	v_add3_u32 v23, v41, v39, v23
	v_add3_u32 v24, v38, v36, v24
	v_add_u32_e32 v32, v32, v33
	v_lshlrev_b32_e32 v33, 1, v32
	ds_write_b16 v33, v31
	v_lshlrev_b32_e32 v31, 1, v24
	v_add3_u32 v22, v66, v46, v22
	ds_write_b16 v31, v30
	v_lshlrev_b32_e32 v30, 1, v23
	v_add3_u32 v21, v69, v67, v21
	;; [unrolled: 3-line block ×4, first 2 shown]
	ds_write_b16 v28, v27
	v_lshlrev_b32_e32 v27, 1, v19
	ds_write_b16 v27, v26
	v_lshlrev_b32_e32 v26, 1, v18
	;; [unrolled: 2-line block ×4, first 2 shown]
	s_waitcnt lgkmcnt(0)
	s_barrier
	v_lshlrev_b32_e32 v26, 3, v21
	v_lshlrev_b32_e32 v27, 3, v19
	;; [unrolled: 1-line block ×3, first 2 shown]
	ds_read_b128 v[18:21], v20
	v_mov_b32_e32 v40, -1
	v_mov_b32_e32 v41, 0x7fff
	v_lshlrev_b32_e32 v25, 3, v32
	v_lshlrev_b32_e32 v24, 3, v24
	s_waitcnt lgkmcnt(0)
	v_cmp_gt_i16_sdwa vcc, v18, v40 src0_sel:WORD_1 src1_sel:DWORD
	v_cndmask_b32_e32 v29, 0, v41, vcc
	v_cmp_lt_i16_e32 vcc, -1, v18
	v_cndmask_b32_e32 v30, 0, v41, vcc
	v_cmp_lt_i16_sdwa s[16:17], v19, v17 src0_sel:WORD_1 src1_sel:DWORD
	v_cmp_gt_i16_e32 vcc, 0, v19
	v_cndmask_b32_e64 v31, v41, 0, s[16:17]
	v_cndmask_b32_e64 v32, v41, 0, vcc
	v_lshlrev_b32_e32 v23, 3, v23
	v_lshlrev_b32_e32 v22, 3, v22
	v_xor_b32_e32 v32, v32, v19
	v_xor_b32_sdwa v19, v31, v19 dst_sel:DWORD dst_unused:UNUSED_PAD src0_sel:DWORD src1_sel:WORD_1
	v_lshlrev_b32_e32 v16, 3, v16
	v_perm_b32 v39, v19, v32, s18
	v_xor_b32_e32 v19, v30, v18
	v_xor_b32_sdwa v18, v29, v18 dst_sel:DWORD dst_unused:UNUSED_PAD src0_sel:DWORD src1_sel:WORD_1
	s_barrier
	ds_write_b64 v25, v[12:13]
	ds_write_b64 v24, v[14:15]
	;; [unrolled: 1-line block ×8, first 2 shown]
	s_waitcnt lgkmcnt(0)
	s_barrier
	ds_read2_b64 v[22:25], v34 offset1:1
	ds_read2_b64 v[26:29], v34 offset0:2 offset1:3
	ds_read2_b64 v[30:33], v34 offset0:4 offset1:5
	;; [unrolled: 1-line block ×3, first 2 shown]
	v_cmp_gt_i16_sdwa vcc, v20, v40 src0_sel:WORD_1 src1_sel:DWORD
	v_cndmask_b32_e32 v0, 0, v41, vcc
	v_cmp_lt_i16_e32 vcc, -1, v20
	v_cndmask_b32_e32 v1, 0, v41, vcc
	v_cmp_lt_i16_sdwa s[16:17], v21, v17 src0_sel:WORD_1 src1_sel:DWORD
	v_cmp_gt_i16_e32 vcc, 0, v21
	v_cndmask_b32_e64 v2, v41, 0, s[16:17]
	v_cndmask_b32_e64 v3, v41, 0, vcc
	v_xor_b32_e32 v3, v3, v21
	v_xor_b32_sdwa v2, v2, v21 dst_sel:DWORD dst_unused:UNUSED_PAD src0_sel:DWORD src1_sel:WORD_1
	v_xor_b32_e32 v1, v1, v20
	v_xor_b32_sdwa v0, v0, v20 dst_sel:DWORD dst_unused:UNUSED_PAD src0_sel:DWORD src1_sel:WORD_1
	v_perm_b32 v38, v18, v19, s18
	v_perm_b32 v41, v2, v3, s18
	;; [unrolled: 1-line block ×3, first 2 shown]
.LBB245_128:
	s_waitcnt lgkmcnt(0)
	s_barrier
	ds_write_b128 v54, v[38:41]
	s_waitcnt lgkmcnt(0)
	s_barrier
	ds_read_u16 v8, v43 offset:1024
	ds_read_u16 v7, v48 offset:2048
	;; [unrolled: 1-line block ×7, first 2 shown]
	v_mov_b32_e32 v43, 0
	v_lshlrev_b64 v[0:1], 1, v[42:43]
	v_mov_b32_e32 v9, s48
	v_add_co_u32_e32 v0, vcc, s33, v0
	v_addc_co_u32_e32 v1, vcc, v9, v1, vcc
	s_and_saveexec_b64 s[16:17], s[0:1]
	s_cbranch_execnz .LBB245_147
; %bb.129:
	s_or_b64 exec, exec, s[16:17]
	s_and_saveexec_b64 s[16:17], s[2:3]
	s_cbranch_execnz .LBB245_148
.LBB245_130:
	s_or_b64 exec, exec, s[16:17]
	s_and_saveexec_b64 s[16:17], s[4:5]
	s_cbranch_execnz .LBB245_149
.LBB245_131:
	s_or_b64 exec, exec, s[16:17]
	s_and_saveexec_b64 s[16:17], s[6:7]
	s_cbranch_execnz .LBB245_150
.LBB245_132:
	s_or_b64 exec, exec, s[16:17]
	s_and_saveexec_b64 s[16:17], s[8:9]
	s_cbranch_execnz .LBB245_151
.LBB245_133:
	s_or_b64 exec, exec, s[16:17]
	s_and_saveexec_b64 s[16:17], s[10:11]
	s_cbranch_execnz .LBB245_152
.LBB245_134:
	s_or_b64 exec, exec, s[16:17]
	s_and_saveexec_b64 s[16:17], s[12:13]
	s_cbranch_execnz .LBB245_153
.LBB245_135:
	s_or_b64 exec, exec, s[16:17]
	s_and_saveexec_b64 s[16:17], s[14:15]
	s_cbranch_execz .LBB245_137
.LBB245_136:
	s_mul_i32 s18, s50, 0xe00
	s_mov_b32 s19, 0
	s_lshl_b64 s[18:19], s[18:19], 1
	s_waitcnt lgkmcnt(1)
	v_mov_b32_e32 v3, s19
	v_add_co_u32_e32 v0, vcc, s18, v0
	v_addc_co_u32_e32 v1, vcc, v1, v3, vcc
	s_waitcnt lgkmcnt(0)
	global_store_short v[0:1], v2, off
.LBB245_137:
	s_or_b64 exec, exec, s[16:17]
	s_waitcnt lgkmcnt(0)
	s_barrier
	ds_write2_b64 v62, v[22:23], v[24:25] offset1:1
	ds_write2_b64 v62, v[26:27], v[28:29] offset0:2 offset1:3
	ds_write2_b64 v62, v[30:31], v[32:33] offset0:4 offset1:5
	;; [unrolled: 1-line block ×3, first 2 shown]
	s_waitcnt lgkmcnt(0)
	s_barrier
	ds_read_b64 v[14:15], v45 offset:4096
	ds_read_b64 v[12:13], v56 offset:8192
	;; [unrolled: 1-line block ×7, first 2 shown]
	v_mov_b32_e32 v45, 0
	v_lshlrev_b64 v[2:3], 3, v[44:45]
	v_mov_b32_e32 v16, s51
	v_add_co_u32_e32 v2, vcc, s49, v2
	v_addc_co_u32_e32 v3, vcc, v16, v3, vcc
	s_and_saveexec_b64 s[16:17], s[0:1]
	s_cbranch_execnz .LBB245_154
; %bb.138:
	s_or_b64 exec, exec, s[16:17]
	s_and_saveexec_b64 s[0:1], s[2:3]
	s_cbranch_execnz .LBB245_155
.LBB245_139:
	s_or_b64 exec, exec, s[0:1]
	s_and_saveexec_b64 s[0:1], s[4:5]
	s_cbranch_execnz .LBB245_156
.LBB245_140:
	s_or_b64 exec, exec, s[0:1]
	s_and_saveexec_b64 s[0:1], s[6:7]
	s_cbranch_execnz .LBB245_157
.LBB245_141:
	s_or_b64 exec, exec, s[0:1]
	s_and_saveexec_b64 s[0:1], s[8:9]
	s_cbranch_execnz .LBB245_158
.LBB245_142:
	s_or_b64 exec, exec, s[0:1]
	s_and_saveexec_b64 s[0:1], s[10:11]
	s_cbranch_execnz .LBB245_159
.LBB245_143:
	s_or_b64 exec, exec, s[0:1]
	s_and_saveexec_b64 s[0:1], s[12:13]
	s_cbranch_execnz .LBB245_160
.LBB245_144:
	s_or_b64 exec, exec, s[0:1]
	s_and_saveexec_b64 s[0:1], s[14:15]
	s_cbranch_execz .LBB245_146
.LBB245_145:
	s_mul_i32 s0, s52, 0xe00
	s_mov_b32 s1, 0
	s_lshl_b64 s[0:1], s[0:1], 3
	s_waitcnt lgkmcnt(1)
	v_mov_b32_e32 v4, s1
	v_add_co_u32_e32 v2, vcc, s0, v2
	v_addc_co_u32_e32 v3, vcc, v3, v4, vcc
	s_waitcnt lgkmcnt(0)
	global_store_dwordx2 v[2:3], v[0:1], off
.LBB245_146:
	s_endpgm
.LBB245_147:
	ds_read_u16 v9, v47
	s_waitcnt lgkmcnt(0)
	global_store_short v[0:1], v9, off
	s_or_b64 exec, exec, s[16:17]
	s_and_saveexec_b64 s[16:17], s[2:3]
	s_cbranch_execz .LBB245_130
.LBB245_148:
	s_lshl_b32 s18, s50, 9
	s_mov_b32 s19, 0
	s_lshl_b64 s[18:19], s[18:19], 1
	v_mov_b32_e32 v9, s19
	v_add_co_u32_e32 v10, vcc, s18, v0
	v_addc_co_u32_e32 v11, vcc, v1, v9, vcc
	s_waitcnt lgkmcnt(6)
	global_store_short v[10:11], v8, off
	s_or_b64 exec, exec, s[16:17]
	s_and_saveexec_b64 s[16:17], s[4:5]
	s_cbranch_execz .LBB245_131
.LBB245_149:
	s_lshl_b32 s18, s50, 10
	s_mov_b32 s19, 0
	s_lshl_b64 s[18:19], s[18:19], 1
	v_mov_b32_e32 v9, s19
	s_waitcnt lgkmcnt(6)
	v_add_co_u32_e32 v8, vcc, s18, v0
	v_addc_co_u32_e32 v9, vcc, v1, v9, vcc
	s_waitcnt lgkmcnt(5)
	global_store_short v[8:9], v7, off
	s_or_b64 exec, exec, s[16:17]
	s_and_saveexec_b64 s[16:17], s[6:7]
	s_cbranch_execz .LBB245_132
.LBB245_150:
	s_mul_i32 s18, s50, 0x600
	s_mov_b32 s19, 0
	s_lshl_b64 s[18:19], s[18:19], 1
	s_waitcnt lgkmcnt(5)
	v_mov_b32_e32 v7, s19
	v_add_co_u32_e32 v8, vcc, s18, v0
	v_addc_co_u32_e32 v9, vcc, v1, v7, vcc
	s_waitcnt lgkmcnt(4)
	global_store_short v[8:9], v6, off
	s_or_b64 exec, exec, s[16:17]
	s_and_saveexec_b64 s[16:17], s[8:9]
	s_cbranch_execz .LBB245_133
.LBB245_151:
	s_lshl_b32 s18, s50, 11
	s_mov_b32 s19, 0
	s_lshl_b64 s[18:19], s[18:19], 1
	s_waitcnt lgkmcnt(5)
	v_mov_b32_e32 v7, s19
	s_waitcnt lgkmcnt(4)
	v_add_co_u32_e32 v6, vcc, s18, v0
	v_addc_co_u32_e32 v7, vcc, v1, v7, vcc
	s_waitcnt lgkmcnt(3)
	global_store_short v[6:7], v5, off
	s_or_b64 exec, exec, s[16:17]
	s_and_saveexec_b64 s[16:17], s[10:11]
	s_cbranch_execz .LBB245_134
.LBB245_152:
	s_mul_i32 s18, s50, 0xa00
	s_mov_b32 s19, 0
	s_lshl_b64 s[18:19], s[18:19], 1
	s_waitcnt lgkmcnt(3)
	v_mov_b32_e32 v5, s19
	v_add_co_u32_e32 v6, vcc, s18, v0
	v_addc_co_u32_e32 v7, vcc, v1, v5, vcc
	s_waitcnt lgkmcnt(2)
	global_store_short v[6:7], v4, off
	s_or_b64 exec, exec, s[16:17]
	s_and_saveexec_b64 s[16:17], s[12:13]
	s_cbranch_execz .LBB245_135
.LBB245_153:
	s_mul_i32 s18, s50, 0xc00
	s_mov_b32 s19, 0
	s_lshl_b64 s[18:19], s[18:19], 1
	s_waitcnt lgkmcnt(3)
	v_mov_b32_e32 v5, s19
	s_waitcnt lgkmcnt(2)
	v_add_co_u32_e32 v4, vcc, s18, v0
	v_addc_co_u32_e32 v5, vcc, v1, v5, vcc
	s_waitcnt lgkmcnt(1)
	global_store_short v[4:5], v3, off
	s_or_b64 exec, exec, s[16:17]
	s_and_saveexec_b64 s[16:17], s[14:15]
	s_cbranch_execnz .LBB245_136
	s_branch .LBB245_137
.LBB245_154:
	ds_read_b64 v[16:17], v55
	s_waitcnt lgkmcnt(0)
	global_store_dwordx2 v[2:3], v[16:17], off
	s_or_b64 exec, exec, s[16:17]
	s_and_saveexec_b64 s[0:1], s[2:3]
	s_cbranch_execz .LBB245_139
.LBB245_155:
	s_lshl_b32 s2, s52, 9
	s_mov_b32 s3, 0
	s_lshl_b64 s[2:3], s[2:3], 3
	v_mov_b32_e32 v17, s3
	v_add_co_u32_e32 v16, vcc, s2, v2
	v_addc_co_u32_e32 v17, vcc, v3, v17, vcc
	s_waitcnt lgkmcnt(6)
	global_store_dwordx2 v[16:17], v[14:15], off
	s_or_b64 exec, exec, s[0:1]
	s_and_saveexec_b64 s[0:1], s[4:5]
	s_cbranch_execz .LBB245_140
.LBB245_156:
	s_lshl_b32 s2, s52, 10
	s_mov_b32 s3, 0
	s_lshl_b64 s[2:3], s[2:3], 3
	s_waitcnt lgkmcnt(6)
	v_mov_b32_e32 v15, s3
	v_add_co_u32_e32 v14, vcc, s2, v2
	v_addc_co_u32_e32 v15, vcc, v3, v15, vcc
	s_waitcnt lgkmcnt(5)
	global_store_dwordx2 v[14:15], v[12:13], off
	s_or_b64 exec, exec, s[0:1]
	s_and_saveexec_b64 s[0:1], s[6:7]
	s_cbranch_execz .LBB245_141
.LBB245_157:
	s_mul_i32 s2, s52, 0x600
	s_mov_b32 s3, 0
	s_lshl_b64 s[2:3], s[2:3], 3
	s_waitcnt lgkmcnt(5)
	v_mov_b32_e32 v13, s3
	v_add_co_u32_e32 v12, vcc, s2, v2
	v_addc_co_u32_e32 v13, vcc, v3, v13, vcc
	s_waitcnt lgkmcnt(4)
	global_store_dwordx2 v[12:13], v[10:11], off
	s_or_b64 exec, exec, s[0:1]
	s_and_saveexec_b64 s[0:1], s[8:9]
	s_cbranch_execz .LBB245_142
.LBB245_158:
	s_lshl_b32 s2, s52, 11
	s_mov_b32 s3, 0
	s_lshl_b64 s[2:3], s[2:3], 3
	s_waitcnt lgkmcnt(4)
	v_mov_b32_e32 v11, s3
	v_add_co_u32_e32 v10, vcc, s2, v2
	v_addc_co_u32_e32 v11, vcc, v3, v11, vcc
	s_waitcnt lgkmcnt(3)
	global_store_dwordx2 v[10:11], v[8:9], off
	s_or_b64 exec, exec, s[0:1]
	s_and_saveexec_b64 s[0:1], s[10:11]
	s_cbranch_execz .LBB245_143
.LBB245_159:
	s_mul_i32 s2, s52, 0xa00
	s_mov_b32 s3, 0
	s_lshl_b64 s[2:3], s[2:3], 3
	s_waitcnt lgkmcnt(3)
	v_mov_b32_e32 v9, s3
	v_add_co_u32_e32 v8, vcc, s2, v2
	v_addc_co_u32_e32 v9, vcc, v3, v9, vcc
	s_waitcnt lgkmcnt(2)
	global_store_dwordx2 v[8:9], v[6:7], off
	s_or_b64 exec, exec, s[0:1]
	s_and_saveexec_b64 s[0:1], s[12:13]
	s_cbranch_execz .LBB245_144
.LBB245_160:
	s_mul_i32 s2, s52, 0xc00
	s_mov_b32 s3, 0
	s_lshl_b64 s[2:3], s[2:3], 3
	s_waitcnt lgkmcnt(2)
	v_mov_b32_e32 v7, s3
	v_add_co_u32_e32 v6, vcc, s2, v2
	v_addc_co_u32_e32 v7, vcc, v3, v7, vcc
	s_waitcnt lgkmcnt(1)
	global_store_dwordx2 v[6:7], v[4:5], off
	s_or_b64 exec, exec, s[0:1]
	s_and_saveexec_b64 s[0:1], s[14:15]
	s_cbranch_execnz .LBB245_145
	s_branch .LBB245_146
	.section	.rodata,"a",@progbits
	.p2align	6, 0x0
	.amdhsa_kernel _ZN2at6native18radixSortKVInPlaceILi2ELin1ELi512ELi8EN3c108BFloat16EljEEvNS_4cuda6detail10TensorInfoIT3_T5_EES8_S8_S8_NS6_IT4_S8_EES8_b
		.amdhsa_group_segment_fixed_size 33792
		.amdhsa_private_segment_fixed_size 0
		.amdhsa_kernarg_size 712
		.amdhsa_user_sgpr_count 6
		.amdhsa_user_sgpr_private_segment_buffer 1
		.amdhsa_user_sgpr_dispatch_ptr 0
		.amdhsa_user_sgpr_queue_ptr 0
		.amdhsa_user_sgpr_kernarg_segment_ptr 1
		.amdhsa_user_sgpr_dispatch_id 0
		.amdhsa_user_sgpr_flat_scratch_init 0
		.amdhsa_user_sgpr_kernarg_preload_length 0
		.amdhsa_user_sgpr_kernarg_preload_offset 0
		.amdhsa_user_sgpr_private_segment_size 0
		.amdhsa_uses_dynamic_stack 0
		.amdhsa_system_sgpr_private_segment_wavefront_offset 0
		.amdhsa_system_sgpr_workgroup_id_x 1
		.amdhsa_system_sgpr_workgroup_id_y 1
		.amdhsa_system_sgpr_workgroup_id_z 1
		.amdhsa_system_sgpr_workgroup_info 0
		.amdhsa_system_vgpr_workitem_id 2
		.amdhsa_next_free_vgpr 108
		.amdhsa_next_free_sgpr 57
		.amdhsa_accum_offset 108
		.amdhsa_reserve_vcc 1
		.amdhsa_reserve_flat_scratch 0
		.amdhsa_float_round_mode_32 0
		.amdhsa_float_round_mode_16_64 0
		.amdhsa_float_denorm_mode_32 3
		.amdhsa_float_denorm_mode_16_64 3
		.amdhsa_dx10_clamp 1
		.amdhsa_ieee_mode 1
		.amdhsa_fp16_overflow 0
		.amdhsa_tg_split 0
		.amdhsa_exception_fp_ieee_invalid_op 0
		.amdhsa_exception_fp_denorm_src 0
		.amdhsa_exception_fp_ieee_div_zero 0
		.amdhsa_exception_fp_ieee_overflow 0
		.amdhsa_exception_fp_ieee_underflow 0
		.amdhsa_exception_fp_ieee_inexact 0
		.amdhsa_exception_int_div_zero 0
	.end_amdhsa_kernel
	.section	.text._ZN2at6native18radixSortKVInPlaceILi2ELin1ELi512ELi8EN3c108BFloat16EljEEvNS_4cuda6detail10TensorInfoIT3_T5_EES8_S8_S8_NS6_IT4_S8_EES8_b,"axG",@progbits,_ZN2at6native18radixSortKVInPlaceILi2ELin1ELi512ELi8EN3c108BFloat16EljEEvNS_4cuda6detail10TensorInfoIT3_T5_EES8_S8_S8_NS6_IT4_S8_EES8_b,comdat
.Lfunc_end245:
	.size	_ZN2at6native18radixSortKVInPlaceILi2ELin1ELi512ELi8EN3c108BFloat16EljEEvNS_4cuda6detail10TensorInfoIT3_T5_EES8_S8_S8_NS6_IT4_S8_EES8_b, .Lfunc_end245-_ZN2at6native18radixSortKVInPlaceILi2ELin1ELi512ELi8EN3c108BFloat16EljEEvNS_4cuda6detail10TensorInfoIT3_T5_EES8_S8_S8_NS6_IT4_S8_EES8_b
                                        ; -- End function
	.section	.AMDGPU.csdata,"",@progbits
; Kernel info:
; codeLenInByte = 21636
; NumSgprs: 61
; NumVgprs: 108
; NumAgprs: 0
; TotalNumVgprs: 108
; ScratchSize: 0
; MemoryBound: 0
; FloatMode: 240
; IeeeMode: 1
; LDSByteSize: 33792 bytes/workgroup (compile time only)
; SGPRBlocks: 7
; VGPRBlocks: 13
; NumSGPRsForWavesPerEU: 61
; NumVGPRsForWavesPerEU: 108
; AccumOffset: 108
; Occupancy: 2
; WaveLimiterHint : 1
; COMPUTE_PGM_RSRC2:SCRATCH_EN: 0
; COMPUTE_PGM_RSRC2:USER_SGPR: 6
; COMPUTE_PGM_RSRC2:TRAP_HANDLER: 0
; COMPUTE_PGM_RSRC2:TGID_X_EN: 1
; COMPUTE_PGM_RSRC2:TGID_Y_EN: 1
; COMPUTE_PGM_RSRC2:TGID_Z_EN: 1
; COMPUTE_PGM_RSRC2:TIDIG_COMP_CNT: 2
; COMPUTE_PGM_RSRC3_GFX90A:ACCUM_OFFSET: 26
; COMPUTE_PGM_RSRC3_GFX90A:TG_SPLIT: 0
	.section	.text._ZN2at6native18radixSortKVInPlaceILi2ELin1ELi256ELi8EN3c108BFloat16EljEEvNS_4cuda6detail10TensorInfoIT3_T5_EES8_S8_S8_NS6_IT4_S8_EES8_b,"axG",@progbits,_ZN2at6native18radixSortKVInPlaceILi2ELin1ELi256ELi8EN3c108BFloat16EljEEvNS_4cuda6detail10TensorInfoIT3_T5_EES8_S8_S8_NS6_IT4_S8_EES8_b,comdat
	.protected	_ZN2at6native18radixSortKVInPlaceILi2ELin1ELi256ELi8EN3c108BFloat16EljEEvNS_4cuda6detail10TensorInfoIT3_T5_EES8_S8_S8_NS6_IT4_S8_EES8_b ; -- Begin function _ZN2at6native18radixSortKVInPlaceILi2ELin1ELi256ELi8EN3c108BFloat16EljEEvNS_4cuda6detail10TensorInfoIT3_T5_EES8_S8_S8_NS6_IT4_S8_EES8_b
	.globl	_ZN2at6native18radixSortKVInPlaceILi2ELin1ELi256ELi8EN3c108BFloat16EljEEvNS_4cuda6detail10TensorInfoIT3_T5_EES8_S8_S8_NS6_IT4_S8_EES8_b
	.p2align	8
	.type	_ZN2at6native18radixSortKVInPlaceILi2ELin1ELi256ELi8EN3c108BFloat16EljEEvNS_4cuda6detail10TensorInfoIT3_T5_EES8_S8_S8_NS6_IT4_S8_EES8_b,@function
_ZN2at6native18radixSortKVInPlaceILi2ELin1ELi256ELi8EN3c108BFloat16EljEEvNS_4cuda6detail10TensorInfoIT3_T5_EES8_S8_S8_NS6_IT4_S8_EES8_b: ; @_ZN2at6native18radixSortKVInPlaceILi2ELin1ELi256ELi8EN3c108BFloat16EljEEvNS_4cuda6detail10TensorInfoIT3_T5_EES8_S8_S8_NS6_IT4_S8_EES8_b
; %bb.0:
	s_load_dwordx2 s[0:1], s[4:5], 0x1c8
	s_load_dwordx4 s[44:47], s[4:5], 0xd8
	s_add_u32 s50, s4, 0x1c8
	s_addc_u32 s51, s5, 0
	s_waitcnt lgkmcnt(0)
	s_mul_i32 s1, s1, s8
	s_add_i32 s1, s1, s7
	s_mul_i32 s8, s1, s0
	s_add_i32 s8, s8, s6
	s_cmp_ge_u32 s8, s44
	s_cbranch_scc1 .LBB246_146
; %bb.1:
	s_load_dword s9, s[4:5], 0xc
	s_load_dwordx2 s[0:1], s[4:5], 0x6c
	s_load_dword s6, s[4:5], 0x1b8
	s_add_u32 s14, s4, 0xe8
	s_load_dwordx2 s[2:3], s[4:5], 0x0
	s_waitcnt lgkmcnt(0)
	v_cvt_f32_u32_e32 v1, s9
	s_addc_u32 s15, s5, 0
	s_sub_i32 s7, 0, s9
	s_mov_b32 s17, 0
	v_rcp_iflag_f32_e32 v1, v1
	s_mov_b32 s16, s8
	v_mul_f32_e32 v1, 0x4f7ffffe, v1
	v_cvt_u32_f32_e32 v1, v1
	v_readfirstlane_b32 s10, v1
	s_mul_i32 s7, s7, s10
	s_mul_hi_u32 s7, s10, s7
	s_add_i32 s10, s10, s7
	s_mul_hi_u32 s10, s8, s10
	s_cmp_lt_i32 s6, 2
	s_cbranch_scc1 .LBB246_4
; %bb.2:
	s_add_i32 s16, s6, -1
	s_add_i32 s11, s6, 1
	s_lshl_b64 s[6:7], s[16:17], 2
	s_add_u32 s6, s6, s14
	s_addc_u32 s7, s7, s15
	s_add_u32 s6, s6, 8
	s_addc_u32 s7, s7, 0
	s_mov_b32 s16, s8
.LBB246_3:                              ; =>This Inner Loop Header: Depth=1
	s_load_dword s12, s[6:7], 0x0
	s_load_dword s18, s[6:7], 0x64
	s_mov_b32 s13, s16
	s_waitcnt lgkmcnt(0)
	v_cvt_f32_u32_e32 v1, s12
	s_sub_i32 s16, 0, s12
	v_rcp_iflag_f32_e32 v1, v1
	v_mul_f32_e32 v1, 0x4f7ffffe, v1
	v_cvt_u32_f32_e32 v1, v1
	v_readfirstlane_b32 s19, v1
	s_mul_i32 s16, s16, s19
	s_mul_hi_u32 s16, s19, s16
	s_add_i32 s19, s19, s16
	s_mul_hi_u32 s16, s13, s19
	s_mul_i32 s19, s16, s12
	s_sub_i32 s19, s13, s19
	s_add_i32 s20, s16, 1
	s_sub_i32 s21, s19, s12
	s_cmp_ge_u32 s19, s12
	s_cselect_b32 s16, s20, s16
	s_cselect_b32 s19, s21, s19
	s_add_i32 s20, s16, 1
	s_cmp_ge_u32 s19, s12
	s_cselect_b32 s16, s20, s16
	s_mul_i32 s12, s16, s12
	s_sub_i32 s12, s13, s12
	s_mul_i32 s12, s18, s12
	s_add_i32 s11, s11, -1
	s_add_i32 s17, s12, s17
	s_add_u32 s6, s6, -4
	s_addc_u32 s7, s7, -1
	s_cmp_gt_u32 s11, 2
	s_cbranch_scc1 .LBB246_3
.LBB246_4:
	s_mul_i32 s6, s10, s9
	s_sub_i32 s6, s8, s6
	s_add_i32 s7, s10, 1
	s_sub_i32 s11, s6, s9
	s_cmp_ge_u32 s6, s9
	s_cselect_b32 s7, s7, s10
	s_cselect_b32 s6, s11, s6
	s_add_i32 s10, s7, 1
	s_cmp_ge_u32 s6, s9
	s_cselect_b32 s6, s10, s7
	s_load_dwordx2 s[48:49], s[4:5], 0x1c0
	s_mul_i32 s7, s6, s9
	s_sub_i32 s4, s8, s7
	s_mul_i32 s4, s4, s1
	s_mul_i32 s0, s6, s0
	s_add_i32 s0, s0, s4
	s_waitcnt lgkmcnt(0)
	s_bitcmp1_b32 s49, 0
	s_cselect_b64 s[34:35], -1, 0
	s_mov_b32 s1, 0xffff
	s_and_b64 s[4:5], s[34:35], exec
	s_cselect_b32 s22, s1, 0x7fff
	s_mov_b32 s1, 0
	s_lshl_b64 s[0:1], s[0:1], 1
	s_add_u32 s33, s2, s0
	v_and_b32_e32 v46, 0x3ff, v0
	s_addc_u32 s47, s3, s1
	v_cmp_gt_u32_e64 s[0:1], s45, v46
	v_mov_b32_e32 v1, s22
	v_mul_lo_u32 v42, v46, s46
	s_and_saveexec_b64 s[2:3], s[0:1]
	s_cbranch_execz .LBB246_6
; %bb.5:
	v_mov_b32_e32 v43, 0
	v_lshlrev_b64 v[2:3], 1, v[42:43]
	v_mov_b32_e32 v1, s47
	v_add_co_u32_e32 v2, vcc, s33, v2
	v_addc_co_u32_e32 v3, vcc, v1, v3, vcc
	global_load_ushort v1, v[2:3], off
.LBB246_6:
	s_or_b64 exec, exec, s[2:3]
	v_add_u32_e32 v36, 0x100, v46
	v_cmp_gt_u32_e64 s[2:3], s45, v36
	v_mov_b32_e32 v2, s22
	s_and_saveexec_b64 s[4:5], s[2:3]
	s_cbranch_execz .LBB246_8
; %bb.7:
	v_mul_lo_u32 v2, v36, s46
	v_mov_b32_e32 v3, 0
	v_lshlrev_b64 v[2:3], 1, v[2:3]
	v_mov_b32_e32 v4, s47
	v_add_co_u32_e32 v2, vcc, s33, v2
	v_addc_co_u32_e32 v3, vcc, v4, v3, vcc
	global_load_ushort v2, v[2:3], off
.LBB246_8:
	s_or_b64 exec, exec, s[4:5]
	v_add_u32_e32 v35, 0x200, v46
	v_cmp_gt_u32_e64 s[4:5], s45, v35
	v_mov_b32_e32 v3, s22
	s_and_saveexec_b64 s[6:7], s[4:5]
	s_cbranch_execz .LBB246_10
; %bb.9:
	v_mul_lo_u32 v4, v35, s46
	v_mov_b32_e32 v5, 0
	v_lshlrev_b64 v[4:5], 1, v[4:5]
	v_mov_b32_e32 v3, s47
	v_add_co_u32_e32 v4, vcc, s33, v4
	v_addc_co_u32_e32 v5, vcc, v3, v5, vcc
	global_load_ushort v3, v[4:5], off
.LBB246_10:
	;; [unrolled: 15-line block ×3, first 2 shown]
	s_or_b64 exec, exec, s[8:9]
	v_or_b32_e32 v30, 0x400, v46
	v_cmp_gt_u32_e64 s[8:9], s45, v30
	v_mov_b32_e32 v5, s22
	s_and_saveexec_b64 s[10:11], s[8:9]
	s_cbranch_execz .LBB246_14
; %bb.13:
	v_mul_lo_u32 v6, v30, s46
	v_mov_b32_e32 v7, 0
	v_lshlrev_b64 v[6:7], 1, v[6:7]
	v_mov_b32_e32 v5, s47
	v_add_co_u32_e32 v6, vcc, s33, v6
	v_addc_co_u32_e32 v7, vcc, v5, v7, vcc
	global_load_ushort v5, v[6:7], off
.LBB246_14:
	s_or_b64 exec, exec, s[10:11]
	v_add_u32_e32 v28, 0x500, v46
	v_cmp_gt_u32_e64 s[10:11], s45, v28
	v_mov_b32_e32 v6, s22
	s_and_saveexec_b64 s[12:13], s[10:11]
	s_cbranch_execz .LBB246_16
; %bb.15:
	v_mul_lo_u32 v6, v28, s46
	v_mov_b32_e32 v7, 0
	v_lshlrev_b64 v[6:7], 1, v[6:7]
	v_mov_b32_e32 v8, s47
	v_add_co_u32_e32 v6, vcc, s33, v6
	v_addc_co_u32_e32 v7, vcc, v8, v7, vcc
	global_load_ushort v6, v[6:7], off
.LBB246_16:
	s_or_b64 exec, exec, s[12:13]
	s_load_dwordx2 s[18:19], s[14:15], 0x0
	v_add_u32_e32 v26, 0x600, v46
	v_cmp_gt_u32_e64 s[12:13], s45, v26
	v_mov_b32_e32 v7, s22
	s_and_saveexec_b64 s[20:21], s[12:13]
	s_cbranch_execz .LBB246_18
; %bb.17:
	v_mul_lo_u32 v8, v26, s46
	v_mov_b32_e32 v9, 0
	v_lshlrev_b64 v[8:9], 1, v[8:9]
	v_mov_b32_e32 v7, s47
	v_add_co_u32_e32 v8, vcc, s33, v8
	v_addc_co_u32_e32 v9, vcc, v7, v9, vcc
	global_load_ushort v7, v[8:9], off
.LBB246_18:
	s_or_b64 exec, exec, s[20:21]
	s_load_dword s23, s[14:15], 0x6c
	v_add_u32_e32 v22, 0x700, v46
	v_cmp_gt_u32_e64 s[14:15], s45, v22
	v_mov_b32_e32 v8, s22
	s_and_saveexec_b64 s[20:21], s[14:15]
	s_cbranch_execz .LBB246_20
; %bb.19:
	v_mul_lo_u32 v8, v22, s46
	v_mov_b32_e32 v9, 0
	v_lshlrev_b64 v[8:9], 1, v[8:9]
	v_mov_b32_e32 v10, s47
	v_add_co_u32_e32 v8, vcc, s33, v8
	v_addc_co_u32_e32 v9, vcc, v10, v9, vcc
	global_load_ushort v8, v[8:9], off
.LBB246_20:
	s_or_b64 exec, exec, s[20:21]
	v_lshrrev_b32_e32 v34, 5, v46
	v_and_b32_e32 v9, 30, v34
	v_add_lshl_u32 v47, v9, v46, 1
	v_lshrrev_b32_e32 v32, 5, v36
	s_waitcnt vmcnt(0)
	ds_write_b16 v47, v1
	v_and_b32_e32 v1, 62, v32
	v_lshrrev_b32_e32 v31, 5, v35
	v_add_lshl_u32 v43, v1, v46, 1
	v_and_b32_e32 v1, 62, v31
	v_lshrrev_b32_e32 v29, 5, v33
	v_add_lshl_u32 v48, v1, v46, 1
	;; [unrolled: 3-line block ×5, first 2 shown]
	v_and_b32_e32 v1, 0x7e, v23
	v_add_lshl_u32 v52, v1, v46, 1
	v_lshrrev_b32_e32 v1, 5, v22
	ds_write_b16 v43, v2 offset:512
	v_and_b32_e32 v2, 0x7e, v1
	v_lshrrev_b32_e32 v24, 2, v46
	v_add_lshl_u32 v53, v2, v46, 1
	v_lshlrev_b32_e32 v63, 3, v46
	v_and_b32_e32 v2, 0xfe, v24
	s_waitcnt lgkmcnt(0)
	s_mul_i32 s16, s23, s16
	v_add_lshl_u32 v54, v2, v63, 1
	s_add_i32 s16, s16, s17
	s_mov_b32 s17, 0
	ds_write_b16 v48, v3 offset:1024
	ds_write_b16 v49, v4 offset:1536
	;; [unrolled: 1-line block ×6, first 2 shown]
	s_waitcnt lgkmcnt(0)
	s_barrier
	ds_read_b128 v[18:21], v54
	s_lshl_b64 s[20:21], s[16:17], 3
	s_add_u32 s49, s18, s20
	s_mov_b32 s16, s17
	s_addc_u32 s52, s19, s21
	s_mov_b32 s18, s17
	s_mov_b32 s19, s17
	;; [unrolled: 1-line block ×14, first 2 shown]
	v_pk_mov_b32 v[2:3], s[16:17], s[16:17] op_sel:[0,1]
	v_pk_mov_b32 v[4:5], s[18:19], s[18:19] op_sel:[0,1]
	;; [unrolled: 1-line block ×8, first 2 shown]
	v_pk_mov_b32 v[2:3], 0, 0
	v_mul_lo_u32 v44, v46, s48
	s_waitcnt lgkmcnt(0)
	s_barrier
	s_and_saveexec_b64 s[16:17], s[0:1]
	s_cbranch_execnz .LBB246_75
; %bb.21:
	s_or_b64 exec, exec, s[16:17]
	s_and_saveexec_b64 s[16:17], s[2:3]
	s_cbranch_execnz .LBB246_76
.LBB246_22:
	s_or_b64 exec, exec, s[16:17]
	s_and_saveexec_b64 s[16:17], s[4:5]
	s_cbranch_execnz .LBB246_77
.LBB246_23:
	s_or_b64 exec, exec, s[16:17]
	s_and_saveexec_b64 s[16:17], s[6:7]
	s_cbranch_execnz .LBB246_78
.LBB246_24:
	s_or_b64 exec, exec, s[16:17]
	s_and_saveexec_b64 s[16:17], s[8:9]
	s_cbranch_execnz .LBB246_79
.LBB246_25:
	s_or_b64 exec, exec, s[16:17]
	s_and_saveexec_b64 s[16:17], s[10:11]
	s_cbranch_execnz .LBB246_80
.LBB246_26:
	s_or_b64 exec, exec, s[16:17]
	s_and_saveexec_b64 s[16:17], s[12:13]
	s_cbranch_execnz .LBB246_81
.LBB246_27:
	s_or_b64 exec, exec, s[16:17]
	s_xor_b64 s[16:17], s[34:35], -1
	s_and_saveexec_b64 s[18:19], s[14:15]
	s_cbranch_execz .LBB246_29
.LBB246_28:
	v_mul_lo_u32 v16, v22, s48
	v_mov_b32_e32 v17, 0
	v_lshlrev_b64 v[16:17], 3, v[16:17]
	v_mov_b32_e32 v22, s52
	v_add_co_u32_e32 v16, vcc, s49, v16
	v_addc_co_u32_e32 v17, vcc, v22, v17, vcc
	global_load_dwordx2 v[16:17], v[16:17], off
.LBB246_29:
	s_or_b64 exec, exec, s[18:19]
	v_add_lshl_u32 v55, v34, v46, 3
	v_add_lshl_u32 v45, v32, v46, 3
	;; [unrolled: 1-line block ×9, first 2 shown]
	s_waitcnt vmcnt(0)
	ds_write_b64 v55, v[2:3]
	ds_write_b64 v45, v[4:5] offset:2048
	ds_write_b64 v56, v[6:7] offset:4096
	;; [unrolled: 1-line block ×7, first 2 shown]
	s_waitcnt lgkmcnt(0)
	s_barrier
	ds_read2_b64 v[14:17], v62 offset1:1
	ds_read2_b64 v[10:13], v62 offset0:2 offset1:3
	ds_read2_b64 v[6:9], v62 offset0:4 offset1:5
	ds_read2_b64 v[2:5], v62 offset0:6 offset1:7
	s_and_b64 vcc, exec, s[16:17]
	v_bfe_u32 v65, v0, 10, 10
	v_bfe_u32 v66, v0, 20, 10
	v_mbcnt_lo_u32_b32 v67, -1, 0
	v_lshlrev_b32_e32 v64, 4, v46
	s_waitcnt lgkmcnt(0)
	s_barrier
	s_cbranch_vccz .LBB246_82
; %bb.30:
	s_movk_i32 s16, 0x8000
	v_pk_ashrrev_i16 v24, 15, v18 op_sel_hi:[0,1]
	v_or_b32_e32 v25, 0xffff8000, v24
	v_or_b32_sdwa v24, v24, s16 dst_sel:DWORD dst_unused:UNUSED_PAD src0_sel:WORD_1 src1_sel:DWORD
	v_pk_ashrrev_i16 v22, 15, v19 op_sel_hi:[0,1]
	v_xor_b32_sdwa v26, v24, v18 dst_sel:DWORD dst_unused:UNUSED_PAD src0_sel:DWORD src1_sel:WORD_1
	v_pk_ashrrev_i16 v24, 15, v21 op_sel_hi:[0,1]
	v_pk_ashrrev_i16 v28, 15, v20 op_sel_hi:[0,1]
	v_mbcnt_hi_u32_b32 v76, -1, v67
	v_and_b32_e32 v40, 0x3c0, v46
	v_or_b32_e32 v23, 0xffff8000, v22
	v_or_b32_sdwa v22, v22, s16 dst_sel:DWORD dst_unused:UNUSED_PAD src0_sel:WORD_1 src1_sel:DWORD
	v_xor_b32_e32 v27, v25, v18
	v_or_b32_e32 v25, 0xffff8000, v24
	v_or_b32_e32 v29, 0xffff8000, v28
	v_or_b32_sdwa v24, v24, s16 dst_sel:DWORD dst_unused:UNUSED_PAD src0_sel:WORD_1 src1_sel:DWORD
	v_or_b32_sdwa v28, v28, s16 dst_sel:DWORD dst_unused:UNUSED_PAD src0_sel:WORD_1 src1_sel:DWORD
	v_add_u32_e32 v0, v76, v40
	v_xor_b32_sdwa v22, v22, v19 dst_sel:DWORD dst_unused:UNUSED_PAD src0_sel:DWORD src1_sel:WORD_1
	v_xor_b32_e32 v23, v23, v19
	v_xor_b32_sdwa v28, v28, v20 dst_sel:DWORD dst_unused:UNUSED_PAD src0_sel:DWORD src1_sel:WORD_1
	v_xor_b32_sdwa v24, v24, v21 dst_sel:DWORD dst_unused:UNUSED_PAD src0_sel:DWORD src1_sel:WORD_1
	v_xor_b32_e32 v29, v29, v20
	v_xor_b32_e32 v25, v25, v21
	s_mov_b32 s16, 0x5040100
	v_lshlrev_b32_e32 v1, 4, v0
	v_perm_b32 v25, v24, v25, s16
	v_perm_b32 v24, v28, v29, s16
	;; [unrolled: 1-line block ×4, first 2 shown]
	v_and_b32_e32 v82, 0x1e00, v63
	ds_write_b128 v1, v[22:25]
	v_or_b32_e32 v1, v76, v82
	v_lshlrev_b32_e32 v22, 1, v1
	v_lshlrev_b32_e32 v0, 6, v0
	; wave barrier
	ds_read_u16 v79, v22
	ds_read_u16 v78, v22 offset:128
	ds_read_u16 v77, v22 offset:256
	;; [unrolled: 1-line block ×7, first 2 shown]
	s_waitcnt lgkmcnt(0)
	s_barrier
	ds_write2_b64 v0, v[14:15], v[16:17] offset1:1
	ds_write2_b64 v0, v[10:11], v[12:13] offset0:2 offset1:3
	ds_write2_b64 v0, v[6:7], v[8:9] offset0:4 offset1:5
	;; [unrolled: 1-line block ×3, first 2 shown]
	v_lshlrev_b32_e32 v0, 3, v1
	; wave barrier
	ds_read2st64_b64 v[34:37], v0 offset1:1
	ds_read2st64_b64 v[30:33], v0 offset0:2 offset1:3
	ds_read2st64_b64 v[26:29], v0 offset0:4 offset1:5
	ds_read2st64_b64 v[22:25], v0 offset0:6 offset1:7
	s_waitcnt lgkmcnt(0)
	s_barrier
	s_load_dword s18, s[50:51], 0xc
	s_getpc_b64 s[16:17]
	s_add_u32 s16, s16, _ZN7rocprim17ROCPRIM_400000_NS16block_radix_sortI12hip_bfloat16Lj256ELj8ElLj1ELj1ELj0ELNS0_26block_radix_rank_algorithmE1ELNS0_18block_padding_hintE2ELNS0_4arch9wavefront6targetE1EE19radix_bits_per_passE@rel32@lo+4
	s_addc_u32 s17, s17, _ZN7rocprim17ROCPRIM_400000_NS16block_radix_sortI12hip_bfloat16Lj256ELj8ElLj1ELj1ELj0ELNS0_26block_radix_rank_algorithmE1ELNS0_18block_padding_hintE2ELNS0_4arch9wavefront6targetE1EE19radix_bits_per_passE@rel32@hi+12
	s_load_dword s42, s[16:17], 0x0
	s_movk_i32 s19, 0x7fff
	v_mov_b32_e32 v41, 0xffff8000
	s_waitcnt lgkmcnt(0)
	s_lshr_b32 s16, s18, 16
	s_and_b32 s17, s18, 0xffff
	v_mad_u32_u24 v1, v66, s16, v65
	v_mad_u64_u32 v[38:39], s[16:17], v1, s17, v[46:47]
	s_min_u32 s16, s42, 16
	s_lshl_b32 s16, -1, s16
	v_cmp_ne_u16_e32 vcc, s19, v79
	s_not_b32 s18, s16
	v_cndmask_b32_e32 v1, v41, v79, vcc
	v_lshrrev_b32_e32 v68, 6, v38
	v_and_b32_sdwa v38, s18, v1 dst_sel:DWORD dst_unused:UNUSED_PAD src0_sel:DWORD src1_sel:WORD_0
	v_lshlrev_b32_e32 v1, 2, v38
	v_add_lshl_u32 v83, v68, v1, 2
	v_and_b32_e32 v1, 1, v38
	v_add_co_u32_e32 v39, vcc, -1, v1
	v_addc_co_u32_e64 v69, s[16:17], 0, -1, vcc
	v_cmp_ne_u32_e32 vcc, 0, v1
	v_xor_b32_e32 v1, vcc_hi, v69
	v_mov_b32_e32 v0, 0
	v_and_b32_e32 v69, exec_hi, v1
	v_lshlrev_b32_e32 v1, 30, v38
	v_xor_b32_e32 v39, vcc_lo, v39
	v_cmp_gt_i64_e32 vcc, 0, v[0:1]
	v_not_b32_e32 v1, v1
	v_ashrrev_i32_e32 v1, 31, v1
	v_and_b32_e32 v39, exec_lo, v39
	v_xor_b32_e32 v70, vcc_hi, v1
	v_xor_b32_e32 v1, vcc_lo, v1
	v_and_b32_e32 v39, v39, v1
	v_lshlrev_b32_e32 v1, 29, v38
	v_cmp_gt_i64_e32 vcc, 0, v[0:1]
	v_not_b32_e32 v1, v1
	v_ashrrev_i32_e32 v1, 31, v1
	v_and_b32_e32 v69, v69, v70
	v_xor_b32_e32 v70, vcc_hi, v1
	v_xor_b32_e32 v1, vcc_lo, v1
	v_and_b32_e32 v39, v39, v1
	v_lshlrev_b32_e32 v1, 28, v38
	v_cmp_gt_i64_e32 vcc, 0, v[0:1]
	v_not_b32_e32 v1, v1
	v_ashrrev_i32_e32 v1, 31, v1
	v_and_b32_e32 v69, v69, v70
	;; [unrolled: 8-line block ×5, first 2 shown]
	v_xor_b32_e32 v70, vcc_hi, v1
	v_xor_b32_e32 v1, vcc_lo, v1
	v_and_b32_e32 v69, v69, v70
	v_and_b32_e32 v70, v39, v1
	v_lshlrev_b32_e32 v1, 24, v38
	v_cmp_gt_i64_e32 vcc, 0, v[0:1]
	v_not_b32_e32 v1, v1
	v_ashrrev_i32_e32 v1, 31, v1
	v_xor_b32_e32 v38, vcc_hi, v1
	v_xor_b32_e32 v1, vcc_lo, v1
	v_and_b32_e32 v39, v69, v38
	v_and_b32_e32 v38, v70, v1
	v_mbcnt_lo_u32_b32 v1, v38, 0
	v_mbcnt_hi_u32_b32 v84, v39, v1
	v_cmp_eq_u32_e32 vcc, 0, v84
	v_cmp_ne_u64_e64 s[16:17], 0, v[38:39]
	s_and_b64 s[20:21], s[16:17], vcc
	ds_write2_b32 v64, v0, v0 offset0:4 offset1:5
	ds_write2_b32 v64, v0, v0 offset0:6 offset1:7
	s_waitcnt lgkmcnt(0)
	s_barrier
	s_waitcnt lgkmcnt(0)
	; wave barrier
	s_and_saveexec_b64 s[16:17], s[20:21]
	s_cbranch_execz .LBB246_32
; %bb.31:
	v_bcnt_u32_b32 v1, v38, 0
	v_bcnt_u32_b32 v1, v39, v1
	ds_write_b32 v83, v1 offset:16
.LBB246_32:
	s_or_b64 exec, exec, s[16:17]
	v_cmp_ne_u16_e32 vcc, s19, v78
	v_cndmask_b32_e32 v1, v41, v78, vcc
	v_and_b32_sdwa v38, s18, v1 dst_sel:DWORD dst_unused:UNUSED_PAD src0_sel:DWORD src1_sel:WORD_0
	v_lshlrev_b32_e32 v1, 2, v38
	v_add_lshl_u32 v86, v68, v1, 2
	v_and_b32_e32 v1, 1, v38
	v_add_co_u32_e32 v39, vcc, -1, v1
	v_addc_co_u32_e64 v41, s[16:17], 0, -1, vcc
	v_cmp_ne_u32_e32 vcc, 0, v1
	v_xor_b32_e32 v1, vcc_hi, v41
	v_and_b32_e32 v41, exec_hi, v1
	v_lshlrev_b32_e32 v1, 30, v38
	v_xor_b32_e32 v39, vcc_lo, v39
	v_cmp_gt_i64_e32 vcc, 0, v[0:1]
	v_not_b32_e32 v1, v1
	v_ashrrev_i32_e32 v1, 31, v1
	v_and_b32_e32 v39, exec_lo, v39
	v_xor_b32_e32 v69, vcc_hi, v1
	v_xor_b32_e32 v1, vcc_lo, v1
	v_and_b32_e32 v39, v39, v1
	v_lshlrev_b32_e32 v1, 29, v38
	v_cmp_gt_i64_e32 vcc, 0, v[0:1]
	v_not_b32_e32 v1, v1
	v_ashrrev_i32_e32 v1, 31, v1
	v_and_b32_e32 v41, v41, v69
	v_xor_b32_e32 v69, vcc_hi, v1
	v_xor_b32_e32 v1, vcc_lo, v1
	v_and_b32_e32 v39, v39, v1
	v_lshlrev_b32_e32 v1, 28, v38
	v_cmp_gt_i64_e32 vcc, 0, v[0:1]
	v_not_b32_e32 v1, v1
	v_ashrrev_i32_e32 v1, 31, v1
	v_and_b32_e32 v41, v41, v69
	;; [unrolled: 8-line block ×5, first 2 shown]
	v_xor_b32_e32 v69, vcc_hi, v1
	v_xor_b32_e32 v1, vcc_lo, v1
	v_and_b32_e32 v39, v39, v1
	v_lshlrev_b32_e32 v1, 24, v38
	v_cmp_gt_i64_e32 vcc, 0, v[0:1]
	v_not_b32_e32 v0, v1
	v_ashrrev_i32_e32 v0, 31, v0
	v_xor_b32_e32 v1, vcc_hi, v0
	v_xor_b32_e32 v0, vcc_lo, v0
	; wave barrier
	ds_read_b32 v85, v86 offset:16
	v_and_b32_e32 v41, v41, v69
	v_and_b32_e32 v0, v39, v0
	;; [unrolled: 1-line block ×3, first 2 shown]
	v_mbcnt_lo_u32_b32 v38, v0, 0
	v_mbcnt_hi_u32_b32 v87, v1, v38
	v_cmp_eq_u32_e32 vcc, 0, v87
	v_cmp_ne_u64_e64 s[16:17], 0, v[0:1]
	s_and_b64 s[20:21], s[16:17], vcc
	; wave barrier
	s_and_saveexec_b64 s[16:17], s[20:21]
	s_cbranch_execz .LBB246_34
; %bb.33:
	v_bcnt_u32_b32 v0, v0, 0
	v_bcnt_u32_b32 v0, v1, v0
	s_waitcnt lgkmcnt(0)
	v_add_u32_e32 v0, v85, v0
	ds_write_b32 v86, v0 offset:16
.LBB246_34:
	s_or_b64 exec, exec, s[16:17]
	v_mov_b32_e32 v41, 0xffff8000
	v_cmp_ne_u16_e32 vcc, s19, v77
	v_cndmask_b32_e32 v0, v41, v77, vcc
	v_and_b32_sdwa v38, s18, v0 dst_sel:DWORD dst_unused:UNUSED_PAD src0_sel:DWORD src1_sel:WORD_0
	v_and_b32_e32 v1, 1, v38
	v_add_co_u32_e32 v39, vcc, -1, v1
	v_addc_co_u32_e64 v69, s[16:17], 0, -1, vcc
	v_cmp_ne_u32_e32 vcc, 0, v1
	v_lshlrev_b32_e32 v0, 2, v38
	v_xor_b32_e32 v1, vcc_hi, v69
	v_add_lshl_u32 v89, v68, v0, 2
	v_mov_b32_e32 v0, 0
	v_and_b32_e32 v69, exec_hi, v1
	v_lshlrev_b32_e32 v1, 30, v38
	v_xor_b32_e32 v39, vcc_lo, v39
	v_cmp_gt_i64_e32 vcc, 0, v[0:1]
	v_not_b32_e32 v1, v1
	v_ashrrev_i32_e32 v1, 31, v1
	v_and_b32_e32 v39, exec_lo, v39
	v_xor_b32_e32 v70, vcc_hi, v1
	v_xor_b32_e32 v1, vcc_lo, v1
	v_and_b32_e32 v39, v39, v1
	v_lshlrev_b32_e32 v1, 29, v38
	v_cmp_gt_i64_e32 vcc, 0, v[0:1]
	v_not_b32_e32 v1, v1
	v_ashrrev_i32_e32 v1, 31, v1
	v_and_b32_e32 v69, v69, v70
	v_xor_b32_e32 v70, vcc_hi, v1
	v_xor_b32_e32 v1, vcc_lo, v1
	v_and_b32_e32 v39, v39, v1
	v_lshlrev_b32_e32 v1, 28, v38
	v_cmp_gt_i64_e32 vcc, 0, v[0:1]
	v_not_b32_e32 v1, v1
	v_ashrrev_i32_e32 v1, 31, v1
	v_and_b32_e32 v69, v69, v70
	;; [unrolled: 8-line block ×5, first 2 shown]
	v_xor_b32_e32 v70, vcc_hi, v1
	v_xor_b32_e32 v1, vcc_lo, v1
	v_and_b32_e32 v69, v69, v70
	v_and_b32_e32 v70, v39, v1
	v_lshlrev_b32_e32 v1, 24, v38
	v_cmp_gt_i64_e32 vcc, 0, v[0:1]
	v_not_b32_e32 v1, v1
	v_ashrrev_i32_e32 v1, 31, v1
	v_xor_b32_e32 v38, vcc_hi, v1
	v_xor_b32_e32 v1, vcc_lo, v1
	; wave barrier
	ds_read_b32 v88, v89 offset:16
	v_and_b32_e32 v39, v69, v38
	v_and_b32_e32 v38, v70, v1
	v_mbcnt_lo_u32_b32 v1, v38, 0
	v_mbcnt_hi_u32_b32 v90, v39, v1
	v_cmp_eq_u32_e32 vcc, 0, v90
	v_cmp_ne_u64_e64 s[16:17], 0, v[38:39]
	s_and_b64 s[20:21], s[16:17], vcc
	; wave barrier
	s_and_saveexec_b64 s[16:17], s[20:21]
	s_cbranch_execz .LBB246_36
; %bb.35:
	v_bcnt_u32_b32 v1, v38, 0
	v_bcnt_u32_b32 v1, v39, v1
	s_waitcnt lgkmcnt(0)
	v_add_u32_e32 v1, v88, v1
	ds_write_b32 v89, v1 offset:16
.LBB246_36:
	s_or_b64 exec, exec, s[16:17]
	v_cmp_ne_u16_e32 vcc, s19, v75
	v_cndmask_b32_e32 v1, v41, v75, vcc
	v_and_b32_sdwa v38, s18, v1 dst_sel:DWORD dst_unused:UNUSED_PAD src0_sel:DWORD src1_sel:WORD_0
	v_lshlrev_b32_e32 v1, 2, v38
	v_add_lshl_u32 v92, v68, v1, 2
	v_and_b32_e32 v1, 1, v38
	v_add_co_u32_e32 v39, vcc, -1, v1
	v_addc_co_u32_e64 v41, s[16:17], 0, -1, vcc
	v_cmp_ne_u32_e32 vcc, 0, v1
	v_xor_b32_e32 v1, vcc_hi, v41
	v_and_b32_e32 v41, exec_hi, v1
	v_lshlrev_b32_e32 v1, 30, v38
	v_xor_b32_e32 v39, vcc_lo, v39
	v_cmp_gt_i64_e32 vcc, 0, v[0:1]
	v_not_b32_e32 v1, v1
	v_ashrrev_i32_e32 v1, 31, v1
	v_and_b32_e32 v39, exec_lo, v39
	v_xor_b32_e32 v69, vcc_hi, v1
	v_xor_b32_e32 v1, vcc_lo, v1
	v_and_b32_e32 v39, v39, v1
	v_lshlrev_b32_e32 v1, 29, v38
	v_cmp_gt_i64_e32 vcc, 0, v[0:1]
	v_not_b32_e32 v1, v1
	v_ashrrev_i32_e32 v1, 31, v1
	v_and_b32_e32 v41, v41, v69
	v_xor_b32_e32 v69, vcc_hi, v1
	v_xor_b32_e32 v1, vcc_lo, v1
	v_and_b32_e32 v39, v39, v1
	v_lshlrev_b32_e32 v1, 28, v38
	v_cmp_gt_i64_e32 vcc, 0, v[0:1]
	v_not_b32_e32 v1, v1
	v_ashrrev_i32_e32 v1, 31, v1
	v_and_b32_e32 v41, v41, v69
	;; [unrolled: 8-line block ×5, first 2 shown]
	v_xor_b32_e32 v69, vcc_hi, v1
	v_xor_b32_e32 v1, vcc_lo, v1
	v_and_b32_e32 v39, v39, v1
	v_lshlrev_b32_e32 v1, 24, v38
	v_cmp_gt_i64_e32 vcc, 0, v[0:1]
	v_not_b32_e32 v0, v1
	v_ashrrev_i32_e32 v0, 31, v0
	v_xor_b32_e32 v1, vcc_hi, v0
	v_xor_b32_e32 v0, vcc_lo, v0
	; wave barrier
	ds_read_b32 v91, v92 offset:16
	v_and_b32_e32 v41, v41, v69
	v_and_b32_e32 v0, v39, v0
	;; [unrolled: 1-line block ×3, first 2 shown]
	v_mbcnt_lo_u32_b32 v38, v0, 0
	v_mbcnt_hi_u32_b32 v93, v1, v38
	v_cmp_eq_u32_e32 vcc, 0, v93
	v_cmp_ne_u64_e64 s[16:17], 0, v[0:1]
	s_and_b64 s[20:21], s[16:17], vcc
	; wave barrier
	s_and_saveexec_b64 s[16:17], s[20:21]
	s_cbranch_execz .LBB246_38
; %bb.37:
	v_bcnt_u32_b32 v0, v0, 0
	v_bcnt_u32_b32 v0, v1, v0
	s_waitcnt lgkmcnt(0)
	v_add_u32_e32 v0, v91, v0
	ds_write_b32 v92, v0 offset:16
.LBB246_38:
	s_or_b64 exec, exec, s[16:17]
	v_mov_b32_e32 v41, 0xffff8000
	v_cmp_ne_u16_e32 vcc, s19, v74
	v_cndmask_b32_e32 v0, v41, v74, vcc
	v_and_b32_sdwa v38, s18, v0 dst_sel:DWORD dst_unused:UNUSED_PAD src0_sel:DWORD src1_sel:WORD_0
	v_and_b32_e32 v1, 1, v38
	v_add_co_u32_e32 v39, vcc, -1, v1
	v_addc_co_u32_e64 v69, s[16:17], 0, -1, vcc
	v_cmp_ne_u32_e32 vcc, 0, v1
	v_lshlrev_b32_e32 v0, 2, v38
	v_xor_b32_e32 v1, vcc_hi, v69
	v_add_lshl_u32 v95, v68, v0, 2
	v_mov_b32_e32 v0, 0
	v_and_b32_e32 v69, exec_hi, v1
	v_lshlrev_b32_e32 v1, 30, v38
	v_xor_b32_e32 v39, vcc_lo, v39
	v_cmp_gt_i64_e32 vcc, 0, v[0:1]
	v_not_b32_e32 v1, v1
	v_ashrrev_i32_e32 v1, 31, v1
	v_and_b32_e32 v39, exec_lo, v39
	v_xor_b32_e32 v70, vcc_hi, v1
	v_xor_b32_e32 v1, vcc_lo, v1
	v_and_b32_e32 v39, v39, v1
	v_lshlrev_b32_e32 v1, 29, v38
	v_cmp_gt_i64_e32 vcc, 0, v[0:1]
	v_not_b32_e32 v1, v1
	v_ashrrev_i32_e32 v1, 31, v1
	v_and_b32_e32 v69, v69, v70
	v_xor_b32_e32 v70, vcc_hi, v1
	v_xor_b32_e32 v1, vcc_lo, v1
	v_and_b32_e32 v39, v39, v1
	v_lshlrev_b32_e32 v1, 28, v38
	v_cmp_gt_i64_e32 vcc, 0, v[0:1]
	v_not_b32_e32 v1, v1
	v_ashrrev_i32_e32 v1, 31, v1
	v_and_b32_e32 v69, v69, v70
	;; [unrolled: 8-line block ×5, first 2 shown]
	v_xor_b32_e32 v70, vcc_hi, v1
	v_xor_b32_e32 v1, vcc_lo, v1
	v_and_b32_e32 v69, v69, v70
	v_and_b32_e32 v70, v39, v1
	v_lshlrev_b32_e32 v1, 24, v38
	v_cmp_gt_i64_e32 vcc, 0, v[0:1]
	v_not_b32_e32 v1, v1
	v_ashrrev_i32_e32 v1, 31, v1
	v_xor_b32_e32 v38, vcc_hi, v1
	v_xor_b32_e32 v1, vcc_lo, v1
	; wave barrier
	ds_read_b32 v94, v95 offset:16
	v_and_b32_e32 v39, v69, v38
	v_and_b32_e32 v38, v70, v1
	v_mbcnt_lo_u32_b32 v1, v38, 0
	v_mbcnt_hi_u32_b32 v96, v39, v1
	v_cmp_eq_u32_e32 vcc, 0, v96
	v_cmp_ne_u64_e64 s[16:17], 0, v[38:39]
	s_and_b64 s[20:21], s[16:17], vcc
	; wave barrier
	s_and_saveexec_b64 s[16:17], s[20:21]
	s_cbranch_execz .LBB246_40
; %bb.39:
	v_bcnt_u32_b32 v1, v38, 0
	v_bcnt_u32_b32 v1, v39, v1
	s_waitcnt lgkmcnt(0)
	v_add_u32_e32 v1, v94, v1
	ds_write_b32 v95, v1 offset:16
.LBB246_40:
	s_or_b64 exec, exec, s[16:17]
	v_cmp_ne_u16_e32 vcc, s19, v73
	v_cndmask_b32_e32 v1, v41, v73, vcc
	v_and_b32_sdwa v38, s18, v1 dst_sel:DWORD dst_unused:UNUSED_PAD src0_sel:DWORD src1_sel:WORD_0
	v_lshlrev_b32_e32 v1, 2, v38
	v_add_lshl_u32 v98, v68, v1, 2
	v_and_b32_e32 v1, 1, v38
	v_add_co_u32_e32 v39, vcc, -1, v1
	v_addc_co_u32_e64 v41, s[16:17], 0, -1, vcc
	v_cmp_ne_u32_e32 vcc, 0, v1
	v_xor_b32_e32 v1, vcc_hi, v41
	v_and_b32_e32 v41, exec_hi, v1
	v_lshlrev_b32_e32 v1, 30, v38
	v_xor_b32_e32 v39, vcc_lo, v39
	v_cmp_gt_i64_e32 vcc, 0, v[0:1]
	v_not_b32_e32 v1, v1
	v_ashrrev_i32_e32 v1, 31, v1
	v_and_b32_e32 v39, exec_lo, v39
	v_xor_b32_e32 v69, vcc_hi, v1
	v_xor_b32_e32 v1, vcc_lo, v1
	v_and_b32_e32 v39, v39, v1
	v_lshlrev_b32_e32 v1, 29, v38
	v_cmp_gt_i64_e32 vcc, 0, v[0:1]
	v_not_b32_e32 v1, v1
	v_ashrrev_i32_e32 v1, 31, v1
	v_and_b32_e32 v41, v41, v69
	v_xor_b32_e32 v69, vcc_hi, v1
	v_xor_b32_e32 v1, vcc_lo, v1
	v_and_b32_e32 v39, v39, v1
	v_lshlrev_b32_e32 v1, 28, v38
	v_cmp_gt_i64_e32 vcc, 0, v[0:1]
	v_not_b32_e32 v1, v1
	v_ashrrev_i32_e32 v1, 31, v1
	v_and_b32_e32 v41, v41, v69
	;; [unrolled: 8-line block ×5, first 2 shown]
	v_xor_b32_e32 v69, vcc_hi, v1
	v_xor_b32_e32 v1, vcc_lo, v1
	v_and_b32_e32 v39, v39, v1
	v_lshlrev_b32_e32 v1, 24, v38
	v_cmp_gt_i64_e32 vcc, 0, v[0:1]
	v_not_b32_e32 v0, v1
	v_ashrrev_i32_e32 v0, 31, v0
	v_xor_b32_e32 v1, vcc_hi, v0
	v_xor_b32_e32 v0, vcc_lo, v0
	; wave barrier
	ds_read_b32 v97, v98 offset:16
	v_and_b32_e32 v41, v41, v69
	v_and_b32_e32 v0, v39, v0
	v_and_b32_e32 v1, v41, v1
	v_mbcnt_lo_u32_b32 v38, v0, 0
	v_mbcnt_hi_u32_b32 v99, v1, v38
	v_cmp_eq_u32_e32 vcc, 0, v99
	v_cmp_ne_u64_e64 s[16:17], 0, v[0:1]
	s_and_b64 s[20:21], s[16:17], vcc
	; wave barrier
	s_and_saveexec_b64 s[16:17], s[20:21]
	s_cbranch_execz .LBB246_42
; %bb.41:
	v_bcnt_u32_b32 v0, v0, 0
	v_bcnt_u32_b32 v0, v1, v0
	s_waitcnt lgkmcnt(0)
	v_add_u32_e32 v0, v97, v0
	ds_write_b32 v98, v0 offset:16
.LBB246_42:
	s_or_b64 exec, exec, s[16:17]
	v_mov_b32_e32 v41, 0xffff8000
	v_cmp_ne_u16_e32 vcc, s19, v72
	v_cndmask_b32_e32 v0, v41, v72, vcc
	v_and_b32_sdwa v38, s18, v0 dst_sel:DWORD dst_unused:UNUSED_PAD src0_sel:DWORD src1_sel:WORD_0
	v_and_b32_e32 v1, 1, v38
	v_add_co_u32_e32 v39, vcc, -1, v1
	v_addc_co_u32_e64 v69, s[16:17], 0, -1, vcc
	v_cmp_ne_u32_e32 vcc, 0, v1
	v_lshlrev_b32_e32 v0, 2, v38
	v_xor_b32_e32 v1, vcc_hi, v69
	v_add_lshl_u32 v101, v68, v0, 2
	v_mov_b32_e32 v0, 0
	v_and_b32_e32 v69, exec_hi, v1
	v_lshlrev_b32_e32 v1, 30, v38
	v_xor_b32_e32 v39, vcc_lo, v39
	v_cmp_gt_i64_e32 vcc, 0, v[0:1]
	v_not_b32_e32 v1, v1
	v_ashrrev_i32_e32 v1, 31, v1
	v_and_b32_e32 v39, exec_lo, v39
	v_xor_b32_e32 v70, vcc_hi, v1
	v_xor_b32_e32 v1, vcc_lo, v1
	v_and_b32_e32 v39, v39, v1
	v_lshlrev_b32_e32 v1, 29, v38
	v_cmp_gt_i64_e32 vcc, 0, v[0:1]
	v_not_b32_e32 v1, v1
	v_ashrrev_i32_e32 v1, 31, v1
	v_and_b32_e32 v69, v69, v70
	v_xor_b32_e32 v70, vcc_hi, v1
	v_xor_b32_e32 v1, vcc_lo, v1
	v_and_b32_e32 v39, v39, v1
	v_lshlrev_b32_e32 v1, 28, v38
	v_cmp_gt_i64_e32 vcc, 0, v[0:1]
	v_not_b32_e32 v1, v1
	v_ashrrev_i32_e32 v1, 31, v1
	v_and_b32_e32 v69, v69, v70
	;; [unrolled: 8-line block ×5, first 2 shown]
	v_xor_b32_e32 v70, vcc_hi, v1
	v_xor_b32_e32 v1, vcc_lo, v1
	v_and_b32_e32 v69, v69, v70
	v_and_b32_e32 v70, v39, v1
	v_lshlrev_b32_e32 v1, 24, v38
	v_cmp_gt_i64_e32 vcc, 0, v[0:1]
	v_not_b32_e32 v1, v1
	v_ashrrev_i32_e32 v1, 31, v1
	v_xor_b32_e32 v38, vcc_hi, v1
	v_xor_b32_e32 v1, vcc_lo, v1
	; wave barrier
	ds_read_b32 v100, v101 offset:16
	v_and_b32_e32 v39, v69, v38
	v_and_b32_e32 v38, v70, v1
	v_mbcnt_lo_u32_b32 v1, v38, 0
	v_mbcnt_hi_u32_b32 v102, v39, v1
	v_cmp_eq_u32_e32 vcc, 0, v102
	v_cmp_ne_u64_e64 s[16:17], 0, v[38:39]
	s_and_b64 s[20:21], s[16:17], vcc
	; wave barrier
	s_and_saveexec_b64 s[16:17], s[20:21]
	s_cbranch_execz .LBB246_44
; %bb.43:
	v_bcnt_u32_b32 v1, v38, 0
	v_bcnt_u32_b32 v1, v39, v1
	s_waitcnt lgkmcnt(0)
	v_add_u32_e32 v1, v100, v1
	ds_write_b32 v101, v1 offset:16
.LBB246_44:
	s_or_b64 exec, exec, s[16:17]
	v_cmp_ne_u16_e32 vcc, s19, v71
	v_cndmask_b32_e32 v1, v41, v71, vcc
	v_and_b32_sdwa v38, s18, v1 dst_sel:DWORD dst_unused:UNUSED_PAD src0_sel:DWORD src1_sel:WORD_0
	v_lshlrev_b32_e32 v1, 2, v38
	v_add_lshl_u32 v104, v68, v1, 2
	v_and_b32_e32 v1, 1, v38
	v_add_co_u32_e32 v39, vcc, -1, v1
	v_min_u32_e32 v80, 0xc0, v40
	v_addc_co_u32_e64 v40, s[16:17], 0, -1, vcc
	v_cmp_ne_u32_e32 vcc, 0, v1
	v_xor_b32_e32 v1, vcc_hi, v40
	v_and_b32_e32 v40, exec_hi, v1
	v_lshlrev_b32_e32 v1, 30, v38
	v_xor_b32_e32 v39, vcc_lo, v39
	v_cmp_gt_i64_e32 vcc, 0, v[0:1]
	v_not_b32_e32 v1, v1
	v_ashrrev_i32_e32 v1, 31, v1
	v_and_b32_e32 v39, exec_lo, v39
	v_xor_b32_e32 v41, vcc_hi, v1
	v_xor_b32_e32 v1, vcc_lo, v1
	v_and_b32_e32 v39, v39, v1
	v_lshlrev_b32_e32 v1, 29, v38
	v_cmp_gt_i64_e32 vcc, 0, v[0:1]
	v_not_b32_e32 v1, v1
	v_ashrrev_i32_e32 v1, 31, v1
	v_and_b32_e32 v40, v40, v41
	v_xor_b32_e32 v41, vcc_hi, v1
	v_xor_b32_e32 v1, vcc_lo, v1
	v_and_b32_e32 v39, v39, v1
	v_lshlrev_b32_e32 v1, 28, v38
	v_cmp_gt_i64_e32 vcc, 0, v[0:1]
	v_not_b32_e32 v1, v1
	v_ashrrev_i32_e32 v1, 31, v1
	v_and_b32_e32 v40, v40, v41
	;; [unrolled: 8-line block ×5, first 2 shown]
	v_xor_b32_e32 v41, vcc_hi, v1
	v_xor_b32_e32 v1, vcc_lo, v1
	v_and_b32_e32 v39, v39, v1
	v_lshlrev_b32_e32 v1, 24, v38
	v_cmp_gt_i64_e32 vcc, 0, v[0:1]
	v_not_b32_e32 v0, v1
	v_ashrrev_i32_e32 v0, 31, v0
	v_xor_b32_e32 v1, vcc_hi, v0
	v_xor_b32_e32 v0, vcc_lo, v0
	; wave barrier
	ds_read_b32 v103, v104 offset:16
	v_and_b32_e32 v40, v40, v41
	v_and_b32_e32 v0, v39, v0
	;; [unrolled: 1-line block ×3, first 2 shown]
	v_mbcnt_lo_u32_b32 v38, v0, 0
	v_mbcnt_hi_u32_b32 v105, v1, v38
	v_cmp_eq_u32_e32 vcc, 0, v105
	v_cmp_ne_u64_e64 s[16:17], 0, v[0:1]
	v_add_u32_e32 v69, 16, v64
	v_lshrrev_b32_e32 v70, 6, v46
	s_and_b64 s[18:19], s[16:17], vcc
	; wave barrier
	s_and_saveexec_b64 s[16:17], s[18:19]
	s_cbranch_execz .LBB246_46
; %bb.45:
	v_bcnt_u32_b32 v0, v0, 0
	v_bcnt_u32_b32 v0, v1, v0
	s_waitcnt lgkmcnt(0)
	v_add_u32_e32 v0, v103, v0
	ds_write_b32 v104, v0 offset:16
.LBB246_46:
	s_or_b64 exec, exec, s[16:17]
	; wave barrier
	s_waitcnt lgkmcnt(0)
	s_barrier
	ds_read2_b32 v[38:39], v64 offset0:4 offset1:5
	ds_read2_b32 v[40:41], v69 offset0:2 offset1:3
	v_and_b32_e32 v1, 16, v76
	v_cmp_eq_u32_e32 vcc, 0, v1
	v_or_b32_e32 v1, 63, v80
	v_cmp_eq_u32_e64 s[16:17], v1, v46
	s_waitcnt lgkmcnt(1)
	v_add_u32_e32 v1, v39, v38
	v_and_b32_e32 v0, 15, v76
	s_waitcnt lgkmcnt(0)
	v_add3_u32 v1, v1, v40, v41
	v_cmp_eq_u32_e64 s[22:23], 0, v0
	v_cmp_lt_u32_e64 s[24:25], 1, v0
	v_mov_b32_dpp v41, v1 row_shr:1 row_mask:0xf bank_mask:0xf
	v_cndmask_b32_e64 v41, v41, 0, s[22:23]
	v_add_u32_e32 v1, v41, v1
	v_cmp_lt_u32_e64 s[28:29], 3, v0
	v_cmp_lt_u32_e64 s[30:31], 7, v0
	v_mov_b32_dpp v41, v1 row_shr:2 row_mask:0xf bank_mask:0xf
	v_cndmask_b32_e64 v41, 0, v41, s[24:25]
	v_add_u32_e32 v1, v1, v41
	v_bfe_i32 v81, v76, 4, 1
	v_cmp_lt_u32_e64 s[34:35], 31, v76
	v_mov_b32_dpp v41, v1 row_shr:4 row_mask:0xf bank_mask:0xf
	v_cndmask_b32_e64 v41, 0, v41, s[28:29]
	v_add_u32_e32 v1, v1, v41
	v_lshlrev_b32_e32 v70, 2, v70
	s_nop 0
	v_mov_b32_dpp v41, v1 row_shr:8 row_mask:0xf bank_mask:0xf
	v_cndmask_b32_e64 v0, 0, v41, s[30:31]
	v_add_u32_e32 v0, v1, v0
	s_nop 1
	v_mov_b32_dpp v1, v0 row_bcast:15 row_mask:0xf bank_mask:0xf
	v_and_b32_e32 v1, v81, v1
	v_add_u32_e32 v0, v0, v1
	s_nop 1
	v_mov_b32_dpp v1, v0 row_bcast:31 row_mask:0xf bank_mask:0xf
	v_cndmask_b32_e64 v1, 0, v1, s[34:35]
	v_add_u32_e32 v1, v0, v1
	s_and_saveexec_b64 s[18:19], s[16:17]
	s_cbranch_execz .LBB246_48
; %bb.47:
	ds_write_b32 v70, v1
.LBB246_48:
	s_or_b64 exec, exec, s[18:19]
	v_and_b32_e32 v0, 3, v76
	v_cmp_gt_u32_e64 s[26:27], 4, v46
	v_lshlrev_b32_e32 v41, 2, v46
	v_cmp_eq_u32_e64 s[20:21], 0, v0
	v_cmp_lt_u32_e64 s[18:19], 1, v0
	s_waitcnt lgkmcnt(0)
	s_barrier
	s_and_saveexec_b64 s[36:37], s[26:27]
	s_cbranch_execz .LBB246_50
; %bb.49:
	ds_read_b32 v0, v41
	s_waitcnt lgkmcnt(0)
	s_nop 0
	v_mov_b32_dpp v80, v0 row_shr:1 row_mask:0xf bank_mask:0xf
	v_cndmask_b32_e64 v80, v80, 0, s[20:21]
	v_add_u32_e32 v0, v80, v0
	s_nop 1
	v_mov_b32_dpp v80, v0 row_shr:2 row_mask:0xf bank_mask:0xf
	v_cndmask_b32_e64 v80, 0, v80, s[18:19]
	v_add_u32_e32 v0, v0, v80
	ds_write_b32 v41, v0
.LBB246_50:
	s_or_b64 exec, exec, s[36:37]
	v_cmp_lt_u32_e64 s[36:37], 63, v46
	v_add_u32_e32 v80, -4, v70
	v_mov_b32_e32 v0, 0
	v_mov_b32_e32 v106, 0
	s_waitcnt lgkmcnt(0)
	s_barrier
	s_and_saveexec_b64 s[38:39], s[36:37]
	s_cbranch_execz .LBB246_52
; %bb.51:
	ds_read_b32 v106, v80
.LBB246_52:
	s_or_b64 exec, exec, s[38:39]
	v_add_u32_e32 v81, -1, v76
	v_and_b32_e32 v107, 64, v76
	v_cmp_lt_i32_e64 s[38:39], v81, v107
	v_cndmask_b32_e64 v81, v81, v76, s[38:39]
	v_lshlrev_b32_e32 v81, 2, v81
	s_waitcnt lgkmcnt(0)
	v_add_u32_e32 v1, v106, v1
	ds_bpermute_b32 v1, v81, v1
	v_cmp_eq_u32_e64 s[38:39], 0, v76
	v_cmp_eq_u32_e64 s[40:41], 0, v46
	v_and_or_b32 v82, v76, 63, v82
	v_lshlrev_b32_e32 v107, 1, v82
	s_waitcnt lgkmcnt(0)
	v_cndmask_b32_e64 v1, v1, v106, s[38:39]
	v_cndmask_b32_e64 v1, v1, 0, s[40:41]
	v_add_u32_e32 v38, v1, v38
	v_add_u32_e32 v39, v38, v39
	;; [unrolled: 1-line block ×3, first 2 shown]
	ds_write2_b32 v64, v1, v38 offset0:4 offset1:5
	ds_write2_b32 v69, v39, v40 offset0:2 offset1:3
	s_waitcnt lgkmcnt(0)
	s_barrier
	ds_read_b32 v1, v83 offset:16
	ds_read_b32 v38, v86 offset:16
	ds_read_b32 v39, v89 offset:16
	ds_read_b32 v40, v92 offset:16
	ds_read_b32 v76, v95 offset:16
	ds_read_b32 v83, v98 offset:16
	ds_read_b32 v86, v101 offset:16
	ds_read_b32 v89, v104 offset:16
	s_waitcnt lgkmcnt(7)
	v_add_u32_e32 v1, v1, v84
	s_waitcnt lgkmcnt(6)
	v_add3_u32 v38, v87, v85, v38
	s_waitcnt lgkmcnt(4)
	v_add3_u32 v84, v93, v91, v40
	v_lshlrev_b32_e32 v40, 1, v1
	v_add3_u32 v39, v90, v88, v39
	s_waitcnt lgkmcnt(0)
	s_barrier
	ds_write_b16 v40, v79
	v_lshlrev_b32_e32 v40, 1, v38
	ds_write_b16 v40, v78
	v_lshlrev_b32_e32 v40, 1, v39
	v_add3_u32 v85, v96, v94, v76
	ds_write_b16 v40, v77
	v_lshlrev_b32_e32 v40, 1, v84
	v_add3_u32 v83, v99, v97, v83
	;; [unrolled: 3-line block ×4, first 2 shown]
	ds_write_b16 v40, v73
	v_lshlrev_b32_e32 v40, 1, v86
	ds_write_b16 v40, v72
	v_lshlrev_b32_e32 v40, 1, v87
	v_lshlrev_b32_e32 v1, 3, v1
	ds_write_b16 v40, v71
	s_waitcnt lgkmcnt(0)
	s_barrier
	ds_read_u16 v77, v107
	ds_read_u16 v76, v107 offset:128
	ds_read_u16 v75, v107 offset:256
	;; [unrolled: 1-line block ×7, first 2 shown]
	s_waitcnt lgkmcnt(0)
	s_barrier
	ds_write_b64 v1, v[34:35]
	v_lshlrev_b32_e32 v1, 3, v38
	ds_write_b64 v1, v[36:37]
	v_lshlrev_b32_e32 v1, 3, v39
	;; [unrolled: 2-line block ×6, first 2 shown]
	s_min_u32 s42, s42, 8
	ds_write_b64 v1, v[22:23]
	v_lshlrev_b32_e32 v1, 3, v87
	s_lshl_b32 s42, -1, s42
	s_movk_i32 s54, 0x7fff
	ds_write_b64 v1, v[24:25]
	s_not_b32 s53, s42
	v_lshrrev_b16_e32 v1, 8, v77
	v_mov_b32_e32 v38, 0x80
	v_cmp_ne_u16_e64 s[42:43], s54, v77
	v_cndmask_b32_e64 v1, v38, v1, s[42:43]
	v_and_b32_sdwa v39, v1, s53 dst_sel:DWORD dst_unused:UNUSED_PAD src0_sel:WORD_0 src1_sel:DWORD
	v_lshlrev_b32_e32 v1, 2, v39
	v_add_lshl_u32 v78, v1, v68, 2
	v_and_b32_e32 v1, 1, v39
	v_lshlrev_b32_e32 v82, 3, v82
	v_add_co_u32_e64 v79, s[42:43], -1, v1
	s_waitcnt lgkmcnt(0)
	s_barrier
	ds_read2st64_b64 v[34:37], v82 offset1:1
	ds_read2st64_b64 v[30:33], v82 offset0:2 offset1:3
	ds_read2st64_b64 v[26:29], v82 offset0:4 offset1:5
	;; [unrolled: 1-line block ×3, first 2 shown]
	v_addc_co_u32_e64 v82, s[42:43], 0, -1, s[42:43]
	v_cmp_ne_u32_e64 s[42:43], 0, v1
	v_xor_b32_e32 v1, s43, v82
	v_and_b32_e32 v82, exec_hi, v1
	v_lshlrev_b32_e32 v1, 30, v39
	v_xor_b32_e32 v79, s42, v79
	v_cmp_gt_i64_e64 s[42:43], 0, v[0:1]
	v_not_b32_e32 v1, v1
	v_ashrrev_i32_e32 v1, 31, v1
	v_and_b32_e32 v79, exec_lo, v79
	v_xor_b32_e32 v83, s43, v1
	v_xor_b32_e32 v1, s42, v1
	v_and_b32_e32 v79, v79, v1
	v_lshlrev_b32_e32 v1, 29, v39
	v_cmp_gt_i64_e64 s[42:43], 0, v[0:1]
	v_not_b32_e32 v1, v1
	v_ashrrev_i32_e32 v1, 31, v1
	v_and_b32_e32 v82, v82, v83
	v_xor_b32_e32 v83, s43, v1
	v_xor_b32_e32 v1, s42, v1
	v_and_b32_e32 v79, v79, v1
	v_lshlrev_b32_e32 v1, 28, v39
	v_cmp_gt_i64_e64 s[42:43], 0, v[0:1]
	v_not_b32_e32 v1, v1
	v_ashrrev_i32_e32 v1, 31, v1
	v_and_b32_e32 v82, v82, v83
	;; [unrolled: 8-line block ×5, first 2 shown]
	v_xor_b32_e32 v83, s43, v1
	v_xor_b32_e32 v1, s42, v1
	v_and_b32_e32 v79, v79, v1
	v_lshlrev_b32_e32 v1, 24, v39
	s_waitcnt lgkmcnt(0)
	s_barrier
	ds_write2_b32 v64, v0, v0 offset0:4 offset1:5
	ds_write2_b32 v69, v0, v0 offset0:2 offset1:3
	v_cmp_gt_i64_e64 s[42:43], 0, v[0:1]
	v_not_b32_e32 v0, v1
	v_ashrrev_i32_e32 v0, 31, v0
	v_xor_b32_e32 v1, s43, v0
	v_xor_b32_e32 v0, s42, v0
	v_and_b32_e32 v82, v82, v83
	v_and_b32_e32 v0, v79, v0
	;; [unrolled: 1-line block ×3, first 2 shown]
	v_mbcnt_lo_u32_b32 v39, v0, 0
	v_mbcnt_hi_u32_b32 v79, v1, v39
	v_cmp_eq_u32_e64 s[42:43], 0, v79
	v_cmp_ne_u64_e64 s[44:45], 0, v[0:1]
	s_and_b64 s[44:45], s[44:45], s[42:43]
	s_waitcnt lgkmcnt(0)
	s_barrier
	s_waitcnt lgkmcnt(0)
	; wave barrier
	s_and_saveexec_b64 s[42:43], s[44:45]
	s_cbranch_execz .LBB246_54
; %bb.53:
	v_bcnt_u32_b32 v0, v0, 0
	v_bcnt_u32_b32 v0, v1, v0
	ds_write_b32 v78, v0 offset:16
.LBB246_54:
	s_or_b64 exec, exec, s[42:43]
	v_lshrrev_b16_e32 v0, 8, v76
	v_cmp_ne_u16_e64 s[42:43], s54, v76
	v_cndmask_b32_e64 v0, v38, v0, s[42:43]
	v_and_b32_e32 v38, s53, v0
	v_and_b32_e32 v1, 1, v38
	v_add_co_u32_e64 v39, s[42:43], -1, v1
	v_addc_co_u32_e64 v84, s[42:43], 0, -1, s[42:43]
	v_cmp_ne_u32_e64 s[42:43], 0, v1
	v_lshlrev_b32_e32 v0, 2, v38
	v_xor_b32_e32 v1, s43, v84
	v_add_lshl_u32 v83, v0, v68, 2
	v_mov_b32_e32 v0, 0
	v_and_b32_e32 v84, exec_hi, v1
	v_lshlrev_b32_e32 v1, 30, v38
	v_xor_b32_e32 v39, s42, v39
	v_cmp_gt_i64_e64 s[42:43], 0, v[0:1]
	v_not_b32_e32 v1, v1
	v_ashrrev_i32_e32 v1, 31, v1
	v_and_b32_e32 v39, exec_lo, v39
	v_xor_b32_e32 v85, s43, v1
	v_xor_b32_e32 v1, s42, v1
	v_and_b32_e32 v39, v39, v1
	v_lshlrev_b32_e32 v1, 29, v38
	v_cmp_gt_i64_e64 s[42:43], 0, v[0:1]
	v_not_b32_e32 v1, v1
	v_ashrrev_i32_e32 v1, 31, v1
	v_and_b32_e32 v84, v84, v85
	v_xor_b32_e32 v85, s43, v1
	v_xor_b32_e32 v1, s42, v1
	v_and_b32_e32 v39, v39, v1
	v_lshlrev_b32_e32 v1, 28, v38
	v_cmp_gt_i64_e64 s[42:43], 0, v[0:1]
	v_not_b32_e32 v1, v1
	v_ashrrev_i32_e32 v1, 31, v1
	v_and_b32_e32 v84, v84, v85
	v_xor_b32_e32 v85, s43, v1
	v_xor_b32_e32 v1, s42, v1
	v_and_b32_e32 v39, v39, v1
	v_lshlrev_b32_e32 v1, 27, v38
	v_cmp_gt_i64_e64 s[42:43], 0, v[0:1]
	v_not_b32_e32 v1, v1
	v_ashrrev_i32_e32 v1, 31, v1
	v_and_b32_e32 v84, v84, v85
	v_xor_b32_e32 v85, s43, v1
	v_xor_b32_e32 v1, s42, v1
	v_and_b32_e32 v39, v39, v1
	v_lshlrev_b32_e32 v1, 26, v38
	v_cmp_gt_i64_e64 s[42:43], 0, v[0:1]
	v_not_b32_e32 v1, v1
	v_ashrrev_i32_e32 v1, 31, v1
	v_and_b32_e32 v84, v84, v85
	v_xor_b32_e32 v85, s43, v1
	v_xor_b32_e32 v1, s42, v1
	v_and_b32_e32 v39, v39, v1
	v_lshlrev_b32_e32 v1, 25, v38
	v_cmp_gt_i64_e64 s[42:43], 0, v[0:1]
	v_not_b32_e32 v1, v1
	v_ashrrev_i32_e32 v1, 31, v1
	v_and_b32_e32 v84, v84, v85
	v_xor_b32_e32 v85, s43, v1
	v_xor_b32_e32 v1, s42, v1
	v_and_b32_e32 v84, v84, v85
	v_and_b32_e32 v85, v39, v1
	v_lshlrev_b32_e32 v1, 24, v38
	v_cmp_gt_i64_e64 s[42:43], 0, v[0:1]
	v_not_b32_e32 v1, v1
	v_ashrrev_i32_e32 v1, 31, v1
	v_xor_b32_e32 v38, s43, v1
	v_xor_b32_e32 v1, s42, v1
	; wave barrier
	ds_read_b32 v82, v83 offset:16
	v_and_b32_e32 v39, v84, v38
	v_and_b32_e32 v38, v85, v1
	v_mbcnt_lo_u32_b32 v1, v38, 0
	v_mbcnt_hi_u32_b32 v84, v39, v1
	v_cmp_eq_u32_e64 s[42:43], 0, v84
	v_cmp_ne_u64_e64 s[44:45], 0, v[38:39]
	s_and_b64 s[44:45], s[44:45], s[42:43]
	; wave barrier
	s_and_saveexec_b64 s[42:43], s[44:45]
	s_cbranch_execz .LBB246_56
; %bb.55:
	v_bcnt_u32_b32 v1, v38, 0
	v_bcnt_u32_b32 v1, v39, v1
	s_waitcnt lgkmcnt(0)
	v_add_u32_e32 v1, v82, v1
	ds_write_b32 v83, v1 offset:16
.LBB246_56:
	s_or_b64 exec, exec, s[42:43]
	v_lshrrev_b16_e32 v1, 8, v75
	v_mov_b32_e32 v38, 0x80
	v_cmp_ne_u16_e64 s[42:43], s54, v75
	v_cndmask_b32_e64 v1, v38, v1, s[42:43]
	v_and_b32_e32 v39, s53, v1
	v_lshlrev_b32_e32 v1, 2, v39
	v_add_lshl_u32 v86, v1, v68, 2
	v_and_b32_e32 v1, 1, v39
	v_add_co_u32_e64 v87, s[42:43], -1, v1
	v_addc_co_u32_e64 v88, s[42:43], 0, -1, s[42:43]
	v_cmp_ne_u32_e64 s[42:43], 0, v1
	v_xor_b32_e32 v1, s43, v88
	v_and_b32_e32 v88, exec_hi, v1
	v_lshlrev_b32_e32 v1, 30, v39
	v_xor_b32_e32 v87, s42, v87
	v_cmp_gt_i64_e64 s[42:43], 0, v[0:1]
	v_not_b32_e32 v1, v1
	v_ashrrev_i32_e32 v1, 31, v1
	v_and_b32_e32 v87, exec_lo, v87
	v_xor_b32_e32 v89, s43, v1
	v_xor_b32_e32 v1, s42, v1
	v_and_b32_e32 v87, v87, v1
	v_lshlrev_b32_e32 v1, 29, v39
	v_cmp_gt_i64_e64 s[42:43], 0, v[0:1]
	v_not_b32_e32 v1, v1
	v_ashrrev_i32_e32 v1, 31, v1
	v_and_b32_e32 v88, v88, v89
	v_xor_b32_e32 v89, s43, v1
	v_xor_b32_e32 v1, s42, v1
	v_and_b32_e32 v87, v87, v1
	v_lshlrev_b32_e32 v1, 28, v39
	v_cmp_gt_i64_e64 s[42:43], 0, v[0:1]
	v_not_b32_e32 v1, v1
	v_ashrrev_i32_e32 v1, 31, v1
	v_and_b32_e32 v88, v88, v89
	;; [unrolled: 8-line block ×5, first 2 shown]
	v_xor_b32_e32 v89, s43, v1
	v_xor_b32_e32 v1, s42, v1
	v_and_b32_e32 v87, v87, v1
	v_lshlrev_b32_e32 v1, 24, v39
	v_cmp_gt_i64_e64 s[42:43], 0, v[0:1]
	v_not_b32_e32 v0, v1
	v_ashrrev_i32_e32 v0, 31, v0
	v_xor_b32_e32 v1, s43, v0
	v_xor_b32_e32 v0, s42, v0
	; wave barrier
	ds_read_b32 v85, v86 offset:16
	v_and_b32_e32 v88, v88, v89
	v_and_b32_e32 v0, v87, v0
	;; [unrolled: 1-line block ×3, first 2 shown]
	v_mbcnt_lo_u32_b32 v39, v0, 0
	v_mbcnt_hi_u32_b32 v87, v1, v39
	v_cmp_eq_u32_e64 s[42:43], 0, v87
	v_cmp_ne_u64_e64 s[44:45], 0, v[0:1]
	s_and_b64 s[44:45], s[44:45], s[42:43]
	; wave barrier
	s_and_saveexec_b64 s[42:43], s[44:45]
	s_cbranch_execz .LBB246_58
; %bb.57:
	v_bcnt_u32_b32 v0, v0, 0
	v_bcnt_u32_b32 v0, v1, v0
	s_waitcnt lgkmcnt(0)
	v_add_u32_e32 v0, v85, v0
	ds_write_b32 v86, v0 offset:16
.LBB246_58:
	s_or_b64 exec, exec, s[42:43]
	v_lshrrev_b16_e32 v0, 8, v74
	v_cmp_ne_u16_e64 s[42:43], s54, v74
	v_cndmask_b32_e64 v0, v38, v0, s[42:43]
	v_and_b32_e32 v38, s53, v0
	v_and_b32_e32 v1, 1, v38
	v_add_co_u32_e64 v39, s[42:43], -1, v1
	v_addc_co_u32_e64 v90, s[42:43], 0, -1, s[42:43]
	v_cmp_ne_u32_e64 s[42:43], 0, v1
	v_lshlrev_b32_e32 v0, 2, v38
	v_xor_b32_e32 v1, s43, v90
	v_add_lshl_u32 v89, v0, v68, 2
	v_mov_b32_e32 v0, 0
	v_and_b32_e32 v90, exec_hi, v1
	v_lshlrev_b32_e32 v1, 30, v38
	v_xor_b32_e32 v39, s42, v39
	v_cmp_gt_i64_e64 s[42:43], 0, v[0:1]
	v_not_b32_e32 v1, v1
	v_ashrrev_i32_e32 v1, 31, v1
	v_and_b32_e32 v39, exec_lo, v39
	v_xor_b32_e32 v91, s43, v1
	v_xor_b32_e32 v1, s42, v1
	v_and_b32_e32 v39, v39, v1
	v_lshlrev_b32_e32 v1, 29, v38
	v_cmp_gt_i64_e64 s[42:43], 0, v[0:1]
	v_not_b32_e32 v1, v1
	v_ashrrev_i32_e32 v1, 31, v1
	v_and_b32_e32 v90, v90, v91
	v_xor_b32_e32 v91, s43, v1
	v_xor_b32_e32 v1, s42, v1
	v_and_b32_e32 v39, v39, v1
	v_lshlrev_b32_e32 v1, 28, v38
	v_cmp_gt_i64_e64 s[42:43], 0, v[0:1]
	v_not_b32_e32 v1, v1
	v_ashrrev_i32_e32 v1, 31, v1
	v_and_b32_e32 v90, v90, v91
	;; [unrolled: 8-line block ×5, first 2 shown]
	v_xor_b32_e32 v91, s43, v1
	v_xor_b32_e32 v1, s42, v1
	v_and_b32_e32 v90, v90, v91
	v_and_b32_e32 v91, v39, v1
	v_lshlrev_b32_e32 v1, 24, v38
	v_cmp_gt_i64_e64 s[42:43], 0, v[0:1]
	v_not_b32_e32 v1, v1
	v_ashrrev_i32_e32 v1, 31, v1
	v_xor_b32_e32 v38, s43, v1
	v_xor_b32_e32 v1, s42, v1
	; wave barrier
	ds_read_b32 v88, v89 offset:16
	v_and_b32_e32 v39, v90, v38
	v_and_b32_e32 v38, v91, v1
	v_mbcnt_lo_u32_b32 v1, v38, 0
	v_mbcnt_hi_u32_b32 v90, v39, v1
	v_cmp_eq_u32_e64 s[42:43], 0, v90
	v_cmp_ne_u64_e64 s[44:45], 0, v[38:39]
	s_and_b64 s[44:45], s[44:45], s[42:43]
	; wave barrier
	s_and_saveexec_b64 s[42:43], s[44:45]
	s_cbranch_execz .LBB246_60
; %bb.59:
	v_bcnt_u32_b32 v1, v38, 0
	v_bcnt_u32_b32 v1, v39, v1
	s_waitcnt lgkmcnt(0)
	v_add_u32_e32 v1, v88, v1
	ds_write_b32 v89, v1 offset:16
.LBB246_60:
	s_or_b64 exec, exec, s[42:43]
	v_lshrrev_b16_e32 v1, 8, v73
	v_mov_b32_e32 v38, 0x80
	v_cmp_ne_u16_e64 s[42:43], s54, v73
	v_cndmask_b32_e64 v1, v38, v1, s[42:43]
	v_and_b32_e32 v39, s53, v1
	v_lshlrev_b32_e32 v1, 2, v39
	v_add_lshl_u32 v92, v1, v68, 2
	v_and_b32_e32 v1, 1, v39
	v_add_co_u32_e64 v93, s[42:43], -1, v1
	v_addc_co_u32_e64 v94, s[42:43], 0, -1, s[42:43]
	v_cmp_ne_u32_e64 s[42:43], 0, v1
	v_xor_b32_e32 v1, s43, v94
	v_and_b32_e32 v94, exec_hi, v1
	v_lshlrev_b32_e32 v1, 30, v39
	v_xor_b32_e32 v93, s42, v93
	v_cmp_gt_i64_e64 s[42:43], 0, v[0:1]
	v_not_b32_e32 v1, v1
	v_ashrrev_i32_e32 v1, 31, v1
	v_and_b32_e32 v93, exec_lo, v93
	v_xor_b32_e32 v95, s43, v1
	v_xor_b32_e32 v1, s42, v1
	v_and_b32_e32 v93, v93, v1
	v_lshlrev_b32_e32 v1, 29, v39
	v_cmp_gt_i64_e64 s[42:43], 0, v[0:1]
	v_not_b32_e32 v1, v1
	v_ashrrev_i32_e32 v1, 31, v1
	v_and_b32_e32 v94, v94, v95
	v_xor_b32_e32 v95, s43, v1
	v_xor_b32_e32 v1, s42, v1
	v_and_b32_e32 v93, v93, v1
	v_lshlrev_b32_e32 v1, 28, v39
	v_cmp_gt_i64_e64 s[42:43], 0, v[0:1]
	v_not_b32_e32 v1, v1
	v_ashrrev_i32_e32 v1, 31, v1
	v_and_b32_e32 v94, v94, v95
	;; [unrolled: 8-line block ×5, first 2 shown]
	v_xor_b32_e32 v95, s43, v1
	v_xor_b32_e32 v1, s42, v1
	v_and_b32_e32 v93, v93, v1
	v_lshlrev_b32_e32 v1, 24, v39
	v_cmp_gt_i64_e64 s[42:43], 0, v[0:1]
	v_not_b32_e32 v0, v1
	v_ashrrev_i32_e32 v0, 31, v0
	v_xor_b32_e32 v1, s43, v0
	v_xor_b32_e32 v0, s42, v0
	; wave barrier
	ds_read_b32 v91, v92 offset:16
	v_and_b32_e32 v94, v94, v95
	v_and_b32_e32 v0, v93, v0
	;; [unrolled: 1-line block ×3, first 2 shown]
	v_mbcnt_lo_u32_b32 v39, v0, 0
	v_mbcnt_hi_u32_b32 v93, v1, v39
	v_cmp_eq_u32_e64 s[42:43], 0, v93
	v_cmp_ne_u64_e64 s[44:45], 0, v[0:1]
	s_and_b64 s[44:45], s[44:45], s[42:43]
	; wave barrier
	s_and_saveexec_b64 s[42:43], s[44:45]
	s_cbranch_execz .LBB246_62
; %bb.61:
	v_bcnt_u32_b32 v0, v0, 0
	v_bcnt_u32_b32 v0, v1, v0
	s_waitcnt lgkmcnt(0)
	v_add_u32_e32 v0, v91, v0
	ds_write_b32 v92, v0 offset:16
.LBB246_62:
	s_or_b64 exec, exec, s[42:43]
	v_lshrrev_b16_e32 v0, 8, v72
	v_cmp_ne_u16_e64 s[42:43], s54, v72
	v_cndmask_b32_e64 v0, v38, v0, s[42:43]
	v_and_b32_e32 v38, s53, v0
	v_and_b32_e32 v1, 1, v38
	v_add_co_u32_e64 v39, s[42:43], -1, v1
	v_addc_co_u32_e64 v96, s[42:43], 0, -1, s[42:43]
	v_cmp_ne_u32_e64 s[42:43], 0, v1
	v_lshlrev_b32_e32 v0, 2, v38
	v_xor_b32_e32 v1, s43, v96
	v_add_lshl_u32 v95, v0, v68, 2
	v_mov_b32_e32 v0, 0
	v_and_b32_e32 v96, exec_hi, v1
	v_lshlrev_b32_e32 v1, 30, v38
	v_xor_b32_e32 v39, s42, v39
	v_cmp_gt_i64_e64 s[42:43], 0, v[0:1]
	v_not_b32_e32 v1, v1
	v_ashrrev_i32_e32 v1, 31, v1
	v_and_b32_e32 v39, exec_lo, v39
	v_xor_b32_e32 v97, s43, v1
	v_xor_b32_e32 v1, s42, v1
	v_and_b32_e32 v39, v39, v1
	v_lshlrev_b32_e32 v1, 29, v38
	v_cmp_gt_i64_e64 s[42:43], 0, v[0:1]
	v_not_b32_e32 v1, v1
	v_ashrrev_i32_e32 v1, 31, v1
	v_and_b32_e32 v96, v96, v97
	v_xor_b32_e32 v97, s43, v1
	v_xor_b32_e32 v1, s42, v1
	v_and_b32_e32 v39, v39, v1
	v_lshlrev_b32_e32 v1, 28, v38
	v_cmp_gt_i64_e64 s[42:43], 0, v[0:1]
	v_not_b32_e32 v1, v1
	v_ashrrev_i32_e32 v1, 31, v1
	v_and_b32_e32 v96, v96, v97
	;; [unrolled: 8-line block ×5, first 2 shown]
	v_xor_b32_e32 v97, s43, v1
	v_xor_b32_e32 v1, s42, v1
	v_and_b32_e32 v96, v96, v97
	v_and_b32_e32 v97, v39, v1
	v_lshlrev_b32_e32 v1, 24, v38
	v_cmp_gt_i64_e64 s[42:43], 0, v[0:1]
	v_not_b32_e32 v1, v1
	v_ashrrev_i32_e32 v1, 31, v1
	v_xor_b32_e32 v38, s43, v1
	v_xor_b32_e32 v1, s42, v1
	; wave barrier
	ds_read_b32 v94, v95 offset:16
	v_and_b32_e32 v39, v96, v38
	v_and_b32_e32 v38, v97, v1
	v_mbcnt_lo_u32_b32 v1, v38, 0
	v_mbcnt_hi_u32_b32 v96, v39, v1
	v_cmp_eq_u32_e64 s[42:43], 0, v96
	v_cmp_ne_u64_e64 s[44:45], 0, v[38:39]
	s_and_b64 s[44:45], s[44:45], s[42:43]
	; wave barrier
	s_and_saveexec_b64 s[42:43], s[44:45]
	s_cbranch_execz .LBB246_64
; %bb.63:
	v_bcnt_u32_b32 v1, v38, 0
	v_bcnt_u32_b32 v1, v39, v1
	s_waitcnt lgkmcnt(0)
	v_add_u32_e32 v1, v94, v1
	ds_write_b32 v95, v1 offset:16
.LBB246_64:
	s_or_b64 exec, exec, s[42:43]
	v_lshrrev_b16_e32 v1, 8, v71
	v_mov_b32_e32 v38, 0x80
	v_cmp_ne_u16_e64 s[42:43], s54, v71
	v_cndmask_b32_e64 v1, v38, v1, s[42:43]
	v_and_b32_e32 v39, s53, v1
	v_lshlrev_b32_e32 v1, 2, v39
	v_add_lshl_u32 v98, v1, v68, 2
	v_and_b32_e32 v1, 1, v39
	v_add_co_u32_e64 v99, s[42:43], -1, v1
	v_addc_co_u32_e64 v100, s[42:43], 0, -1, s[42:43]
	v_cmp_ne_u32_e64 s[42:43], 0, v1
	v_xor_b32_e32 v1, s43, v100
	v_and_b32_e32 v100, exec_hi, v1
	v_lshlrev_b32_e32 v1, 30, v39
	v_xor_b32_e32 v99, s42, v99
	v_cmp_gt_i64_e64 s[42:43], 0, v[0:1]
	v_not_b32_e32 v1, v1
	v_ashrrev_i32_e32 v1, 31, v1
	v_and_b32_e32 v99, exec_lo, v99
	v_xor_b32_e32 v101, s43, v1
	v_xor_b32_e32 v1, s42, v1
	v_and_b32_e32 v99, v99, v1
	v_lshlrev_b32_e32 v1, 29, v39
	v_cmp_gt_i64_e64 s[42:43], 0, v[0:1]
	v_not_b32_e32 v1, v1
	v_ashrrev_i32_e32 v1, 31, v1
	v_and_b32_e32 v100, v100, v101
	v_xor_b32_e32 v101, s43, v1
	v_xor_b32_e32 v1, s42, v1
	v_and_b32_e32 v99, v99, v1
	v_lshlrev_b32_e32 v1, 28, v39
	v_cmp_gt_i64_e64 s[42:43], 0, v[0:1]
	v_not_b32_e32 v1, v1
	v_ashrrev_i32_e32 v1, 31, v1
	v_and_b32_e32 v100, v100, v101
	;; [unrolled: 8-line block ×5, first 2 shown]
	v_xor_b32_e32 v101, s43, v1
	v_xor_b32_e32 v1, s42, v1
	v_and_b32_e32 v99, v99, v1
	v_lshlrev_b32_e32 v1, 24, v39
	v_cmp_gt_i64_e64 s[42:43], 0, v[0:1]
	v_not_b32_e32 v0, v1
	v_ashrrev_i32_e32 v0, 31, v0
	v_xor_b32_e32 v1, s43, v0
	v_xor_b32_e32 v0, s42, v0
	; wave barrier
	ds_read_b32 v97, v98 offset:16
	v_and_b32_e32 v100, v100, v101
	v_and_b32_e32 v0, v99, v0
	;; [unrolled: 1-line block ×3, first 2 shown]
	v_mbcnt_lo_u32_b32 v39, v0, 0
	v_mbcnt_hi_u32_b32 v99, v1, v39
	v_cmp_eq_u32_e64 s[42:43], 0, v99
	v_cmp_ne_u64_e64 s[44:45], 0, v[0:1]
	s_and_b64 s[44:45], s[44:45], s[42:43]
	; wave barrier
	s_and_saveexec_b64 s[42:43], s[44:45]
	s_cbranch_execz .LBB246_66
; %bb.65:
	v_bcnt_u32_b32 v0, v0, 0
	v_bcnt_u32_b32 v0, v1, v0
	s_waitcnt lgkmcnt(0)
	v_add_u32_e32 v0, v97, v0
	ds_write_b32 v98, v0 offset:16
.LBB246_66:
	s_or_b64 exec, exec, s[42:43]
	v_lshrrev_b16_e32 v0, 8, v40
	v_cmp_ne_u16_e64 s[42:43], s54, v40
	v_cndmask_b32_e64 v0, v38, v0, s[42:43]
	v_and_b32_e32 v38, s53, v0
	v_and_b32_e32 v1, 1, v38
	v_add_co_u32_e64 v39, s[42:43], -1, v1
	v_addc_co_u32_e64 v101, s[42:43], 0, -1, s[42:43]
	v_cmp_ne_u32_e64 s[42:43], 0, v1
	v_lshlrev_b32_e32 v0, 2, v38
	v_xor_b32_e32 v1, s43, v101
	v_add_lshl_u32 v100, v0, v68, 2
	v_mov_b32_e32 v0, 0
	v_and_b32_e32 v101, exec_hi, v1
	v_lshlrev_b32_e32 v1, 30, v38
	v_xor_b32_e32 v39, s42, v39
	v_cmp_gt_i64_e64 s[42:43], 0, v[0:1]
	v_not_b32_e32 v1, v1
	v_ashrrev_i32_e32 v1, 31, v1
	v_and_b32_e32 v39, exec_lo, v39
	v_xor_b32_e32 v102, s43, v1
	v_xor_b32_e32 v1, s42, v1
	v_and_b32_e32 v39, v39, v1
	v_lshlrev_b32_e32 v1, 29, v38
	v_cmp_gt_i64_e64 s[42:43], 0, v[0:1]
	v_not_b32_e32 v1, v1
	v_ashrrev_i32_e32 v1, 31, v1
	v_and_b32_e32 v101, v101, v102
	v_xor_b32_e32 v102, s43, v1
	v_xor_b32_e32 v1, s42, v1
	v_and_b32_e32 v39, v39, v1
	v_lshlrev_b32_e32 v1, 28, v38
	v_cmp_gt_i64_e64 s[42:43], 0, v[0:1]
	v_not_b32_e32 v1, v1
	v_ashrrev_i32_e32 v1, 31, v1
	v_and_b32_e32 v101, v101, v102
	;; [unrolled: 8-line block ×5, first 2 shown]
	v_xor_b32_e32 v102, s43, v1
	v_xor_b32_e32 v1, s42, v1
	v_and_b32_e32 v39, v39, v1
	v_lshlrev_b32_e32 v1, 24, v38
	v_cmp_gt_i64_e64 s[42:43], 0, v[0:1]
	v_not_b32_e32 v0, v1
	v_ashrrev_i32_e32 v0, 31, v0
	v_xor_b32_e32 v1, s43, v0
	v_xor_b32_e32 v0, s42, v0
	; wave barrier
	ds_read_b32 v68, v100 offset:16
	v_and_b32_e32 v101, v101, v102
	v_and_b32_e32 v0, v39, v0
	;; [unrolled: 1-line block ×3, first 2 shown]
	v_mbcnt_lo_u32_b32 v38, v0, 0
	v_mbcnt_hi_u32_b32 v101, v1, v38
	v_cmp_eq_u32_e64 s[42:43], 0, v101
	v_cmp_ne_u64_e64 s[44:45], 0, v[0:1]
	s_and_b64 s[44:45], s[44:45], s[42:43]
	; wave barrier
	s_and_saveexec_b64 s[42:43], s[44:45]
	s_cbranch_execz .LBB246_68
; %bb.67:
	v_bcnt_u32_b32 v0, v0, 0
	v_bcnt_u32_b32 v0, v1, v0
	s_waitcnt lgkmcnt(0)
	v_add_u32_e32 v0, v68, v0
	ds_write_b32 v100, v0 offset:16
.LBB246_68:
	s_or_b64 exec, exec, s[42:43]
	; wave barrier
	s_waitcnt lgkmcnt(0)
	s_barrier
	ds_read2_b32 v[38:39], v64 offset0:4 offset1:5
	ds_read2_b32 v[0:1], v69 offset0:2 offset1:3
	s_waitcnt lgkmcnt(1)
	v_add_u32_e32 v102, v39, v38
	s_waitcnt lgkmcnt(0)
	v_add3_u32 v1, v102, v0, v1
	s_nop 1
	v_mov_b32_dpp v102, v1 row_shr:1 row_mask:0xf bank_mask:0xf
	v_cndmask_b32_e64 v102, v102, 0, s[22:23]
	v_add_u32_e32 v1, v102, v1
	s_nop 1
	v_mov_b32_dpp v102, v1 row_shr:2 row_mask:0xf bank_mask:0xf
	v_cndmask_b32_e64 v102, 0, v102, s[24:25]
	v_add_u32_e32 v1, v1, v102
	;; [unrolled: 4-line block ×4, first 2 shown]
	s_nop 1
	v_mov_b32_dpp v102, v1 row_bcast:15 row_mask:0xf bank_mask:0xf
	v_cndmask_b32_e64 v102, v102, 0, vcc
	v_add_u32_e32 v1, v1, v102
	s_nop 1
	v_mov_b32_dpp v102, v1 row_bcast:31 row_mask:0xf bank_mask:0xf
	v_cndmask_b32_e64 v102, 0, v102, s[34:35]
	v_add_u32_e32 v102, v1, v102
	s_and_saveexec_b64 s[22:23], s[16:17]
	s_cbranch_execz .LBB246_70
; %bb.69:
	ds_write_b32 v70, v102
.LBB246_70:
	s_or_b64 exec, exec, s[22:23]
	s_waitcnt lgkmcnt(0)
	s_barrier
	s_and_saveexec_b64 s[16:17], s[26:27]
	s_cbranch_execz .LBB246_72
; %bb.71:
	ds_read_b32 v1, v41
	s_waitcnt lgkmcnt(0)
	s_nop 0
	v_mov_b32_dpp v70, v1 row_shr:1 row_mask:0xf bank_mask:0xf
	v_cndmask_b32_e64 v70, v70, 0, s[20:21]
	v_add_u32_e32 v1, v70, v1
	s_nop 1
	v_mov_b32_dpp v70, v1 row_shr:2 row_mask:0xf bank_mask:0xf
	v_cndmask_b32_e64 v70, 0, v70, s[18:19]
	v_add_u32_e32 v1, v1, v70
	ds_write_b32 v41, v1
.LBB246_72:
	s_or_b64 exec, exec, s[16:17]
	v_mov_b32_e32 v1, 0
	v_mov_b32_e32 v41, 0
	s_waitcnt lgkmcnt(0)
	s_barrier
	s_and_saveexec_b64 s[16:17], s[36:37]
	s_cbranch_execz .LBB246_74
; %bb.73:
	ds_read_b32 v41, v80
.LBB246_74:
	s_or_b64 exec, exec, s[16:17]
	s_waitcnt lgkmcnt(0)
	v_add_u32_e32 v70, v41, v102
	ds_bpermute_b32 v70, v81, v70
	s_mov_b32 s18, 0x5040100
	s_waitcnt lgkmcnt(0)
	v_cndmask_b32_e64 v41, v70, v41, s[38:39]
	v_cndmask_b32_e64 v41, v41, 0, s[40:41]
	v_add_u32_e32 v38, v41, v38
	v_add_u32_e32 v39, v38, v39
	;; [unrolled: 1-line block ×3, first 2 shown]
	ds_write2_b32 v64, v41, v38 offset0:4 offset1:5
	ds_write2_b32 v69, v39, v0 offset0:2 offset1:3
	s_waitcnt lgkmcnt(0)
	s_barrier
	ds_read_b32 v0, v100 offset:16
	ds_read_b32 v38, v98 offset:16
	;; [unrolled: 1-line block ×4, first 2 shown]
	s_waitcnt lgkmcnt(3)
	v_add3_u32 v0, v101, v68, v0
	ds_read_b32 v68, v89 offset:16
	ds_read_b32 v69, v86 offset:16
	ds_read_b32 v70, v83 offset:16
	ds_read_b32 v78, v78 offset:16
	s_waitcnt lgkmcnt(0)
	s_barrier
	v_add3_u32 v69, v87, v85, v69
	v_add3_u32 v70, v84, v82, v70
	v_add_u32_e32 v78, v78, v79
	v_lshlrev_b32_e32 v79, 1, v78
	ds_write_b16 v79, v77
	v_lshlrev_b32_e32 v77, 1, v70
	v_add3_u32 v68, v90, v88, v68
	ds_write_b16 v77, v76
	v_lshlrev_b32_e32 v76, 1, v69
	v_add3_u32 v41, v93, v91, v41
	;; [unrolled: 3-line block ×4, first 2 shown]
	ds_write_b16 v74, v73
	v_lshlrev_b32_e32 v73, 1, v39
	ds_write_b16 v73, v72
	v_lshlrev_b32_e32 v72, 1, v38
	;; [unrolled: 2-line block ×4, first 2 shown]
	s_waitcnt lgkmcnt(0)
	s_barrier
	v_lshlrev_b32_e32 v72, 3, v41
	v_lshlrev_b32_e32 v73, 3, v39
	;; [unrolled: 1-line block ×3, first 2 shown]
	ds_read_b128 v[38:41], v40
	v_mov_b32_e32 v77, 0xffff8000
	v_lshlrev_b32_e32 v71, 3, v78
	v_lshlrev_b32_e32 v75, 3, v63
	;; [unrolled: 1-line block ×3, first 2 shown]
	s_waitcnt lgkmcnt(0)
	v_cmp_lt_i16_sdwa vcc, v38, v1 src0_sel:WORD_1 src1_sel:DWORD
	v_cndmask_b32_e32 v78, -1, v77, vcc
	v_cmp_gt_i16_e32 vcc, 0, v38
	v_lshlrev_b32_e32 v69, 3, v69
	v_lshlrev_b32_e32 v68, 3, v68
	;; [unrolled: 1-line block ×3, first 2 shown]
	v_cndmask_b32_e32 v79, -1, v77, vcc
	v_cmp_lt_i16_e32 vcc, -1, v39
	s_barrier
	ds_write_b64 v71, v[34:35]
	ds_write_b64 v70, v[36:37]
	;; [unrolled: 1-line block ×8, first 2 shown]
	s_waitcnt lgkmcnt(0)
	s_barrier
	ds_read2_b64 v[22:25], v75 offset1:1
	ds_read2_b64 v[26:29], v75 offset0:2 offset1:3
	ds_read2_b64 v[30:33], v75 offset0:4 offset1:5
	;; [unrolled: 1-line block ×3, first 2 shown]
	v_mov_b32_e32 v76, -1
	v_cndmask_b32_e64 v81, v77, -1, vcc
	v_cmp_lt_i16_sdwa vcc, v40, v1 src0_sel:WORD_1 src1_sel:DWORD
	v_cmp_gt_i16_sdwa s[16:17], v39, v76 src0_sel:WORD_1 src1_sel:DWORD
	v_cndmask_b32_e32 v0, -1, v77, vcc
	v_cmp_gt_i16_e32 vcc, 0, v40
	v_cndmask_b32_e64 v80, v77, -1, s[16:17]
	v_cndmask_b32_e32 v1, -1, v77, vcc
	v_cmp_gt_i16_sdwa s[16:17], v41, v76 src0_sel:WORD_1 src1_sel:DWORD
	v_cmp_lt_i16_e32 vcc, -1, v41
	v_cndmask_b32_e64 v68, v77, -1, s[16:17]
	v_cndmask_b32_e64 v69, v77, -1, vcc
	v_xor_b32_e32 v81, v81, v39
	v_xor_b32_sdwa v39, v80, v39 dst_sel:DWORD dst_unused:UNUSED_PAD src0_sel:DWORD src1_sel:WORD_1
	v_xor_b32_e32 v79, v79, v38
	v_xor_b32_sdwa v38, v78, v38 dst_sel:DWORD dst_unused:UNUSED_PAD src0_sel:DWORD src1_sel:WORD_1
	;; [unrolled: 2-line block ×4, first 2 shown]
	v_perm_b32 v39, v39, v81, s18
	v_perm_b32 v38, v38, v79, s18
	;; [unrolled: 1-line block ×4, first 2 shown]
	s_branch .LBB246_128
.LBB246_75:
	v_mov_b32_e32 v45, 0
	v_lshlrev_b64 v[2:3], 3, v[44:45]
	v_mov_b32_e32 v4, s52
	v_add_co_u32_e32 v2, vcc, s49, v2
	v_addc_co_u32_e32 v3, vcc, v4, v3, vcc
	global_load_dwordx2 v[2:3], v[2:3], off
	v_mov_b32_e32 v4, v45
	v_mov_b32_e32 v5, v45
	;; [unrolled: 1-line block ×14, first 2 shown]
	s_or_b64 exec, exec, s[16:17]
	s_and_saveexec_b64 s[16:17], s[2:3]
	s_cbranch_execz .LBB246_22
.LBB246_76:
	v_mul_lo_u32 v4, v36, s48
	v_mov_b32_e32 v5, 0
	v_lshlrev_b64 v[4:5], 3, v[4:5]
	v_mov_b32_e32 v36, s52
	v_add_co_u32_e32 v4, vcc, s49, v4
	v_addc_co_u32_e32 v5, vcc, v36, v5, vcc
	global_load_dwordx2 v[4:5], v[4:5], off
	s_or_b64 exec, exec, s[16:17]
	s_and_saveexec_b64 s[16:17], s[4:5]
	s_cbranch_execz .LBB246_23
.LBB246_77:
	v_mul_lo_u32 v6, v35, s48
	v_mov_b32_e32 v7, 0
	v_lshlrev_b64 v[6:7], 3, v[6:7]
	v_mov_b32_e32 v35, s52
	v_add_co_u32_e32 v6, vcc, s49, v6
	v_addc_co_u32_e32 v7, vcc, v35, v7, vcc
	global_load_dwordx2 v[6:7], v[6:7], off
	s_or_b64 exec, exec, s[16:17]
	s_and_saveexec_b64 s[16:17], s[6:7]
	s_cbranch_execz .LBB246_24
.LBB246_78:
	v_mul_lo_u32 v8, v33, s48
	v_mov_b32_e32 v9, 0
	v_lshlrev_b64 v[8:9], 3, v[8:9]
	v_mov_b32_e32 v33, s52
	v_add_co_u32_e32 v8, vcc, s49, v8
	v_addc_co_u32_e32 v9, vcc, v33, v9, vcc
	global_load_dwordx2 v[8:9], v[8:9], off
	s_or_b64 exec, exec, s[16:17]
	s_and_saveexec_b64 s[16:17], s[8:9]
	s_cbranch_execz .LBB246_25
.LBB246_79:
	v_mul_lo_u32 v10, v30, s48
	v_mov_b32_e32 v11, 0
	v_lshlrev_b64 v[10:11], 3, v[10:11]
	v_mov_b32_e32 v30, s52
	v_add_co_u32_e32 v10, vcc, s49, v10
	v_addc_co_u32_e32 v11, vcc, v30, v11, vcc
	global_load_dwordx2 v[10:11], v[10:11], off
	s_or_b64 exec, exec, s[16:17]
	s_and_saveexec_b64 s[16:17], s[10:11]
	s_cbranch_execz .LBB246_26
.LBB246_80:
	v_mul_lo_u32 v12, v28, s48
	v_mov_b32_e32 v13, 0
	v_lshlrev_b64 v[12:13], 3, v[12:13]
	v_mov_b32_e32 v28, s52
	v_add_co_u32_e32 v12, vcc, s49, v12
	v_addc_co_u32_e32 v13, vcc, v28, v13, vcc
	global_load_dwordx2 v[12:13], v[12:13], off
	s_or_b64 exec, exec, s[16:17]
	s_and_saveexec_b64 s[16:17], s[12:13]
	s_cbranch_execz .LBB246_27
.LBB246_81:
	v_mul_lo_u32 v14, v26, s48
	v_mov_b32_e32 v15, 0
	v_lshlrev_b64 v[14:15], 3, v[14:15]
	v_mov_b32_e32 v26, s52
	v_add_co_u32_e32 v14, vcc, s49, v14
	v_addc_co_u32_e32 v15, vcc, v26, v15, vcc
	global_load_dwordx2 v[14:15], v[14:15], off
	s_or_b64 exec, exec, s[16:17]
	s_xor_b64 s[16:17], s[34:35], -1
	s_and_saveexec_b64 s[18:19], s[14:15]
	s_cbranch_execnz .LBB246_28
	s_branch .LBB246_29
.LBB246_82:
                                        ; implicit-def: $vgpr36_vgpr37
                                        ; implicit-def: $vgpr32_vgpr33
                                        ; implicit-def: $vgpr28_vgpr29
                                        ; implicit-def: $vgpr24_vgpr25
                                        ; implicit-def: $vgpr40_vgpr41
	s_cbranch_execz .LBB246_128
; %bb.83:
	s_waitcnt lgkmcnt(3)
	v_mov_b32_e32 v22, 0
	s_waitcnt lgkmcnt(0)
	v_mov_b32_e32 v35, 0x7fff
	v_cmp_gt_i16_e32 vcc, 0, v19
	v_cmp_lt_i16_sdwa s[16:17], v19, v22 src0_sel:WORD_1 src1_sel:DWORD
	v_cndmask_b32_e64 v23, v35, 0, vcc
	v_cmp_gt_i16_e32 vcc, 0, v18
	v_cndmask_b32_e64 v25, v35, 0, s[16:17]
	v_cmp_lt_i16_sdwa s[16:17], v18, v22 src0_sel:WORD_1 src1_sel:DWORD
	v_cndmask_b32_e64 v24, v35, 0, vcc
	v_cndmask_b32_e64 v27, v35, 0, s[16:17]
	v_cmp_gt_i16_e32 vcc, 0, v21
	v_cmp_lt_i16_sdwa s[16:17], v21, v22 src0_sel:WORD_1 src1_sel:DWORD
	v_xor_b32_sdwa v25, v25, v19 dst_sel:DWORD dst_unused:UNUSED_PAD src0_sel:DWORD src1_sel:WORD_1
	v_xor_b32_e32 v19, v23, v19
	v_cndmask_b32_e64 v23, v35, 0, vcc
	v_cmp_gt_i16_e32 vcc, 0, v20
	v_cndmask_b32_e64 v28, v35, 0, s[16:17]
	v_cmp_lt_i16_sdwa s[16:17], v20, v22 src0_sel:WORD_1 src1_sel:DWORD
	v_mbcnt_hi_u32_b32 v26, -1, v67
	v_and_b32_e32 v34, 0x3c0, v46
	v_xor_b32_sdwa v27, v27, v18 dst_sel:DWORD dst_unused:UNUSED_PAD src0_sel:DWORD src1_sel:WORD_1
	v_xor_b32_e32 v18, v24, v18
	v_cndmask_b32_e64 v24, v35, 0, vcc
	v_cndmask_b32_e64 v29, v35, 0, s[16:17]
	v_add_u32_e32 v0, v26, v34
	v_xor_b32_sdwa v29, v29, v20 dst_sel:DWORD dst_unused:UNUSED_PAD src0_sel:DWORD src1_sel:WORD_1
	v_xor_b32_sdwa v28, v28, v21 dst_sel:DWORD dst_unused:UNUSED_PAD src0_sel:DWORD src1_sel:WORD_1
	v_xor_b32_e32 v20, v24, v20
	v_xor_b32_e32 v21, v23, v21
	s_mov_b32 s16, 0x5040100
	v_lshlrev_b32_e32 v1, 4, v0
	v_perm_b32 v21, v28, v21, s16
	v_perm_b32 v20, v29, v20, s16
	;; [unrolled: 1-line block ×4, first 2 shown]
	v_and_b32_e32 v36, 0x1e00, v63
	ds_write_b128 v1, v[18:21]
	v_or_b32_e32 v1, v26, v36
	v_lshlrev_b32_e32 v18, 1, v1
	v_lshlrev_b32_e32 v0, 6, v0
	; wave barrier
	ds_read_u16 v33, v18
	ds_read_u16 v32, v18 offset:128
	ds_read_u16 v31, v18 offset:256
	;; [unrolled: 1-line block ×7, first 2 shown]
	s_waitcnt lgkmcnt(0)
	s_barrier
	ds_write2_b64 v0, v[14:15], v[16:17] offset1:1
	ds_write2_b64 v0, v[10:11], v[12:13] offset0:2 offset1:3
	ds_write2_b64 v0, v[6:7], v[8:9] offset0:4 offset1:5
	;; [unrolled: 1-line block ×3, first 2 shown]
	v_lshlrev_b32_e32 v0, 3, v1
	; wave barrier
	ds_read2st64_b64 v[12:15], v0 offset1:1
	ds_read2st64_b64 v[8:11], v0 offset0:2 offset1:3
	ds_read2st64_b64 v[4:7], v0 offset0:4 offset1:5
	;; [unrolled: 1-line block ×3, first 2 shown]
	s_waitcnt lgkmcnt(0)
	s_barrier
	s_load_dword s18, s[50:51], 0xc
	s_getpc_b64 s[16:17]
	s_add_u32 s16, s16, _ZN7rocprim17ROCPRIM_400000_NS16block_radix_sortI12hip_bfloat16Lj256ELj8ElLj1ELj1ELj0ELNS0_26block_radix_rank_algorithmE1ELNS0_18block_padding_hintE2ELNS0_4arch9wavefront6targetE1EE19radix_bits_per_passE@rel32@lo+4
	s_addc_u32 s17, s17, _ZN7rocprim17ROCPRIM_400000_NS16block_radix_sortI12hip_bfloat16Lj256ELj8ElLj1ELj1ELj0ELNS0_26block_radix_rank_algorithmE1ELNS0_18block_padding_hintE2ELNS0_4arch9wavefront6targetE1EE19radix_bits_per_passE@rel32@hi+12
	s_load_dword s42, s[16:17], 0x0
	s_movk_i32 s19, 0x8000
	v_cmp_ne_u16_e32 vcc, s19, v33
	s_waitcnt lgkmcnt(0)
	s_lshr_b32 s16, s18, 16
	s_and_b32 s17, s18, 0xffff
	v_mad_u32_u24 v16, v66, s16, v65
	v_mad_u64_u32 v[16:17], s[16:17], v16, s17, v[46:47]
	s_min_u32 s16, s42, 16
	s_lshl_b32 s16, -1, s16
	v_lshrrev_b32_e32 v24, 6, v16
	s_not_b32 s18, s16
	v_cndmask_b32_e32 v16, v35, v33, vcc
	v_and_b32_sdwa v16, s18, v16 dst_sel:DWORD dst_unused:UNUSED_PAD src0_sel:DWORD src1_sel:WORD_0
	v_lshlrev_b32_e32 v17, 2, v16
	v_add_lshl_u32 v37, v24, v17, 2
	v_and_b32_e32 v17, 1, v16
	v_add_co_u32_e32 v18, vcc, -1, v17
	v_addc_co_u32_e64 v19, s[16:17], 0, -1, vcc
	v_cmp_ne_u32_e32 vcc, 0, v17
	v_lshlrev_b32_e32 v23, 30, v16
	v_xor_b32_e32 v17, vcc_hi, v19
	v_not_b32_e32 v19, v23
	v_xor_b32_e32 v18, vcc_lo, v18
	v_cmp_gt_i64_e32 vcc, 0, v[22:23]
	v_ashrrev_i32_e32 v19, 31, v19
	v_and_b32_e32 v18, exec_lo, v18
	v_xor_b32_e32 v20, vcc_hi, v19
	v_xor_b32_e32 v19, vcc_lo, v19
	v_lshlrev_b32_e32 v23, 29, v16
	v_and_b32_e32 v18, v18, v19
	v_not_b32_e32 v19, v23
	v_and_b32_e32 v17, exec_hi, v17
	v_cmp_gt_i64_e32 vcc, 0, v[22:23]
	v_ashrrev_i32_e32 v19, 31, v19
	v_and_b32_e32 v17, v17, v20
	v_xor_b32_e32 v20, vcc_hi, v19
	v_xor_b32_e32 v19, vcc_lo, v19
	v_lshlrev_b32_e32 v23, 28, v16
	v_and_b32_e32 v18, v18, v19
	v_not_b32_e32 v19, v23
	v_cmp_gt_i64_e32 vcc, 0, v[22:23]
	v_ashrrev_i32_e32 v19, 31, v19
	v_and_b32_e32 v17, v17, v20
	v_xor_b32_e32 v20, vcc_hi, v19
	v_xor_b32_e32 v19, vcc_lo, v19
	v_lshlrev_b32_e32 v23, 27, v16
	v_and_b32_e32 v18, v18, v19
	v_not_b32_e32 v19, v23
	;; [unrolled: 8-line block ×3, first 2 shown]
	v_cmp_gt_i64_e32 vcc, 0, v[22:23]
	v_ashrrev_i32_e32 v19, 31, v19
	v_and_b32_e32 v17, v17, v20
	v_xor_b32_e32 v20, vcc_hi, v19
	v_xor_b32_e32 v19, vcc_lo, v19
	v_lshlrev_b32_e32 v23, 25, v16
	v_and_b32_e32 v18, v18, v19
	v_cmp_gt_i64_e32 vcc, 0, v[22:23]
	v_not_b32_e32 v19, v23
	v_lshlrev_b32_e32 v23, 24, v16
	v_ashrrev_i32_e32 v19, 31, v19
	v_not_b32_e32 v16, v23
	v_and_b32_e32 v17, v17, v20
	v_xor_b32_e32 v20, vcc_hi, v19
	v_xor_b32_e32 v19, vcc_lo, v19
	v_cmp_gt_i64_e32 vcc, 0, v[22:23]
	v_ashrrev_i32_e32 v16, 31, v16
	v_and_b32_e32 v18, v18, v19
	v_xor_b32_e32 v19, vcc_hi, v16
	v_xor_b32_e32 v16, vcc_lo, v16
	v_and_b32_e32 v17, v17, v20
	v_and_b32_e32 v16, v18, v16
	;; [unrolled: 1-line block ×3, first 2 shown]
	v_mbcnt_lo_u32_b32 v18, v16, 0
	v_mbcnt_hi_u32_b32 v38, v17, v18
	v_cmp_eq_u32_e32 vcc, 0, v38
	v_cmp_ne_u64_e64 s[16:17], 0, v[16:17]
	s_and_b64 s[20:21], s[16:17], vcc
	ds_write2_b32 v64, v22, v22 offset0:4 offset1:5
	ds_write2_b32 v64, v22, v22 offset0:6 offset1:7
	s_waitcnt lgkmcnt(0)
	s_barrier
	s_waitcnt lgkmcnt(0)
	; wave barrier
	s_and_saveexec_b64 s[16:17], s[20:21]
	s_cbranch_execz .LBB246_85
; %bb.84:
	v_bcnt_u32_b32 v16, v16, 0
	v_bcnt_u32_b32 v16, v17, v16
	ds_write_b32 v37, v16 offset:16
.LBB246_85:
	s_or_b64 exec, exec, s[16:17]
	v_cmp_ne_u16_e32 vcc, s19, v32
	v_cndmask_b32_e32 v16, v35, v32, vcc
	v_and_b32_sdwa v16, s18, v16 dst_sel:DWORD dst_unused:UNUSED_PAD src0_sel:DWORD src1_sel:WORD_0
	v_lshlrev_b32_e32 v17, 2, v16
	v_add_lshl_u32 v40, v24, v17, 2
	v_and_b32_e32 v17, 1, v16
	v_add_co_u32_e32 v18, vcc, -1, v17
	v_addc_co_u32_e64 v19, s[16:17], 0, -1, vcc
	v_cmp_ne_u32_e32 vcc, 0, v17
	v_lshlrev_b32_e32 v23, 30, v16
	v_xor_b32_e32 v17, vcc_hi, v19
	v_not_b32_e32 v19, v23
	v_xor_b32_e32 v18, vcc_lo, v18
	v_cmp_gt_i64_e32 vcc, 0, v[22:23]
	v_ashrrev_i32_e32 v19, 31, v19
	v_and_b32_e32 v18, exec_lo, v18
	v_xor_b32_e32 v20, vcc_hi, v19
	v_xor_b32_e32 v19, vcc_lo, v19
	v_lshlrev_b32_e32 v23, 29, v16
	v_and_b32_e32 v18, v18, v19
	v_not_b32_e32 v19, v23
	v_and_b32_e32 v17, exec_hi, v17
	v_cmp_gt_i64_e32 vcc, 0, v[22:23]
	v_ashrrev_i32_e32 v19, 31, v19
	v_and_b32_e32 v17, v17, v20
	v_xor_b32_e32 v20, vcc_hi, v19
	v_xor_b32_e32 v19, vcc_lo, v19
	v_lshlrev_b32_e32 v23, 28, v16
	v_and_b32_e32 v18, v18, v19
	v_not_b32_e32 v19, v23
	v_cmp_gt_i64_e32 vcc, 0, v[22:23]
	v_ashrrev_i32_e32 v19, 31, v19
	v_and_b32_e32 v17, v17, v20
	v_xor_b32_e32 v20, vcc_hi, v19
	v_xor_b32_e32 v19, vcc_lo, v19
	v_lshlrev_b32_e32 v23, 27, v16
	v_and_b32_e32 v18, v18, v19
	v_not_b32_e32 v19, v23
	;; [unrolled: 8-line block ×3, first 2 shown]
	v_cmp_gt_i64_e32 vcc, 0, v[22:23]
	v_ashrrev_i32_e32 v19, 31, v19
	v_and_b32_e32 v17, v17, v20
	v_xor_b32_e32 v20, vcc_hi, v19
	v_xor_b32_e32 v19, vcc_lo, v19
	v_lshlrev_b32_e32 v23, 25, v16
	v_and_b32_e32 v18, v18, v19
	v_cmp_gt_i64_e32 vcc, 0, v[22:23]
	v_not_b32_e32 v19, v23
	v_lshlrev_b32_e32 v23, 24, v16
	v_ashrrev_i32_e32 v19, 31, v19
	v_not_b32_e32 v16, v23
	v_and_b32_e32 v17, v17, v20
	v_xor_b32_e32 v20, vcc_hi, v19
	v_xor_b32_e32 v19, vcc_lo, v19
	v_cmp_gt_i64_e32 vcc, 0, v[22:23]
	v_ashrrev_i32_e32 v16, 31, v16
	v_and_b32_e32 v18, v18, v19
	v_xor_b32_e32 v19, vcc_hi, v16
	v_xor_b32_e32 v16, vcc_lo, v16
	; wave barrier
	ds_read_b32 v39, v40 offset:16
	v_and_b32_e32 v17, v17, v20
	v_and_b32_e32 v16, v18, v16
	;; [unrolled: 1-line block ×3, first 2 shown]
	v_mbcnt_lo_u32_b32 v18, v16, 0
	v_mbcnt_hi_u32_b32 v41, v17, v18
	v_cmp_eq_u32_e32 vcc, 0, v41
	v_cmp_ne_u64_e64 s[16:17], 0, v[16:17]
	s_and_b64 s[20:21], s[16:17], vcc
	; wave barrier
	s_and_saveexec_b64 s[16:17], s[20:21]
	s_cbranch_execz .LBB246_87
; %bb.86:
	v_bcnt_u32_b32 v16, v16, 0
	v_bcnt_u32_b32 v16, v17, v16
	s_waitcnt lgkmcnt(0)
	v_add_u32_e32 v16, v39, v16
	ds_write_b32 v40, v16 offset:16
.LBB246_87:
	s_or_b64 exec, exec, s[16:17]
	v_mov_b32_e32 v20, 0x7fff
	v_cmp_ne_u16_e32 vcc, s19, v31
	v_cndmask_b32_e32 v16, v20, v31, vcc
	v_and_b32_sdwa v18, s18, v16 dst_sel:DWORD dst_unused:UNUSED_PAD src0_sel:DWORD src1_sel:WORD_0
	v_and_b32_e32 v17, 1, v18
	v_add_co_u32_e32 v19, vcc, -1, v17
	v_addc_co_u32_e64 v21, s[16:17], 0, -1, vcc
	v_cmp_ne_u32_e32 vcc, 0, v17
	v_lshlrev_b32_e32 v16, 2, v18
	v_xor_b32_e32 v17, vcc_hi, v21
	v_add_lshl_u32 v66, v24, v16, 2
	v_mov_b32_e32 v16, 0
	v_and_b32_e32 v21, exec_hi, v17
	v_lshlrev_b32_e32 v17, 30, v18
	v_xor_b32_e32 v19, vcc_lo, v19
	v_cmp_gt_i64_e32 vcc, 0, v[16:17]
	v_not_b32_e32 v17, v17
	v_ashrrev_i32_e32 v17, 31, v17
	v_and_b32_e32 v19, exec_lo, v19
	v_xor_b32_e32 v22, vcc_hi, v17
	v_xor_b32_e32 v17, vcc_lo, v17
	v_and_b32_e32 v19, v19, v17
	v_lshlrev_b32_e32 v17, 29, v18
	v_cmp_gt_i64_e32 vcc, 0, v[16:17]
	v_not_b32_e32 v17, v17
	v_ashrrev_i32_e32 v17, 31, v17
	v_and_b32_e32 v21, v21, v22
	v_xor_b32_e32 v22, vcc_hi, v17
	v_xor_b32_e32 v17, vcc_lo, v17
	v_and_b32_e32 v19, v19, v17
	v_lshlrev_b32_e32 v17, 28, v18
	v_cmp_gt_i64_e32 vcc, 0, v[16:17]
	v_not_b32_e32 v17, v17
	v_ashrrev_i32_e32 v17, 31, v17
	v_and_b32_e32 v21, v21, v22
	;; [unrolled: 8-line block ×5, first 2 shown]
	v_xor_b32_e32 v22, vcc_hi, v17
	v_xor_b32_e32 v17, vcc_lo, v17
	v_and_b32_e32 v21, v21, v22
	v_and_b32_e32 v22, v19, v17
	v_lshlrev_b32_e32 v17, 24, v18
	v_cmp_gt_i64_e32 vcc, 0, v[16:17]
	v_not_b32_e32 v17, v17
	v_ashrrev_i32_e32 v17, 31, v17
	v_xor_b32_e32 v18, vcc_hi, v17
	v_xor_b32_e32 v17, vcc_lo, v17
	; wave barrier
	ds_read_b32 v65, v66 offset:16
	v_and_b32_e32 v19, v21, v18
	v_and_b32_e32 v18, v22, v17
	v_mbcnt_lo_u32_b32 v17, v18, 0
	v_mbcnt_hi_u32_b32 v67, v19, v17
	v_cmp_eq_u32_e32 vcc, 0, v67
	v_cmp_ne_u64_e64 s[16:17], 0, v[18:19]
	s_and_b64 s[20:21], s[16:17], vcc
	; wave barrier
	s_and_saveexec_b64 s[16:17], s[20:21]
	s_cbranch_execz .LBB246_89
; %bb.88:
	v_bcnt_u32_b32 v17, v18, 0
	v_bcnt_u32_b32 v17, v19, v17
	s_waitcnt lgkmcnt(0)
	v_add_u32_e32 v17, v65, v17
	ds_write_b32 v66, v17 offset:16
.LBB246_89:
	s_or_b64 exec, exec, s[16:17]
	v_cmp_ne_u16_e32 vcc, s19, v30
	v_cndmask_b32_e32 v17, v20, v30, vcc
	v_and_b32_sdwa v18, s18, v17 dst_sel:DWORD dst_unused:UNUSED_PAD src0_sel:DWORD src1_sel:WORD_0
	v_lshlrev_b32_e32 v17, 2, v18
	v_add_lshl_u32 v69, v24, v17, 2
	v_and_b32_e32 v17, 1, v18
	v_add_co_u32_e32 v19, vcc, -1, v17
	v_addc_co_u32_e64 v20, s[16:17], 0, -1, vcc
	v_cmp_ne_u32_e32 vcc, 0, v17
	v_xor_b32_e32 v17, vcc_hi, v20
	v_and_b32_e32 v20, exec_hi, v17
	v_lshlrev_b32_e32 v17, 30, v18
	v_xor_b32_e32 v19, vcc_lo, v19
	v_cmp_gt_i64_e32 vcc, 0, v[16:17]
	v_not_b32_e32 v17, v17
	v_ashrrev_i32_e32 v17, 31, v17
	v_and_b32_e32 v19, exec_lo, v19
	v_xor_b32_e32 v21, vcc_hi, v17
	v_xor_b32_e32 v17, vcc_lo, v17
	v_and_b32_e32 v19, v19, v17
	v_lshlrev_b32_e32 v17, 29, v18
	v_cmp_gt_i64_e32 vcc, 0, v[16:17]
	v_not_b32_e32 v17, v17
	v_ashrrev_i32_e32 v17, 31, v17
	v_and_b32_e32 v20, v20, v21
	v_xor_b32_e32 v21, vcc_hi, v17
	v_xor_b32_e32 v17, vcc_lo, v17
	v_and_b32_e32 v19, v19, v17
	v_lshlrev_b32_e32 v17, 28, v18
	v_cmp_gt_i64_e32 vcc, 0, v[16:17]
	v_not_b32_e32 v17, v17
	v_ashrrev_i32_e32 v17, 31, v17
	v_and_b32_e32 v20, v20, v21
	;; [unrolled: 8-line block ×5, first 2 shown]
	v_xor_b32_e32 v21, vcc_hi, v17
	v_xor_b32_e32 v17, vcc_lo, v17
	v_and_b32_e32 v19, v19, v17
	v_lshlrev_b32_e32 v17, 24, v18
	v_cmp_gt_i64_e32 vcc, 0, v[16:17]
	v_not_b32_e32 v16, v17
	v_ashrrev_i32_e32 v16, 31, v16
	v_xor_b32_e32 v17, vcc_hi, v16
	v_xor_b32_e32 v16, vcc_lo, v16
	; wave barrier
	ds_read_b32 v68, v69 offset:16
	v_and_b32_e32 v20, v20, v21
	v_and_b32_e32 v16, v19, v16
	;; [unrolled: 1-line block ×3, first 2 shown]
	v_mbcnt_lo_u32_b32 v18, v16, 0
	v_mbcnt_hi_u32_b32 v70, v17, v18
	v_cmp_eq_u32_e32 vcc, 0, v70
	v_cmp_ne_u64_e64 s[16:17], 0, v[16:17]
	s_and_b64 s[20:21], s[16:17], vcc
	; wave barrier
	s_and_saveexec_b64 s[16:17], s[20:21]
	s_cbranch_execz .LBB246_91
; %bb.90:
	v_bcnt_u32_b32 v16, v16, 0
	v_bcnt_u32_b32 v16, v17, v16
	s_waitcnt lgkmcnt(0)
	v_add_u32_e32 v16, v68, v16
	ds_write_b32 v69, v16 offset:16
.LBB246_91:
	s_or_b64 exec, exec, s[16:17]
	v_mov_b32_e32 v20, 0x7fff
	v_cmp_ne_u16_e32 vcc, s19, v29
	v_cndmask_b32_e32 v16, v20, v29, vcc
	v_and_b32_sdwa v18, s18, v16 dst_sel:DWORD dst_unused:UNUSED_PAD src0_sel:DWORD src1_sel:WORD_0
	v_and_b32_e32 v17, 1, v18
	v_add_co_u32_e32 v19, vcc, -1, v17
	v_addc_co_u32_e64 v21, s[16:17], 0, -1, vcc
	v_cmp_ne_u32_e32 vcc, 0, v17
	v_lshlrev_b32_e32 v16, 2, v18
	v_xor_b32_e32 v17, vcc_hi, v21
	v_add_lshl_u32 v72, v24, v16, 2
	v_mov_b32_e32 v16, 0
	v_and_b32_e32 v21, exec_hi, v17
	v_lshlrev_b32_e32 v17, 30, v18
	v_xor_b32_e32 v19, vcc_lo, v19
	v_cmp_gt_i64_e32 vcc, 0, v[16:17]
	v_not_b32_e32 v17, v17
	v_ashrrev_i32_e32 v17, 31, v17
	v_and_b32_e32 v19, exec_lo, v19
	v_xor_b32_e32 v22, vcc_hi, v17
	v_xor_b32_e32 v17, vcc_lo, v17
	v_and_b32_e32 v19, v19, v17
	v_lshlrev_b32_e32 v17, 29, v18
	v_cmp_gt_i64_e32 vcc, 0, v[16:17]
	v_not_b32_e32 v17, v17
	v_ashrrev_i32_e32 v17, 31, v17
	v_and_b32_e32 v21, v21, v22
	v_xor_b32_e32 v22, vcc_hi, v17
	v_xor_b32_e32 v17, vcc_lo, v17
	v_and_b32_e32 v19, v19, v17
	v_lshlrev_b32_e32 v17, 28, v18
	v_cmp_gt_i64_e32 vcc, 0, v[16:17]
	v_not_b32_e32 v17, v17
	v_ashrrev_i32_e32 v17, 31, v17
	v_and_b32_e32 v21, v21, v22
	;; [unrolled: 8-line block ×5, first 2 shown]
	v_xor_b32_e32 v22, vcc_hi, v17
	v_xor_b32_e32 v17, vcc_lo, v17
	v_and_b32_e32 v21, v21, v22
	v_and_b32_e32 v22, v19, v17
	v_lshlrev_b32_e32 v17, 24, v18
	v_cmp_gt_i64_e32 vcc, 0, v[16:17]
	v_not_b32_e32 v17, v17
	v_ashrrev_i32_e32 v17, 31, v17
	v_xor_b32_e32 v18, vcc_hi, v17
	v_xor_b32_e32 v17, vcc_lo, v17
	; wave barrier
	ds_read_b32 v71, v72 offset:16
	v_and_b32_e32 v19, v21, v18
	v_and_b32_e32 v18, v22, v17
	v_mbcnt_lo_u32_b32 v17, v18, 0
	v_mbcnt_hi_u32_b32 v73, v19, v17
	v_cmp_eq_u32_e32 vcc, 0, v73
	v_cmp_ne_u64_e64 s[16:17], 0, v[18:19]
	s_and_b64 s[20:21], s[16:17], vcc
	; wave barrier
	s_and_saveexec_b64 s[16:17], s[20:21]
	s_cbranch_execz .LBB246_93
; %bb.92:
	v_bcnt_u32_b32 v17, v18, 0
	v_bcnt_u32_b32 v17, v19, v17
	s_waitcnt lgkmcnt(0)
	v_add_u32_e32 v17, v71, v17
	ds_write_b32 v72, v17 offset:16
.LBB246_93:
	s_or_b64 exec, exec, s[16:17]
	v_cmp_ne_u16_e32 vcc, s19, v28
	v_cndmask_b32_e32 v17, v20, v28, vcc
	v_and_b32_sdwa v18, s18, v17 dst_sel:DWORD dst_unused:UNUSED_PAD src0_sel:DWORD src1_sel:WORD_0
	v_lshlrev_b32_e32 v17, 2, v18
	v_add_lshl_u32 v75, v24, v17, 2
	v_and_b32_e32 v17, 1, v18
	v_add_co_u32_e32 v19, vcc, -1, v17
	v_addc_co_u32_e64 v20, s[16:17], 0, -1, vcc
	v_cmp_ne_u32_e32 vcc, 0, v17
	v_xor_b32_e32 v17, vcc_hi, v20
	v_and_b32_e32 v20, exec_hi, v17
	v_lshlrev_b32_e32 v17, 30, v18
	v_xor_b32_e32 v19, vcc_lo, v19
	v_cmp_gt_i64_e32 vcc, 0, v[16:17]
	v_not_b32_e32 v17, v17
	v_ashrrev_i32_e32 v17, 31, v17
	v_and_b32_e32 v19, exec_lo, v19
	v_xor_b32_e32 v21, vcc_hi, v17
	v_xor_b32_e32 v17, vcc_lo, v17
	v_and_b32_e32 v19, v19, v17
	v_lshlrev_b32_e32 v17, 29, v18
	v_cmp_gt_i64_e32 vcc, 0, v[16:17]
	v_not_b32_e32 v17, v17
	v_ashrrev_i32_e32 v17, 31, v17
	v_and_b32_e32 v20, v20, v21
	v_xor_b32_e32 v21, vcc_hi, v17
	v_xor_b32_e32 v17, vcc_lo, v17
	v_and_b32_e32 v19, v19, v17
	v_lshlrev_b32_e32 v17, 28, v18
	v_cmp_gt_i64_e32 vcc, 0, v[16:17]
	v_not_b32_e32 v17, v17
	v_ashrrev_i32_e32 v17, 31, v17
	v_and_b32_e32 v20, v20, v21
	;; [unrolled: 8-line block ×5, first 2 shown]
	v_xor_b32_e32 v21, vcc_hi, v17
	v_xor_b32_e32 v17, vcc_lo, v17
	v_and_b32_e32 v19, v19, v17
	v_lshlrev_b32_e32 v17, 24, v18
	v_cmp_gt_i64_e32 vcc, 0, v[16:17]
	v_not_b32_e32 v16, v17
	v_ashrrev_i32_e32 v16, 31, v16
	v_xor_b32_e32 v17, vcc_hi, v16
	v_xor_b32_e32 v16, vcc_lo, v16
	; wave barrier
	ds_read_b32 v74, v75 offset:16
	v_and_b32_e32 v20, v20, v21
	v_and_b32_e32 v16, v19, v16
	;; [unrolled: 1-line block ×3, first 2 shown]
	v_mbcnt_lo_u32_b32 v18, v16, 0
	v_mbcnt_hi_u32_b32 v76, v17, v18
	v_cmp_eq_u32_e32 vcc, 0, v76
	v_cmp_ne_u64_e64 s[16:17], 0, v[16:17]
	s_and_b64 s[20:21], s[16:17], vcc
	; wave barrier
	s_and_saveexec_b64 s[16:17], s[20:21]
	s_cbranch_execz .LBB246_95
; %bb.94:
	v_bcnt_u32_b32 v16, v16, 0
	v_bcnt_u32_b32 v16, v17, v16
	s_waitcnt lgkmcnt(0)
	v_add_u32_e32 v16, v74, v16
	ds_write_b32 v75, v16 offset:16
.LBB246_95:
	s_or_b64 exec, exec, s[16:17]
	v_mov_b32_e32 v20, 0x7fff
	v_cmp_ne_u16_e32 vcc, s19, v27
	v_cndmask_b32_e32 v16, v20, v27, vcc
	v_and_b32_sdwa v18, s18, v16 dst_sel:DWORD dst_unused:UNUSED_PAD src0_sel:DWORD src1_sel:WORD_0
	v_and_b32_e32 v17, 1, v18
	v_add_co_u32_e32 v19, vcc, -1, v17
	v_addc_co_u32_e64 v21, s[16:17], 0, -1, vcc
	v_cmp_ne_u32_e32 vcc, 0, v17
	v_lshlrev_b32_e32 v16, 2, v18
	v_xor_b32_e32 v17, vcc_hi, v21
	v_add_lshl_u32 v78, v24, v16, 2
	v_mov_b32_e32 v16, 0
	v_and_b32_e32 v21, exec_hi, v17
	v_lshlrev_b32_e32 v17, 30, v18
	v_xor_b32_e32 v19, vcc_lo, v19
	v_cmp_gt_i64_e32 vcc, 0, v[16:17]
	v_not_b32_e32 v17, v17
	v_ashrrev_i32_e32 v17, 31, v17
	v_and_b32_e32 v19, exec_lo, v19
	v_xor_b32_e32 v22, vcc_hi, v17
	v_xor_b32_e32 v17, vcc_lo, v17
	v_and_b32_e32 v19, v19, v17
	v_lshlrev_b32_e32 v17, 29, v18
	v_cmp_gt_i64_e32 vcc, 0, v[16:17]
	v_not_b32_e32 v17, v17
	v_ashrrev_i32_e32 v17, 31, v17
	v_and_b32_e32 v21, v21, v22
	v_xor_b32_e32 v22, vcc_hi, v17
	v_xor_b32_e32 v17, vcc_lo, v17
	v_and_b32_e32 v19, v19, v17
	v_lshlrev_b32_e32 v17, 28, v18
	v_cmp_gt_i64_e32 vcc, 0, v[16:17]
	v_not_b32_e32 v17, v17
	v_ashrrev_i32_e32 v17, 31, v17
	v_and_b32_e32 v21, v21, v22
	;; [unrolled: 8-line block ×5, first 2 shown]
	v_xor_b32_e32 v22, vcc_hi, v17
	v_xor_b32_e32 v17, vcc_lo, v17
	v_and_b32_e32 v21, v21, v22
	v_and_b32_e32 v22, v19, v17
	v_lshlrev_b32_e32 v17, 24, v18
	v_cmp_gt_i64_e32 vcc, 0, v[16:17]
	v_not_b32_e32 v17, v17
	v_ashrrev_i32_e32 v17, 31, v17
	v_xor_b32_e32 v18, vcc_hi, v17
	v_xor_b32_e32 v17, vcc_lo, v17
	; wave barrier
	ds_read_b32 v77, v78 offset:16
	v_and_b32_e32 v19, v21, v18
	v_and_b32_e32 v18, v22, v17
	v_mbcnt_lo_u32_b32 v17, v18, 0
	v_mbcnt_hi_u32_b32 v79, v19, v17
	v_cmp_eq_u32_e32 vcc, 0, v79
	v_cmp_ne_u64_e64 s[16:17], 0, v[18:19]
	s_and_b64 s[20:21], s[16:17], vcc
	; wave barrier
	s_and_saveexec_b64 s[16:17], s[20:21]
	s_cbranch_execz .LBB246_97
; %bb.96:
	v_bcnt_u32_b32 v17, v18, 0
	v_bcnt_u32_b32 v17, v19, v17
	s_waitcnt lgkmcnt(0)
	v_add_u32_e32 v17, v77, v17
	ds_write_b32 v78, v17 offset:16
.LBB246_97:
	s_or_b64 exec, exec, s[16:17]
	v_cmp_ne_u16_e32 vcc, s19, v25
	v_cndmask_b32_e32 v17, v20, v25, vcc
	v_and_b32_sdwa v18, s18, v17 dst_sel:DWORD dst_unused:UNUSED_PAD src0_sel:DWORD src1_sel:WORD_0
	v_lshlrev_b32_e32 v17, 2, v18
	v_add_lshl_u32 v81, v24, v17, 2
	v_and_b32_e32 v17, 1, v18
	v_add_co_u32_e32 v19, vcc, -1, v17
	v_addc_co_u32_e64 v20, s[16:17], 0, -1, vcc
	v_cmp_ne_u32_e32 vcc, 0, v17
	v_xor_b32_e32 v17, vcc_hi, v20
	v_and_b32_e32 v20, exec_hi, v17
	v_lshlrev_b32_e32 v17, 30, v18
	v_xor_b32_e32 v19, vcc_lo, v19
	v_cmp_gt_i64_e32 vcc, 0, v[16:17]
	v_not_b32_e32 v17, v17
	v_ashrrev_i32_e32 v17, 31, v17
	v_and_b32_e32 v19, exec_lo, v19
	v_xor_b32_e32 v21, vcc_hi, v17
	v_xor_b32_e32 v17, vcc_lo, v17
	v_and_b32_e32 v19, v19, v17
	v_lshlrev_b32_e32 v17, 29, v18
	v_cmp_gt_i64_e32 vcc, 0, v[16:17]
	v_not_b32_e32 v17, v17
	v_ashrrev_i32_e32 v17, 31, v17
	v_and_b32_e32 v20, v20, v21
	v_xor_b32_e32 v21, vcc_hi, v17
	v_xor_b32_e32 v17, vcc_lo, v17
	v_and_b32_e32 v19, v19, v17
	v_lshlrev_b32_e32 v17, 28, v18
	v_cmp_gt_i64_e32 vcc, 0, v[16:17]
	v_not_b32_e32 v17, v17
	v_ashrrev_i32_e32 v17, 31, v17
	v_and_b32_e32 v20, v20, v21
	v_xor_b32_e32 v21, vcc_hi, v17
	v_xor_b32_e32 v17, vcc_lo, v17
	v_and_b32_e32 v19, v19, v17
	v_lshlrev_b32_e32 v17, 27, v18
	v_cmp_gt_i64_e32 vcc, 0, v[16:17]
	v_not_b32_e32 v17, v17
	v_ashrrev_i32_e32 v17, 31, v17
	v_and_b32_e32 v20, v20, v21
	v_xor_b32_e32 v21, vcc_hi, v17
	v_xor_b32_e32 v17, vcc_lo, v17
	v_and_b32_e32 v19, v19, v17
	v_lshlrev_b32_e32 v17, 26, v18
	v_cmp_gt_i64_e32 vcc, 0, v[16:17]
	v_not_b32_e32 v17, v17
	v_ashrrev_i32_e32 v17, 31, v17
	v_and_b32_e32 v20, v20, v21
	v_xor_b32_e32 v21, vcc_hi, v17
	v_xor_b32_e32 v17, vcc_lo, v17
	v_and_b32_e32 v19, v19, v17
	v_lshlrev_b32_e32 v17, 25, v18
	v_cmp_gt_i64_e32 vcc, 0, v[16:17]
	v_not_b32_e32 v17, v17
	v_ashrrev_i32_e32 v17, 31, v17
	v_and_b32_e32 v20, v20, v21
	v_xor_b32_e32 v21, vcc_hi, v17
	v_xor_b32_e32 v17, vcc_lo, v17
	v_and_b32_e32 v19, v19, v17
	v_lshlrev_b32_e32 v17, 24, v18
	v_cmp_gt_i64_e32 vcc, 0, v[16:17]
	v_not_b32_e32 v16, v17
	v_ashrrev_i32_e32 v16, 31, v16
	v_xor_b32_e32 v17, vcc_hi, v16
	v_xor_b32_e32 v16, vcc_lo, v16
	; wave barrier
	ds_read_b32 v80, v81 offset:16
	v_and_b32_e32 v20, v20, v21
	v_and_b32_e32 v16, v19, v16
	;; [unrolled: 1-line block ×3, first 2 shown]
	v_mbcnt_lo_u32_b32 v18, v16, 0
	v_mbcnt_hi_u32_b32 v82, v17, v18
	v_cmp_eq_u32_e32 vcc, 0, v82
	v_cmp_ne_u64_e64 s[16:17], 0, v[16:17]
	v_add_u32_e32 v22, 16, v64
	v_lshrrev_b32_e32 v23, 6, v46
	v_min_u32_e32 v34, 0xc0, v34
	s_and_b64 s[18:19], s[16:17], vcc
	; wave barrier
	s_and_saveexec_b64 s[16:17], s[18:19]
	s_cbranch_execz .LBB246_99
; %bb.98:
	v_bcnt_u32_b32 v16, v16, 0
	v_bcnt_u32_b32 v16, v17, v16
	s_waitcnt lgkmcnt(0)
	v_add_u32_e32 v16, v80, v16
	ds_write_b32 v81, v16 offset:16
.LBB246_99:
	s_or_b64 exec, exec, s[16:17]
	; wave barrier
	s_waitcnt lgkmcnt(0)
	s_barrier
	ds_read2_b32 v[18:19], v64 offset0:4 offset1:5
	ds_read2_b32 v[20:21], v22 offset0:2 offset1:3
	v_and_b32_e32 v17, 16, v26
	v_cmp_eq_u32_e32 vcc, 0, v17
	v_or_b32_e32 v17, 63, v34
	v_cmp_eq_u32_e64 s[16:17], v17, v46
	s_waitcnt lgkmcnt(1)
	v_add_u32_e32 v17, v19, v18
	v_and_b32_e32 v16, 15, v26
	s_waitcnt lgkmcnt(0)
	v_add3_u32 v17, v17, v20, v21
	v_cmp_eq_u32_e64 s[22:23], 0, v16
	v_cmp_lt_u32_e64 s[24:25], 1, v16
	v_mov_b32_dpp v21, v17 row_shr:1 row_mask:0xf bank_mask:0xf
	v_cndmask_b32_e64 v21, v21, 0, s[22:23]
	v_add_u32_e32 v17, v21, v17
	v_cmp_lt_u32_e64 s[28:29], 3, v16
	v_cmp_lt_u32_e64 s[30:31], 7, v16
	v_mov_b32_dpp v21, v17 row_shr:2 row_mask:0xf bank_mask:0xf
	v_cndmask_b32_e64 v21, 0, v21, s[24:25]
	v_add_u32_e32 v17, v17, v21
	v_bfe_i32 v35, v26, 4, 1
	v_cmp_lt_u32_e64 s[34:35], 31, v26
	v_mov_b32_dpp v21, v17 row_shr:4 row_mask:0xf bank_mask:0xf
	v_cndmask_b32_e64 v21, 0, v21, s[28:29]
	v_add_u32_e32 v17, v17, v21
	v_lshlrev_b32_e32 v23, 2, v23
	s_nop 0
	v_mov_b32_dpp v21, v17 row_shr:8 row_mask:0xf bank_mask:0xf
	v_cndmask_b32_e64 v16, 0, v21, s[30:31]
	v_add_u32_e32 v16, v17, v16
	s_nop 1
	v_mov_b32_dpp v17, v16 row_bcast:15 row_mask:0xf bank_mask:0xf
	v_and_b32_e32 v17, v35, v17
	v_add_u32_e32 v16, v16, v17
	s_nop 1
	v_mov_b32_dpp v17, v16 row_bcast:31 row_mask:0xf bank_mask:0xf
	v_cndmask_b32_e64 v17, 0, v17, s[34:35]
	v_add_u32_e32 v17, v16, v17
	s_and_saveexec_b64 s[18:19], s[16:17]
	s_cbranch_execz .LBB246_101
; %bb.100:
	ds_write_b32 v23, v17
.LBB246_101:
	s_or_b64 exec, exec, s[18:19]
	v_and_b32_e32 v16, 3, v26
	v_cmp_gt_u32_e64 s[26:27], 4, v46
	v_lshlrev_b32_e32 v21, 2, v46
	v_cmp_eq_u32_e64 s[20:21], 0, v16
	v_cmp_lt_u32_e64 s[18:19], 1, v16
	s_waitcnt lgkmcnt(0)
	s_barrier
	s_and_saveexec_b64 s[36:37], s[26:27]
	s_cbranch_execz .LBB246_103
; %bb.102:
	ds_read_b32 v16, v21
	s_waitcnt lgkmcnt(0)
	s_nop 0
	v_mov_b32_dpp v34, v16 row_shr:1 row_mask:0xf bank_mask:0xf
	v_cndmask_b32_e64 v34, v34, 0, s[20:21]
	v_add_u32_e32 v16, v34, v16
	s_nop 1
	v_mov_b32_dpp v34, v16 row_shr:2 row_mask:0xf bank_mask:0xf
	v_cndmask_b32_e64 v34, 0, v34, s[18:19]
	v_add_u32_e32 v16, v16, v34
	ds_write_b32 v21, v16
.LBB246_103:
	s_or_b64 exec, exec, s[36:37]
	v_cmp_lt_u32_e64 s[36:37], 63, v46
	v_add_u32_e32 v34, -4, v23
	v_mov_b32_e32 v16, 0
	v_mov_b32_e32 v83, 0
	s_waitcnt lgkmcnt(0)
	s_barrier
	s_and_saveexec_b64 s[38:39], s[36:37]
	s_cbranch_execz .LBB246_105
; %bb.104:
	ds_read_b32 v83, v34
.LBB246_105:
	s_or_b64 exec, exec, s[38:39]
	v_add_u32_e32 v35, -1, v26
	v_and_b32_e32 v84, 64, v26
	v_cmp_lt_i32_e64 s[38:39], v35, v84
	v_cndmask_b32_e64 v35, v35, v26, s[38:39]
	v_lshlrev_b32_e32 v35, 2, v35
	s_waitcnt lgkmcnt(0)
	v_add_u32_e32 v17, v83, v17
	ds_bpermute_b32 v17, v35, v17
	v_cmp_eq_u32_e64 s[38:39], 0, v26
	v_cmp_eq_u32_e64 s[40:41], 0, v46
	v_and_or_b32 v36, v26, 63, v36
	v_lshlrev_b32_e32 v84, 1, v36
	s_waitcnt lgkmcnt(0)
	v_cndmask_b32_e64 v17, v17, v83, s[38:39]
	v_cndmask_b32_e64 v17, v17, 0, s[40:41]
	v_add_u32_e32 v18, v17, v18
	v_add_u32_e32 v19, v18, v19
	;; [unrolled: 1-line block ×3, first 2 shown]
	ds_write2_b32 v64, v17, v18 offset0:4 offset1:5
	ds_write2_b32 v22, v19, v20 offset0:2 offset1:3
	s_waitcnt lgkmcnt(0)
	s_barrier
	ds_read_b32 v17, v37 offset:16
	ds_read_b32 v18, v40 offset:16
	;; [unrolled: 1-line block ×8, first 2 shown]
	s_waitcnt lgkmcnt(7)
	v_add_u32_e32 v17, v17, v38
	s_waitcnt lgkmcnt(6)
	v_add3_u32 v18, v41, v39, v18
	s_waitcnt lgkmcnt(4)
	v_add3_u32 v38, v70, v68, v20
	v_lshlrev_b32_e32 v20, 1, v17
	v_add3_u32 v19, v67, v65, v19
	s_waitcnt lgkmcnt(0)
	s_barrier
	ds_write_b16 v20, v33
	v_lshlrev_b32_e32 v20, 1, v18
	ds_write_b16 v20, v32
	v_lshlrev_b32_e32 v20, 1, v19
	v_add3_u32 v39, v73, v71, v26
	ds_write_b16 v20, v31
	v_lshlrev_b32_e32 v20, 1, v38
	v_add3_u32 v37, v76, v74, v37
	;; [unrolled: 3-line block ×4, first 2 shown]
	ds_write_b16 v20, v28
	v_lshlrev_b32_e32 v20, 1, v40
	ds_write_b16 v20, v27
	v_lshlrev_b32_e32 v20, 1, v41
	v_lshlrev_b32_e32 v17, 3, v17
	s_min_u32 s42, s42, 8
	ds_write_b16 v20, v25
	s_waitcnt lgkmcnt(0)
	s_barrier
	ds_read_u16 v31, v84
	ds_read_u16 v30, v84 offset:128
	ds_read_u16 v29, v84 offset:256
	ds_read_u16 v28, v84 offset:384
	ds_read_u16 v27, v84 offset:512
	ds_read_u16 v26, v84 offset:640
	ds_read_u16 v25, v84 offset:768
	ds_read_u16 v20, v84 offset:896
	s_waitcnt lgkmcnt(0)
	s_barrier
	ds_write_b64 v17, v[12:13]
	v_lshlrev_b32_e32 v12, 3, v18
	s_lshl_b32 s42, -1, s42
	s_movk_i32 s51, 0x8000
	ds_write_b64 v12, v[14:15]
	v_lshlrev_b32_e32 v12, 3, v19
	s_not_b32 s50, s42
	v_lshrrev_b16_e32 v17, 8, v31
	v_mov_b32_e32 v18, 0x7f
	v_cmp_ne_u16_e64 s[42:43], s51, v31
	ds_write_b64 v12, v[8:9]
	v_lshlrev_b32_e32 v8, 3, v38
	v_cndmask_b32_e64 v17, v18, v17, s[42:43]
	ds_write_b64 v8, v[10:11]
	v_lshlrev_b32_e32 v8, 3, v39
	v_and_b32_sdwa v19, v17, s50 dst_sel:DWORD dst_unused:UNUSED_PAD src0_sel:WORD_0 src1_sel:DWORD
	ds_write_b64 v8, v[4:5]
	v_lshlrev_b32_e32 v4, 3, v37
	v_lshlrev_b32_e32 v17, 2, v19
	ds_write_b64 v4, v[6:7]
	v_lshlrev_b32_e32 v4, 3, v40
	v_add_lshl_u32 v32, v17, v24, 2
	v_and_b32_e32 v17, 1, v19
	v_lshlrev_b32_e32 v36, 3, v36
	ds_write_b64 v4, v[0:1]
	v_lshlrev_b32_e32 v0, 3, v41
	v_add_co_u32_e64 v33, s[42:43], -1, v17
	ds_write_b64 v0, v[2:3]
	s_waitcnt lgkmcnt(0)
	s_barrier
	ds_read2st64_b64 v[12:15], v36 offset1:1
	ds_read2st64_b64 v[8:11], v36 offset0:2 offset1:3
	ds_read2st64_b64 v[4:7], v36 offset0:4 offset1:5
	;; [unrolled: 1-line block ×3, first 2 shown]
	v_addc_co_u32_e64 v36, s[42:43], 0, -1, s[42:43]
	v_cmp_ne_u32_e64 s[42:43], 0, v17
	v_xor_b32_e32 v17, s43, v36
	v_and_b32_e32 v36, exec_hi, v17
	v_lshlrev_b32_e32 v17, 30, v19
	v_xor_b32_e32 v33, s42, v33
	v_cmp_gt_i64_e64 s[42:43], 0, v[16:17]
	v_not_b32_e32 v17, v17
	v_ashrrev_i32_e32 v17, 31, v17
	v_and_b32_e32 v33, exec_lo, v33
	v_xor_b32_e32 v37, s43, v17
	v_xor_b32_e32 v17, s42, v17
	v_and_b32_e32 v33, v33, v17
	v_lshlrev_b32_e32 v17, 29, v19
	v_cmp_gt_i64_e64 s[42:43], 0, v[16:17]
	v_not_b32_e32 v17, v17
	v_ashrrev_i32_e32 v17, 31, v17
	v_and_b32_e32 v36, v36, v37
	v_xor_b32_e32 v37, s43, v17
	v_xor_b32_e32 v17, s42, v17
	v_and_b32_e32 v33, v33, v17
	v_lshlrev_b32_e32 v17, 28, v19
	v_cmp_gt_i64_e64 s[42:43], 0, v[16:17]
	v_not_b32_e32 v17, v17
	v_ashrrev_i32_e32 v17, 31, v17
	v_and_b32_e32 v36, v36, v37
	;; [unrolled: 8-line block ×5, first 2 shown]
	v_xor_b32_e32 v37, s43, v17
	v_xor_b32_e32 v17, s42, v17
	v_and_b32_e32 v33, v33, v17
	v_lshlrev_b32_e32 v17, 24, v19
	s_waitcnt lgkmcnt(0)
	s_barrier
	ds_write2_b32 v64, v16, v16 offset0:4 offset1:5
	ds_write2_b32 v22, v16, v16 offset0:2 offset1:3
	v_cmp_gt_i64_e64 s[42:43], 0, v[16:17]
	v_not_b32_e32 v16, v17
	v_ashrrev_i32_e32 v16, 31, v16
	v_xor_b32_e32 v17, s43, v16
	v_xor_b32_e32 v16, s42, v16
	v_and_b32_e32 v36, v36, v37
	v_and_b32_e32 v16, v33, v16
	;; [unrolled: 1-line block ×3, first 2 shown]
	v_mbcnt_lo_u32_b32 v19, v16, 0
	v_mbcnt_hi_u32_b32 v33, v17, v19
	v_cmp_eq_u32_e64 s[42:43], 0, v33
	v_cmp_ne_u64_e64 s[44:45], 0, v[16:17]
	s_and_b64 s[44:45], s[44:45], s[42:43]
	s_waitcnt lgkmcnt(0)
	s_barrier
	s_waitcnt lgkmcnt(0)
	; wave barrier
	s_and_saveexec_b64 s[42:43], s[44:45]
	s_cbranch_execz .LBB246_107
; %bb.106:
	v_bcnt_u32_b32 v16, v16, 0
	v_bcnt_u32_b32 v16, v17, v16
	ds_write_b32 v32, v16 offset:16
.LBB246_107:
	s_or_b64 exec, exec, s[42:43]
	v_lshrrev_b16_e32 v16, 8, v30
	v_cmp_ne_u16_e64 s[42:43], s51, v30
	v_cndmask_b32_e64 v16, v18, v16, s[42:43]
	v_and_b32_e32 v18, s50, v16
	v_and_b32_e32 v17, 1, v18
	v_add_co_u32_e64 v19, s[42:43], -1, v17
	v_addc_co_u32_e64 v38, s[42:43], 0, -1, s[42:43]
	v_cmp_ne_u32_e64 s[42:43], 0, v17
	v_lshlrev_b32_e32 v16, 2, v18
	v_xor_b32_e32 v17, s43, v38
	v_add_lshl_u32 v37, v16, v24, 2
	v_mov_b32_e32 v16, 0
	v_and_b32_e32 v38, exec_hi, v17
	v_lshlrev_b32_e32 v17, 30, v18
	v_xor_b32_e32 v19, s42, v19
	v_cmp_gt_i64_e64 s[42:43], 0, v[16:17]
	v_not_b32_e32 v17, v17
	v_ashrrev_i32_e32 v17, 31, v17
	v_and_b32_e32 v19, exec_lo, v19
	v_xor_b32_e32 v39, s43, v17
	v_xor_b32_e32 v17, s42, v17
	v_and_b32_e32 v19, v19, v17
	v_lshlrev_b32_e32 v17, 29, v18
	v_cmp_gt_i64_e64 s[42:43], 0, v[16:17]
	v_not_b32_e32 v17, v17
	v_ashrrev_i32_e32 v17, 31, v17
	v_and_b32_e32 v38, v38, v39
	v_xor_b32_e32 v39, s43, v17
	v_xor_b32_e32 v17, s42, v17
	v_and_b32_e32 v19, v19, v17
	v_lshlrev_b32_e32 v17, 28, v18
	v_cmp_gt_i64_e64 s[42:43], 0, v[16:17]
	v_not_b32_e32 v17, v17
	v_ashrrev_i32_e32 v17, 31, v17
	v_and_b32_e32 v38, v38, v39
	;; [unrolled: 8-line block ×5, first 2 shown]
	v_xor_b32_e32 v39, s43, v17
	v_xor_b32_e32 v17, s42, v17
	v_and_b32_e32 v38, v38, v39
	v_and_b32_e32 v39, v19, v17
	v_lshlrev_b32_e32 v17, 24, v18
	v_cmp_gt_i64_e64 s[42:43], 0, v[16:17]
	v_not_b32_e32 v17, v17
	v_ashrrev_i32_e32 v17, 31, v17
	v_xor_b32_e32 v18, s43, v17
	v_xor_b32_e32 v17, s42, v17
	; wave barrier
	ds_read_b32 v36, v37 offset:16
	v_and_b32_e32 v19, v38, v18
	v_and_b32_e32 v18, v39, v17
	v_mbcnt_lo_u32_b32 v17, v18, 0
	v_mbcnt_hi_u32_b32 v38, v19, v17
	v_cmp_eq_u32_e64 s[42:43], 0, v38
	v_cmp_ne_u64_e64 s[44:45], 0, v[18:19]
	s_and_b64 s[44:45], s[44:45], s[42:43]
	; wave barrier
	s_and_saveexec_b64 s[42:43], s[44:45]
	s_cbranch_execz .LBB246_109
; %bb.108:
	v_bcnt_u32_b32 v17, v18, 0
	v_bcnt_u32_b32 v17, v19, v17
	s_waitcnt lgkmcnt(0)
	v_add_u32_e32 v17, v36, v17
	ds_write_b32 v37, v17 offset:16
.LBB246_109:
	s_or_b64 exec, exec, s[42:43]
	v_lshrrev_b16_e32 v17, 8, v29
	v_mov_b32_e32 v18, 0x7f
	v_cmp_ne_u16_e64 s[42:43], s51, v29
	v_cndmask_b32_e64 v17, v18, v17, s[42:43]
	v_and_b32_e32 v19, s50, v17
	v_lshlrev_b32_e32 v17, 2, v19
	v_add_lshl_u32 v40, v17, v24, 2
	v_and_b32_e32 v17, 1, v19
	v_add_co_u32_e64 v41, s[42:43], -1, v17
	v_addc_co_u32_e64 v46, s[42:43], 0, -1, s[42:43]
	v_cmp_ne_u32_e64 s[42:43], 0, v17
	v_xor_b32_e32 v17, s43, v46
	v_and_b32_e32 v46, exec_hi, v17
	v_lshlrev_b32_e32 v17, 30, v19
	v_xor_b32_e32 v41, s42, v41
	v_cmp_gt_i64_e64 s[42:43], 0, v[16:17]
	v_not_b32_e32 v17, v17
	v_ashrrev_i32_e32 v17, 31, v17
	v_and_b32_e32 v41, exec_lo, v41
	v_xor_b32_e32 v65, s43, v17
	v_xor_b32_e32 v17, s42, v17
	v_and_b32_e32 v41, v41, v17
	v_lshlrev_b32_e32 v17, 29, v19
	v_cmp_gt_i64_e64 s[42:43], 0, v[16:17]
	v_not_b32_e32 v17, v17
	v_ashrrev_i32_e32 v17, 31, v17
	v_and_b32_e32 v46, v46, v65
	v_xor_b32_e32 v65, s43, v17
	v_xor_b32_e32 v17, s42, v17
	v_and_b32_e32 v41, v41, v17
	v_lshlrev_b32_e32 v17, 28, v19
	v_cmp_gt_i64_e64 s[42:43], 0, v[16:17]
	v_not_b32_e32 v17, v17
	v_ashrrev_i32_e32 v17, 31, v17
	v_and_b32_e32 v46, v46, v65
	v_xor_b32_e32 v65, s43, v17
	v_xor_b32_e32 v17, s42, v17
	v_and_b32_e32 v41, v41, v17
	v_lshlrev_b32_e32 v17, 27, v19
	v_cmp_gt_i64_e64 s[42:43], 0, v[16:17]
	v_not_b32_e32 v17, v17
	v_ashrrev_i32_e32 v17, 31, v17
	v_and_b32_e32 v46, v46, v65
	v_xor_b32_e32 v65, s43, v17
	v_xor_b32_e32 v17, s42, v17
	v_and_b32_e32 v41, v41, v17
	v_lshlrev_b32_e32 v17, 26, v19
	v_cmp_gt_i64_e64 s[42:43], 0, v[16:17]
	v_not_b32_e32 v17, v17
	v_ashrrev_i32_e32 v17, 31, v17
	v_and_b32_e32 v46, v46, v65
	v_xor_b32_e32 v65, s43, v17
	v_xor_b32_e32 v17, s42, v17
	v_and_b32_e32 v41, v41, v17
	v_lshlrev_b32_e32 v17, 25, v19
	v_cmp_gt_i64_e64 s[42:43], 0, v[16:17]
	v_not_b32_e32 v17, v17
	v_ashrrev_i32_e32 v17, 31, v17
	v_and_b32_e32 v46, v46, v65
	v_xor_b32_e32 v65, s43, v17
	v_xor_b32_e32 v17, s42, v17
	v_and_b32_e32 v41, v41, v17
	v_lshlrev_b32_e32 v17, 24, v19
	v_cmp_gt_i64_e64 s[42:43], 0, v[16:17]
	v_not_b32_e32 v16, v17
	v_ashrrev_i32_e32 v16, 31, v16
	v_xor_b32_e32 v17, s43, v16
	v_xor_b32_e32 v16, s42, v16
	; wave barrier
	ds_read_b32 v39, v40 offset:16
	v_and_b32_e32 v46, v46, v65
	v_and_b32_e32 v16, v41, v16
	;; [unrolled: 1-line block ×3, first 2 shown]
	v_mbcnt_lo_u32_b32 v19, v16, 0
	v_mbcnt_hi_u32_b32 v41, v17, v19
	v_cmp_eq_u32_e64 s[42:43], 0, v41
	v_cmp_ne_u64_e64 s[44:45], 0, v[16:17]
	s_and_b64 s[44:45], s[44:45], s[42:43]
	; wave barrier
	s_and_saveexec_b64 s[42:43], s[44:45]
	s_cbranch_execz .LBB246_111
; %bb.110:
	v_bcnt_u32_b32 v16, v16, 0
	v_bcnt_u32_b32 v16, v17, v16
	s_waitcnt lgkmcnt(0)
	v_add_u32_e32 v16, v39, v16
	ds_write_b32 v40, v16 offset:16
.LBB246_111:
	s_or_b64 exec, exec, s[42:43]
	v_lshrrev_b16_e32 v16, 8, v28
	v_cmp_ne_u16_e64 s[42:43], s51, v28
	v_cndmask_b32_e64 v16, v18, v16, s[42:43]
	v_and_b32_e32 v18, s50, v16
	v_and_b32_e32 v17, 1, v18
	v_add_co_u32_e64 v19, s[42:43], -1, v17
	v_addc_co_u32_e64 v66, s[42:43], 0, -1, s[42:43]
	v_cmp_ne_u32_e64 s[42:43], 0, v17
	v_lshlrev_b32_e32 v16, 2, v18
	v_xor_b32_e32 v17, s43, v66
	v_add_lshl_u32 v65, v16, v24, 2
	v_mov_b32_e32 v16, 0
	v_and_b32_e32 v66, exec_hi, v17
	v_lshlrev_b32_e32 v17, 30, v18
	v_xor_b32_e32 v19, s42, v19
	v_cmp_gt_i64_e64 s[42:43], 0, v[16:17]
	v_not_b32_e32 v17, v17
	v_ashrrev_i32_e32 v17, 31, v17
	v_and_b32_e32 v19, exec_lo, v19
	v_xor_b32_e32 v67, s43, v17
	v_xor_b32_e32 v17, s42, v17
	v_and_b32_e32 v19, v19, v17
	v_lshlrev_b32_e32 v17, 29, v18
	v_cmp_gt_i64_e64 s[42:43], 0, v[16:17]
	v_not_b32_e32 v17, v17
	v_ashrrev_i32_e32 v17, 31, v17
	v_and_b32_e32 v66, v66, v67
	v_xor_b32_e32 v67, s43, v17
	v_xor_b32_e32 v17, s42, v17
	v_and_b32_e32 v19, v19, v17
	v_lshlrev_b32_e32 v17, 28, v18
	v_cmp_gt_i64_e64 s[42:43], 0, v[16:17]
	v_not_b32_e32 v17, v17
	v_ashrrev_i32_e32 v17, 31, v17
	v_and_b32_e32 v66, v66, v67
	;; [unrolled: 8-line block ×5, first 2 shown]
	v_xor_b32_e32 v67, s43, v17
	v_xor_b32_e32 v17, s42, v17
	v_and_b32_e32 v66, v66, v67
	v_and_b32_e32 v67, v19, v17
	v_lshlrev_b32_e32 v17, 24, v18
	v_cmp_gt_i64_e64 s[42:43], 0, v[16:17]
	v_not_b32_e32 v17, v17
	v_ashrrev_i32_e32 v17, 31, v17
	v_xor_b32_e32 v18, s43, v17
	v_xor_b32_e32 v17, s42, v17
	; wave barrier
	ds_read_b32 v46, v65 offset:16
	v_and_b32_e32 v19, v66, v18
	v_and_b32_e32 v18, v67, v17
	v_mbcnt_lo_u32_b32 v17, v18, 0
	v_mbcnt_hi_u32_b32 v66, v19, v17
	v_cmp_eq_u32_e64 s[42:43], 0, v66
	v_cmp_ne_u64_e64 s[44:45], 0, v[18:19]
	s_and_b64 s[44:45], s[44:45], s[42:43]
	; wave barrier
	s_and_saveexec_b64 s[42:43], s[44:45]
	s_cbranch_execz .LBB246_113
; %bb.112:
	v_bcnt_u32_b32 v17, v18, 0
	v_bcnt_u32_b32 v17, v19, v17
	s_waitcnt lgkmcnt(0)
	v_add_u32_e32 v17, v46, v17
	ds_write_b32 v65, v17 offset:16
.LBB246_113:
	s_or_b64 exec, exec, s[42:43]
	v_lshrrev_b16_e32 v17, 8, v27
	v_mov_b32_e32 v18, 0x7f
	v_cmp_ne_u16_e64 s[42:43], s51, v27
	v_cndmask_b32_e64 v17, v18, v17, s[42:43]
	v_and_b32_e32 v19, s50, v17
	v_lshlrev_b32_e32 v17, 2, v19
	v_add_lshl_u32 v68, v17, v24, 2
	v_and_b32_e32 v17, 1, v19
	v_add_co_u32_e64 v69, s[42:43], -1, v17
	v_addc_co_u32_e64 v70, s[42:43], 0, -1, s[42:43]
	v_cmp_ne_u32_e64 s[42:43], 0, v17
	v_xor_b32_e32 v17, s43, v70
	v_and_b32_e32 v70, exec_hi, v17
	v_lshlrev_b32_e32 v17, 30, v19
	v_xor_b32_e32 v69, s42, v69
	v_cmp_gt_i64_e64 s[42:43], 0, v[16:17]
	v_not_b32_e32 v17, v17
	v_ashrrev_i32_e32 v17, 31, v17
	v_and_b32_e32 v69, exec_lo, v69
	v_xor_b32_e32 v71, s43, v17
	v_xor_b32_e32 v17, s42, v17
	v_and_b32_e32 v69, v69, v17
	v_lshlrev_b32_e32 v17, 29, v19
	v_cmp_gt_i64_e64 s[42:43], 0, v[16:17]
	v_not_b32_e32 v17, v17
	v_ashrrev_i32_e32 v17, 31, v17
	v_and_b32_e32 v70, v70, v71
	v_xor_b32_e32 v71, s43, v17
	v_xor_b32_e32 v17, s42, v17
	v_and_b32_e32 v69, v69, v17
	v_lshlrev_b32_e32 v17, 28, v19
	v_cmp_gt_i64_e64 s[42:43], 0, v[16:17]
	v_not_b32_e32 v17, v17
	v_ashrrev_i32_e32 v17, 31, v17
	v_and_b32_e32 v70, v70, v71
	v_xor_b32_e32 v71, s43, v17
	v_xor_b32_e32 v17, s42, v17
	v_and_b32_e32 v69, v69, v17
	v_lshlrev_b32_e32 v17, 27, v19
	v_cmp_gt_i64_e64 s[42:43], 0, v[16:17]
	v_not_b32_e32 v17, v17
	v_ashrrev_i32_e32 v17, 31, v17
	v_and_b32_e32 v70, v70, v71
	v_xor_b32_e32 v71, s43, v17
	v_xor_b32_e32 v17, s42, v17
	v_and_b32_e32 v69, v69, v17
	v_lshlrev_b32_e32 v17, 26, v19
	v_cmp_gt_i64_e64 s[42:43], 0, v[16:17]
	v_not_b32_e32 v17, v17
	v_ashrrev_i32_e32 v17, 31, v17
	v_and_b32_e32 v70, v70, v71
	v_xor_b32_e32 v71, s43, v17
	v_xor_b32_e32 v17, s42, v17
	v_and_b32_e32 v69, v69, v17
	v_lshlrev_b32_e32 v17, 25, v19
	v_cmp_gt_i64_e64 s[42:43], 0, v[16:17]
	v_not_b32_e32 v17, v17
	v_ashrrev_i32_e32 v17, 31, v17
	v_and_b32_e32 v70, v70, v71
	v_xor_b32_e32 v71, s43, v17
	v_xor_b32_e32 v17, s42, v17
	v_and_b32_e32 v69, v69, v17
	v_lshlrev_b32_e32 v17, 24, v19
	v_cmp_gt_i64_e64 s[42:43], 0, v[16:17]
	v_not_b32_e32 v16, v17
	v_ashrrev_i32_e32 v16, 31, v16
	v_xor_b32_e32 v17, s43, v16
	v_xor_b32_e32 v16, s42, v16
	; wave barrier
	ds_read_b32 v67, v68 offset:16
	v_and_b32_e32 v70, v70, v71
	v_and_b32_e32 v16, v69, v16
	;; [unrolled: 1-line block ×3, first 2 shown]
	v_mbcnt_lo_u32_b32 v19, v16, 0
	v_mbcnt_hi_u32_b32 v69, v17, v19
	v_cmp_eq_u32_e64 s[42:43], 0, v69
	v_cmp_ne_u64_e64 s[44:45], 0, v[16:17]
	s_and_b64 s[44:45], s[44:45], s[42:43]
	; wave barrier
	s_and_saveexec_b64 s[42:43], s[44:45]
	s_cbranch_execz .LBB246_115
; %bb.114:
	v_bcnt_u32_b32 v16, v16, 0
	v_bcnt_u32_b32 v16, v17, v16
	s_waitcnt lgkmcnt(0)
	v_add_u32_e32 v16, v67, v16
	ds_write_b32 v68, v16 offset:16
.LBB246_115:
	s_or_b64 exec, exec, s[42:43]
	v_lshrrev_b16_e32 v16, 8, v26
	v_cmp_ne_u16_e64 s[42:43], s51, v26
	v_cndmask_b32_e64 v16, v18, v16, s[42:43]
	v_and_b32_e32 v18, s50, v16
	v_and_b32_e32 v17, 1, v18
	v_add_co_u32_e64 v19, s[42:43], -1, v17
	v_addc_co_u32_e64 v72, s[42:43], 0, -1, s[42:43]
	v_cmp_ne_u32_e64 s[42:43], 0, v17
	v_lshlrev_b32_e32 v16, 2, v18
	v_xor_b32_e32 v17, s43, v72
	v_add_lshl_u32 v71, v16, v24, 2
	v_mov_b32_e32 v16, 0
	v_and_b32_e32 v72, exec_hi, v17
	v_lshlrev_b32_e32 v17, 30, v18
	v_xor_b32_e32 v19, s42, v19
	v_cmp_gt_i64_e64 s[42:43], 0, v[16:17]
	v_not_b32_e32 v17, v17
	v_ashrrev_i32_e32 v17, 31, v17
	v_and_b32_e32 v19, exec_lo, v19
	v_xor_b32_e32 v73, s43, v17
	v_xor_b32_e32 v17, s42, v17
	v_and_b32_e32 v19, v19, v17
	v_lshlrev_b32_e32 v17, 29, v18
	v_cmp_gt_i64_e64 s[42:43], 0, v[16:17]
	v_not_b32_e32 v17, v17
	v_ashrrev_i32_e32 v17, 31, v17
	v_and_b32_e32 v72, v72, v73
	v_xor_b32_e32 v73, s43, v17
	v_xor_b32_e32 v17, s42, v17
	v_and_b32_e32 v19, v19, v17
	v_lshlrev_b32_e32 v17, 28, v18
	v_cmp_gt_i64_e64 s[42:43], 0, v[16:17]
	v_not_b32_e32 v17, v17
	v_ashrrev_i32_e32 v17, 31, v17
	v_and_b32_e32 v72, v72, v73
	v_xor_b32_e32 v73, s43, v17
	v_xor_b32_e32 v17, s42, v17
	v_and_b32_e32 v19, v19, v17
	v_lshlrev_b32_e32 v17, 27, v18
	v_cmp_gt_i64_e64 s[42:43], 0, v[16:17]
	v_not_b32_e32 v17, v17
	v_ashrrev_i32_e32 v17, 31, v17
	v_and_b32_e32 v72, v72, v73
	v_xor_b32_e32 v73, s43, v17
	v_xor_b32_e32 v17, s42, v17
	v_and_b32_e32 v19, v19, v17
	v_lshlrev_b32_e32 v17, 26, v18
	v_cmp_gt_i64_e64 s[42:43], 0, v[16:17]
	v_not_b32_e32 v17, v17
	v_ashrrev_i32_e32 v17, 31, v17
	v_and_b32_e32 v72, v72, v73
	v_xor_b32_e32 v73, s43, v17
	v_xor_b32_e32 v17, s42, v17
	v_and_b32_e32 v19, v19, v17
	v_lshlrev_b32_e32 v17, 25, v18
	v_cmp_gt_i64_e64 s[42:43], 0, v[16:17]
	v_not_b32_e32 v17, v17
	v_ashrrev_i32_e32 v17, 31, v17
	v_and_b32_e32 v72, v72, v73
	v_xor_b32_e32 v73, s43, v17
	v_xor_b32_e32 v17, s42, v17
	v_and_b32_e32 v72, v72, v73
	v_and_b32_e32 v73, v19, v17
	v_lshlrev_b32_e32 v17, 24, v18
	v_cmp_gt_i64_e64 s[42:43], 0, v[16:17]
	v_not_b32_e32 v17, v17
	v_ashrrev_i32_e32 v17, 31, v17
	v_xor_b32_e32 v18, s43, v17
	v_xor_b32_e32 v17, s42, v17
	; wave barrier
	ds_read_b32 v70, v71 offset:16
	v_and_b32_e32 v19, v72, v18
	v_and_b32_e32 v18, v73, v17
	v_mbcnt_lo_u32_b32 v17, v18, 0
	v_mbcnt_hi_u32_b32 v72, v19, v17
	v_cmp_eq_u32_e64 s[42:43], 0, v72
	v_cmp_ne_u64_e64 s[44:45], 0, v[18:19]
	s_and_b64 s[44:45], s[44:45], s[42:43]
	; wave barrier
	s_and_saveexec_b64 s[42:43], s[44:45]
	s_cbranch_execz .LBB246_117
; %bb.116:
	v_bcnt_u32_b32 v17, v18, 0
	v_bcnt_u32_b32 v17, v19, v17
	s_waitcnt lgkmcnt(0)
	v_add_u32_e32 v17, v70, v17
	ds_write_b32 v71, v17 offset:16
.LBB246_117:
	s_or_b64 exec, exec, s[42:43]
	v_lshrrev_b16_e32 v17, 8, v25
	v_mov_b32_e32 v18, 0x7f
	v_cmp_ne_u16_e64 s[42:43], s51, v25
	v_cndmask_b32_e64 v17, v18, v17, s[42:43]
	v_and_b32_e32 v19, s50, v17
	v_lshlrev_b32_e32 v17, 2, v19
	v_add_lshl_u32 v74, v17, v24, 2
	v_and_b32_e32 v17, 1, v19
	v_add_co_u32_e64 v75, s[42:43], -1, v17
	v_addc_co_u32_e64 v76, s[42:43], 0, -1, s[42:43]
	v_cmp_ne_u32_e64 s[42:43], 0, v17
	v_xor_b32_e32 v17, s43, v76
	v_and_b32_e32 v76, exec_hi, v17
	v_lshlrev_b32_e32 v17, 30, v19
	v_xor_b32_e32 v75, s42, v75
	v_cmp_gt_i64_e64 s[42:43], 0, v[16:17]
	v_not_b32_e32 v17, v17
	v_ashrrev_i32_e32 v17, 31, v17
	v_and_b32_e32 v75, exec_lo, v75
	v_xor_b32_e32 v77, s43, v17
	v_xor_b32_e32 v17, s42, v17
	v_and_b32_e32 v75, v75, v17
	v_lshlrev_b32_e32 v17, 29, v19
	v_cmp_gt_i64_e64 s[42:43], 0, v[16:17]
	v_not_b32_e32 v17, v17
	v_ashrrev_i32_e32 v17, 31, v17
	v_and_b32_e32 v76, v76, v77
	v_xor_b32_e32 v77, s43, v17
	v_xor_b32_e32 v17, s42, v17
	v_and_b32_e32 v75, v75, v17
	v_lshlrev_b32_e32 v17, 28, v19
	v_cmp_gt_i64_e64 s[42:43], 0, v[16:17]
	v_not_b32_e32 v17, v17
	v_ashrrev_i32_e32 v17, 31, v17
	v_and_b32_e32 v76, v76, v77
	;; [unrolled: 8-line block ×5, first 2 shown]
	v_xor_b32_e32 v77, s43, v17
	v_xor_b32_e32 v17, s42, v17
	v_and_b32_e32 v75, v75, v17
	v_lshlrev_b32_e32 v17, 24, v19
	v_cmp_gt_i64_e64 s[42:43], 0, v[16:17]
	v_not_b32_e32 v16, v17
	v_ashrrev_i32_e32 v16, 31, v16
	v_xor_b32_e32 v17, s43, v16
	v_xor_b32_e32 v16, s42, v16
	; wave barrier
	ds_read_b32 v73, v74 offset:16
	v_and_b32_e32 v76, v76, v77
	v_and_b32_e32 v16, v75, v16
	;; [unrolled: 1-line block ×3, first 2 shown]
	v_mbcnt_lo_u32_b32 v19, v16, 0
	v_mbcnt_hi_u32_b32 v75, v17, v19
	v_cmp_eq_u32_e64 s[42:43], 0, v75
	v_cmp_ne_u64_e64 s[44:45], 0, v[16:17]
	s_and_b64 s[44:45], s[44:45], s[42:43]
	; wave barrier
	s_and_saveexec_b64 s[42:43], s[44:45]
	s_cbranch_execz .LBB246_119
; %bb.118:
	v_bcnt_u32_b32 v16, v16, 0
	v_bcnt_u32_b32 v16, v17, v16
	s_waitcnt lgkmcnt(0)
	v_add_u32_e32 v16, v73, v16
	ds_write_b32 v74, v16 offset:16
.LBB246_119:
	s_or_b64 exec, exec, s[42:43]
	v_lshrrev_b16_e32 v16, 8, v20
	v_cmp_ne_u16_e64 s[42:43], s51, v20
	v_cndmask_b32_e64 v16, v18, v16, s[42:43]
	v_and_b32_e32 v18, s50, v16
	v_and_b32_e32 v17, 1, v18
	v_add_co_u32_e64 v19, s[42:43], -1, v17
	v_addc_co_u32_e64 v77, s[42:43], 0, -1, s[42:43]
	v_cmp_ne_u32_e64 s[42:43], 0, v17
	v_lshlrev_b32_e32 v16, 2, v18
	v_xor_b32_e32 v17, s43, v77
	v_add_lshl_u32 v76, v16, v24, 2
	v_mov_b32_e32 v16, 0
	v_and_b32_e32 v77, exec_hi, v17
	v_lshlrev_b32_e32 v17, 30, v18
	v_xor_b32_e32 v19, s42, v19
	v_cmp_gt_i64_e64 s[42:43], 0, v[16:17]
	v_not_b32_e32 v17, v17
	v_ashrrev_i32_e32 v17, 31, v17
	v_and_b32_e32 v19, exec_lo, v19
	v_xor_b32_e32 v78, s43, v17
	v_xor_b32_e32 v17, s42, v17
	v_and_b32_e32 v19, v19, v17
	v_lshlrev_b32_e32 v17, 29, v18
	v_cmp_gt_i64_e64 s[42:43], 0, v[16:17]
	v_not_b32_e32 v17, v17
	v_ashrrev_i32_e32 v17, 31, v17
	v_and_b32_e32 v77, v77, v78
	v_xor_b32_e32 v78, s43, v17
	v_xor_b32_e32 v17, s42, v17
	v_and_b32_e32 v19, v19, v17
	v_lshlrev_b32_e32 v17, 28, v18
	v_cmp_gt_i64_e64 s[42:43], 0, v[16:17]
	v_not_b32_e32 v17, v17
	v_ashrrev_i32_e32 v17, 31, v17
	v_and_b32_e32 v77, v77, v78
	;; [unrolled: 8-line block ×5, first 2 shown]
	v_xor_b32_e32 v78, s43, v17
	v_xor_b32_e32 v17, s42, v17
	v_and_b32_e32 v19, v19, v17
	v_lshlrev_b32_e32 v17, 24, v18
	v_cmp_gt_i64_e64 s[42:43], 0, v[16:17]
	v_not_b32_e32 v16, v17
	v_ashrrev_i32_e32 v16, 31, v16
	v_xor_b32_e32 v17, s43, v16
	v_xor_b32_e32 v16, s42, v16
	; wave barrier
	ds_read_b32 v24, v76 offset:16
	v_and_b32_e32 v77, v77, v78
	v_and_b32_e32 v16, v19, v16
	v_and_b32_e32 v17, v77, v17
	v_mbcnt_lo_u32_b32 v18, v16, 0
	v_mbcnt_hi_u32_b32 v77, v17, v18
	v_cmp_eq_u32_e64 s[42:43], 0, v77
	v_cmp_ne_u64_e64 s[44:45], 0, v[16:17]
	s_and_b64 s[44:45], s[44:45], s[42:43]
	; wave barrier
	s_and_saveexec_b64 s[42:43], s[44:45]
	s_cbranch_execz .LBB246_121
; %bb.120:
	v_bcnt_u32_b32 v16, v16, 0
	v_bcnt_u32_b32 v16, v17, v16
	s_waitcnt lgkmcnt(0)
	v_add_u32_e32 v16, v24, v16
	ds_write_b32 v76, v16 offset:16
.LBB246_121:
	s_or_b64 exec, exec, s[42:43]
	; wave barrier
	s_waitcnt lgkmcnt(0)
	s_barrier
	ds_read2_b32 v[18:19], v64 offset0:4 offset1:5
	ds_read2_b32 v[16:17], v22 offset0:2 offset1:3
	s_waitcnt lgkmcnt(1)
	v_add_u32_e32 v78, v19, v18
	s_waitcnt lgkmcnt(0)
	v_add3_u32 v17, v78, v16, v17
	s_nop 1
	v_mov_b32_dpp v78, v17 row_shr:1 row_mask:0xf bank_mask:0xf
	v_cndmask_b32_e64 v78, v78, 0, s[22:23]
	v_add_u32_e32 v17, v78, v17
	s_nop 1
	v_mov_b32_dpp v78, v17 row_shr:2 row_mask:0xf bank_mask:0xf
	v_cndmask_b32_e64 v78, 0, v78, s[24:25]
	v_add_u32_e32 v17, v17, v78
	;; [unrolled: 4-line block ×4, first 2 shown]
	s_nop 1
	v_mov_b32_dpp v78, v17 row_bcast:15 row_mask:0xf bank_mask:0xf
	v_cndmask_b32_e64 v78, v78, 0, vcc
	v_add_u32_e32 v17, v17, v78
	s_nop 1
	v_mov_b32_dpp v78, v17 row_bcast:31 row_mask:0xf bank_mask:0xf
	v_cndmask_b32_e64 v78, 0, v78, s[34:35]
	v_add_u32_e32 v78, v17, v78
	s_and_saveexec_b64 s[22:23], s[16:17]
	s_cbranch_execz .LBB246_123
; %bb.122:
	ds_write_b32 v23, v78
.LBB246_123:
	s_or_b64 exec, exec, s[22:23]
	s_waitcnt lgkmcnt(0)
	s_barrier
	s_and_saveexec_b64 s[16:17], s[26:27]
	s_cbranch_execz .LBB246_125
; %bb.124:
	ds_read_b32 v17, v21
	s_waitcnt lgkmcnt(0)
	s_nop 0
	v_mov_b32_dpp v23, v17 row_shr:1 row_mask:0xf bank_mask:0xf
	v_cndmask_b32_e64 v23, v23, 0, s[20:21]
	v_add_u32_e32 v17, v23, v17
	s_nop 1
	v_mov_b32_dpp v23, v17 row_shr:2 row_mask:0xf bank_mask:0xf
	v_cndmask_b32_e64 v23, 0, v23, s[18:19]
	v_add_u32_e32 v17, v17, v23
	ds_write_b32 v21, v17
.LBB246_125:
	s_or_b64 exec, exec, s[16:17]
	v_mov_b32_e32 v17, 0
	v_mov_b32_e32 v21, 0
	s_waitcnt lgkmcnt(0)
	s_barrier
	s_and_saveexec_b64 s[16:17], s[36:37]
	s_cbranch_execz .LBB246_127
; %bb.126:
	ds_read_b32 v21, v34
.LBB246_127:
	s_or_b64 exec, exec, s[16:17]
	s_waitcnt lgkmcnt(0)
	v_add_u32_e32 v23, v21, v78
	ds_bpermute_b32 v23, v35, v23
	v_lshlrev_b32_e32 v34, 3, v63
	s_mov_b32 s18, 0x5040100
	s_waitcnt lgkmcnt(0)
	v_cndmask_b32_e64 v21, v23, v21, s[38:39]
	v_cndmask_b32_e64 v21, v21, 0, s[40:41]
	v_add_u32_e32 v18, v21, v18
	v_add_u32_e32 v19, v18, v19
	;; [unrolled: 1-line block ×3, first 2 shown]
	ds_write2_b32 v64, v21, v18 offset0:4 offset1:5
	ds_write2_b32 v22, v19, v16 offset0:2 offset1:3
	s_waitcnt lgkmcnt(0)
	s_barrier
	ds_read_b32 v16, v76 offset:16
	ds_read_b32 v18, v74 offset:16
	;; [unrolled: 1-line block ×4, first 2 shown]
	s_waitcnt lgkmcnt(3)
	v_add3_u32 v16, v77, v24, v16
	ds_read_b32 v22, v65 offset:16
	ds_read_b32 v23, v40 offset:16
	;; [unrolled: 1-line block ×4, first 2 shown]
	s_waitcnt lgkmcnt(0)
	s_barrier
	v_add3_u32 v23, v41, v39, v23
	v_add3_u32 v24, v38, v36, v24
	v_add_u32_e32 v32, v32, v33
	v_lshlrev_b32_e32 v33, 1, v32
	ds_write_b16 v33, v31
	v_lshlrev_b32_e32 v31, 1, v24
	v_add3_u32 v22, v66, v46, v22
	ds_write_b16 v31, v30
	v_lshlrev_b32_e32 v30, 1, v23
	v_add3_u32 v21, v69, v67, v21
	;; [unrolled: 3-line block ×4, first 2 shown]
	ds_write_b16 v28, v27
	v_lshlrev_b32_e32 v27, 1, v19
	ds_write_b16 v27, v26
	v_lshlrev_b32_e32 v26, 1, v18
	;; [unrolled: 2-line block ×4, first 2 shown]
	s_waitcnt lgkmcnt(0)
	s_barrier
	v_lshlrev_b32_e32 v26, 3, v21
	v_lshlrev_b32_e32 v27, 3, v19
	;; [unrolled: 1-line block ×3, first 2 shown]
	ds_read_b128 v[18:21], v20
	v_mov_b32_e32 v40, -1
	v_mov_b32_e32 v41, 0x7fff
	v_lshlrev_b32_e32 v25, 3, v32
	v_lshlrev_b32_e32 v24, 3, v24
	s_waitcnt lgkmcnt(0)
	v_cmp_gt_i16_sdwa vcc, v18, v40 src0_sel:WORD_1 src1_sel:DWORD
	v_cndmask_b32_e32 v29, 0, v41, vcc
	v_cmp_lt_i16_e32 vcc, -1, v18
	v_cndmask_b32_e32 v30, 0, v41, vcc
	v_cmp_lt_i16_sdwa s[16:17], v19, v17 src0_sel:WORD_1 src1_sel:DWORD
	v_cmp_gt_i16_e32 vcc, 0, v19
	v_cndmask_b32_e64 v31, v41, 0, s[16:17]
	v_cndmask_b32_e64 v32, v41, 0, vcc
	v_lshlrev_b32_e32 v23, 3, v23
	v_lshlrev_b32_e32 v22, 3, v22
	v_xor_b32_e32 v32, v32, v19
	v_xor_b32_sdwa v19, v31, v19 dst_sel:DWORD dst_unused:UNUSED_PAD src0_sel:DWORD src1_sel:WORD_1
	v_lshlrev_b32_e32 v16, 3, v16
	v_perm_b32 v39, v19, v32, s18
	v_xor_b32_e32 v19, v30, v18
	v_xor_b32_sdwa v18, v29, v18 dst_sel:DWORD dst_unused:UNUSED_PAD src0_sel:DWORD src1_sel:WORD_1
	s_barrier
	ds_write_b64 v25, v[12:13]
	ds_write_b64 v24, v[14:15]
	;; [unrolled: 1-line block ×8, first 2 shown]
	s_waitcnt lgkmcnt(0)
	s_barrier
	ds_read2_b64 v[22:25], v34 offset1:1
	ds_read2_b64 v[26:29], v34 offset0:2 offset1:3
	ds_read2_b64 v[30:33], v34 offset0:4 offset1:5
	;; [unrolled: 1-line block ×3, first 2 shown]
	v_cmp_gt_i16_sdwa vcc, v20, v40 src0_sel:WORD_1 src1_sel:DWORD
	v_cndmask_b32_e32 v0, 0, v41, vcc
	v_cmp_lt_i16_e32 vcc, -1, v20
	v_cndmask_b32_e32 v1, 0, v41, vcc
	v_cmp_lt_i16_sdwa s[16:17], v21, v17 src0_sel:WORD_1 src1_sel:DWORD
	v_cmp_gt_i16_e32 vcc, 0, v21
	v_cndmask_b32_e64 v2, v41, 0, s[16:17]
	v_cndmask_b32_e64 v3, v41, 0, vcc
	v_xor_b32_e32 v3, v3, v21
	v_xor_b32_sdwa v2, v2, v21 dst_sel:DWORD dst_unused:UNUSED_PAD src0_sel:DWORD src1_sel:WORD_1
	v_xor_b32_e32 v1, v1, v20
	v_xor_b32_sdwa v0, v0, v20 dst_sel:DWORD dst_unused:UNUSED_PAD src0_sel:DWORD src1_sel:WORD_1
	v_perm_b32 v38, v18, v19, s18
	v_perm_b32 v41, v2, v3, s18
	;; [unrolled: 1-line block ×3, first 2 shown]
.LBB246_128:
	s_waitcnt lgkmcnt(0)
	s_barrier
	ds_write_b128 v54, v[38:41]
	s_waitcnt lgkmcnt(0)
	s_barrier
	ds_read_u16 v8, v43 offset:512
	ds_read_u16 v7, v48 offset:1024
	;; [unrolled: 1-line block ×7, first 2 shown]
	v_mov_b32_e32 v43, 0
	v_lshlrev_b64 v[0:1], 1, v[42:43]
	v_mov_b32_e32 v9, s47
	v_add_co_u32_e32 v0, vcc, s33, v0
	v_addc_co_u32_e32 v1, vcc, v9, v1, vcc
	s_and_saveexec_b64 s[16:17], s[0:1]
	s_cbranch_execnz .LBB246_147
; %bb.129:
	s_or_b64 exec, exec, s[16:17]
	s_and_saveexec_b64 s[16:17], s[2:3]
	s_cbranch_execnz .LBB246_148
.LBB246_130:
	s_or_b64 exec, exec, s[16:17]
	s_and_saveexec_b64 s[16:17], s[4:5]
	s_cbranch_execnz .LBB246_149
.LBB246_131:
	s_or_b64 exec, exec, s[16:17]
	s_and_saveexec_b64 s[16:17], s[6:7]
	s_cbranch_execnz .LBB246_150
.LBB246_132:
	s_or_b64 exec, exec, s[16:17]
	s_and_saveexec_b64 s[16:17], s[8:9]
	s_cbranch_execnz .LBB246_151
.LBB246_133:
	s_or_b64 exec, exec, s[16:17]
	s_and_saveexec_b64 s[16:17], s[10:11]
	s_cbranch_execnz .LBB246_152
.LBB246_134:
	s_or_b64 exec, exec, s[16:17]
	s_and_saveexec_b64 s[16:17], s[12:13]
	s_cbranch_execnz .LBB246_153
.LBB246_135:
	s_or_b64 exec, exec, s[16:17]
	s_and_saveexec_b64 s[16:17], s[14:15]
	s_cbranch_execz .LBB246_137
.LBB246_136:
	s_mul_i32 s18, s46, 0x700
	s_mov_b32 s19, 0
	s_lshl_b64 s[18:19], s[18:19], 1
	s_waitcnt lgkmcnt(1)
	v_mov_b32_e32 v3, s19
	v_add_co_u32_e32 v0, vcc, s18, v0
	v_addc_co_u32_e32 v1, vcc, v1, v3, vcc
	s_waitcnt lgkmcnt(0)
	global_store_short v[0:1], v2, off
.LBB246_137:
	s_or_b64 exec, exec, s[16:17]
	s_waitcnt lgkmcnt(0)
	s_barrier
	ds_write2_b64 v62, v[22:23], v[24:25] offset1:1
	ds_write2_b64 v62, v[26:27], v[28:29] offset0:2 offset1:3
	ds_write2_b64 v62, v[30:31], v[32:33] offset0:4 offset1:5
	ds_write2_b64 v62, v[34:35], v[36:37] offset0:6 offset1:7
	s_waitcnt lgkmcnt(0)
	s_barrier
	ds_read_b64 v[14:15], v45 offset:2048
	ds_read_b64 v[12:13], v56 offset:4096
	ds_read_b64 v[10:11], v57 offset:6144
	ds_read_b64 v[8:9], v58 offset:8192
	ds_read_b64 v[6:7], v59 offset:10240
	ds_read_b64 v[4:5], v60 offset:12288
	ds_read_b64 v[0:1], v61 offset:14336
	v_mov_b32_e32 v45, 0
	v_lshlrev_b64 v[2:3], 3, v[44:45]
	v_mov_b32_e32 v16, s52
	v_add_co_u32_e32 v2, vcc, s49, v2
	v_addc_co_u32_e32 v3, vcc, v16, v3, vcc
	s_and_saveexec_b64 s[16:17], s[0:1]
	s_cbranch_execnz .LBB246_154
; %bb.138:
	s_or_b64 exec, exec, s[16:17]
	s_and_saveexec_b64 s[0:1], s[2:3]
	s_cbranch_execnz .LBB246_155
.LBB246_139:
	s_or_b64 exec, exec, s[0:1]
	s_and_saveexec_b64 s[0:1], s[4:5]
	s_cbranch_execnz .LBB246_156
.LBB246_140:
	s_or_b64 exec, exec, s[0:1]
	s_and_saveexec_b64 s[0:1], s[6:7]
	s_cbranch_execnz .LBB246_157
.LBB246_141:
	s_or_b64 exec, exec, s[0:1]
	s_and_saveexec_b64 s[0:1], s[8:9]
	s_cbranch_execnz .LBB246_158
.LBB246_142:
	s_or_b64 exec, exec, s[0:1]
	s_and_saveexec_b64 s[0:1], s[10:11]
	s_cbranch_execnz .LBB246_159
.LBB246_143:
	s_or_b64 exec, exec, s[0:1]
	s_and_saveexec_b64 s[0:1], s[12:13]
	s_cbranch_execnz .LBB246_160
.LBB246_144:
	s_or_b64 exec, exec, s[0:1]
	s_and_saveexec_b64 s[0:1], s[14:15]
	s_cbranch_execz .LBB246_146
.LBB246_145:
	s_mul_i32 s0, s48, 0x700
	s_mov_b32 s1, 0
	s_lshl_b64 s[0:1], s[0:1], 3
	s_waitcnt lgkmcnt(1)
	v_mov_b32_e32 v4, s1
	v_add_co_u32_e32 v2, vcc, s0, v2
	v_addc_co_u32_e32 v3, vcc, v3, v4, vcc
	s_waitcnt lgkmcnt(0)
	global_store_dwordx2 v[2:3], v[0:1], off
.LBB246_146:
	s_endpgm
.LBB246_147:
	ds_read_u16 v9, v47
	s_waitcnt lgkmcnt(0)
	global_store_short v[0:1], v9, off
	s_or_b64 exec, exec, s[16:17]
	s_and_saveexec_b64 s[16:17], s[2:3]
	s_cbranch_execz .LBB246_130
.LBB246_148:
	s_lshl_b32 s18, s46, 8
	s_mov_b32 s19, 0
	s_lshl_b64 s[18:19], s[18:19], 1
	v_mov_b32_e32 v9, s19
	v_add_co_u32_e32 v10, vcc, s18, v0
	v_addc_co_u32_e32 v11, vcc, v1, v9, vcc
	s_waitcnt lgkmcnt(6)
	global_store_short v[10:11], v8, off
	s_or_b64 exec, exec, s[16:17]
	s_and_saveexec_b64 s[16:17], s[4:5]
	s_cbranch_execz .LBB246_131
.LBB246_149:
	s_lshl_b32 s18, s46, 9
	s_mov_b32 s19, 0
	s_lshl_b64 s[18:19], s[18:19], 1
	v_mov_b32_e32 v9, s19
	s_waitcnt lgkmcnt(6)
	v_add_co_u32_e32 v8, vcc, s18, v0
	v_addc_co_u32_e32 v9, vcc, v1, v9, vcc
	s_waitcnt lgkmcnt(5)
	global_store_short v[8:9], v7, off
	s_or_b64 exec, exec, s[16:17]
	s_and_saveexec_b64 s[16:17], s[6:7]
	s_cbranch_execz .LBB246_132
.LBB246_150:
	s_mul_i32 s18, s46, 0x300
	s_mov_b32 s19, 0
	s_lshl_b64 s[18:19], s[18:19], 1
	s_waitcnt lgkmcnt(5)
	v_mov_b32_e32 v7, s19
	v_add_co_u32_e32 v8, vcc, s18, v0
	v_addc_co_u32_e32 v9, vcc, v1, v7, vcc
	s_waitcnt lgkmcnt(4)
	global_store_short v[8:9], v6, off
	s_or_b64 exec, exec, s[16:17]
	s_and_saveexec_b64 s[16:17], s[8:9]
	s_cbranch_execz .LBB246_133
.LBB246_151:
	s_lshl_b32 s18, s46, 10
	s_mov_b32 s19, 0
	s_lshl_b64 s[18:19], s[18:19], 1
	s_waitcnt lgkmcnt(5)
	v_mov_b32_e32 v7, s19
	s_waitcnt lgkmcnt(4)
	v_add_co_u32_e32 v6, vcc, s18, v0
	v_addc_co_u32_e32 v7, vcc, v1, v7, vcc
	s_waitcnt lgkmcnt(3)
	global_store_short v[6:7], v5, off
	s_or_b64 exec, exec, s[16:17]
	s_and_saveexec_b64 s[16:17], s[10:11]
	s_cbranch_execz .LBB246_134
.LBB246_152:
	s_mul_i32 s18, s46, 0x500
	s_mov_b32 s19, 0
	s_lshl_b64 s[18:19], s[18:19], 1
	s_waitcnt lgkmcnt(3)
	v_mov_b32_e32 v5, s19
	v_add_co_u32_e32 v6, vcc, s18, v0
	v_addc_co_u32_e32 v7, vcc, v1, v5, vcc
	s_waitcnt lgkmcnt(2)
	global_store_short v[6:7], v4, off
	s_or_b64 exec, exec, s[16:17]
	s_and_saveexec_b64 s[16:17], s[12:13]
	s_cbranch_execz .LBB246_135
.LBB246_153:
	s_mul_i32 s18, s46, 0x600
	s_mov_b32 s19, 0
	s_lshl_b64 s[18:19], s[18:19], 1
	s_waitcnt lgkmcnt(3)
	v_mov_b32_e32 v5, s19
	s_waitcnt lgkmcnt(2)
	v_add_co_u32_e32 v4, vcc, s18, v0
	v_addc_co_u32_e32 v5, vcc, v1, v5, vcc
	s_waitcnt lgkmcnt(1)
	global_store_short v[4:5], v3, off
	s_or_b64 exec, exec, s[16:17]
	s_and_saveexec_b64 s[16:17], s[14:15]
	s_cbranch_execnz .LBB246_136
	s_branch .LBB246_137
.LBB246_154:
	ds_read_b64 v[16:17], v55
	s_waitcnt lgkmcnt(0)
	global_store_dwordx2 v[2:3], v[16:17], off
	s_or_b64 exec, exec, s[16:17]
	s_and_saveexec_b64 s[0:1], s[2:3]
	s_cbranch_execz .LBB246_139
.LBB246_155:
	s_lshl_b32 s2, s48, 8
	s_mov_b32 s3, 0
	s_lshl_b64 s[2:3], s[2:3], 3
	v_mov_b32_e32 v17, s3
	v_add_co_u32_e32 v16, vcc, s2, v2
	v_addc_co_u32_e32 v17, vcc, v3, v17, vcc
	s_waitcnt lgkmcnt(6)
	global_store_dwordx2 v[16:17], v[14:15], off
	s_or_b64 exec, exec, s[0:1]
	s_and_saveexec_b64 s[0:1], s[4:5]
	s_cbranch_execz .LBB246_140
.LBB246_156:
	s_lshl_b32 s2, s48, 9
	s_mov_b32 s3, 0
	s_lshl_b64 s[2:3], s[2:3], 3
	s_waitcnt lgkmcnt(6)
	v_mov_b32_e32 v15, s3
	v_add_co_u32_e32 v14, vcc, s2, v2
	v_addc_co_u32_e32 v15, vcc, v3, v15, vcc
	s_waitcnt lgkmcnt(5)
	global_store_dwordx2 v[14:15], v[12:13], off
	s_or_b64 exec, exec, s[0:1]
	s_and_saveexec_b64 s[0:1], s[6:7]
	s_cbranch_execz .LBB246_141
.LBB246_157:
	s_mul_i32 s2, s48, 0x300
	s_mov_b32 s3, 0
	s_lshl_b64 s[2:3], s[2:3], 3
	s_waitcnt lgkmcnt(5)
	v_mov_b32_e32 v13, s3
	v_add_co_u32_e32 v12, vcc, s2, v2
	v_addc_co_u32_e32 v13, vcc, v3, v13, vcc
	s_waitcnt lgkmcnt(4)
	global_store_dwordx2 v[12:13], v[10:11], off
	s_or_b64 exec, exec, s[0:1]
	s_and_saveexec_b64 s[0:1], s[8:9]
	s_cbranch_execz .LBB246_142
.LBB246_158:
	s_lshl_b32 s2, s48, 10
	s_mov_b32 s3, 0
	s_lshl_b64 s[2:3], s[2:3], 3
	s_waitcnt lgkmcnt(4)
	v_mov_b32_e32 v11, s3
	v_add_co_u32_e32 v10, vcc, s2, v2
	v_addc_co_u32_e32 v11, vcc, v3, v11, vcc
	s_waitcnt lgkmcnt(3)
	global_store_dwordx2 v[10:11], v[8:9], off
	s_or_b64 exec, exec, s[0:1]
	s_and_saveexec_b64 s[0:1], s[10:11]
	s_cbranch_execz .LBB246_143
.LBB246_159:
	s_mul_i32 s2, s48, 0x500
	s_mov_b32 s3, 0
	s_lshl_b64 s[2:3], s[2:3], 3
	s_waitcnt lgkmcnt(3)
	v_mov_b32_e32 v9, s3
	v_add_co_u32_e32 v8, vcc, s2, v2
	v_addc_co_u32_e32 v9, vcc, v3, v9, vcc
	s_waitcnt lgkmcnt(2)
	global_store_dwordx2 v[8:9], v[6:7], off
	s_or_b64 exec, exec, s[0:1]
	s_and_saveexec_b64 s[0:1], s[12:13]
	s_cbranch_execz .LBB246_144
.LBB246_160:
	s_mul_i32 s2, s48, 0x600
	s_mov_b32 s3, 0
	s_lshl_b64 s[2:3], s[2:3], 3
	s_waitcnt lgkmcnt(2)
	v_mov_b32_e32 v7, s3
	v_add_co_u32_e32 v6, vcc, s2, v2
	v_addc_co_u32_e32 v7, vcc, v3, v7, vcc
	s_waitcnt lgkmcnt(1)
	global_store_dwordx2 v[6:7], v[4:5], off
	s_or_b64 exec, exec, s[0:1]
	s_and_saveexec_b64 s[0:1], s[14:15]
	s_cbranch_execnz .LBB246_145
	s_branch .LBB246_146
	.section	.rodata,"a",@progbits
	.p2align	6, 0x0
	.amdhsa_kernel _ZN2at6native18radixSortKVInPlaceILi2ELin1ELi256ELi8EN3c108BFloat16EljEEvNS_4cuda6detail10TensorInfoIT3_T5_EES8_S8_S8_NS6_IT4_S8_EES8_b
		.amdhsa_group_segment_fixed_size 16896
		.amdhsa_private_segment_fixed_size 0
		.amdhsa_kernarg_size 712
		.amdhsa_user_sgpr_count 6
		.amdhsa_user_sgpr_private_segment_buffer 1
		.amdhsa_user_sgpr_dispatch_ptr 0
		.amdhsa_user_sgpr_queue_ptr 0
		.amdhsa_user_sgpr_kernarg_segment_ptr 1
		.amdhsa_user_sgpr_dispatch_id 0
		.amdhsa_user_sgpr_flat_scratch_init 0
		.amdhsa_user_sgpr_kernarg_preload_length 0
		.amdhsa_user_sgpr_kernarg_preload_offset 0
		.amdhsa_user_sgpr_private_segment_size 0
		.amdhsa_uses_dynamic_stack 0
		.amdhsa_system_sgpr_private_segment_wavefront_offset 0
		.amdhsa_system_sgpr_workgroup_id_x 1
		.amdhsa_system_sgpr_workgroup_id_y 1
		.amdhsa_system_sgpr_workgroup_id_z 1
		.amdhsa_system_sgpr_workgroup_info 0
		.amdhsa_system_vgpr_workitem_id 2
		.amdhsa_next_free_vgpr 108
		.amdhsa_next_free_sgpr 55
		.amdhsa_accum_offset 108
		.amdhsa_reserve_vcc 1
		.amdhsa_reserve_flat_scratch 0
		.amdhsa_float_round_mode_32 0
		.amdhsa_float_round_mode_16_64 0
		.amdhsa_float_denorm_mode_32 3
		.amdhsa_float_denorm_mode_16_64 3
		.amdhsa_dx10_clamp 1
		.amdhsa_ieee_mode 1
		.amdhsa_fp16_overflow 0
		.amdhsa_tg_split 0
		.amdhsa_exception_fp_ieee_invalid_op 0
		.amdhsa_exception_fp_denorm_src 0
		.amdhsa_exception_fp_ieee_div_zero 0
		.amdhsa_exception_fp_ieee_overflow 0
		.amdhsa_exception_fp_ieee_underflow 0
		.amdhsa_exception_fp_ieee_inexact 0
		.amdhsa_exception_int_div_zero 0
	.end_amdhsa_kernel
	.section	.text._ZN2at6native18radixSortKVInPlaceILi2ELin1ELi256ELi8EN3c108BFloat16EljEEvNS_4cuda6detail10TensorInfoIT3_T5_EES8_S8_S8_NS6_IT4_S8_EES8_b,"axG",@progbits,_ZN2at6native18radixSortKVInPlaceILi2ELin1ELi256ELi8EN3c108BFloat16EljEEvNS_4cuda6detail10TensorInfoIT3_T5_EES8_S8_S8_NS6_IT4_S8_EES8_b,comdat
.Lfunc_end246:
	.size	_ZN2at6native18radixSortKVInPlaceILi2ELin1ELi256ELi8EN3c108BFloat16EljEEvNS_4cuda6detail10TensorInfoIT3_T5_EES8_S8_S8_NS6_IT4_S8_EES8_b, .Lfunc_end246-_ZN2at6native18radixSortKVInPlaceILi2ELin1ELi256ELi8EN3c108BFloat16EljEEvNS_4cuda6detail10TensorInfoIT3_T5_EES8_S8_S8_NS6_IT4_S8_EES8_b
                                        ; -- End function
	.section	.AMDGPU.csdata,"",@progbits
; Kernel info:
; codeLenInByte = 21516
; NumSgprs: 59
; NumVgprs: 108
; NumAgprs: 0
; TotalNumVgprs: 108
; ScratchSize: 0
; MemoryBound: 0
; FloatMode: 240
; IeeeMode: 1
; LDSByteSize: 16896 bytes/workgroup (compile time only)
; SGPRBlocks: 7
; VGPRBlocks: 13
; NumSGPRsForWavesPerEU: 59
; NumVGPRsForWavesPerEU: 108
; AccumOffset: 108
; Occupancy: 3
; WaveLimiterHint : 1
; COMPUTE_PGM_RSRC2:SCRATCH_EN: 0
; COMPUTE_PGM_RSRC2:USER_SGPR: 6
; COMPUTE_PGM_RSRC2:TRAP_HANDLER: 0
; COMPUTE_PGM_RSRC2:TGID_X_EN: 1
; COMPUTE_PGM_RSRC2:TGID_Y_EN: 1
; COMPUTE_PGM_RSRC2:TGID_Z_EN: 1
; COMPUTE_PGM_RSRC2:TIDIG_COMP_CNT: 2
; COMPUTE_PGM_RSRC3_GFX90A:ACCUM_OFFSET: 26
; COMPUTE_PGM_RSRC3_GFX90A:TG_SPLIT: 0
	.section	.text._ZN2at6native18radixSortKVInPlaceILi2ELin1ELi128ELi8EN3c108BFloat16EljEEvNS_4cuda6detail10TensorInfoIT3_T5_EES8_S8_S8_NS6_IT4_S8_EES8_b,"axG",@progbits,_ZN2at6native18radixSortKVInPlaceILi2ELin1ELi128ELi8EN3c108BFloat16EljEEvNS_4cuda6detail10TensorInfoIT3_T5_EES8_S8_S8_NS6_IT4_S8_EES8_b,comdat
	.protected	_ZN2at6native18radixSortKVInPlaceILi2ELin1ELi128ELi8EN3c108BFloat16EljEEvNS_4cuda6detail10TensorInfoIT3_T5_EES8_S8_S8_NS6_IT4_S8_EES8_b ; -- Begin function _ZN2at6native18radixSortKVInPlaceILi2ELin1ELi128ELi8EN3c108BFloat16EljEEvNS_4cuda6detail10TensorInfoIT3_T5_EES8_S8_S8_NS6_IT4_S8_EES8_b
	.globl	_ZN2at6native18radixSortKVInPlaceILi2ELin1ELi128ELi8EN3c108BFloat16EljEEvNS_4cuda6detail10TensorInfoIT3_T5_EES8_S8_S8_NS6_IT4_S8_EES8_b
	.p2align	8
	.type	_ZN2at6native18radixSortKVInPlaceILi2ELin1ELi128ELi8EN3c108BFloat16EljEEvNS_4cuda6detail10TensorInfoIT3_T5_EES8_S8_S8_NS6_IT4_S8_EES8_b,@function
_ZN2at6native18radixSortKVInPlaceILi2ELin1ELi128ELi8EN3c108BFloat16EljEEvNS_4cuda6detail10TensorInfoIT3_T5_EES8_S8_S8_NS6_IT4_S8_EES8_b: ; @_ZN2at6native18radixSortKVInPlaceILi2ELin1ELi128ELi8EN3c108BFloat16EljEEvNS_4cuda6detail10TensorInfoIT3_T5_EES8_S8_S8_NS6_IT4_S8_EES8_b
; %bb.0:
	s_load_dwordx2 s[0:1], s[4:5], 0x1c8
	s_load_dwordx4 s[44:47], s[4:5], 0xd8
	s_add_u32 s50, s4, 0x1c8
	s_addc_u32 s51, s5, 0
	s_waitcnt lgkmcnt(0)
	s_mul_i32 s1, s1, s8
	s_add_i32 s1, s1, s7
	s_mul_i32 s8, s1, s0
	s_add_i32 s8, s8, s6
	s_cmp_ge_u32 s8, s44
	s_cbranch_scc1 .LBB247_146
; %bb.1:
	s_load_dword s9, s[4:5], 0xc
	s_load_dwordx2 s[0:1], s[4:5], 0x6c
	s_load_dword s6, s[4:5], 0x1b8
	s_add_u32 s14, s4, 0xe8
	s_load_dwordx2 s[2:3], s[4:5], 0x0
	s_waitcnt lgkmcnt(0)
	v_cvt_f32_u32_e32 v1, s9
	s_addc_u32 s15, s5, 0
	s_sub_i32 s7, 0, s9
	s_mov_b32 s17, 0
	v_rcp_iflag_f32_e32 v1, v1
	s_mov_b32 s16, s8
	v_mul_f32_e32 v1, 0x4f7ffffe, v1
	v_cvt_u32_f32_e32 v1, v1
	v_readfirstlane_b32 s10, v1
	s_mul_i32 s7, s7, s10
	s_mul_hi_u32 s7, s10, s7
	s_add_i32 s10, s10, s7
	s_mul_hi_u32 s10, s8, s10
	s_cmp_lt_i32 s6, 2
	s_cbranch_scc1 .LBB247_4
; %bb.2:
	s_add_i32 s16, s6, -1
	s_add_i32 s11, s6, 1
	s_lshl_b64 s[6:7], s[16:17], 2
	s_add_u32 s6, s6, s14
	s_addc_u32 s7, s7, s15
	s_add_u32 s6, s6, 8
	s_addc_u32 s7, s7, 0
	s_mov_b32 s16, s8
.LBB247_3:                              ; =>This Inner Loop Header: Depth=1
	s_load_dword s12, s[6:7], 0x0
	s_load_dword s18, s[6:7], 0x64
	s_mov_b32 s13, s16
	s_waitcnt lgkmcnt(0)
	v_cvt_f32_u32_e32 v1, s12
	s_sub_i32 s16, 0, s12
	v_rcp_iflag_f32_e32 v1, v1
	v_mul_f32_e32 v1, 0x4f7ffffe, v1
	v_cvt_u32_f32_e32 v1, v1
	v_readfirstlane_b32 s19, v1
	s_mul_i32 s16, s16, s19
	s_mul_hi_u32 s16, s19, s16
	s_add_i32 s19, s19, s16
	s_mul_hi_u32 s16, s13, s19
	s_mul_i32 s19, s16, s12
	s_sub_i32 s19, s13, s19
	s_add_i32 s20, s16, 1
	s_sub_i32 s21, s19, s12
	s_cmp_ge_u32 s19, s12
	s_cselect_b32 s16, s20, s16
	s_cselect_b32 s19, s21, s19
	s_add_i32 s20, s16, 1
	s_cmp_ge_u32 s19, s12
	s_cselect_b32 s16, s20, s16
	s_mul_i32 s12, s16, s12
	s_sub_i32 s12, s13, s12
	s_mul_i32 s12, s18, s12
	s_add_i32 s11, s11, -1
	s_add_i32 s17, s12, s17
	s_add_u32 s6, s6, -4
	s_addc_u32 s7, s7, -1
	s_cmp_gt_u32 s11, 2
	s_cbranch_scc1 .LBB247_3
.LBB247_4:
	s_mul_i32 s6, s10, s9
	s_sub_i32 s6, s8, s6
	s_add_i32 s7, s10, 1
	s_sub_i32 s11, s6, s9
	s_cmp_ge_u32 s6, s9
	s_cselect_b32 s7, s7, s10
	s_cselect_b32 s6, s11, s6
	s_add_i32 s10, s7, 1
	s_cmp_ge_u32 s6, s9
	s_cselect_b32 s6, s10, s7
	s_load_dwordx2 s[48:49], s[4:5], 0x1c0
	s_mul_i32 s7, s6, s9
	s_sub_i32 s4, s8, s7
	s_mul_i32 s4, s4, s1
	s_mul_i32 s0, s6, s0
	s_add_i32 s0, s0, s4
	s_waitcnt lgkmcnt(0)
	s_bitcmp1_b32 s49, 0
	s_cselect_b64 s[34:35], -1, 0
	s_mov_b32 s1, 0xffff
	s_and_b64 s[4:5], s[34:35], exec
	s_cselect_b32 s22, s1, 0x7fff
	s_mov_b32 s1, 0
	s_lshl_b64 s[0:1], s[0:1], 1
	s_add_u32 s33, s2, s0
	v_and_b32_e32 v46, 0x3ff, v0
	s_addc_u32 s44, s3, s1
	v_cmp_gt_u32_e64 s[0:1], s45, v46
	v_mov_b32_e32 v1, s22
	v_mul_lo_u32 v42, v46, s46
	s_and_saveexec_b64 s[2:3], s[0:1]
	s_cbranch_execz .LBB247_6
; %bb.5:
	v_mov_b32_e32 v43, 0
	v_lshlrev_b64 v[2:3], 1, v[42:43]
	v_mov_b32_e32 v1, s44
	v_add_co_u32_e32 v2, vcc, s33, v2
	v_addc_co_u32_e32 v3, vcc, v1, v3, vcc
	global_load_ushort v1, v[2:3], off
.LBB247_6:
	s_or_b64 exec, exec, s[2:3]
	v_add_u32_e32 v36, 0x80, v46
	v_cmp_gt_u32_e64 s[2:3], s45, v36
	v_mov_b32_e32 v2, s22
	s_and_saveexec_b64 s[4:5], s[2:3]
	s_cbranch_execz .LBB247_8
; %bb.7:
	v_mul_lo_u32 v2, v36, s46
	v_mov_b32_e32 v3, 0
	v_lshlrev_b64 v[2:3], 1, v[2:3]
	v_mov_b32_e32 v4, s44
	v_add_co_u32_e32 v2, vcc, s33, v2
	v_addc_co_u32_e32 v3, vcc, v4, v3, vcc
	global_load_ushort v2, v[2:3], off
.LBB247_8:
	s_or_b64 exec, exec, s[4:5]
	v_add_u32_e32 v35, 0x100, v46
	v_cmp_gt_u32_e64 s[4:5], s45, v35
	v_mov_b32_e32 v3, s22
	s_and_saveexec_b64 s[6:7], s[4:5]
	s_cbranch_execz .LBB247_10
; %bb.9:
	v_mul_lo_u32 v4, v35, s46
	v_mov_b32_e32 v5, 0
	v_lshlrev_b64 v[4:5], 1, v[4:5]
	v_mov_b32_e32 v3, s44
	v_add_co_u32_e32 v4, vcc, s33, v4
	v_addc_co_u32_e32 v5, vcc, v3, v5, vcc
	global_load_ushort v3, v[4:5], off
.LBB247_10:
	;; [unrolled: 15-line block ×5, first 2 shown]
	s_or_b64 exec, exec, s[12:13]
	s_load_dwordx2 s[18:19], s[14:15], 0x0
	v_add_u32_e32 v26, 0x300, v46
	v_cmp_gt_u32_e64 s[12:13], s45, v26
	v_mov_b32_e32 v7, s22
	s_and_saveexec_b64 s[20:21], s[12:13]
	s_cbranch_execz .LBB247_18
; %bb.17:
	v_mul_lo_u32 v8, v26, s46
	v_mov_b32_e32 v9, 0
	v_lshlrev_b64 v[8:9], 1, v[8:9]
	v_mov_b32_e32 v7, s44
	v_add_co_u32_e32 v8, vcc, s33, v8
	v_addc_co_u32_e32 v9, vcc, v7, v9, vcc
	global_load_ushort v7, v[8:9], off
.LBB247_18:
	s_or_b64 exec, exec, s[20:21]
	s_load_dword s23, s[14:15], 0x6c
	v_add_u32_e32 v22, 0x380, v46
	v_cmp_gt_u32_e64 s[14:15], s45, v22
	v_mov_b32_e32 v8, s22
	s_and_saveexec_b64 s[20:21], s[14:15]
	s_cbranch_execz .LBB247_20
; %bb.19:
	v_mul_lo_u32 v8, v22, s46
	v_mov_b32_e32 v9, 0
	v_lshlrev_b64 v[8:9], 1, v[8:9]
	v_mov_b32_e32 v10, s44
	v_add_co_u32_e32 v8, vcc, s33, v8
	v_addc_co_u32_e32 v9, vcc, v10, v9, vcc
	global_load_ushort v8, v[8:9], off
.LBB247_20:
	s_or_b64 exec, exec, s[20:21]
	v_lshrrev_b32_e32 v34, 5, v46
	v_and_b32_e32 v9, 30, v34
	v_add_lshl_u32 v47, v9, v46, 1
	v_lshrrev_b32_e32 v32, 5, v36
	s_waitcnt vmcnt(0)
	ds_write_b16 v47, v1
	v_and_b32_e32 v1, 62, v32
	v_lshrrev_b32_e32 v31, 5, v35
	v_add_lshl_u32 v43, v1, v46, 1
	v_and_b32_e32 v1, 62, v31
	v_lshrrev_b32_e32 v29, 5, v33
	v_add_lshl_u32 v48, v1, v46, 1
	;; [unrolled: 3-line block ×5, first 2 shown]
	v_and_b32_e32 v1, 62, v23
	v_add_lshl_u32 v52, v1, v46, 1
	v_lshrrev_b32_e32 v1, 5, v22
	ds_write_b16 v43, v2 offset:256
	v_and_b32_e32 v2, 62, v1
	v_lshrrev_b32_e32 v24, 2, v46
	v_add_lshl_u32 v53, v2, v46, 1
	v_lshlrev_b32_e32 v63, 3, v46
	v_and_b32_e32 v2, 0xfe, v24
	s_waitcnt lgkmcnt(0)
	s_mul_i32 s16, s23, s16
	v_add_lshl_u32 v54, v2, v63, 1
	s_add_i32 s16, s16, s17
	s_mov_b32 s17, 0
	ds_write_b16 v48, v3 offset:512
	ds_write_b16 v49, v4 offset:768
	;; [unrolled: 1-line block ×6, first 2 shown]
	s_waitcnt lgkmcnt(0)
	s_barrier
	ds_read_b128 v[18:21], v54
	s_lshl_b64 s[20:21], s[16:17], 3
	s_add_u32 s45, s18, s20
	s_mov_b32 s16, s17
	s_addc_u32 s47, s19, s21
	s_mov_b32 s18, s17
	s_mov_b32 s19, s17
	;; [unrolled: 1-line block ×14, first 2 shown]
	v_pk_mov_b32 v[2:3], s[16:17], s[16:17] op_sel:[0,1]
	v_pk_mov_b32 v[4:5], s[18:19], s[18:19] op_sel:[0,1]
	;; [unrolled: 1-line block ×8, first 2 shown]
	v_pk_mov_b32 v[2:3], 0, 0
	v_mul_lo_u32 v44, v46, s48
	s_waitcnt lgkmcnt(0)
	s_barrier
	s_and_saveexec_b64 s[16:17], s[0:1]
	s_cbranch_execnz .LBB247_75
; %bb.21:
	s_or_b64 exec, exec, s[16:17]
	s_and_saveexec_b64 s[16:17], s[2:3]
	s_cbranch_execnz .LBB247_76
.LBB247_22:
	s_or_b64 exec, exec, s[16:17]
	s_and_saveexec_b64 s[16:17], s[4:5]
	s_cbranch_execnz .LBB247_77
.LBB247_23:
	s_or_b64 exec, exec, s[16:17]
	s_and_saveexec_b64 s[16:17], s[6:7]
	s_cbranch_execnz .LBB247_78
.LBB247_24:
	s_or_b64 exec, exec, s[16:17]
	s_and_saveexec_b64 s[16:17], s[8:9]
	s_cbranch_execnz .LBB247_79
.LBB247_25:
	s_or_b64 exec, exec, s[16:17]
	s_and_saveexec_b64 s[16:17], s[10:11]
	s_cbranch_execnz .LBB247_80
.LBB247_26:
	s_or_b64 exec, exec, s[16:17]
	s_and_saveexec_b64 s[16:17], s[12:13]
	s_cbranch_execnz .LBB247_81
.LBB247_27:
	s_or_b64 exec, exec, s[16:17]
	s_xor_b64 s[16:17], s[34:35], -1
	s_and_saveexec_b64 s[18:19], s[14:15]
	s_cbranch_execz .LBB247_29
.LBB247_28:
	v_mul_lo_u32 v16, v22, s48
	v_mov_b32_e32 v17, 0
	v_lshlrev_b64 v[16:17], 3, v[16:17]
	v_mov_b32_e32 v22, s47
	v_add_co_u32_e32 v16, vcc, s45, v16
	v_addc_co_u32_e32 v17, vcc, v22, v17, vcc
	global_load_dwordx2 v[16:17], v[16:17], off
.LBB247_29:
	s_or_b64 exec, exec, s[18:19]
	v_add_lshl_u32 v55, v34, v46, 3
	v_add_lshl_u32 v45, v32, v46, 3
	;; [unrolled: 1-line block ×9, first 2 shown]
	s_waitcnt vmcnt(0)
	ds_write_b64 v55, v[2:3]
	ds_write_b64 v45, v[4:5] offset:1024
	ds_write_b64 v56, v[6:7] offset:2048
	;; [unrolled: 1-line block ×7, first 2 shown]
	s_waitcnt lgkmcnt(0)
	s_barrier
	ds_read2_b64 v[14:17], v62 offset1:1
	ds_read2_b64 v[10:13], v62 offset0:2 offset1:3
	ds_read2_b64 v[6:9], v62 offset0:4 offset1:5
	;; [unrolled: 1-line block ×3, first 2 shown]
	s_and_b64 vcc, exec, s[16:17]
	v_bfe_u32 v65, v0, 10, 10
	v_bfe_u32 v66, v0, 20, 10
	v_mbcnt_lo_u32_b32 v67, -1, 0
	v_lshlrev_b32_e32 v64, 4, v46
	s_waitcnt lgkmcnt(0)
	s_barrier
	s_cbranch_vccz .LBB247_82
; %bb.30:
	s_movk_i32 s16, 0x8000
	v_pk_ashrrev_i16 v24, 15, v18 op_sel_hi:[0,1]
	v_or_b32_e32 v25, 0xffff8000, v24
	v_or_b32_sdwa v24, v24, s16 dst_sel:DWORD dst_unused:UNUSED_PAD src0_sel:WORD_1 src1_sel:DWORD
	v_pk_ashrrev_i16 v22, 15, v19 op_sel_hi:[0,1]
	v_xor_b32_sdwa v26, v24, v18 dst_sel:DWORD dst_unused:UNUSED_PAD src0_sel:DWORD src1_sel:WORD_1
	v_pk_ashrrev_i16 v24, 15, v21 op_sel_hi:[0,1]
	v_pk_ashrrev_i16 v28, 15, v20 op_sel_hi:[0,1]
	v_mbcnt_hi_u32_b32 v76, -1, v67
	v_and_b32_e32 v40, 0x3c0, v46
	v_or_b32_e32 v23, 0xffff8000, v22
	v_or_b32_sdwa v22, v22, s16 dst_sel:DWORD dst_unused:UNUSED_PAD src0_sel:WORD_1 src1_sel:DWORD
	v_xor_b32_e32 v27, v25, v18
	v_or_b32_e32 v25, 0xffff8000, v24
	v_or_b32_e32 v29, 0xffff8000, v28
	v_or_b32_sdwa v24, v24, s16 dst_sel:DWORD dst_unused:UNUSED_PAD src0_sel:WORD_1 src1_sel:DWORD
	v_or_b32_sdwa v28, v28, s16 dst_sel:DWORD dst_unused:UNUSED_PAD src0_sel:WORD_1 src1_sel:DWORD
	v_add_u32_e32 v0, v76, v40
	v_xor_b32_sdwa v22, v22, v19 dst_sel:DWORD dst_unused:UNUSED_PAD src0_sel:DWORD src1_sel:WORD_1
	v_xor_b32_e32 v23, v23, v19
	v_xor_b32_sdwa v28, v28, v20 dst_sel:DWORD dst_unused:UNUSED_PAD src0_sel:DWORD src1_sel:WORD_1
	v_xor_b32_sdwa v24, v24, v21 dst_sel:DWORD dst_unused:UNUSED_PAD src0_sel:DWORD src1_sel:WORD_1
	v_xor_b32_e32 v29, v29, v20
	v_xor_b32_e32 v25, v25, v21
	s_mov_b32 s16, 0x5040100
	v_lshlrev_b32_e32 v1, 4, v0
	v_perm_b32 v25, v24, v25, s16
	v_perm_b32 v24, v28, v29, s16
	;; [unrolled: 1-line block ×4, first 2 shown]
	v_and_b32_e32 v82, 0x1e00, v63
	ds_write_b128 v1, v[22:25]
	v_or_b32_e32 v1, v76, v82
	v_lshlrev_b32_e32 v22, 1, v1
	v_lshlrev_b32_e32 v0, 6, v0
	; wave barrier
	ds_read_u16 v79, v22
	ds_read_u16 v78, v22 offset:128
	ds_read_u16 v77, v22 offset:256
	;; [unrolled: 1-line block ×7, first 2 shown]
	s_waitcnt lgkmcnt(0)
	s_barrier
	ds_write2_b64 v0, v[14:15], v[16:17] offset1:1
	ds_write2_b64 v0, v[10:11], v[12:13] offset0:2 offset1:3
	ds_write2_b64 v0, v[6:7], v[8:9] offset0:4 offset1:5
	;; [unrolled: 1-line block ×3, first 2 shown]
	v_lshlrev_b32_e32 v0, 3, v1
	; wave barrier
	ds_read2st64_b64 v[34:37], v0 offset1:1
	ds_read2st64_b64 v[30:33], v0 offset0:2 offset1:3
	ds_read2st64_b64 v[26:29], v0 offset0:4 offset1:5
	;; [unrolled: 1-line block ×3, first 2 shown]
	s_waitcnt lgkmcnt(0)
	s_barrier
	s_load_dword s18, s[50:51], 0xc
	s_getpc_b64 s[16:17]
	s_add_u32 s16, s16, _ZN7rocprim17ROCPRIM_400000_NS16block_radix_sortI12hip_bfloat16Lj128ELj8ElLj1ELj1ELj0ELNS0_26block_radix_rank_algorithmE1ELNS0_18block_padding_hintE2ELNS0_4arch9wavefront6targetE1EE19radix_bits_per_passE@rel32@lo+4
	s_addc_u32 s17, s17, _ZN7rocprim17ROCPRIM_400000_NS16block_radix_sortI12hip_bfloat16Lj128ELj8ElLj1ELj1ELj0ELNS0_26block_radix_rank_algorithmE1ELNS0_18block_padding_hintE2ELNS0_4arch9wavefront6targetE1EE19radix_bits_per_passE@rel32@hi+12
	s_load_dword s40, s[16:17], 0x0
	s_movk_i32 s19, 0x7fff
	v_mov_b32_e32 v41, 0xffff8000
	s_waitcnt lgkmcnt(0)
	s_lshr_b32 s16, s18, 16
	s_and_b32 s17, s18, 0xffff
	v_mad_u32_u24 v1, v66, s16, v65
	v_mad_u64_u32 v[38:39], s[16:17], v1, s17, v[46:47]
	s_min_u32 s16, s40, 16
	s_lshl_b32 s16, -1, s16
	v_cmp_ne_u16_e32 vcc, s19, v79
	s_not_b32 s18, s16
	v_cndmask_b32_e32 v1, v41, v79, vcc
	v_lshrrev_b32_e32 v68, 6, v38
	v_and_b32_sdwa v38, s18, v1 dst_sel:DWORD dst_unused:UNUSED_PAD src0_sel:DWORD src1_sel:WORD_0
	v_lshlrev_b32_e32 v1, 1, v38
	v_add_lshl_u32 v83, v68, v1, 2
	v_and_b32_e32 v1, 1, v38
	v_add_co_u32_e32 v39, vcc, -1, v1
	v_addc_co_u32_e64 v69, s[16:17], 0, -1, vcc
	v_cmp_ne_u32_e32 vcc, 0, v1
	v_xor_b32_e32 v1, vcc_hi, v69
	v_mov_b32_e32 v0, 0
	v_and_b32_e32 v69, exec_hi, v1
	v_lshlrev_b32_e32 v1, 30, v38
	v_xor_b32_e32 v39, vcc_lo, v39
	v_cmp_gt_i64_e32 vcc, 0, v[0:1]
	v_not_b32_e32 v1, v1
	v_ashrrev_i32_e32 v1, 31, v1
	v_and_b32_e32 v39, exec_lo, v39
	v_xor_b32_e32 v70, vcc_hi, v1
	v_xor_b32_e32 v1, vcc_lo, v1
	v_and_b32_e32 v39, v39, v1
	v_lshlrev_b32_e32 v1, 29, v38
	v_cmp_gt_i64_e32 vcc, 0, v[0:1]
	v_not_b32_e32 v1, v1
	v_ashrrev_i32_e32 v1, 31, v1
	v_and_b32_e32 v69, v69, v70
	v_xor_b32_e32 v70, vcc_hi, v1
	v_xor_b32_e32 v1, vcc_lo, v1
	v_and_b32_e32 v39, v39, v1
	v_lshlrev_b32_e32 v1, 28, v38
	v_cmp_gt_i64_e32 vcc, 0, v[0:1]
	v_not_b32_e32 v1, v1
	v_ashrrev_i32_e32 v1, 31, v1
	v_and_b32_e32 v69, v69, v70
	;; [unrolled: 8-line block ×5, first 2 shown]
	v_xor_b32_e32 v70, vcc_hi, v1
	v_xor_b32_e32 v1, vcc_lo, v1
	v_and_b32_e32 v69, v69, v70
	v_and_b32_e32 v70, v39, v1
	v_lshlrev_b32_e32 v1, 24, v38
	v_cmp_gt_i64_e32 vcc, 0, v[0:1]
	v_not_b32_e32 v1, v1
	v_ashrrev_i32_e32 v1, 31, v1
	v_xor_b32_e32 v38, vcc_hi, v1
	v_xor_b32_e32 v1, vcc_lo, v1
	v_and_b32_e32 v39, v69, v38
	v_and_b32_e32 v38, v70, v1
	v_mbcnt_lo_u32_b32 v1, v38, 0
	v_mbcnt_hi_u32_b32 v84, v39, v1
	v_cmp_eq_u32_e32 vcc, 0, v84
	v_cmp_ne_u64_e64 s[16:17], 0, v[38:39]
	s_and_b64 s[20:21], s[16:17], vcc
	ds_write2_b32 v64, v0, v0 offset0:2 offset1:3
	ds_write2_b32 v64, v0, v0 offset0:4 offset1:5
	s_waitcnt lgkmcnt(0)
	s_barrier
	s_waitcnt lgkmcnt(0)
	; wave barrier
	s_and_saveexec_b64 s[16:17], s[20:21]
	s_cbranch_execz .LBB247_32
; %bb.31:
	v_bcnt_u32_b32 v1, v38, 0
	v_bcnt_u32_b32 v1, v39, v1
	ds_write_b32 v83, v1 offset:8
.LBB247_32:
	s_or_b64 exec, exec, s[16:17]
	v_cmp_ne_u16_e32 vcc, s19, v78
	v_cndmask_b32_e32 v1, v41, v78, vcc
	v_and_b32_sdwa v38, s18, v1 dst_sel:DWORD dst_unused:UNUSED_PAD src0_sel:DWORD src1_sel:WORD_0
	v_lshlrev_b32_e32 v1, 1, v38
	v_add_lshl_u32 v86, v68, v1, 2
	v_and_b32_e32 v1, 1, v38
	v_add_co_u32_e32 v39, vcc, -1, v1
	v_addc_co_u32_e64 v41, s[16:17], 0, -1, vcc
	v_cmp_ne_u32_e32 vcc, 0, v1
	v_xor_b32_e32 v1, vcc_hi, v41
	v_and_b32_e32 v41, exec_hi, v1
	v_lshlrev_b32_e32 v1, 30, v38
	v_xor_b32_e32 v39, vcc_lo, v39
	v_cmp_gt_i64_e32 vcc, 0, v[0:1]
	v_not_b32_e32 v1, v1
	v_ashrrev_i32_e32 v1, 31, v1
	v_and_b32_e32 v39, exec_lo, v39
	v_xor_b32_e32 v69, vcc_hi, v1
	v_xor_b32_e32 v1, vcc_lo, v1
	v_and_b32_e32 v39, v39, v1
	v_lshlrev_b32_e32 v1, 29, v38
	v_cmp_gt_i64_e32 vcc, 0, v[0:1]
	v_not_b32_e32 v1, v1
	v_ashrrev_i32_e32 v1, 31, v1
	v_and_b32_e32 v41, v41, v69
	v_xor_b32_e32 v69, vcc_hi, v1
	v_xor_b32_e32 v1, vcc_lo, v1
	v_and_b32_e32 v39, v39, v1
	v_lshlrev_b32_e32 v1, 28, v38
	v_cmp_gt_i64_e32 vcc, 0, v[0:1]
	v_not_b32_e32 v1, v1
	v_ashrrev_i32_e32 v1, 31, v1
	v_and_b32_e32 v41, v41, v69
	;; [unrolled: 8-line block ×5, first 2 shown]
	v_xor_b32_e32 v69, vcc_hi, v1
	v_xor_b32_e32 v1, vcc_lo, v1
	v_and_b32_e32 v39, v39, v1
	v_lshlrev_b32_e32 v1, 24, v38
	v_cmp_gt_i64_e32 vcc, 0, v[0:1]
	v_not_b32_e32 v0, v1
	v_ashrrev_i32_e32 v0, 31, v0
	v_xor_b32_e32 v1, vcc_hi, v0
	v_xor_b32_e32 v0, vcc_lo, v0
	; wave barrier
	ds_read_b32 v85, v86 offset:8
	v_and_b32_e32 v41, v41, v69
	v_and_b32_e32 v0, v39, v0
	;; [unrolled: 1-line block ×3, first 2 shown]
	v_mbcnt_lo_u32_b32 v38, v0, 0
	v_mbcnt_hi_u32_b32 v87, v1, v38
	v_cmp_eq_u32_e32 vcc, 0, v87
	v_cmp_ne_u64_e64 s[16:17], 0, v[0:1]
	s_and_b64 s[20:21], s[16:17], vcc
	; wave barrier
	s_and_saveexec_b64 s[16:17], s[20:21]
	s_cbranch_execz .LBB247_34
; %bb.33:
	v_bcnt_u32_b32 v0, v0, 0
	v_bcnt_u32_b32 v0, v1, v0
	s_waitcnt lgkmcnt(0)
	v_add_u32_e32 v0, v85, v0
	ds_write_b32 v86, v0 offset:8
.LBB247_34:
	s_or_b64 exec, exec, s[16:17]
	v_mov_b32_e32 v41, 0xffff8000
	v_cmp_ne_u16_e32 vcc, s19, v77
	v_cndmask_b32_e32 v0, v41, v77, vcc
	v_and_b32_sdwa v38, s18, v0 dst_sel:DWORD dst_unused:UNUSED_PAD src0_sel:DWORD src1_sel:WORD_0
	v_and_b32_e32 v1, 1, v38
	v_add_co_u32_e32 v39, vcc, -1, v1
	v_addc_co_u32_e64 v69, s[16:17], 0, -1, vcc
	v_cmp_ne_u32_e32 vcc, 0, v1
	v_lshlrev_b32_e32 v0, 1, v38
	v_xor_b32_e32 v1, vcc_hi, v69
	v_add_lshl_u32 v89, v68, v0, 2
	v_mov_b32_e32 v0, 0
	v_and_b32_e32 v69, exec_hi, v1
	v_lshlrev_b32_e32 v1, 30, v38
	v_xor_b32_e32 v39, vcc_lo, v39
	v_cmp_gt_i64_e32 vcc, 0, v[0:1]
	v_not_b32_e32 v1, v1
	v_ashrrev_i32_e32 v1, 31, v1
	v_and_b32_e32 v39, exec_lo, v39
	v_xor_b32_e32 v70, vcc_hi, v1
	v_xor_b32_e32 v1, vcc_lo, v1
	v_and_b32_e32 v39, v39, v1
	v_lshlrev_b32_e32 v1, 29, v38
	v_cmp_gt_i64_e32 vcc, 0, v[0:1]
	v_not_b32_e32 v1, v1
	v_ashrrev_i32_e32 v1, 31, v1
	v_and_b32_e32 v69, v69, v70
	v_xor_b32_e32 v70, vcc_hi, v1
	v_xor_b32_e32 v1, vcc_lo, v1
	v_and_b32_e32 v39, v39, v1
	v_lshlrev_b32_e32 v1, 28, v38
	v_cmp_gt_i64_e32 vcc, 0, v[0:1]
	v_not_b32_e32 v1, v1
	v_ashrrev_i32_e32 v1, 31, v1
	v_and_b32_e32 v69, v69, v70
	;; [unrolled: 8-line block ×5, first 2 shown]
	v_xor_b32_e32 v70, vcc_hi, v1
	v_xor_b32_e32 v1, vcc_lo, v1
	v_and_b32_e32 v69, v69, v70
	v_and_b32_e32 v70, v39, v1
	v_lshlrev_b32_e32 v1, 24, v38
	v_cmp_gt_i64_e32 vcc, 0, v[0:1]
	v_not_b32_e32 v1, v1
	v_ashrrev_i32_e32 v1, 31, v1
	v_xor_b32_e32 v38, vcc_hi, v1
	v_xor_b32_e32 v1, vcc_lo, v1
	; wave barrier
	ds_read_b32 v88, v89 offset:8
	v_and_b32_e32 v39, v69, v38
	v_and_b32_e32 v38, v70, v1
	v_mbcnt_lo_u32_b32 v1, v38, 0
	v_mbcnt_hi_u32_b32 v90, v39, v1
	v_cmp_eq_u32_e32 vcc, 0, v90
	v_cmp_ne_u64_e64 s[16:17], 0, v[38:39]
	s_and_b64 s[20:21], s[16:17], vcc
	; wave barrier
	s_and_saveexec_b64 s[16:17], s[20:21]
	s_cbranch_execz .LBB247_36
; %bb.35:
	v_bcnt_u32_b32 v1, v38, 0
	v_bcnt_u32_b32 v1, v39, v1
	s_waitcnt lgkmcnt(0)
	v_add_u32_e32 v1, v88, v1
	ds_write_b32 v89, v1 offset:8
.LBB247_36:
	s_or_b64 exec, exec, s[16:17]
	v_cmp_ne_u16_e32 vcc, s19, v75
	v_cndmask_b32_e32 v1, v41, v75, vcc
	v_and_b32_sdwa v38, s18, v1 dst_sel:DWORD dst_unused:UNUSED_PAD src0_sel:DWORD src1_sel:WORD_0
	v_lshlrev_b32_e32 v1, 1, v38
	v_add_lshl_u32 v92, v68, v1, 2
	v_and_b32_e32 v1, 1, v38
	v_add_co_u32_e32 v39, vcc, -1, v1
	v_addc_co_u32_e64 v41, s[16:17], 0, -1, vcc
	v_cmp_ne_u32_e32 vcc, 0, v1
	v_xor_b32_e32 v1, vcc_hi, v41
	v_and_b32_e32 v41, exec_hi, v1
	v_lshlrev_b32_e32 v1, 30, v38
	v_xor_b32_e32 v39, vcc_lo, v39
	v_cmp_gt_i64_e32 vcc, 0, v[0:1]
	v_not_b32_e32 v1, v1
	v_ashrrev_i32_e32 v1, 31, v1
	v_and_b32_e32 v39, exec_lo, v39
	v_xor_b32_e32 v69, vcc_hi, v1
	v_xor_b32_e32 v1, vcc_lo, v1
	v_and_b32_e32 v39, v39, v1
	v_lshlrev_b32_e32 v1, 29, v38
	v_cmp_gt_i64_e32 vcc, 0, v[0:1]
	v_not_b32_e32 v1, v1
	v_ashrrev_i32_e32 v1, 31, v1
	v_and_b32_e32 v41, v41, v69
	v_xor_b32_e32 v69, vcc_hi, v1
	v_xor_b32_e32 v1, vcc_lo, v1
	v_and_b32_e32 v39, v39, v1
	v_lshlrev_b32_e32 v1, 28, v38
	v_cmp_gt_i64_e32 vcc, 0, v[0:1]
	v_not_b32_e32 v1, v1
	v_ashrrev_i32_e32 v1, 31, v1
	v_and_b32_e32 v41, v41, v69
	;; [unrolled: 8-line block ×5, first 2 shown]
	v_xor_b32_e32 v69, vcc_hi, v1
	v_xor_b32_e32 v1, vcc_lo, v1
	v_and_b32_e32 v39, v39, v1
	v_lshlrev_b32_e32 v1, 24, v38
	v_cmp_gt_i64_e32 vcc, 0, v[0:1]
	v_not_b32_e32 v0, v1
	v_ashrrev_i32_e32 v0, 31, v0
	v_xor_b32_e32 v1, vcc_hi, v0
	v_xor_b32_e32 v0, vcc_lo, v0
	; wave barrier
	ds_read_b32 v91, v92 offset:8
	v_and_b32_e32 v41, v41, v69
	v_and_b32_e32 v0, v39, v0
	;; [unrolled: 1-line block ×3, first 2 shown]
	v_mbcnt_lo_u32_b32 v38, v0, 0
	v_mbcnt_hi_u32_b32 v93, v1, v38
	v_cmp_eq_u32_e32 vcc, 0, v93
	v_cmp_ne_u64_e64 s[16:17], 0, v[0:1]
	s_and_b64 s[20:21], s[16:17], vcc
	; wave barrier
	s_and_saveexec_b64 s[16:17], s[20:21]
	s_cbranch_execz .LBB247_38
; %bb.37:
	v_bcnt_u32_b32 v0, v0, 0
	v_bcnt_u32_b32 v0, v1, v0
	s_waitcnt lgkmcnt(0)
	v_add_u32_e32 v0, v91, v0
	ds_write_b32 v92, v0 offset:8
.LBB247_38:
	s_or_b64 exec, exec, s[16:17]
	v_mov_b32_e32 v41, 0xffff8000
	v_cmp_ne_u16_e32 vcc, s19, v74
	v_cndmask_b32_e32 v0, v41, v74, vcc
	v_and_b32_sdwa v38, s18, v0 dst_sel:DWORD dst_unused:UNUSED_PAD src0_sel:DWORD src1_sel:WORD_0
	v_and_b32_e32 v1, 1, v38
	v_add_co_u32_e32 v39, vcc, -1, v1
	v_addc_co_u32_e64 v69, s[16:17], 0, -1, vcc
	v_cmp_ne_u32_e32 vcc, 0, v1
	v_lshlrev_b32_e32 v0, 1, v38
	v_xor_b32_e32 v1, vcc_hi, v69
	v_add_lshl_u32 v95, v68, v0, 2
	v_mov_b32_e32 v0, 0
	v_and_b32_e32 v69, exec_hi, v1
	v_lshlrev_b32_e32 v1, 30, v38
	v_xor_b32_e32 v39, vcc_lo, v39
	v_cmp_gt_i64_e32 vcc, 0, v[0:1]
	v_not_b32_e32 v1, v1
	v_ashrrev_i32_e32 v1, 31, v1
	v_and_b32_e32 v39, exec_lo, v39
	v_xor_b32_e32 v70, vcc_hi, v1
	v_xor_b32_e32 v1, vcc_lo, v1
	v_and_b32_e32 v39, v39, v1
	v_lshlrev_b32_e32 v1, 29, v38
	v_cmp_gt_i64_e32 vcc, 0, v[0:1]
	v_not_b32_e32 v1, v1
	v_ashrrev_i32_e32 v1, 31, v1
	v_and_b32_e32 v69, v69, v70
	v_xor_b32_e32 v70, vcc_hi, v1
	v_xor_b32_e32 v1, vcc_lo, v1
	v_and_b32_e32 v39, v39, v1
	v_lshlrev_b32_e32 v1, 28, v38
	v_cmp_gt_i64_e32 vcc, 0, v[0:1]
	v_not_b32_e32 v1, v1
	v_ashrrev_i32_e32 v1, 31, v1
	v_and_b32_e32 v69, v69, v70
	;; [unrolled: 8-line block ×5, first 2 shown]
	v_xor_b32_e32 v70, vcc_hi, v1
	v_xor_b32_e32 v1, vcc_lo, v1
	v_and_b32_e32 v69, v69, v70
	v_and_b32_e32 v70, v39, v1
	v_lshlrev_b32_e32 v1, 24, v38
	v_cmp_gt_i64_e32 vcc, 0, v[0:1]
	v_not_b32_e32 v1, v1
	v_ashrrev_i32_e32 v1, 31, v1
	v_xor_b32_e32 v38, vcc_hi, v1
	v_xor_b32_e32 v1, vcc_lo, v1
	; wave barrier
	ds_read_b32 v94, v95 offset:8
	v_and_b32_e32 v39, v69, v38
	v_and_b32_e32 v38, v70, v1
	v_mbcnt_lo_u32_b32 v1, v38, 0
	v_mbcnt_hi_u32_b32 v96, v39, v1
	v_cmp_eq_u32_e32 vcc, 0, v96
	v_cmp_ne_u64_e64 s[16:17], 0, v[38:39]
	s_and_b64 s[20:21], s[16:17], vcc
	; wave barrier
	s_and_saveexec_b64 s[16:17], s[20:21]
	s_cbranch_execz .LBB247_40
; %bb.39:
	v_bcnt_u32_b32 v1, v38, 0
	v_bcnt_u32_b32 v1, v39, v1
	s_waitcnt lgkmcnt(0)
	v_add_u32_e32 v1, v94, v1
	ds_write_b32 v95, v1 offset:8
.LBB247_40:
	s_or_b64 exec, exec, s[16:17]
	v_cmp_ne_u16_e32 vcc, s19, v73
	v_cndmask_b32_e32 v1, v41, v73, vcc
	v_and_b32_sdwa v38, s18, v1 dst_sel:DWORD dst_unused:UNUSED_PAD src0_sel:DWORD src1_sel:WORD_0
	v_lshlrev_b32_e32 v1, 1, v38
	v_add_lshl_u32 v98, v68, v1, 2
	v_and_b32_e32 v1, 1, v38
	v_add_co_u32_e32 v39, vcc, -1, v1
	v_addc_co_u32_e64 v41, s[16:17], 0, -1, vcc
	v_cmp_ne_u32_e32 vcc, 0, v1
	v_xor_b32_e32 v1, vcc_hi, v41
	v_and_b32_e32 v41, exec_hi, v1
	v_lshlrev_b32_e32 v1, 30, v38
	v_xor_b32_e32 v39, vcc_lo, v39
	v_cmp_gt_i64_e32 vcc, 0, v[0:1]
	v_not_b32_e32 v1, v1
	v_ashrrev_i32_e32 v1, 31, v1
	v_and_b32_e32 v39, exec_lo, v39
	v_xor_b32_e32 v69, vcc_hi, v1
	v_xor_b32_e32 v1, vcc_lo, v1
	v_and_b32_e32 v39, v39, v1
	v_lshlrev_b32_e32 v1, 29, v38
	v_cmp_gt_i64_e32 vcc, 0, v[0:1]
	v_not_b32_e32 v1, v1
	v_ashrrev_i32_e32 v1, 31, v1
	v_and_b32_e32 v41, v41, v69
	v_xor_b32_e32 v69, vcc_hi, v1
	v_xor_b32_e32 v1, vcc_lo, v1
	v_and_b32_e32 v39, v39, v1
	v_lshlrev_b32_e32 v1, 28, v38
	v_cmp_gt_i64_e32 vcc, 0, v[0:1]
	v_not_b32_e32 v1, v1
	v_ashrrev_i32_e32 v1, 31, v1
	v_and_b32_e32 v41, v41, v69
	;; [unrolled: 8-line block ×5, first 2 shown]
	v_xor_b32_e32 v69, vcc_hi, v1
	v_xor_b32_e32 v1, vcc_lo, v1
	v_and_b32_e32 v39, v39, v1
	v_lshlrev_b32_e32 v1, 24, v38
	v_cmp_gt_i64_e32 vcc, 0, v[0:1]
	v_not_b32_e32 v0, v1
	v_ashrrev_i32_e32 v0, 31, v0
	v_xor_b32_e32 v1, vcc_hi, v0
	v_xor_b32_e32 v0, vcc_lo, v0
	; wave barrier
	ds_read_b32 v97, v98 offset:8
	v_and_b32_e32 v41, v41, v69
	v_and_b32_e32 v0, v39, v0
	;; [unrolled: 1-line block ×3, first 2 shown]
	v_mbcnt_lo_u32_b32 v38, v0, 0
	v_mbcnt_hi_u32_b32 v99, v1, v38
	v_cmp_eq_u32_e32 vcc, 0, v99
	v_cmp_ne_u64_e64 s[16:17], 0, v[0:1]
	s_and_b64 s[20:21], s[16:17], vcc
	; wave barrier
	s_and_saveexec_b64 s[16:17], s[20:21]
	s_cbranch_execz .LBB247_42
; %bb.41:
	v_bcnt_u32_b32 v0, v0, 0
	v_bcnt_u32_b32 v0, v1, v0
	s_waitcnt lgkmcnt(0)
	v_add_u32_e32 v0, v97, v0
	ds_write_b32 v98, v0 offset:8
.LBB247_42:
	s_or_b64 exec, exec, s[16:17]
	v_mov_b32_e32 v41, 0xffff8000
	v_cmp_ne_u16_e32 vcc, s19, v72
	v_cndmask_b32_e32 v0, v41, v72, vcc
	v_and_b32_sdwa v38, s18, v0 dst_sel:DWORD dst_unused:UNUSED_PAD src0_sel:DWORD src1_sel:WORD_0
	v_and_b32_e32 v1, 1, v38
	v_add_co_u32_e32 v39, vcc, -1, v1
	v_addc_co_u32_e64 v69, s[16:17], 0, -1, vcc
	v_cmp_ne_u32_e32 vcc, 0, v1
	v_lshlrev_b32_e32 v0, 1, v38
	v_xor_b32_e32 v1, vcc_hi, v69
	v_add_lshl_u32 v101, v68, v0, 2
	v_mov_b32_e32 v0, 0
	v_and_b32_e32 v69, exec_hi, v1
	v_lshlrev_b32_e32 v1, 30, v38
	v_xor_b32_e32 v39, vcc_lo, v39
	v_cmp_gt_i64_e32 vcc, 0, v[0:1]
	v_not_b32_e32 v1, v1
	v_ashrrev_i32_e32 v1, 31, v1
	v_and_b32_e32 v39, exec_lo, v39
	v_xor_b32_e32 v70, vcc_hi, v1
	v_xor_b32_e32 v1, vcc_lo, v1
	v_and_b32_e32 v39, v39, v1
	v_lshlrev_b32_e32 v1, 29, v38
	v_cmp_gt_i64_e32 vcc, 0, v[0:1]
	v_not_b32_e32 v1, v1
	v_ashrrev_i32_e32 v1, 31, v1
	v_and_b32_e32 v69, v69, v70
	v_xor_b32_e32 v70, vcc_hi, v1
	v_xor_b32_e32 v1, vcc_lo, v1
	v_and_b32_e32 v39, v39, v1
	v_lshlrev_b32_e32 v1, 28, v38
	v_cmp_gt_i64_e32 vcc, 0, v[0:1]
	v_not_b32_e32 v1, v1
	v_ashrrev_i32_e32 v1, 31, v1
	v_and_b32_e32 v69, v69, v70
	;; [unrolled: 8-line block ×5, first 2 shown]
	v_xor_b32_e32 v70, vcc_hi, v1
	v_xor_b32_e32 v1, vcc_lo, v1
	v_and_b32_e32 v69, v69, v70
	v_and_b32_e32 v70, v39, v1
	v_lshlrev_b32_e32 v1, 24, v38
	v_cmp_gt_i64_e32 vcc, 0, v[0:1]
	v_not_b32_e32 v1, v1
	v_ashrrev_i32_e32 v1, 31, v1
	v_xor_b32_e32 v38, vcc_hi, v1
	v_xor_b32_e32 v1, vcc_lo, v1
	; wave barrier
	ds_read_b32 v100, v101 offset:8
	v_and_b32_e32 v39, v69, v38
	v_and_b32_e32 v38, v70, v1
	v_mbcnt_lo_u32_b32 v1, v38, 0
	v_mbcnt_hi_u32_b32 v102, v39, v1
	v_cmp_eq_u32_e32 vcc, 0, v102
	v_cmp_ne_u64_e64 s[16:17], 0, v[38:39]
	s_and_b64 s[20:21], s[16:17], vcc
	; wave barrier
	s_and_saveexec_b64 s[16:17], s[20:21]
	s_cbranch_execz .LBB247_44
; %bb.43:
	v_bcnt_u32_b32 v1, v38, 0
	v_bcnt_u32_b32 v1, v39, v1
	s_waitcnt lgkmcnt(0)
	v_add_u32_e32 v1, v100, v1
	ds_write_b32 v101, v1 offset:8
.LBB247_44:
	s_or_b64 exec, exec, s[16:17]
	v_cmp_ne_u16_e32 vcc, s19, v71
	v_cndmask_b32_e32 v1, v41, v71, vcc
	v_and_b32_sdwa v38, s18, v1 dst_sel:DWORD dst_unused:UNUSED_PAD src0_sel:DWORD src1_sel:WORD_0
	v_lshlrev_b32_e32 v1, 1, v38
	v_add_lshl_u32 v104, v68, v1, 2
	v_and_b32_e32 v1, 1, v38
	v_add_co_u32_e32 v39, vcc, -1, v1
	v_min_u32_e32 v80, 64, v40
	v_addc_co_u32_e64 v40, s[16:17], 0, -1, vcc
	v_cmp_ne_u32_e32 vcc, 0, v1
	v_xor_b32_e32 v1, vcc_hi, v40
	v_and_b32_e32 v40, exec_hi, v1
	v_lshlrev_b32_e32 v1, 30, v38
	v_xor_b32_e32 v39, vcc_lo, v39
	v_cmp_gt_i64_e32 vcc, 0, v[0:1]
	v_not_b32_e32 v1, v1
	v_ashrrev_i32_e32 v1, 31, v1
	v_and_b32_e32 v39, exec_lo, v39
	v_xor_b32_e32 v41, vcc_hi, v1
	v_xor_b32_e32 v1, vcc_lo, v1
	v_and_b32_e32 v39, v39, v1
	v_lshlrev_b32_e32 v1, 29, v38
	v_cmp_gt_i64_e32 vcc, 0, v[0:1]
	v_not_b32_e32 v1, v1
	v_ashrrev_i32_e32 v1, 31, v1
	v_and_b32_e32 v40, v40, v41
	v_xor_b32_e32 v41, vcc_hi, v1
	v_xor_b32_e32 v1, vcc_lo, v1
	v_and_b32_e32 v39, v39, v1
	v_lshlrev_b32_e32 v1, 28, v38
	v_cmp_gt_i64_e32 vcc, 0, v[0:1]
	v_not_b32_e32 v1, v1
	v_ashrrev_i32_e32 v1, 31, v1
	v_and_b32_e32 v40, v40, v41
	;; [unrolled: 8-line block ×5, first 2 shown]
	v_xor_b32_e32 v41, vcc_hi, v1
	v_xor_b32_e32 v1, vcc_lo, v1
	v_and_b32_e32 v39, v39, v1
	v_lshlrev_b32_e32 v1, 24, v38
	v_cmp_gt_i64_e32 vcc, 0, v[0:1]
	v_not_b32_e32 v0, v1
	v_ashrrev_i32_e32 v0, 31, v0
	v_xor_b32_e32 v1, vcc_hi, v0
	v_xor_b32_e32 v0, vcc_lo, v0
	; wave barrier
	ds_read_b32 v103, v104 offset:8
	v_and_b32_e32 v40, v40, v41
	v_and_b32_e32 v0, v39, v0
	;; [unrolled: 1-line block ×3, first 2 shown]
	v_mbcnt_lo_u32_b32 v38, v0, 0
	v_mbcnt_hi_u32_b32 v105, v1, v38
	v_cmp_eq_u32_e32 vcc, 0, v105
	v_cmp_ne_u64_e64 s[16:17], 0, v[0:1]
	v_or_b32_e32 v69, 8, v64
	v_lshrrev_b32_e32 v70, 6, v46
	s_and_b64 s[18:19], s[16:17], vcc
	; wave barrier
	s_and_saveexec_b64 s[16:17], s[18:19]
	s_cbranch_execz .LBB247_46
; %bb.45:
	v_bcnt_u32_b32 v0, v0, 0
	v_bcnt_u32_b32 v0, v1, v0
	s_waitcnt lgkmcnt(0)
	v_add_u32_e32 v0, v103, v0
	ds_write_b32 v104, v0 offset:8
.LBB247_46:
	s_or_b64 exec, exec, s[16:17]
	; wave barrier
	s_waitcnt lgkmcnt(0)
	s_barrier
	ds_read2_b32 v[38:39], v64 offset0:2 offset1:3
	ds_read2_b32 v[40:41], v69 offset0:2 offset1:3
	v_and_b32_e32 v1, 16, v76
	v_cmp_eq_u32_e32 vcc, 0, v1
	v_or_b32_e32 v1, 63, v80
	v_cmp_eq_u32_e64 s[16:17], v1, v46
	s_waitcnt lgkmcnt(1)
	v_add_u32_e32 v1, v39, v38
	v_and_b32_e32 v0, 15, v76
	s_waitcnt lgkmcnt(0)
	v_add3_u32 v1, v1, v40, v41
	v_cmp_eq_u32_e64 s[20:21], 0, v0
	v_cmp_lt_u32_e64 s[22:23], 1, v0
	v_mov_b32_dpp v41, v1 row_shr:1 row_mask:0xf bank_mask:0xf
	v_cndmask_b32_e64 v41, v41, 0, s[20:21]
	v_add_u32_e32 v1, v41, v1
	v_cmp_lt_u32_e64 s[26:27], 3, v0
	v_cmp_lt_u32_e64 s[28:29], 7, v0
	v_mov_b32_dpp v41, v1 row_shr:2 row_mask:0xf bank_mask:0xf
	v_cndmask_b32_e64 v41, 0, v41, s[22:23]
	v_add_u32_e32 v1, v1, v41
	v_bfe_i32 v81, v76, 4, 1
	v_cmp_lt_u32_e64 s[34:35], 31, v76
	v_mov_b32_dpp v41, v1 row_shr:4 row_mask:0xf bank_mask:0xf
	v_cndmask_b32_e64 v41, 0, v41, s[26:27]
	v_add_u32_e32 v1, v1, v41
	v_lshlrev_b32_e32 v70, 2, v70
	s_nop 0
	v_mov_b32_dpp v41, v1 row_shr:8 row_mask:0xf bank_mask:0xf
	v_cndmask_b32_e64 v0, 0, v41, s[28:29]
	v_add_u32_e32 v0, v1, v0
	s_nop 1
	v_mov_b32_dpp v1, v0 row_bcast:15 row_mask:0xf bank_mask:0xf
	v_and_b32_e32 v1, v81, v1
	v_add_u32_e32 v0, v0, v1
	s_nop 1
	v_mov_b32_dpp v1, v0 row_bcast:31 row_mask:0xf bank_mask:0xf
	v_cndmask_b32_e64 v1, 0, v1, s[34:35]
	v_add_u32_e32 v1, v0, v1
	s_and_saveexec_b64 s[18:19], s[16:17]
	s_cbranch_execz .LBB247_48
; %bb.47:
	ds_write_b32 v70, v1
.LBB247_48:
	s_or_b64 exec, exec, s[18:19]
	v_and_b32_e32 v0, 1, v76
	v_cmp_gt_u32_e64 s[24:25], 2, v46
	v_lshlrev_b32_e32 v41, 2, v46
	v_cmp_eq_u32_e64 s[18:19], 0, v0
	s_waitcnt lgkmcnt(0)
	s_barrier
	s_and_saveexec_b64 s[30:31], s[24:25]
	s_cbranch_execz .LBB247_50
; %bb.49:
	ds_read_b32 v0, v41
	s_waitcnt lgkmcnt(0)
	s_nop 0
	v_mov_b32_dpp v80, v0 row_shr:1 row_mask:0xf bank_mask:0xf
	v_cndmask_b32_e64 v80, v80, 0, s[18:19]
	v_add_u32_e32 v0, v80, v0
	ds_write_b32 v41, v0
.LBB247_50:
	s_or_b64 exec, exec, s[30:31]
	v_cmp_lt_u32_e64 s[30:31], 63, v46
	v_add_u32_e32 v80, -4, v70
	v_mov_b32_e32 v0, 0
	v_mov_b32_e32 v106, 0
	s_waitcnt lgkmcnt(0)
	s_barrier
	s_and_saveexec_b64 s[36:37], s[30:31]
	s_cbranch_execz .LBB247_52
; %bb.51:
	ds_read_b32 v106, v80
.LBB247_52:
	s_or_b64 exec, exec, s[36:37]
	v_add_u32_e32 v81, -1, v76
	v_and_b32_e32 v107, 64, v76
	v_cmp_lt_i32_e64 s[36:37], v81, v107
	v_cndmask_b32_e64 v81, v81, v76, s[36:37]
	v_lshlrev_b32_e32 v81, 2, v81
	s_waitcnt lgkmcnt(0)
	v_add_u32_e32 v1, v106, v1
	ds_bpermute_b32 v1, v81, v1
	v_cmp_eq_u32_e64 s[36:37], 0, v76
	v_cmp_eq_u32_e64 s[38:39], 0, v46
	v_and_or_b32 v82, v76, 63, v82
	v_lshlrev_b32_e32 v107, 1, v82
	s_waitcnt lgkmcnt(0)
	v_cndmask_b32_e64 v1, v1, v106, s[36:37]
	v_cndmask_b32_e64 v1, v1, 0, s[38:39]
	v_add_u32_e32 v38, v1, v38
	v_add_u32_e32 v39, v38, v39
	;; [unrolled: 1-line block ×3, first 2 shown]
	ds_write2_b32 v64, v1, v38 offset0:2 offset1:3
	ds_write2_b32 v69, v39, v40 offset0:2 offset1:3
	s_waitcnt lgkmcnt(0)
	s_barrier
	ds_read_b32 v1, v83 offset:8
	ds_read_b32 v38, v86 offset:8
	;; [unrolled: 1-line block ×8, first 2 shown]
	s_waitcnt lgkmcnt(7)
	v_add_u32_e32 v1, v1, v84
	s_waitcnt lgkmcnt(6)
	v_add3_u32 v38, v87, v85, v38
	s_waitcnt lgkmcnt(4)
	v_add3_u32 v84, v93, v91, v40
	v_lshlrev_b32_e32 v40, 1, v1
	v_add3_u32 v39, v90, v88, v39
	s_waitcnt lgkmcnt(0)
	s_barrier
	ds_write_b16 v40, v79
	v_lshlrev_b32_e32 v40, 1, v38
	ds_write_b16 v40, v78
	v_lshlrev_b32_e32 v40, 1, v39
	v_add3_u32 v85, v96, v94, v76
	ds_write_b16 v40, v77
	v_lshlrev_b32_e32 v40, 1, v84
	v_add3_u32 v83, v99, v97, v83
	;; [unrolled: 3-line block ×4, first 2 shown]
	ds_write_b16 v40, v73
	v_lshlrev_b32_e32 v40, 1, v86
	ds_write_b16 v40, v72
	v_lshlrev_b32_e32 v40, 1, v87
	v_lshlrev_b32_e32 v1, 3, v1
	ds_write_b16 v40, v71
	s_waitcnt lgkmcnt(0)
	s_barrier
	ds_read_u16 v77, v107
	ds_read_u16 v76, v107 offset:128
	ds_read_u16 v75, v107 offset:256
	;; [unrolled: 1-line block ×7, first 2 shown]
	s_waitcnt lgkmcnt(0)
	s_barrier
	ds_write_b64 v1, v[34:35]
	v_lshlrev_b32_e32 v1, 3, v38
	ds_write_b64 v1, v[36:37]
	v_lshlrev_b32_e32 v1, 3, v39
	;; [unrolled: 2-line block ×6, first 2 shown]
	s_min_u32 s40, s40, 8
	ds_write_b64 v1, v[22:23]
	v_lshlrev_b32_e32 v1, 3, v87
	s_lshl_b32 s40, -1, s40
	s_movk_i32 s52, 0x7fff
	ds_write_b64 v1, v[24:25]
	s_not_b32 s49, s40
	v_lshrrev_b16_e32 v1, 8, v77
	v_mov_b32_e32 v38, 0x80
	v_cmp_ne_u16_e64 s[40:41], s52, v77
	v_cndmask_b32_e64 v1, v38, v1, s[40:41]
	v_and_b32_sdwa v39, v1, s49 dst_sel:DWORD dst_unused:UNUSED_PAD src0_sel:WORD_0 src1_sel:DWORD
	v_lshlrev_b32_e32 v1, 1, v39
	v_add_lshl_u32 v78, v1, v68, 2
	v_and_b32_e32 v1, 1, v39
	v_lshlrev_b32_e32 v82, 3, v82
	v_add_co_u32_e64 v79, s[40:41], -1, v1
	s_waitcnt lgkmcnt(0)
	s_barrier
	ds_read2st64_b64 v[34:37], v82 offset1:1
	ds_read2st64_b64 v[30:33], v82 offset0:2 offset1:3
	ds_read2st64_b64 v[26:29], v82 offset0:4 offset1:5
	;; [unrolled: 1-line block ×3, first 2 shown]
	v_addc_co_u32_e64 v82, s[40:41], 0, -1, s[40:41]
	v_cmp_ne_u32_e64 s[40:41], 0, v1
	v_xor_b32_e32 v1, s41, v82
	v_and_b32_e32 v82, exec_hi, v1
	v_lshlrev_b32_e32 v1, 30, v39
	v_xor_b32_e32 v79, s40, v79
	v_cmp_gt_i64_e64 s[40:41], 0, v[0:1]
	v_not_b32_e32 v1, v1
	v_ashrrev_i32_e32 v1, 31, v1
	v_and_b32_e32 v79, exec_lo, v79
	v_xor_b32_e32 v83, s41, v1
	v_xor_b32_e32 v1, s40, v1
	v_and_b32_e32 v79, v79, v1
	v_lshlrev_b32_e32 v1, 29, v39
	v_cmp_gt_i64_e64 s[40:41], 0, v[0:1]
	v_not_b32_e32 v1, v1
	v_ashrrev_i32_e32 v1, 31, v1
	v_and_b32_e32 v82, v82, v83
	v_xor_b32_e32 v83, s41, v1
	v_xor_b32_e32 v1, s40, v1
	v_and_b32_e32 v79, v79, v1
	v_lshlrev_b32_e32 v1, 28, v39
	v_cmp_gt_i64_e64 s[40:41], 0, v[0:1]
	v_not_b32_e32 v1, v1
	v_ashrrev_i32_e32 v1, 31, v1
	v_and_b32_e32 v82, v82, v83
	;; [unrolled: 8-line block ×5, first 2 shown]
	v_xor_b32_e32 v83, s41, v1
	v_xor_b32_e32 v1, s40, v1
	v_and_b32_e32 v79, v79, v1
	v_lshlrev_b32_e32 v1, 24, v39
	s_waitcnt lgkmcnt(0)
	s_barrier
	ds_write2_b32 v64, v0, v0 offset0:2 offset1:3
	ds_write2_b32 v69, v0, v0 offset0:2 offset1:3
	v_cmp_gt_i64_e64 s[40:41], 0, v[0:1]
	v_not_b32_e32 v0, v1
	v_ashrrev_i32_e32 v0, 31, v0
	v_xor_b32_e32 v1, s41, v0
	v_xor_b32_e32 v0, s40, v0
	v_and_b32_e32 v82, v82, v83
	v_and_b32_e32 v0, v79, v0
	;; [unrolled: 1-line block ×3, first 2 shown]
	v_mbcnt_lo_u32_b32 v39, v0, 0
	v_mbcnt_hi_u32_b32 v79, v1, v39
	v_cmp_eq_u32_e64 s[40:41], 0, v79
	v_cmp_ne_u64_e64 s[42:43], 0, v[0:1]
	s_and_b64 s[42:43], s[42:43], s[40:41]
	s_waitcnt lgkmcnt(0)
	s_barrier
	s_waitcnt lgkmcnt(0)
	; wave barrier
	s_and_saveexec_b64 s[40:41], s[42:43]
	s_cbranch_execz .LBB247_54
; %bb.53:
	v_bcnt_u32_b32 v0, v0, 0
	v_bcnt_u32_b32 v0, v1, v0
	ds_write_b32 v78, v0 offset:8
.LBB247_54:
	s_or_b64 exec, exec, s[40:41]
	v_lshrrev_b16_e32 v0, 8, v76
	v_cmp_ne_u16_e64 s[40:41], s52, v76
	v_cndmask_b32_e64 v0, v38, v0, s[40:41]
	v_and_b32_e32 v38, s49, v0
	v_and_b32_e32 v1, 1, v38
	v_add_co_u32_e64 v39, s[40:41], -1, v1
	v_addc_co_u32_e64 v84, s[40:41], 0, -1, s[40:41]
	v_cmp_ne_u32_e64 s[40:41], 0, v1
	v_lshlrev_b32_e32 v0, 1, v38
	v_xor_b32_e32 v1, s41, v84
	v_add_lshl_u32 v83, v0, v68, 2
	v_mov_b32_e32 v0, 0
	v_and_b32_e32 v84, exec_hi, v1
	v_lshlrev_b32_e32 v1, 30, v38
	v_xor_b32_e32 v39, s40, v39
	v_cmp_gt_i64_e64 s[40:41], 0, v[0:1]
	v_not_b32_e32 v1, v1
	v_ashrrev_i32_e32 v1, 31, v1
	v_and_b32_e32 v39, exec_lo, v39
	v_xor_b32_e32 v85, s41, v1
	v_xor_b32_e32 v1, s40, v1
	v_and_b32_e32 v39, v39, v1
	v_lshlrev_b32_e32 v1, 29, v38
	v_cmp_gt_i64_e64 s[40:41], 0, v[0:1]
	v_not_b32_e32 v1, v1
	v_ashrrev_i32_e32 v1, 31, v1
	v_and_b32_e32 v84, v84, v85
	v_xor_b32_e32 v85, s41, v1
	v_xor_b32_e32 v1, s40, v1
	v_and_b32_e32 v39, v39, v1
	v_lshlrev_b32_e32 v1, 28, v38
	v_cmp_gt_i64_e64 s[40:41], 0, v[0:1]
	v_not_b32_e32 v1, v1
	v_ashrrev_i32_e32 v1, 31, v1
	v_and_b32_e32 v84, v84, v85
	;; [unrolled: 8-line block ×5, first 2 shown]
	v_xor_b32_e32 v85, s41, v1
	v_xor_b32_e32 v1, s40, v1
	v_and_b32_e32 v84, v84, v85
	v_and_b32_e32 v85, v39, v1
	v_lshlrev_b32_e32 v1, 24, v38
	v_cmp_gt_i64_e64 s[40:41], 0, v[0:1]
	v_not_b32_e32 v1, v1
	v_ashrrev_i32_e32 v1, 31, v1
	v_xor_b32_e32 v38, s41, v1
	v_xor_b32_e32 v1, s40, v1
	; wave barrier
	ds_read_b32 v82, v83 offset:8
	v_and_b32_e32 v39, v84, v38
	v_and_b32_e32 v38, v85, v1
	v_mbcnt_lo_u32_b32 v1, v38, 0
	v_mbcnt_hi_u32_b32 v84, v39, v1
	v_cmp_eq_u32_e64 s[40:41], 0, v84
	v_cmp_ne_u64_e64 s[42:43], 0, v[38:39]
	s_and_b64 s[42:43], s[42:43], s[40:41]
	; wave barrier
	s_and_saveexec_b64 s[40:41], s[42:43]
	s_cbranch_execz .LBB247_56
; %bb.55:
	v_bcnt_u32_b32 v1, v38, 0
	v_bcnt_u32_b32 v1, v39, v1
	s_waitcnt lgkmcnt(0)
	v_add_u32_e32 v1, v82, v1
	ds_write_b32 v83, v1 offset:8
.LBB247_56:
	s_or_b64 exec, exec, s[40:41]
	v_lshrrev_b16_e32 v1, 8, v75
	v_mov_b32_e32 v38, 0x80
	v_cmp_ne_u16_e64 s[40:41], s52, v75
	v_cndmask_b32_e64 v1, v38, v1, s[40:41]
	v_and_b32_e32 v39, s49, v1
	v_lshlrev_b32_e32 v1, 1, v39
	v_add_lshl_u32 v86, v1, v68, 2
	v_and_b32_e32 v1, 1, v39
	v_add_co_u32_e64 v87, s[40:41], -1, v1
	v_addc_co_u32_e64 v88, s[40:41], 0, -1, s[40:41]
	v_cmp_ne_u32_e64 s[40:41], 0, v1
	v_xor_b32_e32 v1, s41, v88
	v_and_b32_e32 v88, exec_hi, v1
	v_lshlrev_b32_e32 v1, 30, v39
	v_xor_b32_e32 v87, s40, v87
	v_cmp_gt_i64_e64 s[40:41], 0, v[0:1]
	v_not_b32_e32 v1, v1
	v_ashrrev_i32_e32 v1, 31, v1
	v_and_b32_e32 v87, exec_lo, v87
	v_xor_b32_e32 v89, s41, v1
	v_xor_b32_e32 v1, s40, v1
	v_and_b32_e32 v87, v87, v1
	v_lshlrev_b32_e32 v1, 29, v39
	v_cmp_gt_i64_e64 s[40:41], 0, v[0:1]
	v_not_b32_e32 v1, v1
	v_ashrrev_i32_e32 v1, 31, v1
	v_and_b32_e32 v88, v88, v89
	v_xor_b32_e32 v89, s41, v1
	v_xor_b32_e32 v1, s40, v1
	v_and_b32_e32 v87, v87, v1
	v_lshlrev_b32_e32 v1, 28, v39
	v_cmp_gt_i64_e64 s[40:41], 0, v[0:1]
	v_not_b32_e32 v1, v1
	v_ashrrev_i32_e32 v1, 31, v1
	v_and_b32_e32 v88, v88, v89
	;; [unrolled: 8-line block ×5, first 2 shown]
	v_xor_b32_e32 v89, s41, v1
	v_xor_b32_e32 v1, s40, v1
	v_and_b32_e32 v87, v87, v1
	v_lshlrev_b32_e32 v1, 24, v39
	v_cmp_gt_i64_e64 s[40:41], 0, v[0:1]
	v_not_b32_e32 v0, v1
	v_ashrrev_i32_e32 v0, 31, v0
	v_xor_b32_e32 v1, s41, v0
	v_xor_b32_e32 v0, s40, v0
	; wave barrier
	ds_read_b32 v85, v86 offset:8
	v_and_b32_e32 v88, v88, v89
	v_and_b32_e32 v0, v87, v0
	;; [unrolled: 1-line block ×3, first 2 shown]
	v_mbcnt_lo_u32_b32 v39, v0, 0
	v_mbcnt_hi_u32_b32 v87, v1, v39
	v_cmp_eq_u32_e64 s[40:41], 0, v87
	v_cmp_ne_u64_e64 s[42:43], 0, v[0:1]
	s_and_b64 s[42:43], s[42:43], s[40:41]
	; wave barrier
	s_and_saveexec_b64 s[40:41], s[42:43]
	s_cbranch_execz .LBB247_58
; %bb.57:
	v_bcnt_u32_b32 v0, v0, 0
	v_bcnt_u32_b32 v0, v1, v0
	s_waitcnt lgkmcnt(0)
	v_add_u32_e32 v0, v85, v0
	ds_write_b32 v86, v0 offset:8
.LBB247_58:
	s_or_b64 exec, exec, s[40:41]
	v_lshrrev_b16_e32 v0, 8, v74
	v_cmp_ne_u16_e64 s[40:41], s52, v74
	v_cndmask_b32_e64 v0, v38, v0, s[40:41]
	v_and_b32_e32 v38, s49, v0
	v_and_b32_e32 v1, 1, v38
	v_add_co_u32_e64 v39, s[40:41], -1, v1
	v_addc_co_u32_e64 v90, s[40:41], 0, -1, s[40:41]
	v_cmp_ne_u32_e64 s[40:41], 0, v1
	v_lshlrev_b32_e32 v0, 1, v38
	v_xor_b32_e32 v1, s41, v90
	v_add_lshl_u32 v89, v0, v68, 2
	v_mov_b32_e32 v0, 0
	v_and_b32_e32 v90, exec_hi, v1
	v_lshlrev_b32_e32 v1, 30, v38
	v_xor_b32_e32 v39, s40, v39
	v_cmp_gt_i64_e64 s[40:41], 0, v[0:1]
	v_not_b32_e32 v1, v1
	v_ashrrev_i32_e32 v1, 31, v1
	v_and_b32_e32 v39, exec_lo, v39
	v_xor_b32_e32 v91, s41, v1
	v_xor_b32_e32 v1, s40, v1
	v_and_b32_e32 v39, v39, v1
	v_lshlrev_b32_e32 v1, 29, v38
	v_cmp_gt_i64_e64 s[40:41], 0, v[0:1]
	v_not_b32_e32 v1, v1
	v_ashrrev_i32_e32 v1, 31, v1
	v_and_b32_e32 v90, v90, v91
	v_xor_b32_e32 v91, s41, v1
	v_xor_b32_e32 v1, s40, v1
	v_and_b32_e32 v39, v39, v1
	v_lshlrev_b32_e32 v1, 28, v38
	v_cmp_gt_i64_e64 s[40:41], 0, v[0:1]
	v_not_b32_e32 v1, v1
	v_ashrrev_i32_e32 v1, 31, v1
	v_and_b32_e32 v90, v90, v91
	;; [unrolled: 8-line block ×5, first 2 shown]
	v_xor_b32_e32 v91, s41, v1
	v_xor_b32_e32 v1, s40, v1
	v_and_b32_e32 v90, v90, v91
	v_and_b32_e32 v91, v39, v1
	v_lshlrev_b32_e32 v1, 24, v38
	v_cmp_gt_i64_e64 s[40:41], 0, v[0:1]
	v_not_b32_e32 v1, v1
	v_ashrrev_i32_e32 v1, 31, v1
	v_xor_b32_e32 v38, s41, v1
	v_xor_b32_e32 v1, s40, v1
	; wave barrier
	ds_read_b32 v88, v89 offset:8
	v_and_b32_e32 v39, v90, v38
	v_and_b32_e32 v38, v91, v1
	v_mbcnt_lo_u32_b32 v1, v38, 0
	v_mbcnt_hi_u32_b32 v90, v39, v1
	v_cmp_eq_u32_e64 s[40:41], 0, v90
	v_cmp_ne_u64_e64 s[42:43], 0, v[38:39]
	s_and_b64 s[42:43], s[42:43], s[40:41]
	; wave barrier
	s_and_saveexec_b64 s[40:41], s[42:43]
	s_cbranch_execz .LBB247_60
; %bb.59:
	v_bcnt_u32_b32 v1, v38, 0
	v_bcnt_u32_b32 v1, v39, v1
	s_waitcnt lgkmcnt(0)
	v_add_u32_e32 v1, v88, v1
	ds_write_b32 v89, v1 offset:8
.LBB247_60:
	s_or_b64 exec, exec, s[40:41]
	v_lshrrev_b16_e32 v1, 8, v73
	v_mov_b32_e32 v38, 0x80
	v_cmp_ne_u16_e64 s[40:41], s52, v73
	v_cndmask_b32_e64 v1, v38, v1, s[40:41]
	v_and_b32_e32 v39, s49, v1
	v_lshlrev_b32_e32 v1, 1, v39
	v_add_lshl_u32 v92, v1, v68, 2
	v_and_b32_e32 v1, 1, v39
	v_add_co_u32_e64 v93, s[40:41], -1, v1
	v_addc_co_u32_e64 v94, s[40:41], 0, -1, s[40:41]
	v_cmp_ne_u32_e64 s[40:41], 0, v1
	v_xor_b32_e32 v1, s41, v94
	v_and_b32_e32 v94, exec_hi, v1
	v_lshlrev_b32_e32 v1, 30, v39
	v_xor_b32_e32 v93, s40, v93
	v_cmp_gt_i64_e64 s[40:41], 0, v[0:1]
	v_not_b32_e32 v1, v1
	v_ashrrev_i32_e32 v1, 31, v1
	v_and_b32_e32 v93, exec_lo, v93
	v_xor_b32_e32 v95, s41, v1
	v_xor_b32_e32 v1, s40, v1
	v_and_b32_e32 v93, v93, v1
	v_lshlrev_b32_e32 v1, 29, v39
	v_cmp_gt_i64_e64 s[40:41], 0, v[0:1]
	v_not_b32_e32 v1, v1
	v_ashrrev_i32_e32 v1, 31, v1
	v_and_b32_e32 v94, v94, v95
	v_xor_b32_e32 v95, s41, v1
	v_xor_b32_e32 v1, s40, v1
	v_and_b32_e32 v93, v93, v1
	v_lshlrev_b32_e32 v1, 28, v39
	v_cmp_gt_i64_e64 s[40:41], 0, v[0:1]
	v_not_b32_e32 v1, v1
	v_ashrrev_i32_e32 v1, 31, v1
	v_and_b32_e32 v94, v94, v95
	;; [unrolled: 8-line block ×5, first 2 shown]
	v_xor_b32_e32 v95, s41, v1
	v_xor_b32_e32 v1, s40, v1
	v_and_b32_e32 v93, v93, v1
	v_lshlrev_b32_e32 v1, 24, v39
	v_cmp_gt_i64_e64 s[40:41], 0, v[0:1]
	v_not_b32_e32 v0, v1
	v_ashrrev_i32_e32 v0, 31, v0
	v_xor_b32_e32 v1, s41, v0
	v_xor_b32_e32 v0, s40, v0
	; wave barrier
	ds_read_b32 v91, v92 offset:8
	v_and_b32_e32 v94, v94, v95
	v_and_b32_e32 v0, v93, v0
	;; [unrolled: 1-line block ×3, first 2 shown]
	v_mbcnt_lo_u32_b32 v39, v0, 0
	v_mbcnt_hi_u32_b32 v93, v1, v39
	v_cmp_eq_u32_e64 s[40:41], 0, v93
	v_cmp_ne_u64_e64 s[42:43], 0, v[0:1]
	s_and_b64 s[42:43], s[42:43], s[40:41]
	; wave barrier
	s_and_saveexec_b64 s[40:41], s[42:43]
	s_cbranch_execz .LBB247_62
; %bb.61:
	v_bcnt_u32_b32 v0, v0, 0
	v_bcnt_u32_b32 v0, v1, v0
	s_waitcnt lgkmcnt(0)
	v_add_u32_e32 v0, v91, v0
	ds_write_b32 v92, v0 offset:8
.LBB247_62:
	s_or_b64 exec, exec, s[40:41]
	v_lshrrev_b16_e32 v0, 8, v72
	v_cmp_ne_u16_e64 s[40:41], s52, v72
	v_cndmask_b32_e64 v0, v38, v0, s[40:41]
	v_and_b32_e32 v38, s49, v0
	v_and_b32_e32 v1, 1, v38
	v_add_co_u32_e64 v39, s[40:41], -1, v1
	v_addc_co_u32_e64 v96, s[40:41], 0, -1, s[40:41]
	v_cmp_ne_u32_e64 s[40:41], 0, v1
	v_lshlrev_b32_e32 v0, 1, v38
	v_xor_b32_e32 v1, s41, v96
	v_add_lshl_u32 v95, v0, v68, 2
	v_mov_b32_e32 v0, 0
	v_and_b32_e32 v96, exec_hi, v1
	v_lshlrev_b32_e32 v1, 30, v38
	v_xor_b32_e32 v39, s40, v39
	v_cmp_gt_i64_e64 s[40:41], 0, v[0:1]
	v_not_b32_e32 v1, v1
	v_ashrrev_i32_e32 v1, 31, v1
	v_and_b32_e32 v39, exec_lo, v39
	v_xor_b32_e32 v97, s41, v1
	v_xor_b32_e32 v1, s40, v1
	v_and_b32_e32 v39, v39, v1
	v_lshlrev_b32_e32 v1, 29, v38
	v_cmp_gt_i64_e64 s[40:41], 0, v[0:1]
	v_not_b32_e32 v1, v1
	v_ashrrev_i32_e32 v1, 31, v1
	v_and_b32_e32 v96, v96, v97
	v_xor_b32_e32 v97, s41, v1
	v_xor_b32_e32 v1, s40, v1
	v_and_b32_e32 v39, v39, v1
	v_lshlrev_b32_e32 v1, 28, v38
	v_cmp_gt_i64_e64 s[40:41], 0, v[0:1]
	v_not_b32_e32 v1, v1
	v_ashrrev_i32_e32 v1, 31, v1
	v_and_b32_e32 v96, v96, v97
	;; [unrolled: 8-line block ×5, first 2 shown]
	v_xor_b32_e32 v97, s41, v1
	v_xor_b32_e32 v1, s40, v1
	v_and_b32_e32 v96, v96, v97
	v_and_b32_e32 v97, v39, v1
	v_lshlrev_b32_e32 v1, 24, v38
	v_cmp_gt_i64_e64 s[40:41], 0, v[0:1]
	v_not_b32_e32 v1, v1
	v_ashrrev_i32_e32 v1, 31, v1
	v_xor_b32_e32 v38, s41, v1
	v_xor_b32_e32 v1, s40, v1
	; wave barrier
	ds_read_b32 v94, v95 offset:8
	v_and_b32_e32 v39, v96, v38
	v_and_b32_e32 v38, v97, v1
	v_mbcnt_lo_u32_b32 v1, v38, 0
	v_mbcnt_hi_u32_b32 v96, v39, v1
	v_cmp_eq_u32_e64 s[40:41], 0, v96
	v_cmp_ne_u64_e64 s[42:43], 0, v[38:39]
	s_and_b64 s[42:43], s[42:43], s[40:41]
	; wave barrier
	s_and_saveexec_b64 s[40:41], s[42:43]
	s_cbranch_execz .LBB247_64
; %bb.63:
	v_bcnt_u32_b32 v1, v38, 0
	v_bcnt_u32_b32 v1, v39, v1
	s_waitcnt lgkmcnt(0)
	v_add_u32_e32 v1, v94, v1
	ds_write_b32 v95, v1 offset:8
.LBB247_64:
	s_or_b64 exec, exec, s[40:41]
	v_lshrrev_b16_e32 v1, 8, v71
	v_mov_b32_e32 v38, 0x80
	v_cmp_ne_u16_e64 s[40:41], s52, v71
	v_cndmask_b32_e64 v1, v38, v1, s[40:41]
	v_and_b32_e32 v39, s49, v1
	v_lshlrev_b32_e32 v1, 1, v39
	v_add_lshl_u32 v98, v1, v68, 2
	v_and_b32_e32 v1, 1, v39
	v_add_co_u32_e64 v99, s[40:41], -1, v1
	v_addc_co_u32_e64 v100, s[40:41], 0, -1, s[40:41]
	v_cmp_ne_u32_e64 s[40:41], 0, v1
	v_xor_b32_e32 v1, s41, v100
	v_and_b32_e32 v100, exec_hi, v1
	v_lshlrev_b32_e32 v1, 30, v39
	v_xor_b32_e32 v99, s40, v99
	v_cmp_gt_i64_e64 s[40:41], 0, v[0:1]
	v_not_b32_e32 v1, v1
	v_ashrrev_i32_e32 v1, 31, v1
	v_and_b32_e32 v99, exec_lo, v99
	v_xor_b32_e32 v101, s41, v1
	v_xor_b32_e32 v1, s40, v1
	v_and_b32_e32 v99, v99, v1
	v_lshlrev_b32_e32 v1, 29, v39
	v_cmp_gt_i64_e64 s[40:41], 0, v[0:1]
	v_not_b32_e32 v1, v1
	v_ashrrev_i32_e32 v1, 31, v1
	v_and_b32_e32 v100, v100, v101
	v_xor_b32_e32 v101, s41, v1
	v_xor_b32_e32 v1, s40, v1
	v_and_b32_e32 v99, v99, v1
	v_lshlrev_b32_e32 v1, 28, v39
	v_cmp_gt_i64_e64 s[40:41], 0, v[0:1]
	v_not_b32_e32 v1, v1
	v_ashrrev_i32_e32 v1, 31, v1
	v_and_b32_e32 v100, v100, v101
	;; [unrolled: 8-line block ×5, first 2 shown]
	v_xor_b32_e32 v101, s41, v1
	v_xor_b32_e32 v1, s40, v1
	v_and_b32_e32 v99, v99, v1
	v_lshlrev_b32_e32 v1, 24, v39
	v_cmp_gt_i64_e64 s[40:41], 0, v[0:1]
	v_not_b32_e32 v0, v1
	v_ashrrev_i32_e32 v0, 31, v0
	v_xor_b32_e32 v1, s41, v0
	v_xor_b32_e32 v0, s40, v0
	; wave barrier
	ds_read_b32 v97, v98 offset:8
	v_and_b32_e32 v100, v100, v101
	v_and_b32_e32 v0, v99, v0
	v_and_b32_e32 v1, v100, v1
	v_mbcnt_lo_u32_b32 v39, v0, 0
	v_mbcnt_hi_u32_b32 v99, v1, v39
	v_cmp_eq_u32_e64 s[40:41], 0, v99
	v_cmp_ne_u64_e64 s[42:43], 0, v[0:1]
	s_and_b64 s[42:43], s[42:43], s[40:41]
	; wave barrier
	s_and_saveexec_b64 s[40:41], s[42:43]
	s_cbranch_execz .LBB247_66
; %bb.65:
	v_bcnt_u32_b32 v0, v0, 0
	v_bcnt_u32_b32 v0, v1, v0
	s_waitcnt lgkmcnt(0)
	v_add_u32_e32 v0, v97, v0
	ds_write_b32 v98, v0 offset:8
.LBB247_66:
	s_or_b64 exec, exec, s[40:41]
	v_lshrrev_b16_e32 v0, 8, v40
	v_cmp_ne_u16_e64 s[40:41], s52, v40
	v_cndmask_b32_e64 v0, v38, v0, s[40:41]
	v_and_b32_e32 v38, s49, v0
	v_and_b32_e32 v1, 1, v38
	v_add_co_u32_e64 v39, s[40:41], -1, v1
	v_addc_co_u32_e64 v101, s[40:41], 0, -1, s[40:41]
	v_cmp_ne_u32_e64 s[40:41], 0, v1
	v_lshlrev_b32_e32 v0, 1, v38
	v_xor_b32_e32 v1, s41, v101
	v_add_lshl_u32 v100, v0, v68, 2
	v_mov_b32_e32 v0, 0
	v_and_b32_e32 v101, exec_hi, v1
	v_lshlrev_b32_e32 v1, 30, v38
	v_xor_b32_e32 v39, s40, v39
	v_cmp_gt_i64_e64 s[40:41], 0, v[0:1]
	v_not_b32_e32 v1, v1
	v_ashrrev_i32_e32 v1, 31, v1
	v_and_b32_e32 v39, exec_lo, v39
	v_xor_b32_e32 v102, s41, v1
	v_xor_b32_e32 v1, s40, v1
	v_and_b32_e32 v39, v39, v1
	v_lshlrev_b32_e32 v1, 29, v38
	v_cmp_gt_i64_e64 s[40:41], 0, v[0:1]
	v_not_b32_e32 v1, v1
	v_ashrrev_i32_e32 v1, 31, v1
	v_and_b32_e32 v101, v101, v102
	v_xor_b32_e32 v102, s41, v1
	v_xor_b32_e32 v1, s40, v1
	v_and_b32_e32 v39, v39, v1
	v_lshlrev_b32_e32 v1, 28, v38
	v_cmp_gt_i64_e64 s[40:41], 0, v[0:1]
	v_not_b32_e32 v1, v1
	v_ashrrev_i32_e32 v1, 31, v1
	v_and_b32_e32 v101, v101, v102
	;; [unrolled: 8-line block ×5, first 2 shown]
	v_xor_b32_e32 v102, s41, v1
	v_xor_b32_e32 v1, s40, v1
	v_and_b32_e32 v39, v39, v1
	v_lshlrev_b32_e32 v1, 24, v38
	v_cmp_gt_i64_e64 s[40:41], 0, v[0:1]
	v_not_b32_e32 v0, v1
	v_ashrrev_i32_e32 v0, 31, v0
	v_xor_b32_e32 v1, s41, v0
	v_xor_b32_e32 v0, s40, v0
	; wave barrier
	ds_read_b32 v68, v100 offset:8
	v_and_b32_e32 v101, v101, v102
	v_and_b32_e32 v0, v39, v0
	;; [unrolled: 1-line block ×3, first 2 shown]
	v_mbcnt_lo_u32_b32 v38, v0, 0
	v_mbcnt_hi_u32_b32 v101, v1, v38
	v_cmp_eq_u32_e64 s[40:41], 0, v101
	v_cmp_ne_u64_e64 s[42:43], 0, v[0:1]
	s_and_b64 s[42:43], s[42:43], s[40:41]
	; wave barrier
	s_and_saveexec_b64 s[40:41], s[42:43]
	s_cbranch_execz .LBB247_68
; %bb.67:
	v_bcnt_u32_b32 v0, v0, 0
	v_bcnt_u32_b32 v0, v1, v0
	s_waitcnt lgkmcnt(0)
	v_add_u32_e32 v0, v68, v0
	ds_write_b32 v100, v0 offset:8
.LBB247_68:
	s_or_b64 exec, exec, s[40:41]
	; wave barrier
	s_waitcnt lgkmcnt(0)
	s_barrier
	ds_read2_b32 v[38:39], v64 offset0:2 offset1:3
	ds_read2_b32 v[0:1], v69 offset0:2 offset1:3
	s_waitcnt lgkmcnt(1)
	v_add_u32_e32 v102, v39, v38
	s_waitcnt lgkmcnt(0)
	v_add3_u32 v1, v102, v0, v1
	s_nop 1
	v_mov_b32_dpp v102, v1 row_shr:1 row_mask:0xf bank_mask:0xf
	v_cndmask_b32_e64 v102, v102, 0, s[20:21]
	v_add_u32_e32 v1, v102, v1
	s_nop 1
	v_mov_b32_dpp v102, v1 row_shr:2 row_mask:0xf bank_mask:0xf
	v_cndmask_b32_e64 v102, 0, v102, s[22:23]
	v_add_u32_e32 v1, v1, v102
	;; [unrolled: 4-line block ×4, first 2 shown]
	s_nop 1
	v_mov_b32_dpp v102, v1 row_bcast:15 row_mask:0xf bank_mask:0xf
	v_cndmask_b32_e64 v102, v102, 0, vcc
	v_add_u32_e32 v1, v1, v102
	s_nop 1
	v_mov_b32_dpp v102, v1 row_bcast:31 row_mask:0xf bank_mask:0xf
	v_cndmask_b32_e64 v102, 0, v102, s[34:35]
	v_add_u32_e32 v102, v1, v102
	s_and_saveexec_b64 s[20:21], s[16:17]
	s_cbranch_execz .LBB247_70
; %bb.69:
	ds_write_b32 v70, v102
.LBB247_70:
	s_or_b64 exec, exec, s[20:21]
	s_waitcnt lgkmcnt(0)
	s_barrier
	s_and_saveexec_b64 s[16:17], s[24:25]
	s_cbranch_execz .LBB247_72
; %bb.71:
	ds_read_b32 v1, v41
	s_waitcnt lgkmcnt(0)
	s_nop 0
	v_mov_b32_dpp v70, v1 row_shr:1 row_mask:0xf bank_mask:0xf
	v_cndmask_b32_e64 v70, v70, 0, s[18:19]
	v_add_u32_e32 v1, v70, v1
	ds_write_b32 v41, v1
.LBB247_72:
	s_or_b64 exec, exec, s[16:17]
	v_mov_b32_e32 v1, 0
	v_mov_b32_e32 v41, 0
	s_waitcnt lgkmcnt(0)
	s_barrier
	s_and_saveexec_b64 s[16:17], s[30:31]
	s_cbranch_execz .LBB247_74
; %bb.73:
	ds_read_b32 v41, v80
.LBB247_74:
	s_or_b64 exec, exec, s[16:17]
	s_waitcnt lgkmcnt(0)
	v_add_u32_e32 v70, v41, v102
	ds_bpermute_b32 v70, v81, v70
	s_mov_b32 s18, 0x5040100
	s_waitcnt lgkmcnt(0)
	v_cndmask_b32_e64 v41, v70, v41, s[36:37]
	v_cndmask_b32_e64 v41, v41, 0, s[38:39]
	v_add_u32_e32 v38, v41, v38
	v_add_u32_e32 v39, v38, v39
	;; [unrolled: 1-line block ×3, first 2 shown]
	ds_write2_b32 v64, v41, v38 offset0:2 offset1:3
	ds_write2_b32 v69, v39, v0 offset0:2 offset1:3
	s_waitcnt lgkmcnt(0)
	s_barrier
	ds_read_b32 v0, v100 offset:8
	ds_read_b32 v38, v98 offset:8
	;; [unrolled: 1-line block ×4, first 2 shown]
	s_waitcnt lgkmcnt(3)
	v_add3_u32 v0, v101, v68, v0
	ds_read_b32 v68, v89 offset:8
	ds_read_b32 v69, v86 offset:8
	;; [unrolled: 1-line block ×4, first 2 shown]
	s_waitcnt lgkmcnt(0)
	s_barrier
	v_add3_u32 v69, v87, v85, v69
	v_add3_u32 v70, v84, v82, v70
	v_add_u32_e32 v78, v78, v79
	v_lshlrev_b32_e32 v79, 1, v78
	ds_write_b16 v79, v77
	v_lshlrev_b32_e32 v77, 1, v70
	v_add3_u32 v68, v90, v88, v68
	ds_write_b16 v77, v76
	v_lshlrev_b32_e32 v76, 1, v69
	v_add3_u32 v41, v93, v91, v41
	;; [unrolled: 3-line block ×4, first 2 shown]
	ds_write_b16 v74, v73
	v_lshlrev_b32_e32 v73, 1, v39
	ds_write_b16 v73, v72
	v_lshlrev_b32_e32 v72, 1, v38
	;; [unrolled: 2-line block ×4, first 2 shown]
	s_waitcnt lgkmcnt(0)
	s_barrier
	v_lshlrev_b32_e32 v72, 3, v41
	v_lshlrev_b32_e32 v73, 3, v39
	;; [unrolled: 1-line block ×3, first 2 shown]
	ds_read_b128 v[38:41], v40
	v_mov_b32_e32 v77, 0xffff8000
	v_lshlrev_b32_e32 v71, 3, v78
	v_lshlrev_b32_e32 v75, 3, v63
	;; [unrolled: 1-line block ×3, first 2 shown]
	s_waitcnt lgkmcnt(0)
	v_cmp_lt_i16_sdwa vcc, v38, v1 src0_sel:WORD_1 src1_sel:DWORD
	v_cndmask_b32_e32 v78, -1, v77, vcc
	v_cmp_gt_i16_e32 vcc, 0, v38
	v_lshlrev_b32_e32 v69, 3, v69
	v_lshlrev_b32_e32 v68, 3, v68
	v_lshlrev_b32_e32 v0, 3, v0
	v_cndmask_b32_e32 v79, -1, v77, vcc
	v_cmp_lt_i16_e32 vcc, -1, v39
	s_barrier
	ds_write_b64 v71, v[34:35]
	ds_write_b64 v70, v[36:37]
	;; [unrolled: 1-line block ×8, first 2 shown]
	s_waitcnt lgkmcnt(0)
	s_barrier
	ds_read2_b64 v[22:25], v75 offset1:1
	ds_read2_b64 v[26:29], v75 offset0:2 offset1:3
	ds_read2_b64 v[30:33], v75 offset0:4 offset1:5
	;; [unrolled: 1-line block ×3, first 2 shown]
	v_mov_b32_e32 v76, -1
	v_cndmask_b32_e64 v81, v77, -1, vcc
	v_cmp_lt_i16_sdwa vcc, v40, v1 src0_sel:WORD_1 src1_sel:DWORD
	v_cmp_gt_i16_sdwa s[16:17], v39, v76 src0_sel:WORD_1 src1_sel:DWORD
	v_cndmask_b32_e32 v0, -1, v77, vcc
	v_cmp_gt_i16_e32 vcc, 0, v40
	v_cndmask_b32_e64 v80, v77, -1, s[16:17]
	v_cndmask_b32_e32 v1, -1, v77, vcc
	v_cmp_gt_i16_sdwa s[16:17], v41, v76 src0_sel:WORD_1 src1_sel:DWORD
	v_cmp_lt_i16_e32 vcc, -1, v41
	v_cndmask_b32_e64 v68, v77, -1, s[16:17]
	v_cndmask_b32_e64 v69, v77, -1, vcc
	v_xor_b32_e32 v81, v81, v39
	v_xor_b32_sdwa v39, v80, v39 dst_sel:DWORD dst_unused:UNUSED_PAD src0_sel:DWORD src1_sel:WORD_1
	v_xor_b32_e32 v79, v79, v38
	v_xor_b32_sdwa v38, v78, v38 dst_sel:DWORD dst_unused:UNUSED_PAD src0_sel:DWORD src1_sel:WORD_1
	;; [unrolled: 2-line block ×4, first 2 shown]
	v_perm_b32 v39, v39, v81, s18
	v_perm_b32 v38, v38, v79, s18
	;; [unrolled: 1-line block ×4, first 2 shown]
	s_branch .LBB247_128
.LBB247_75:
	v_mov_b32_e32 v45, 0
	v_lshlrev_b64 v[2:3], 3, v[44:45]
	v_mov_b32_e32 v4, s47
	v_add_co_u32_e32 v2, vcc, s45, v2
	v_addc_co_u32_e32 v3, vcc, v4, v3, vcc
	global_load_dwordx2 v[2:3], v[2:3], off
	v_mov_b32_e32 v4, v45
	v_mov_b32_e32 v5, v45
	;; [unrolled: 1-line block ×14, first 2 shown]
	s_or_b64 exec, exec, s[16:17]
	s_and_saveexec_b64 s[16:17], s[2:3]
	s_cbranch_execz .LBB247_22
.LBB247_76:
	v_mul_lo_u32 v4, v36, s48
	v_mov_b32_e32 v5, 0
	v_lshlrev_b64 v[4:5], 3, v[4:5]
	v_mov_b32_e32 v36, s47
	v_add_co_u32_e32 v4, vcc, s45, v4
	v_addc_co_u32_e32 v5, vcc, v36, v5, vcc
	global_load_dwordx2 v[4:5], v[4:5], off
	s_or_b64 exec, exec, s[16:17]
	s_and_saveexec_b64 s[16:17], s[4:5]
	s_cbranch_execz .LBB247_23
.LBB247_77:
	v_mul_lo_u32 v6, v35, s48
	v_mov_b32_e32 v7, 0
	v_lshlrev_b64 v[6:7], 3, v[6:7]
	v_mov_b32_e32 v35, s47
	v_add_co_u32_e32 v6, vcc, s45, v6
	v_addc_co_u32_e32 v7, vcc, v35, v7, vcc
	global_load_dwordx2 v[6:7], v[6:7], off
	s_or_b64 exec, exec, s[16:17]
	s_and_saveexec_b64 s[16:17], s[6:7]
	s_cbranch_execz .LBB247_24
.LBB247_78:
	v_mul_lo_u32 v8, v33, s48
	v_mov_b32_e32 v9, 0
	v_lshlrev_b64 v[8:9], 3, v[8:9]
	v_mov_b32_e32 v33, s47
	v_add_co_u32_e32 v8, vcc, s45, v8
	v_addc_co_u32_e32 v9, vcc, v33, v9, vcc
	global_load_dwordx2 v[8:9], v[8:9], off
	s_or_b64 exec, exec, s[16:17]
	s_and_saveexec_b64 s[16:17], s[8:9]
	s_cbranch_execz .LBB247_25
.LBB247_79:
	v_mul_lo_u32 v10, v30, s48
	v_mov_b32_e32 v11, 0
	v_lshlrev_b64 v[10:11], 3, v[10:11]
	v_mov_b32_e32 v30, s47
	v_add_co_u32_e32 v10, vcc, s45, v10
	v_addc_co_u32_e32 v11, vcc, v30, v11, vcc
	global_load_dwordx2 v[10:11], v[10:11], off
	s_or_b64 exec, exec, s[16:17]
	s_and_saveexec_b64 s[16:17], s[10:11]
	s_cbranch_execz .LBB247_26
.LBB247_80:
	v_mul_lo_u32 v12, v28, s48
	v_mov_b32_e32 v13, 0
	v_lshlrev_b64 v[12:13], 3, v[12:13]
	v_mov_b32_e32 v28, s47
	v_add_co_u32_e32 v12, vcc, s45, v12
	v_addc_co_u32_e32 v13, vcc, v28, v13, vcc
	global_load_dwordx2 v[12:13], v[12:13], off
	s_or_b64 exec, exec, s[16:17]
	s_and_saveexec_b64 s[16:17], s[12:13]
	s_cbranch_execz .LBB247_27
.LBB247_81:
	v_mul_lo_u32 v14, v26, s48
	v_mov_b32_e32 v15, 0
	v_lshlrev_b64 v[14:15], 3, v[14:15]
	v_mov_b32_e32 v26, s47
	v_add_co_u32_e32 v14, vcc, s45, v14
	v_addc_co_u32_e32 v15, vcc, v26, v15, vcc
	global_load_dwordx2 v[14:15], v[14:15], off
	s_or_b64 exec, exec, s[16:17]
	s_xor_b64 s[16:17], s[34:35], -1
	s_and_saveexec_b64 s[18:19], s[14:15]
	s_cbranch_execnz .LBB247_28
	s_branch .LBB247_29
.LBB247_82:
                                        ; implicit-def: $vgpr36_vgpr37
                                        ; implicit-def: $vgpr32_vgpr33
                                        ; implicit-def: $vgpr28_vgpr29
                                        ; implicit-def: $vgpr24_vgpr25
                                        ; implicit-def: $vgpr40_vgpr41
	s_cbranch_execz .LBB247_128
; %bb.83:
	s_waitcnt lgkmcnt(3)
	v_mov_b32_e32 v22, 0
	s_waitcnt lgkmcnt(0)
	v_mov_b32_e32 v35, 0x7fff
	v_cmp_gt_i16_e32 vcc, 0, v19
	v_cmp_lt_i16_sdwa s[16:17], v19, v22 src0_sel:WORD_1 src1_sel:DWORD
	v_cndmask_b32_e64 v23, v35, 0, vcc
	v_cmp_gt_i16_e32 vcc, 0, v18
	v_cndmask_b32_e64 v25, v35, 0, s[16:17]
	v_cmp_lt_i16_sdwa s[16:17], v18, v22 src0_sel:WORD_1 src1_sel:DWORD
	v_cndmask_b32_e64 v24, v35, 0, vcc
	v_cndmask_b32_e64 v27, v35, 0, s[16:17]
	v_cmp_gt_i16_e32 vcc, 0, v21
	v_cmp_lt_i16_sdwa s[16:17], v21, v22 src0_sel:WORD_1 src1_sel:DWORD
	v_xor_b32_sdwa v25, v25, v19 dst_sel:DWORD dst_unused:UNUSED_PAD src0_sel:DWORD src1_sel:WORD_1
	v_xor_b32_e32 v19, v23, v19
	v_cndmask_b32_e64 v23, v35, 0, vcc
	v_cmp_gt_i16_e32 vcc, 0, v20
	v_cndmask_b32_e64 v28, v35, 0, s[16:17]
	v_cmp_lt_i16_sdwa s[16:17], v20, v22 src0_sel:WORD_1 src1_sel:DWORD
	v_mbcnt_hi_u32_b32 v26, -1, v67
	v_and_b32_e32 v34, 0x3c0, v46
	v_xor_b32_sdwa v27, v27, v18 dst_sel:DWORD dst_unused:UNUSED_PAD src0_sel:DWORD src1_sel:WORD_1
	v_xor_b32_e32 v18, v24, v18
	v_cndmask_b32_e64 v24, v35, 0, vcc
	v_cndmask_b32_e64 v29, v35, 0, s[16:17]
	v_add_u32_e32 v0, v26, v34
	v_xor_b32_sdwa v29, v29, v20 dst_sel:DWORD dst_unused:UNUSED_PAD src0_sel:DWORD src1_sel:WORD_1
	v_xor_b32_sdwa v28, v28, v21 dst_sel:DWORD dst_unused:UNUSED_PAD src0_sel:DWORD src1_sel:WORD_1
	v_xor_b32_e32 v20, v24, v20
	v_xor_b32_e32 v21, v23, v21
	s_mov_b32 s16, 0x5040100
	v_lshlrev_b32_e32 v1, 4, v0
	v_perm_b32 v21, v28, v21, s16
	v_perm_b32 v20, v29, v20, s16
	;; [unrolled: 1-line block ×4, first 2 shown]
	v_and_b32_e32 v36, 0x1e00, v63
	ds_write_b128 v1, v[18:21]
	v_or_b32_e32 v1, v26, v36
	v_lshlrev_b32_e32 v18, 1, v1
	v_lshlrev_b32_e32 v0, 6, v0
	; wave barrier
	ds_read_u16 v33, v18
	ds_read_u16 v32, v18 offset:128
	ds_read_u16 v31, v18 offset:256
	;; [unrolled: 1-line block ×7, first 2 shown]
	s_waitcnt lgkmcnt(0)
	s_barrier
	ds_write2_b64 v0, v[14:15], v[16:17] offset1:1
	ds_write2_b64 v0, v[10:11], v[12:13] offset0:2 offset1:3
	ds_write2_b64 v0, v[6:7], v[8:9] offset0:4 offset1:5
	ds_write2_b64 v0, v[2:3], v[4:5] offset0:6 offset1:7
	v_lshlrev_b32_e32 v0, 3, v1
	; wave barrier
	ds_read2st64_b64 v[12:15], v0 offset1:1
	ds_read2st64_b64 v[8:11], v0 offset0:2 offset1:3
	ds_read2st64_b64 v[4:7], v0 offset0:4 offset1:5
	;; [unrolled: 1-line block ×3, first 2 shown]
	s_waitcnt lgkmcnt(0)
	s_barrier
	s_load_dword s18, s[50:51], 0xc
	s_getpc_b64 s[16:17]
	s_add_u32 s16, s16, _ZN7rocprim17ROCPRIM_400000_NS16block_radix_sortI12hip_bfloat16Lj128ELj8ElLj1ELj1ELj0ELNS0_26block_radix_rank_algorithmE1ELNS0_18block_padding_hintE2ELNS0_4arch9wavefront6targetE1EE19radix_bits_per_passE@rel32@lo+4
	s_addc_u32 s17, s17, _ZN7rocprim17ROCPRIM_400000_NS16block_radix_sortI12hip_bfloat16Lj128ELj8ElLj1ELj1ELj0ELNS0_26block_radix_rank_algorithmE1ELNS0_18block_padding_hintE2ELNS0_4arch9wavefront6targetE1EE19radix_bits_per_passE@rel32@hi+12
	s_load_dword s40, s[16:17], 0x0
	s_movk_i32 s19, 0x8000
	v_cmp_ne_u16_e32 vcc, s19, v33
	s_waitcnt lgkmcnt(0)
	s_lshr_b32 s16, s18, 16
	s_and_b32 s17, s18, 0xffff
	v_mad_u32_u24 v16, v66, s16, v65
	v_mad_u64_u32 v[16:17], s[16:17], v16, s17, v[46:47]
	s_min_u32 s16, s40, 16
	s_lshl_b32 s16, -1, s16
	v_lshrrev_b32_e32 v24, 6, v16
	s_not_b32 s18, s16
	v_cndmask_b32_e32 v16, v35, v33, vcc
	v_and_b32_sdwa v16, s18, v16 dst_sel:DWORD dst_unused:UNUSED_PAD src0_sel:DWORD src1_sel:WORD_0
	v_lshlrev_b32_e32 v17, 1, v16
	v_add_lshl_u32 v37, v24, v17, 2
	v_and_b32_e32 v17, 1, v16
	v_add_co_u32_e32 v18, vcc, -1, v17
	v_addc_co_u32_e64 v19, s[16:17], 0, -1, vcc
	v_cmp_ne_u32_e32 vcc, 0, v17
	v_lshlrev_b32_e32 v23, 30, v16
	v_xor_b32_e32 v17, vcc_hi, v19
	v_not_b32_e32 v19, v23
	v_xor_b32_e32 v18, vcc_lo, v18
	v_cmp_gt_i64_e32 vcc, 0, v[22:23]
	v_ashrrev_i32_e32 v19, 31, v19
	v_and_b32_e32 v18, exec_lo, v18
	v_xor_b32_e32 v20, vcc_hi, v19
	v_xor_b32_e32 v19, vcc_lo, v19
	v_lshlrev_b32_e32 v23, 29, v16
	v_and_b32_e32 v18, v18, v19
	v_not_b32_e32 v19, v23
	v_and_b32_e32 v17, exec_hi, v17
	v_cmp_gt_i64_e32 vcc, 0, v[22:23]
	v_ashrrev_i32_e32 v19, 31, v19
	v_and_b32_e32 v17, v17, v20
	v_xor_b32_e32 v20, vcc_hi, v19
	v_xor_b32_e32 v19, vcc_lo, v19
	v_lshlrev_b32_e32 v23, 28, v16
	v_and_b32_e32 v18, v18, v19
	v_not_b32_e32 v19, v23
	v_cmp_gt_i64_e32 vcc, 0, v[22:23]
	v_ashrrev_i32_e32 v19, 31, v19
	v_and_b32_e32 v17, v17, v20
	v_xor_b32_e32 v20, vcc_hi, v19
	v_xor_b32_e32 v19, vcc_lo, v19
	v_lshlrev_b32_e32 v23, 27, v16
	v_and_b32_e32 v18, v18, v19
	v_not_b32_e32 v19, v23
	;; [unrolled: 8-line block ×3, first 2 shown]
	v_cmp_gt_i64_e32 vcc, 0, v[22:23]
	v_ashrrev_i32_e32 v19, 31, v19
	v_and_b32_e32 v17, v17, v20
	v_xor_b32_e32 v20, vcc_hi, v19
	v_xor_b32_e32 v19, vcc_lo, v19
	v_lshlrev_b32_e32 v23, 25, v16
	v_and_b32_e32 v18, v18, v19
	v_cmp_gt_i64_e32 vcc, 0, v[22:23]
	v_not_b32_e32 v19, v23
	v_lshlrev_b32_e32 v23, 24, v16
	v_ashrrev_i32_e32 v19, 31, v19
	v_not_b32_e32 v16, v23
	v_and_b32_e32 v17, v17, v20
	v_xor_b32_e32 v20, vcc_hi, v19
	v_xor_b32_e32 v19, vcc_lo, v19
	v_cmp_gt_i64_e32 vcc, 0, v[22:23]
	v_ashrrev_i32_e32 v16, 31, v16
	v_and_b32_e32 v18, v18, v19
	v_xor_b32_e32 v19, vcc_hi, v16
	v_xor_b32_e32 v16, vcc_lo, v16
	v_and_b32_e32 v17, v17, v20
	v_and_b32_e32 v16, v18, v16
	;; [unrolled: 1-line block ×3, first 2 shown]
	v_mbcnt_lo_u32_b32 v18, v16, 0
	v_mbcnt_hi_u32_b32 v38, v17, v18
	v_cmp_eq_u32_e32 vcc, 0, v38
	v_cmp_ne_u64_e64 s[16:17], 0, v[16:17]
	s_and_b64 s[20:21], s[16:17], vcc
	ds_write2_b32 v64, v22, v22 offset0:2 offset1:3
	ds_write2_b32 v64, v22, v22 offset0:4 offset1:5
	s_waitcnt lgkmcnt(0)
	s_barrier
	s_waitcnt lgkmcnt(0)
	; wave barrier
	s_and_saveexec_b64 s[16:17], s[20:21]
	s_cbranch_execz .LBB247_85
; %bb.84:
	v_bcnt_u32_b32 v16, v16, 0
	v_bcnt_u32_b32 v16, v17, v16
	ds_write_b32 v37, v16 offset:8
.LBB247_85:
	s_or_b64 exec, exec, s[16:17]
	v_cmp_ne_u16_e32 vcc, s19, v32
	v_cndmask_b32_e32 v16, v35, v32, vcc
	v_and_b32_sdwa v16, s18, v16 dst_sel:DWORD dst_unused:UNUSED_PAD src0_sel:DWORD src1_sel:WORD_0
	v_lshlrev_b32_e32 v17, 1, v16
	v_add_lshl_u32 v40, v24, v17, 2
	v_and_b32_e32 v17, 1, v16
	v_add_co_u32_e32 v18, vcc, -1, v17
	v_addc_co_u32_e64 v19, s[16:17], 0, -1, vcc
	v_cmp_ne_u32_e32 vcc, 0, v17
	v_lshlrev_b32_e32 v23, 30, v16
	v_xor_b32_e32 v17, vcc_hi, v19
	v_not_b32_e32 v19, v23
	v_xor_b32_e32 v18, vcc_lo, v18
	v_cmp_gt_i64_e32 vcc, 0, v[22:23]
	v_ashrrev_i32_e32 v19, 31, v19
	v_and_b32_e32 v18, exec_lo, v18
	v_xor_b32_e32 v20, vcc_hi, v19
	v_xor_b32_e32 v19, vcc_lo, v19
	v_lshlrev_b32_e32 v23, 29, v16
	v_and_b32_e32 v18, v18, v19
	v_not_b32_e32 v19, v23
	v_and_b32_e32 v17, exec_hi, v17
	v_cmp_gt_i64_e32 vcc, 0, v[22:23]
	v_ashrrev_i32_e32 v19, 31, v19
	v_and_b32_e32 v17, v17, v20
	v_xor_b32_e32 v20, vcc_hi, v19
	v_xor_b32_e32 v19, vcc_lo, v19
	v_lshlrev_b32_e32 v23, 28, v16
	v_and_b32_e32 v18, v18, v19
	v_not_b32_e32 v19, v23
	v_cmp_gt_i64_e32 vcc, 0, v[22:23]
	v_ashrrev_i32_e32 v19, 31, v19
	v_and_b32_e32 v17, v17, v20
	v_xor_b32_e32 v20, vcc_hi, v19
	v_xor_b32_e32 v19, vcc_lo, v19
	v_lshlrev_b32_e32 v23, 27, v16
	v_and_b32_e32 v18, v18, v19
	v_not_b32_e32 v19, v23
	;; [unrolled: 8-line block ×3, first 2 shown]
	v_cmp_gt_i64_e32 vcc, 0, v[22:23]
	v_ashrrev_i32_e32 v19, 31, v19
	v_and_b32_e32 v17, v17, v20
	v_xor_b32_e32 v20, vcc_hi, v19
	v_xor_b32_e32 v19, vcc_lo, v19
	v_lshlrev_b32_e32 v23, 25, v16
	v_and_b32_e32 v18, v18, v19
	v_cmp_gt_i64_e32 vcc, 0, v[22:23]
	v_not_b32_e32 v19, v23
	v_lshlrev_b32_e32 v23, 24, v16
	v_ashrrev_i32_e32 v19, 31, v19
	v_not_b32_e32 v16, v23
	v_and_b32_e32 v17, v17, v20
	v_xor_b32_e32 v20, vcc_hi, v19
	v_xor_b32_e32 v19, vcc_lo, v19
	v_cmp_gt_i64_e32 vcc, 0, v[22:23]
	v_ashrrev_i32_e32 v16, 31, v16
	v_and_b32_e32 v18, v18, v19
	v_xor_b32_e32 v19, vcc_hi, v16
	v_xor_b32_e32 v16, vcc_lo, v16
	; wave barrier
	ds_read_b32 v39, v40 offset:8
	v_and_b32_e32 v17, v17, v20
	v_and_b32_e32 v16, v18, v16
	;; [unrolled: 1-line block ×3, first 2 shown]
	v_mbcnt_lo_u32_b32 v18, v16, 0
	v_mbcnt_hi_u32_b32 v41, v17, v18
	v_cmp_eq_u32_e32 vcc, 0, v41
	v_cmp_ne_u64_e64 s[16:17], 0, v[16:17]
	s_and_b64 s[20:21], s[16:17], vcc
	; wave barrier
	s_and_saveexec_b64 s[16:17], s[20:21]
	s_cbranch_execz .LBB247_87
; %bb.86:
	v_bcnt_u32_b32 v16, v16, 0
	v_bcnt_u32_b32 v16, v17, v16
	s_waitcnt lgkmcnt(0)
	v_add_u32_e32 v16, v39, v16
	ds_write_b32 v40, v16 offset:8
.LBB247_87:
	s_or_b64 exec, exec, s[16:17]
	v_mov_b32_e32 v20, 0x7fff
	v_cmp_ne_u16_e32 vcc, s19, v31
	v_cndmask_b32_e32 v16, v20, v31, vcc
	v_and_b32_sdwa v18, s18, v16 dst_sel:DWORD dst_unused:UNUSED_PAD src0_sel:DWORD src1_sel:WORD_0
	v_and_b32_e32 v17, 1, v18
	v_add_co_u32_e32 v19, vcc, -1, v17
	v_addc_co_u32_e64 v21, s[16:17], 0, -1, vcc
	v_cmp_ne_u32_e32 vcc, 0, v17
	v_lshlrev_b32_e32 v16, 1, v18
	v_xor_b32_e32 v17, vcc_hi, v21
	v_add_lshl_u32 v66, v24, v16, 2
	v_mov_b32_e32 v16, 0
	v_and_b32_e32 v21, exec_hi, v17
	v_lshlrev_b32_e32 v17, 30, v18
	v_xor_b32_e32 v19, vcc_lo, v19
	v_cmp_gt_i64_e32 vcc, 0, v[16:17]
	v_not_b32_e32 v17, v17
	v_ashrrev_i32_e32 v17, 31, v17
	v_and_b32_e32 v19, exec_lo, v19
	v_xor_b32_e32 v22, vcc_hi, v17
	v_xor_b32_e32 v17, vcc_lo, v17
	v_and_b32_e32 v19, v19, v17
	v_lshlrev_b32_e32 v17, 29, v18
	v_cmp_gt_i64_e32 vcc, 0, v[16:17]
	v_not_b32_e32 v17, v17
	v_ashrrev_i32_e32 v17, 31, v17
	v_and_b32_e32 v21, v21, v22
	v_xor_b32_e32 v22, vcc_hi, v17
	v_xor_b32_e32 v17, vcc_lo, v17
	v_and_b32_e32 v19, v19, v17
	v_lshlrev_b32_e32 v17, 28, v18
	v_cmp_gt_i64_e32 vcc, 0, v[16:17]
	v_not_b32_e32 v17, v17
	v_ashrrev_i32_e32 v17, 31, v17
	v_and_b32_e32 v21, v21, v22
	v_xor_b32_e32 v22, vcc_hi, v17
	v_xor_b32_e32 v17, vcc_lo, v17
	v_and_b32_e32 v19, v19, v17
	v_lshlrev_b32_e32 v17, 27, v18
	v_cmp_gt_i64_e32 vcc, 0, v[16:17]
	v_not_b32_e32 v17, v17
	v_ashrrev_i32_e32 v17, 31, v17
	v_and_b32_e32 v21, v21, v22
	v_xor_b32_e32 v22, vcc_hi, v17
	v_xor_b32_e32 v17, vcc_lo, v17
	v_and_b32_e32 v19, v19, v17
	v_lshlrev_b32_e32 v17, 26, v18
	v_cmp_gt_i64_e32 vcc, 0, v[16:17]
	v_not_b32_e32 v17, v17
	v_ashrrev_i32_e32 v17, 31, v17
	v_and_b32_e32 v21, v21, v22
	v_xor_b32_e32 v22, vcc_hi, v17
	v_xor_b32_e32 v17, vcc_lo, v17
	v_and_b32_e32 v19, v19, v17
	v_lshlrev_b32_e32 v17, 25, v18
	v_cmp_gt_i64_e32 vcc, 0, v[16:17]
	v_not_b32_e32 v17, v17
	v_ashrrev_i32_e32 v17, 31, v17
	v_and_b32_e32 v21, v21, v22
	v_xor_b32_e32 v22, vcc_hi, v17
	v_xor_b32_e32 v17, vcc_lo, v17
	v_and_b32_e32 v21, v21, v22
	v_and_b32_e32 v22, v19, v17
	v_lshlrev_b32_e32 v17, 24, v18
	v_cmp_gt_i64_e32 vcc, 0, v[16:17]
	v_not_b32_e32 v17, v17
	v_ashrrev_i32_e32 v17, 31, v17
	v_xor_b32_e32 v18, vcc_hi, v17
	v_xor_b32_e32 v17, vcc_lo, v17
	; wave barrier
	ds_read_b32 v65, v66 offset:8
	v_and_b32_e32 v19, v21, v18
	v_and_b32_e32 v18, v22, v17
	v_mbcnt_lo_u32_b32 v17, v18, 0
	v_mbcnt_hi_u32_b32 v67, v19, v17
	v_cmp_eq_u32_e32 vcc, 0, v67
	v_cmp_ne_u64_e64 s[16:17], 0, v[18:19]
	s_and_b64 s[20:21], s[16:17], vcc
	; wave barrier
	s_and_saveexec_b64 s[16:17], s[20:21]
	s_cbranch_execz .LBB247_89
; %bb.88:
	v_bcnt_u32_b32 v17, v18, 0
	v_bcnt_u32_b32 v17, v19, v17
	s_waitcnt lgkmcnt(0)
	v_add_u32_e32 v17, v65, v17
	ds_write_b32 v66, v17 offset:8
.LBB247_89:
	s_or_b64 exec, exec, s[16:17]
	v_cmp_ne_u16_e32 vcc, s19, v30
	v_cndmask_b32_e32 v17, v20, v30, vcc
	v_and_b32_sdwa v18, s18, v17 dst_sel:DWORD dst_unused:UNUSED_PAD src0_sel:DWORD src1_sel:WORD_0
	v_lshlrev_b32_e32 v17, 1, v18
	v_add_lshl_u32 v69, v24, v17, 2
	v_and_b32_e32 v17, 1, v18
	v_add_co_u32_e32 v19, vcc, -1, v17
	v_addc_co_u32_e64 v20, s[16:17], 0, -1, vcc
	v_cmp_ne_u32_e32 vcc, 0, v17
	v_xor_b32_e32 v17, vcc_hi, v20
	v_and_b32_e32 v20, exec_hi, v17
	v_lshlrev_b32_e32 v17, 30, v18
	v_xor_b32_e32 v19, vcc_lo, v19
	v_cmp_gt_i64_e32 vcc, 0, v[16:17]
	v_not_b32_e32 v17, v17
	v_ashrrev_i32_e32 v17, 31, v17
	v_and_b32_e32 v19, exec_lo, v19
	v_xor_b32_e32 v21, vcc_hi, v17
	v_xor_b32_e32 v17, vcc_lo, v17
	v_and_b32_e32 v19, v19, v17
	v_lshlrev_b32_e32 v17, 29, v18
	v_cmp_gt_i64_e32 vcc, 0, v[16:17]
	v_not_b32_e32 v17, v17
	v_ashrrev_i32_e32 v17, 31, v17
	v_and_b32_e32 v20, v20, v21
	v_xor_b32_e32 v21, vcc_hi, v17
	v_xor_b32_e32 v17, vcc_lo, v17
	v_and_b32_e32 v19, v19, v17
	v_lshlrev_b32_e32 v17, 28, v18
	v_cmp_gt_i64_e32 vcc, 0, v[16:17]
	v_not_b32_e32 v17, v17
	v_ashrrev_i32_e32 v17, 31, v17
	v_and_b32_e32 v20, v20, v21
	;; [unrolled: 8-line block ×5, first 2 shown]
	v_xor_b32_e32 v21, vcc_hi, v17
	v_xor_b32_e32 v17, vcc_lo, v17
	v_and_b32_e32 v19, v19, v17
	v_lshlrev_b32_e32 v17, 24, v18
	v_cmp_gt_i64_e32 vcc, 0, v[16:17]
	v_not_b32_e32 v16, v17
	v_ashrrev_i32_e32 v16, 31, v16
	v_xor_b32_e32 v17, vcc_hi, v16
	v_xor_b32_e32 v16, vcc_lo, v16
	; wave barrier
	ds_read_b32 v68, v69 offset:8
	v_and_b32_e32 v20, v20, v21
	v_and_b32_e32 v16, v19, v16
	;; [unrolled: 1-line block ×3, first 2 shown]
	v_mbcnt_lo_u32_b32 v18, v16, 0
	v_mbcnt_hi_u32_b32 v70, v17, v18
	v_cmp_eq_u32_e32 vcc, 0, v70
	v_cmp_ne_u64_e64 s[16:17], 0, v[16:17]
	s_and_b64 s[20:21], s[16:17], vcc
	; wave barrier
	s_and_saveexec_b64 s[16:17], s[20:21]
	s_cbranch_execz .LBB247_91
; %bb.90:
	v_bcnt_u32_b32 v16, v16, 0
	v_bcnt_u32_b32 v16, v17, v16
	s_waitcnt lgkmcnt(0)
	v_add_u32_e32 v16, v68, v16
	ds_write_b32 v69, v16 offset:8
.LBB247_91:
	s_or_b64 exec, exec, s[16:17]
	v_mov_b32_e32 v20, 0x7fff
	v_cmp_ne_u16_e32 vcc, s19, v29
	v_cndmask_b32_e32 v16, v20, v29, vcc
	v_and_b32_sdwa v18, s18, v16 dst_sel:DWORD dst_unused:UNUSED_PAD src0_sel:DWORD src1_sel:WORD_0
	v_and_b32_e32 v17, 1, v18
	v_add_co_u32_e32 v19, vcc, -1, v17
	v_addc_co_u32_e64 v21, s[16:17], 0, -1, vcc
	v_cmp_ne_u32_e32 vcc, 0, v17
	v_lshlrev_b32_e32 v16, 1, v18
	v_xor_b32_e32 v17, vcc_hi, v21
	v_add_lshl_u32 v72, v24, v16, 2
	v_mov_b32_e32 v16, 0
	v_and_b32_e32 v21, exec_hi, v17
	v_lshlrev_b32_e32 v17, 30, v18
	v_xor_b32_e32 v19, vcc_lo, v19
	v_cmp_gt_i64_e32 vcc, 0, v[16:17]
	v_not_b32_e32 v17, v17
	v_ashrrev_i32_e32 v17, 31, v17
	v_and_b32_e32 v19, exec_lo, v19
	v_xor_b32_e32 v22, vcc_hi, v17
	v_xor_b32_e32 v17, vcc_lo, v17
	v_and_b32_e32 v19, v19, v17
	v_lshlrev_b32_e32 v17, 29, v18
	v_cmp_gt_i64_e32 vcc, 0, v[16:17]
	v_not_b32_e32 v17, v17
	v_ashrrev_i32_e32 v17, 31, v17
	v_and_b32_e32 v21, v21, v22
	v_xor_b32_e32 v22, vcc_hi, v17
	v_xor_b32_e32 v17, vcc_lo, v17
	v_and_b32_e32 v19, v19, v17
	v_lshlrev_b32_e32 v17, 28, v18
	v_cmp_gt_i64_e32 vcc, 0, v[16:17]
	v_not_b32_e32 v17, v17
	v_ashrrev_i32_e32 v17, 31, v17
	v_and_b32_e32 v21, v21, v22
	;; [unrolled: 8-line block ×5, first 2 shown]
	v_xor_b32_e32 v22, vcc_hi, v17
	v_xor_b32_e32 v17, vcc_lo, v17
	v_and_b32_e32 v21, v21, v22
	v_and_b32_e32 v22, v19, v17
	v_lshlrev_b32_e32 v17, 24, v18
	v_cmp_gt_i64_e32 vcc, 0, v[16:17]
	v_not_b32_e32 v17, v17
	v_ashrrev_i32_e32 v17, 31, v17
	v_xor_b32_e32 v18, vcc_hi, v17
	v_xor_b32_e32 v17, vcc_lo, v17
	; wave barrier
	ds_read_b32 v71, v72 offset:8
	v_and_b32_e32 v19, v21, v18
	v_and_b32_e32 v18, v22, v17
	v_mbcnt_lo_u32_b32 v17, v18, 0
	v_mbcnt_hi_u32_b32 v73, v19, v17
	v_cmp_eq_u32_e32 vcc, 0, v73
	v_cmp_ne_u64_e64 s[16:17], 0, v[18:19]
	s_and_b64 s[20:21], s[16:17], vcc
	; wave barrier
	s_and_saveexec_b64 s[16:17], s[20:21]
	s_cbranch_execz .LBB247_93
; %bb.92:
	v_bcnt_u32_b32 v17, v18, 0
	v_bcnt_u32_b32 v17, v19, v17
	s_waitcnt lgkmcnt(0)
	v_add_u32_e32 v17, v71, v17
	ds_write_b32 v72, v17 offset:8
.LBB247_93:
	s_or_b64 exec, exec, s[16:17]
	v_cmp_ne_u16_e32 vcc, s19, v28
	v_cndmask_b32_e32 v17, v20, v28, vcc
	v_and_b32_sdwa v18, s18, v17 dst_sel:DWORD dst_unused:UNUSED_PAD src0_sel:DWORD src1_sel:WORD_0
	v_lshlrev_b32_e32 v17, 1, v18
	v_add_lshl_u32 v75, v24, v17, 2
	v_and_b32_e32 v17, 1, v18
	v_add_co_u32_e32 v19, vcc, -1, v17
	v_addc_co_u32_e64 v20, s[16:17], 0, -1, vcc
	v_cmp_ne_u32_e32 vcc, 0, v17
	v_xor_b32_e32 v17, vcc_hi, v20
	v_and_b32_e32 v20, exec_hi, v17
	v_lshlrev_b32_e32 v17, 30, v18
	v_xor_b32_e32 v19, vcc_lo, v19
	v_cmp_gt_i64_e32 vcc, 0, v[16:17]
	v_not_b32_e32 v17, v17
	v_ashrrev_i32_e32 v17, 31, v17
	v_and_b32_e32 v19, exec_lo, v19
	v_xor_b32_e32 v21, vcc_hi, v17
	v_xor_b32_e32 v17, vcc_lo, v17
	v_and_b32_e32 v19, v19, v17
	v_lshlrev_b32_e32 v17, 29, v18
	v_cmp_gt_i64_e32 vcc, 0, v[16:17]
	v_not_b32_e32 v17, v17
	v_ashrrev_i32_e32 v17, 31, v17
	v_and_b32_e32 v20, v20, v21
	v_xor_b32_e32 v21, vcc_hi, v17
	v_xor_b32_e32 v17, vcc_lo, v17
	v_and_b32_e32 v19, v19, v17
	v_lshlrev_b32_e32 v17, 28, v18
	v_cmp_gt_i64_e32 vcc, 0, v[16:17]
	v_not_b32_e32 v17, v17
	v_ashrrev_i32_e32 v17, 31, v17
	v_and_b32_e32 v20, v20, v21
	v_xor_b32_e32 v21, vcc_hi, v17
	v_xor_b32_e32 v17, vcc_lo, v17
	v_and_b32_e32 v19, v19, v17
	v_lshlrev_b32_e32 v17, 27, v18
	v_cmp_gt_i64_e32 vcc, 0, v[16:17]
	v_not_b32_e32 v17, v17
	v_ashrrev_i32_e32 v17, 31, v17
	v_and_b32_e32 v20, v20, v21
	v_xor_b32_e32 v21, vcc_hi, v17
	v_xor_b32_e32 v17, vcc_lo, v17
	v_and_b32_e32 v19, v19, v17
	v_lshlrev_b32_e32 v17, 26, v18
	v_cmp_gt_i64_e32 vcc, 0, v[16:17]
	v_not_b32_e32 v17, v17
	v_ashrrev_i32_e32 v17, 31, v17
	v_and_b32_e32 v20, v20, v21
	v_xor_b32_e32 v21, vcc_hi, v17
	v_xor_b32_e32 v17, vcc_lo, v17
	v_and_b32_e32 v19, v19, v17
	v_lshlrev_b32_e32 v17, 25, v18
	v_cmp_gt_i64_e32 vcc, 0, v[16:17]
	v_not_b32_e32 v17, v17
	v_ashrrev_i32_e32 v17, 31, v17
	v_and_b32_e32 v20, v20, v21
	v_xor_b32_e32 v21, vcc_hi, v17
	v_xor_b32_e32 v17, vcc_lo, v17
	v_and_b32_e32 v19, v19, v17
	v_lshlrev_b32_e32 v17, 24, v18
	v_cmp_gt_i64_e32 vcc, 0, v[16:17]
	v_not_b32_e32 v16, v17
	v_ashrrev_i32_e32 v16, 31, v16
	v_xor_b32_e32 v17, vcc_hi, v16
	v_xor_b32_e32 v16, vcc_lo, v16
	; wave barrier
	ds_read_b32 v74, v75 offset:8
	v_and_b32_e32 v20, v20, v21
	v_and_b32_e32 v16, v19, v16
	;; [unrolled: 1-line block ×3, first 2 shown]
	v_mbcnt_lo_u32_b32 v18, v16, 0
	v_mbcnt_hi_u32_b32 v76, v17, v18
	v_cmp_eq_u32_e32 vcc, 0, v76
	v_cmp_ne_u64_e64 s[16:17], 0, v[16:17]
	s_and_b64 s[20:21], s[16:17], vcc
	; wave barrier
	s_and_saveexec_b64 s[16:17], s[20:21]
	s_cbranch_execz .LBB247_95
; %bb.94:
	v_bcnt_u32_b32 v16, v16, 0
	v_bcnt_u32_b32 v16, v17, v16
	s_waitcnt lgkmcnt(0)
	v_add_u32_e32 v16, v74, v16
	ds_write_b32 v75, v16 offset:8
.LBB247_95:
	s_or_b64 exec, exec, s[16:17]
	v_mov_b32_e32 v20, 0x7fff
	v_cmp_ne_u16_e32 vcc, s19, v27
	v_cndmask_b32_e32 v16, v20, v27, vcc
	v_and_b32_sdwa v18, s18, v16 dst_sel:DWORD dst_unused:UNUSED_PAD src0_sel:DWORD src1_sel:WORD_0
	v_and_b32_e32 v17, 1, v18
	v_add_co_u32_e32 v19, vcc, -1, v17
	v_addc_co_u32_e64 v21, s[16:17], 0, -1, vcc
	v_cmp_ne_u32_e32 vcc, 0, v17
	v_lshlrev_b32_e32 v16, 1, v18
	v_xor_b32_e32 v17, vcc_hi, v21
	v_add_lshl_u32 v78, v24, v16, 2
	v_mov_b32_e32 v16, 0
	v_and_b32_e32 v21, exec_hi, v17
	v_lshlrev_b32_e32 v17, 30, v18
	v_xor_b32_e32 v19, vcc_lo, v19
	v_cmp_gt_i64_e32 vcc, 0, v[16:17]
	v_not_b32_e32 v17, v17
	v_ashrrev_i32_e32 v17, 31, v17
	v_and_b32_e32 v19, exec_lo, v19
	v_xor_b32_e32 v22, vcc_hi, v17
	v_xor_b32_e32 v17, vcc_lo, v17
	v_and_b32_e32 v19, v19, v17
	v_lshlrev_b32_e32 v17, 29, v18
	v_cmp_gt_i64_e32 vcc, 0, v[16:17]
	v_not_b32_e32 v17, v17
	v_ashrrev_i32_e32 v17, 31, v17
	v_and_b32_e32 v21, v21, v22
	v_xor_b32_e32 v22, vcc_hi, v17
	v_xor_b32_e32 v17, vcc_lo, v17
	v_and_b32_e32 v19, v19, v17
	v_lshlrev_b32_e32 v17, 28, v18
	v_cmp_gt_i64_e32 vcc, 0, v[16:17]
	v_not_b32_e32 v17, v17
	v_ashrrev_i32_e32 v17, 31, v17
	v_and_b32_e32 v21, v21, v22
	;; [unrolled: 8-line block ×5, first 2 shown]
	v_xor_b32_e32 v22, vcc_hi, v17
	v_xor_b32_e32 v17, vcc_lo, v17
	v_and_b32_e32 v21, v21, v22
	v_and_b32_e32 v22, v19, v17
	v_lshlrev_b32_e32 v17, 24, v18
	v_cmp_gt_i64_e32 vcc, 0, v[16:17]
	v_not_b32_e32 v17, v17
	v_ashrrev_i32_e32 v17, 31, v17
	v_xor_b32_e32 v18, vcc_hi, v17
	v_xor_b32_e32 v17, vcc_lo, v17
	; wave barrier
	ds_read_b32 v77, v78 offset:8
	v_and_b32_e32 v19, v21, v18
	v_and_b32_e32 v18, v22, v17
	v_mbcnt_lo_u32_b32 v17, v18, 0
	v_mbcnt_hi_u32_b32 v79, v19, v17
	v_cmp_eq_u32_e32 vcc, 0, v79
	v_cmp_ne_u64_e64 s[16:17], 0, v[18:19]
	s_and_b64 s[20:21], s[16:17], vcc
	; wave barrier
	s_and_saveexec_b64 s[16:17], s[20:21]
	s_cbranch_execz .LBB247_97
; %bb.96:
	v_bcnt_u32_b32 v17, v18, 0
	v_bcnt_u32_b32 v17, v19, v17
	s_waitcnt lgkmcnt(0)
	v_add_u32_e32 v17, v77, v17
	ds_write_b32 v78, v17 offset:8
.LBB247_97:
	s_or_b64 exec, exec, s[16:17]
	v_cmp_ne_u16_e32 vcc, s19, v25
	v_cndmask_b32_e32 v17, v20, v25, vcc
	v_and_b32_sdwa v18, s18, v17 dst_sel:DWORD dst_unused:UNUSED_PAD src0_sel:DWORD src1_sel:WORD_0
	v_lshlrev_b32_e32 v17, 1, v18
	v_add_lshl_u32 v81, v24, v17, 2
	v_and_b32_e32 v17, 1, v18
	v_add_co_u32_e32 v19, vcc, -1, v17
	v_addc_co_u32_e64 v20, s[16:17], 0, -1, vcc
	v_cmp_ne_u32_e32 vcc, 0, v17
	v_xor_b32_e32 v17, vcc_hi, v20
	v_and_b32_e32 v20, exec_hi, v17
	v_lshlrev_b32_e32 v17, 30, v18
	v_xor_b32_e32 v19, vcc_lo, v19
	v_cmp_gt_i64_e32 vcc, 0, v[16:17]
	v_not_b32_e32 v17, v17
	v_ashrrev_i32_e32 v17, 31, v17
	v_and_b32_e32 v19, exec_lo, v19
	v_xor_b32_e32 v21, vcc_hi, v17
	v_xor_b32_e32 v17, vcc_lo, v17
	v_and_b32_e32 v19, v19, v17
	v_lshlrev_b32_e32 v17, 29, v18
	v_cmp_gt_i64_e32 vcc, 0, v[16:17]
	v_not_b32_e32 v17, v17
	v_ashrrev_i32_e32 v17, 31, v17
	v_and_b32_e32 v20, v20, v21
	v_xor_b32_e32 v21, vcc_hi, v17
	v_xor_b32_e32 v17, vcc_lo, v17
	v_and_b32_e32 v19, v19, v17
	v_lshlrev_b32_e32 v17, 28, v18
	v_cmp_gt_i64_e32 vcc, 0, v[16:17]
	v_not_b32_e32 v17, v17
	v_ashrrev_i32_e32 v17, 31, v17
	v_and_b32_e32 v20, v20, v21
	;; [unrolled: 8-line block ×5, first 2 shown]
	v_xor_b32_e32 v21, vcc_hi, v17
	v_xor_b32_e32 v17, vcc_lo, v17
	v_and_b32_e32 v19, v19, v17
	v_lshlrev_b32_e32 v17, 24, v18
	v_cmp_gt_i64_e32 vcc, 0, v[16:17]
	v_not_b32_e32 v16, v17
	v_ashrrev_i32_e32 v16, 31, v16
	v_xor_b32_e32 v17, vcc_hi, v16
	v_xor_b32_e32 v16, vcc_lo, v16
	; wave barrier
	ds_read_b32 v80, v81 offset:8
	v_and_b32_e32 v20, v20, v21
	v_and_b32_e32 v16, v19, v16
	v_and_b32_e32 v17, v20, v17
	v_mbcnt_lo_u32_b32 v18, v16, 0
	v_mbcnt_hi_u32_b32 v82, v17, v18
	v_cmp_eq_u32_e32 vcc, 0, v82
	v_cmp_ne_u64_e64 s[16:17], 0, v[16:17]
	v_or_b32_e32 v22, 8, v64
	v_lshrrev_b32_e32 v23, 6, v46
	v_min_u32_e32 v34, 64, v34
	s_and_b64 s[18:19], s[16:17], vcc
	; wave barrier
	s_and_saveexec_b64 s[16:17], s[18:19]
	s_cbranch_execz .LBB247_99
; %bb.98:
	v_bcnt_u32_b32 v16, v16, 0
	v_bcnt_u32_b32 v16, v17, v16
	s_waitcnt lgkmcnt(0)
	v_add_u32_e32 v16, v80, v16
	ds_write_b32 v81, v16 offset:8
.LBB247_99:
	s_or_b64 exec, exec, s[16:17]
	; wave barrier
	s_waitcnt lgkmcnt(0)
	s_barrier
	ds_read2_b32 v[18:19], v64 offset0:2 offset1:3
	ds_read2_b32 v[20:21], v22 offset0:2 offset1:3
	v_and_b32_e32 v17, 16, v26
	v_cmp_eq_u32_e32 vcc, 0, v17
	v_or_b32_e32 v17, 63, v34
	v_cmp_eq_u32_e64 s[16:17], v17, v46
	s_waitcnt lgkmcnt(1)
	v_add_u32_e32 v17, v19, v18
	v_and_b32_e32 v16, 15, v26
	s_waitcnt lgkmcnt(0)
	v_add3_u32 v17, v17, v20, v21
	v_cmp_eq_u32_e64 s[20:21], 0, v16
	v_cmp_lt_u32_e64 s[22:23], 1, v16
	v_mov_b32_dpp v21, v17 row_shr:1 row_mask:0xf bank_mask:0xf
	v_cndmask_b32_e64 v21, v21, 0, s[20:21]
	v_add_u32_e32 v17, v21, v17
	v_cmp_lt_u32_e64 s[26:27], 3, v16
	v_cmp_lt_u32_e64 s[28:29], 7, v16
	v_mov_b32_dpp v21, v17 row_shr:2 row_mask:0xf bank_mask:0xf
	v_cndmask_b32_e64 v21, 0, v21, s[22:23]
	v_add_u32_e32 v17, v17, v21
	v_bfe_i32 v35, v26, 4, 1
	v_cmp_lt_u32_e64 s[34:35], 31, v26
	v_mov_b32_dpp v21, v17 row_shr:4 row_mask:0xf bank_mask:0xf
	v_cndmask_b32_e64 v21, 0, v21, s[26:27]
	v_add_u32_e32 v17, v17, v21
	v_lshlrev_b32_e32 v23, 2, v23
	s_nop 0
	v_mov_b32_dpp v21, v17 row_shr:8 row_mask:0xf bank_mask:0xf
	v_cndmask_b32_e64 v16, 0, v21, s[28:29]
	v_add_u32_e32 v16, v17, v16
	s_nop 1
	v_mov_b32_dpp v17, v16 row_bcast:15 row_mask:0xf bank_mask:0xf
	v_and_b32_e32 v17, v35, v17
	v_add_u32_e32 v16, v16, v17
	s_nop 1
	v_mov_b32_dpp v17, v16 row_bcast:31 row_mask:0xf bank_mask:0xf
	v_cndmask_b32_e64 v17, 0, v17, s[34:35]
	v_add_u32_e32 v17, v16, v17
	s_and_saveexec_b64 s[18:19], s[16:17]
	s_cbranch_execz .LBB247_101
; %bb.100:
	ds_write_b32 v23, v17
.LBB247_101:
	s_or_b64 exec, exec, s[18:19]
	v_and_b32_e32 v16, 1, v26
	v_cmp_gt_u32_e64 s[24:25], 2, v46
	v_lshlrev_b32_e32 v21, 2, v46
	v_cmp_eq_u32_e64 s[18:19], 0, v16
	s_waitcnt lgkmcnt(0)
	s_barrier
	s_and_saveexec_b64 s[30:31], s[24:25]
	s_cbranch_execz .LBB247_103
; %bb.102:
	ds_read_b32 v16, v21
	s_waitcnt lgkmcnt(0)
	s_nop 0
	v_mov_b32_dpp v34, v16 row_shr:1 row_mask:0xf bank_mask:0xf
	v_cndmask_b32_e64 v34, v34, 0, s[18:19]
	v_add_u32_e32 v16, v34, v16
	ds_write_b32 v21, v16
.LBB247_103:
	s_or_b64 exec, exec, s[30:31]
	v_cmp_lt_u32_e64 s[30:31], 63, v46
	v_add_u32_e32 v34, -4, v23
	v_mov_b32_e32 v16, 0
	v_mov_b32_e32 v83, 0
	s_waitcnt lgkmcnt(0)
	s_barrier
	s_and_saveexec_b64 s[36:37], s[30:31]
	s_cbranch_execz .LBB247_105
; %bb.104:
	ds_read_b32 v83, v34
.LBB247_105:
	s_or_b64 exec, exec, s[36:37]
	v_add_u32_e32 v35, -1, v26
	v_and_b32_e32 v84, 64, v26
	v_cmp_lt_i32_e64 s[36:37], v35, v84
	v_cndmask_b32_e64 v35, v35, v26, s[36:37]
	v_lshlrev_b32_e32 v35, 2, v35
	s_waitcnt lgkmcnt(0)
	v_add_u32_e32 v17, v83, v17
	ds_bpermute_b32 v17, v35, v17
	v_cmp_eq_u32_e64 s[36:37], 0, v26
	v_cmp_eq_u32_e64 s[38:39], 0, v46
	v_and_or_b32 v36, v26, 63, v36
	v_lshlrev_b32_e32 v84, 1, v36
	s_waitcnt lgkmcnt(0)
	v_cndmask_b32_e64 v17, v17, v83, s[36:37]
	v_cndmask_b32_e64 v17, v17, 0, s[38:39]
	v_add_u32_e32 v18, v17, v18
	v_add_u32_e32 v19, v18, v19
	;; [unrolled: 1-line block ×3, first 2 shown]
	ds_write2_b32 v64, v17, v18 offset0:2 offset1:3
	ds_write2_b32 v22, v19, v20 offset0:2 offset1:3
	s_waitcnt lgkmcnt(0)
	s_barrier
	ds_read_b32 v17, v37 offset:8
	ds_read_b32 v18, v40 offset:8
	;; [unrolled: 1-line block ×8, first 2 shown]
	s_waitcnt lgkmcnt(7)
	v_add_u32_e32 v17, v17, v38
	s_waitcnt lgkmcnt(6)
	v_add3_u32 v18, v41, v39, v18
	s_waitcnt lgkmcnt(4)
	v_add3_u32 v38, v70, v68, v20
	v_lshlrev_b32_e32 v20, 1, v17
	v_add3_u32 v19, v67, v65, v19
	s_waitcnt lgkmcnt(0)
	s_barrier
	ds_write_b16 v20, v33
	v_lshlrev_b32_e32 v20, 1, v18
	ds_write_b16 v20, v32
	v_lshlrev_b32_e32 v20, 1, v19
	v_add3_u32 v39, v73, v71, v26
	ds_write_b16 v20, v31
	v_lshlrev_b32_e32 v20, 1, v38
	v_add3_u32 v37, v76, v74, v37
	;; [unrolled: 3-line block ×4, first 2 shown]
	ds_write_b16 v20, v28
	v_lshlrev_b32_e32 v20, 1, v40
	ds_write_b16 v20, v27
	v_lshlrev_b32_e32 v20, 1, v41
	v_lshlrev_b32_e32 v17, 3, v17
	s_min_u32 s40, s40, 8
	ds_write_b16 v20, v25
	s_waitcnt lgkmcnt(0)
	s_barrier
	ds_read_u16 v31, v84
	ds_read_u16 v30, v84 offset:128
	ds_read_u16 v29, v84 offset:256
	ds_read_u16 v28, v84 offset:384
	ds_read_u16 v27, v84 offset:512
	ds_read_u16 v26, v84 offset:640
	ds_read_u16 v25, v84 offset:768
	ds_read_u16 v20, v84 offset:896
	s_waitcnt lgkmcnt(0)
	s_barrier
	ds_write_b64 v17, v[12:13]
	v_lshlrev_b32_e32 v12, 3, v18
	s_lshl_b32 s40, -1, s40
	s_movk_i32 s50, 0x8000
	ds_write_b64 v12, v[14:15]
	v_lshlrev_b32_e32 v12, 3, v19
	s_not_b32 s49, s40
	v_lshrrev_b16_e32 v17, 8, v31
	v_mov_b32_e32 v18, 0x7f
	v_cmp_ne_u16_e64 s[40:41], s50, v31
	ds_write_b64 v12, v[8:9]
	v_lshlrev_b32_e32 v8, 3, v38
	v_cndmask_b32_e64 v17, v18, v17, s[40:41]
	ds_write_b64 v8, v[10:11]
	v_lshlrev_b32_e32 v8, 3, v39
	v_and_b32_sdwa v19, v17, s49 dst_sel:DWORD dst_unused:UNUSED_PAD src0_sel:WORD_0 src1_sel:DWORD
	ds_write_b64 v8, v[4:5]
	v_lshlrev_b32_e32 v4, 3, v37
	v_lshlrev_b32_e32 v17, 1, v19
	ds_write_b64 v4, v[6:7]
	v_lshlrev_b32_e32 v4, 3, v40
	v_add_lshl_u32 v32, v17, v24, 2
	v_and_b32_e32 v17, 1, v19
	v_lshlrev_b32_e32 v36, 3, v36
	ds_write_b64 v4, v[0:1]
	v_lshlrev_b32_e32 v0, 3, v41
	v_add_co_u32_e64 v33, s[40:41], -1, v17
	ds_write_b64 v0, v[2:3]
	s_waitcnt lgkmcnt(0)
	s_barrier
	ds_read2st64_b64 v[12:15], v36 offset1:1
	ds_read2st64_b64 v[8:11], v36 offset0:2 offset1:3
	ds_read2st64_b64 v[4:7], v36 offset0:4 offset1:5
	;; [unrolled: 1-line block ×3, first 2 shown]
	v_addc_co_u32_e64 v36, s[40:41], 0, -1, s[40:41]
	v_cmp_ne_u32_e64 s[40:41], 0, v17
	v_xor_b32_e32 v17, s41, v36
	v_and_b32_e32 v36, exec_hi, v17
	v_lshlrev_b32_e32 v17, 30, v19
	v_xor_b32_e32 v33, s40, v33
	v_cmp_gt_i64_e64 s[40:41], 0, v[16:17]
	v_not_b32_e32 v17, v17
	v_ashrrev_i32_e32 v17, 31, v17
	v_and_b32_e32 v33, exec_lo, v33
	v_xor_b32_e32 v37, s41, v17
	v_xor_b32_e32 v17, s40, v17
	v_and_b32_e32 v33, v33, v17
	v_lshlrev_b32_e32 v17, 29, v19
	v_cmp_gt_i64_e64 s[40:41], 0, v[16:17]
	v_not_b32_e32 v17, v17
	v_ashrrev_i32_e32 v17, 31, v17
	v_and_b32_e32 v36, v36, v37
	v_xor_b32_e32 v37, s41, v17
	v_xor_b32_e32 v17, s40, v17
	v_and_b32_e32 v33, v33, v17
	v_lshlrev_b32_e32 v17, 28, v19
	v_cmp_gt_i64_e64 s[40:41], 0, v[16:17]
	v_not_b32_e32 v17, v17
	v_ashrrev_i32_e32 v17, 31, v17
	v_and_b32_e32 v36, v36, v37
	;; [unrolled: 8-line block ×5, first 2 shown]
	v_xor_b32_e32 v37, s41, v17
	v_xor_b32_e32 v17, s40, v17
	v_and_b32_e32 v33, v33, v17
	v_lshlrev_b32_e32 v17, 24, v19
	s_waitcnt lgkmcnt(0)
	s_barrier
	ds_write2_b32 v64, v16, v16 offset0:2 offset1:3
	ds_write2_b32 v22, v16, v16 offset0:2 offset1:3
	v_cmp_gt_i64_e64 s[40:41], 0, v[16:17]
	v_not_b32_e32 v16, v17
	v_ashrrev_i32_e32 v16, 31, v16
	v_xor_b32_e32 v17, s41, v16
	v_xor_b32_e32 v16, s40, v16
	v_and_b32_e32 v36, v36, v37
	v_and_b32_e32 v16, v33, v16
	;; [unrolled: 1-line block ×3, first 2 shown]
	v_mbcnt_lo_u32_b32 v19, v16, 0
	v_mbcnt_hi_u32_b32 v33, v17, v19
	v_cmp_eq_u32_e64 s[40:41], 0, v33
	v_cmp_ne_u64_e64 s[42:43], 0, v[16:17]
	s_and_b64 s[42:43], s[42:43], s[40:41]
	s_waitcnt lgkmcnt(0)
	s_barrier
	s_waitcnt lgkmcnt(0)
	; wave barrier
	s_and_saveexec_b64 s[40:41], s[42:43]
	s_cbranch_execz .LBB247_107
; %bb.106:
	v_bcnt_u32_b32 v16, v16, 0
	v_bcnt_u32_b32 v16, v17, v16
	ds_write_b32 v32, v16 offset:8
.LBB247_107:
	s_or_b64 exec, exec, s[40:41]
	v_lshrrev_b16_e32 v16, 8, v30
	v_cmp_ne_u16_e64 s[40:41], s50, v30
	v_cndmask_b32_e64 v16, v18, v16, s[40:41]
	v_and_b32_e32 v18, s49, v16
	v_and_b32_e32 v17, 1, v18
	v_add_co_u32_e64 v19, s[40:41], -1, v17
	v_addc_co_u32_e64 v38, s[40:41], 0, -1, s[40:41]
	v_cmp_ne_u32_e64 s[40:41], 0, v17
	v_lshlrev_b32_e32 v16, 1, v18
	v_xor_b32_e32 v17, s41, v38
	v_add_lshl_u32 v37, v16, v24, 2
	v_mov_b32_e32 v16, 0
	v_and_b32_e32 v38, exec_hi, v17
	v_lshlrev_b32_e32 v17, 30, v18
	v_xor_b32_e32 v19, s40, v19
	v_cmp_gt_i64_e64 s[40:41], 0, v[16:17]
	v_not_b32_e32 v17, v17
	v_ashrrev_i32_e32 v17, 31, v17
	v_and_b32_e32 v19, exec_lo, v19
	v_xor_b32_e32 v39, s41, v17
	v_xor_b32_e32 v17, s40, v17
	v_and_b32_e32 v19, v19, v17
	v_lshlrev_b32_e32 v17, 29, v18
	v_cmp_gt_i64_e64 s[40:41], 0, v[16:17]
	v_not_b32_e32 v17, v17
	v_ashrrev_i32_e32 v17, 31, v17
	v_and_b32_e32 v38, v38, v39
	v_xor_b32_e32 v39, s41, v17
	v_xor_b32_e32 v17, s40, v17
	v_and_b32_e32 v19, v19, v17
	v_lshlrev_b32_e32 v17, 28, v18
	v_cmp_gt_i64_e64 s[40:41], 0, v[16:17]
	v_not_b32_e32 v17, v17
	v_ashrrev_i32_e32 v17, 31, v17
	v_and_b32_e32 v38, v38, v39
	;; [unrolled: 8-line block ×5, first 2 shown]
	v_xor_b32_e32 v39, s41, v17
	v_xor_b32_e32 v17, s40, v17
	v_and_b32_e32 v38, v38, v39
	v_and_b32_e32 v39, v19, v17
	v_lshlrev_b32_e32 v17, 24, v18
	v_cmp_gt_i64_e64 s[40:41], 0, v[16:17]
	v_not_b32_e32 v17, v17
	v_ashrrev_i32_e32 v17, 31, v17
	v_xor_b32_e32 v18, s41, v17
	v_xor_b32_e32 v17, s40, v17
	; wave barrier
	ds_read_b32 v36, v37 offset:8
	v_and_b32_e32 v19, v38, v18
	v_and_b32_e32 v18, v39, v17
	v_mbcnt_lo_u32_b32 v17, v18, 0
	v_mbcnt_hi_u32_b32 v38, v19, v17
	v_cmp_eq_u32_e64 s[40:41], 0, v38
	v_cmp_ne_u64_e64 s[42:43], 0, v[18:19]
	s_and_b64 s[42:43], s[42:43], s[40:41]
	; wave barrier
	s_and_saveexec_b64 s[40:41], s[42:43]
	s_cbranch_execz .LBB247_109
; %bb.108:
	v_bcnt_u32_b32 v17, v18, 0
	v_bcnt_u32_b32 v17, v19, v17
	s_waitcnt lgkmcnt(0)
	v_add_u32_e32 v17, v36, v17
	ds_write_b32 v37, v17 offset:8
.LBB247_109:
	s_or_b64 exec, exec, s[40:41]
	v_lshrrev_b16_e32 v17, 8, v29
	v_mov_b32_e32 v18, 0x7f
	v_cmp_ne_u16_e64 s[40:41], s50, v29
	v_cndmask_b32_e64 v17, v18, v17, s[40:41]
	v_and_b32_e32 v19, s49, v17
	v_lshlrev_b32_e32 v17, 1, v19
	v_add_lshl_u32 v40, v17, v24, 2
	v_and_b32_e32 v17, 1, v19
	v_add_co_u32_e64 v41, s[40:41], -1, v17
	v_addc_co_u32_e64 v46, s[40:41], 0, -1, s[40:41]
	v_cmp_ne_u32_e64 s[40:41], 0, v17
	v_xor_b32_e32 v17, s41, v46
	v_and_b32_e32 v46, exec_hi, v17
	v_lshlrev_b32_e32 v17, 30, v19
	v_xor_b32_e32 v41, s40, v41
	v_cmp_gt_i64_e64 s[40:41], 0, v[16:17]
	v_not_b32_e32 v17, v17
	v_ashrrev_i32_e32 v17, 31, v17
	v_and_b32_e32 v41, exec_lo, v41
	v_xor_b32_e32 v65, s41, v17
	v_xor_b32_e32 v17, s40, v17
	v_and_b32_e32 v41, v41, v17
	v_lshlrev_b32_e32 v17, 29, v19
	v_cmp_gt_i64_e64 s[40:41], 0, v[16:17]
	v_not_b32_e32 v17, v17
	v_ashrrev_i32_e32 v17, 31, v17
	v_and_b32_e32 v46, v46, v65
	v_xor_b32_e32 v65, s41, v17
	v_xor_b32_e32 v17, s40, v17
	v_and_b32_e32 v41, v41, v17
	v_lshlrev_b32_e32 v17, 28, v19
	v_cmp_gt_i64_e64 s[40:41], 0, v[16:17]
	v_not_b32_e32 v17, v17
	v_ashrrev_i32_e32 v17, 31, v17
	v_and_b32_e32 v46, v46, v65
	;; [unrolled: 8-line block ×5, first 2 shown]
	v_xor_b32_e32 v65, s41, v17
	v_xor_b32_e32 v17, s40, v17
	v_and_b32_e32 v41, v41, v17
	v_lshlrev_b32_e32 v17, 24, v19
	v_cmp_gt_i64_e64 s[40:41], 0, v[16:17]
	v_not_b32_e32 v16, v17
	v_ashrrev_i32_e32 v16, 31, v16
	v_xor_b32_e32 v17, s41, v16
	v_xor_b32_e32 v16, s40, v16
	; wave barrier
	ds_read_b32 v39, v40 offset:8
	v_and_b32_e32 v46, v46, v65
	v_and_b32_e32 v16, v41, v16
	;; [unrolled: 1-line block ×3, first 2 shown]
	v_mbcnt_lo_u32_b32 v19, v16, 0
	v_mbcnt_hi_u32_b32 v41, v17, v19
	v_cmp_eq_u32_e64 s[40:41], 0, v41
	v_cmp_ne_u64_e64 s[42:43], 0, v[16:17]
	s_and_b64 s[42:43], s[42:43], s[40:41]
	; wave barrier
	s_and_saveexec_b64 s[40:41], s[42:43]
	s_cbranch_execz .LBB247_111
; %bb.110:
	v_bcnt_u32_b32 v16, v16, 0
	v_bcnt_u32_b32 v16, v17, v16
	s_waitcnt lgkmcnt(0)
	v_add_u32_e32 v16, v39, v16
	ds_write_b32 v40, v16 offset:8
.LBB247_111:
	s_or_b64 exec, exec, s[40:41]
	v_lshrrev_b16_e32 v16, 8, v28
	v_cmp_ne_u16_e64 s[40:41], s50, v28
	v_cndmask_b32_e64 v16, v18, v16, s[40:41]
	v_and_b32_e32 v18, s49, v16
	v_and_b32_e32 v17, 1, v18
	v_add_co_u32_e64 v19, s[40:41], -1, v17
	v_addc_co_u32_e64 v66, s[40:41], 0, -1, s[40:41]
	v_cmp_ne_u32_e64 s[40:41], 0, v17
	v_lshlrev_b32_e32 v16, 1, v18
	v_xor_b32_e32 v17, s41, v66
	v_add_lshl_u32 v65, v16, v24, 2
	v_mov_b32_e32 v16, 0
	v_and_b32_e32 v66, exec_hi, v17
	v_lshlrev_b32_e32 v17, 30, v18
	v_xor_b32_e32 v19, s40, v19
	v_cmp_gt_i64_e64 s[40:41], 0, v[16:17]
	v_not_b32_e32 v17, v17
	v_ashrrev_i32_e32 v17, 31, v17
	v_and_b32_e32 v19, exec_lo, v19
	v_xor_b32_e32 v67, s41, v17
	v_xor_b32_e32 v17, s40, v17
	v_and_b32_e32 v19, v19, v17
	v_lshlrev_b32_e32 v17, 29, v18
	v_cmp_gt_i64_e64 s[40:41], 0, v[16:17]
	v_not_b32_e32 v17, v17
	v_ashrrev_i32_e32 v17, 31, v17
	v_and_b32_e32 v66, v66, v67
	v_xor_b32_e32 v67, s41, v17
	v_xor_b32_e32 v17, s40, v17
	v_and_b32_e32 v19, v19, v17
	v_lshlrev_b32_e32 v17, 28, v18
	v_cmp_gt_i64_e64 s[40:41], 0, v[16:17]
	v_not_b32_e32 v17, v17
	v_ashrrev_i32_e32 v17, 31, v17
	v_and_b32_e32 v66, v66, v67
	;; [unrolled: 8-line block ×5, first 2 shown]
	v_xor_b32_e32 v67, s41, v17
	v_xor_b32_e32 v17, s40, v17
	v_and_b32_e32 v66, v66, v67
	v_and_b32_e32 v67, v19, v17
	v_lshlrev_b32_e32 v17, 24, v18
	v_cmp_gt_i64_e64 s[40:41], 0, v[16:17]
	v_not_b32_e32 v17, v17
	v_ashrrev_i32_e32 v17, 31, v17
	v_xor_b32_e32 v18, s41, v17
	v_xor_b32_e32 v17, s40, v17
	; wave barrier
	ds_read_b32 v46, v65 offset:8
	v_and_b32_e32 v19, v66, v18
	v_and_b32_e32 v18, v67, v17
	v_mbcnt_lo_u32_b32 v17, v18, 0
	v_mbcnt_hi_u32_b32 v66, v19, v17
	v_cmp_eq_u32_e64 s[40:41], 0, v66
	v_cmp_ne_u64_e64 s[42:43], 0, v[18:19]
	s_and_b64 s[42:43], s[42:43], s[40:41]
	; wave barrier
	s_and_saveexec_b64 s[40:41], s[42:43]
	s_cbranch_execz .LBB247_113
; %bb.112:
	v_bcnt_u32_b32 v17, v18, 0
	v_bcnt_u32_b32 v17, v19, v17
	s_waitcnt lgkmcnt(0)
	v_add_u32_e32 v17, v46, v17
	ds_write_b32 v65, v17 offset:8
.LBB247_113:
	s_or_b64 exec, exec, s[40:41]
	v_lshrrev_b16_e32 v17, 8, v27
	v_mov_b32_e32 v18, 0x7f
	v_cmp_ne_u16_e64 s[40:41], s50, v27
	v_cndmask_b32_e64 v17, v18, v17, s[40:41]
	v_and_b32_e32 v19, s49, v17
	v_lshlrev_b32_e32 v17, 1, v19
	v_add_lshl_u32 v68, v17, v24, 2
	v_and_b32_e32 v17, 1, v19
	v_add_co_u32_e64 v69, s[40:41], -1, v17
	v_addc_co_u32_e64 v70, s[40:41], 0, -1, s[40:41]
	v_cmp_ne_u32_e64 s[40:41], 0, v17
	v_xor_b32_e32 v17, s41, v70
	v_and_b32_e32 v70, exec_hi, v17
	v_lshlrev_b32_e32 v17, 30, v19
	v_xor_b32_e32 v69, s40, v69
	v_cmp_gt_i64_e64 s[40:41], 0, v[16:17]
	v_not_b32_e32 v17, v17
	v_ashrrev_i32_e32 v17, 31, v17
	v_and_b32_e32 v69, exec_lo, v69
	v_xor_b32_e32 v71, s41, v17
	v_xor_b32_e32 v17, s40, v17
	v_and_b32_e32 v69, v69, v17
	v_lshlrev_b32_e32 v17, 29, v19
	v_cmp_gt_i64_e64 s[40:41], 0, v[16:17]
	v_not_b32_e32 v17, v17
	v_ashrrev_i32_e32 v17, 31, v17
	v_and_b32_e32 v70, v70, v71
	v_xor_b32_e32 v71, s41, v17
	v_xor_b32_e32 v17, s40, v17
	v_and_b32_e32 v69, v69, v17
	v_lshlrev_b32_e32 v17, 28, v19
	v_cmp_gt_i64_e64 s[40:41], 0, v[16:17]
	v_not_b32_e32 v17, v17
	v_ashrrev_i32_e32 v17, 31, v17
	v_and_b32_e32 v70, v70, v71
	;; [unrolled: 8-line block ×5, first 2 shown]
	v_xor_b32_e32 v71, s41, v17
	v_xor_b32_e32 v17, s40, v17
	v_and_b32_e32 v69, v69, v17
	v_lshlrev_b32_e32 v17, 24, v19
	v_cmp_gt_i64_e64 s[40:41], 0, v[16:17]
	v_not_b32_e32 v16, v17
	v_ashrrev_i32_e32 v16, 31, v16
	v_xor_b32_e32 v17, s41, v16
	v_xor_b32_e32 v16, s40, v16
	; wave barrier
	ds_read_b32 v67, v68 offset:8
	v_and_b32_e32 v70, v70, v71
	v_and_b32_e32 v16, v69, v16
	;; [unrolled: 1-line block ×3, first 2 shown]
	v_mbcnt_lo_u32_b32 v19, v16, 0
	v_mbcnt_hi_u32_b32 v69, v17, v19
	v_cmp_eq_u32_e64 s[40:41], 0, v69
	v_cmp_ne_u64_e64 s[42:43], 0, v[16:17]
	s_and_b64 s[42:43], s[42:43], s[40:41]
	; wave barrier
	s_and_saveexec_b64 s[40:41], s[42:43]
	s_cbranch_execz .LBB247_115
; %bb.114:
	v_bcnt_u32_b32 v16, v16, 0
	v_bcnt_u32_b32 v16, v17, v16
	s_waitcnt lgkmcnt(0)
	v_add_u32_e32 v16, v67, v16
	ds_write_b32 v68, v16 offset:8
.LBB247_115:
	s_or_b64 exec, exec, s[40:41]
	v_lshrrev_b16_e32 v16, 8, v26
	v_cmp_ne_u16_e64 s[40:41], s50, v26
	v_cndmask_b32_e64 v16, v18, v16, s[40:41]
	v_and_b32_e32 v18, s49, v16
	v_and_b32_e32 v17, 1, v18
	v_add_co_u32_e64 v19, s[40:41], -1, v17
	v_addc_co_u32_e64 v72, s[40:41], 0, -1, s[40:41]
	v_cmp_ne_u32_e64 s[40:41], 0, v17
	v_lshlrev_b32_e32 v16, 1, v18
	v_xor_b32_e32 v17, s41, v72
	v_add_lshl_u32 v71, v16, v24, 2
	v_mov_b32_e32 v16, 0
	v_and_b32_e32 v72, exec_hi, v17
	v_lshlrev_b32_e32 v17, 30, v18
	v_xor_b32_e32 v19, s40, v19
	v_cmp_gt_i64_e64 s[40:41], 0, v[16:17]
	v_not_b32_e32 v17, v17
	v_ashrrev_i32_e32 v17, 31, v17
	v_and_b32_e32 v19, exec_lo, v19
	v_xor_b32_e32 v73, s41, v17
	v_xor_b32_e32 v17, s40, v17
	v_and_b32_e32 v19, v19, v17
	v_lshlrev_b32_e32 v17, 29, v18
	v_cmp_gt_i64_e64 s[40:41], 0, v[16:17]
	v_not_b32_e32 v17, v17
	v_ashrrev_i32_e32 v17, 31, v17
	v_and_b32_e32 v72, v72, v73
	v_xor_b32_e32 v73, s41, v17
	v_xor_b32_e32 v17, s40, v17
	v_and_b32_e32 v19, v19, v17
	v_lshlrev_b32_e32 v17, 28, v18
	v_cmp_gt_i64_e64 s[40:41], 0, v[16:17]
	v_not_b32_e32 v17, v17
	v_ashrrev_i32_e32 v17, 31, v17
	v_and_b32_e32 v72, v72, v73
	;; [unrolled: 8-line block ×5, first 2 shown]
	v_xor_b32_e32 v73, s41, v17
	v_xor_b32_e32 v17, s40, v17
	v_and_b32_e32 v72, v72, v73
	v_and_b32_e32 v73, v19, v17
	v_lshlrev_b32_e32 v17, 24, v18
	v_cmp_gt_i64_e64 s[40:41], 0, v[16:17]
	v_not_b32_e32 v17, v17
	v_ashrrev_i32_e32 v17, 31, v17
	v_xor_b32_e32 v18, s41, v17
	v_xor_b32_e32 v17, s40, v17
	; wave barrier
	ds_read_b32 v70, v71 offset:8
	v_and_b32_e32 v19, v72, v18
	v_and_b32_e32 v18, v73, v17
	v_mbcnt_lo_u32_b32 v17, v18, 0
	v_mbcnt_hi_u32_b32 v72, v19, v17
	v_cmp_eq_u32_e64 s[40:41], 0, v72
	v_cmp_ne_u64_e64 s[42:43], 0, v[18:19]
	s_and_b64 s[42:43], s[42:43], s[40:41]
	; wave barrier
	s_and_saveexec_b64 s[40:41], s[42:43]
	s_cbranch_execz .LBB247_117
; %bb.116:
	v_bcnt_u32_b32 v17, v18, 0
	v_bcnt_u32_b32 v17, v19, v17
	s_waitcnt lgkmcnt(0)
	v_add_u32_e32 v17, v70, v17
	ds_write_b32 v71, v17 offset:8
.LBB247_117:
	s_or_b64 exec, exec, s[40:41]
	v_lshrrev_b16_e32 v17, 8, v25
	v_mov_b32_e32 v18, 0x7f
	v_cmp_ne_u16_e64 s[40:41], s50, v25
	v_cndmask_b32_e64 v17, v18, v17, s[40:41]
	v_and_b32_e32 v19, s49, v17
	v_lshlrev_b32_e32 v17, 1, v19
	v_add_lshl_u32 v74, v17, v24, 2
	v_and_b32_e32 v17, 1, v19
	v_add_co_u32_e64 v75, s[40:41], -1, v17
	v_addc_co_u32_e64 v76, s[40:41], 0, -1, s[40:41]
	v_cmp_ne_u32_e64 s[40:41], 0, v17
	v_xor_b32_e32 v17, s41, v76
	v_and_b32_e32 v76, exec_hi, v17
	v_lshlrev_b32_e32 v17, 30, v19
	v_xor_b32_e32 v75, s40, v75
	v_cmp_gt_i64_e64 s[40:41], 0, v[16:17]
	v_not_b32_e32 v17, v17
	v_ashrrev_i32_e32 v17, 31, v17
	v_and_b32_e32 v75, exec_lo, v75
	v_xor_b32_e32 v77, s41, v17
	v_xor_b32_e32 v17, s40, v17
	v_and_b32_e32 v75, v75, v17
	v_lshlrev_b32_e32 v17, 29, v19
	v_cmp_gt_i64_e64 s[40:41], 0, v[16:17]
	v_not_b32_e32 v17, v17
	v_ashrrev_i32_e32 v17, 31, v17
	v_and_b32_e32 v76, v76, v77
	v_xor_b32_e32 v77, s41, v17
	v_xor_b32_e32 v17, s40, v17
	v_and_b32_e32 v75, v75, v17
	v_lshlrev_b32_e32 v17, 28, v19
	v_cmp_gt_i64_e64 s[40:41], 0, v[16:17]
	v_not_b32_e32 v17, v17
	v_ashrrev_i32_e32 v17, 31, v17
	v_and_b32_e32 v76, v76, v77
	;; [unrolled: 8-line block ×5, first 2 shown]
	v_xor_b32_e32 v77, s41, v17
	v_xor_b32_e32 v17, s40, v17
	v_and_b32_e32 v75, v75, v17
	v_lshlrev_b32_e32 v17, 24, v19
	v_cmp_gt_i64_e64 s[40:41], 0, v[16:17]
	v_not_b32_e32 v16, v17
	v_ashrrev_i32_e32 v16, 31, v16
	v_xor_b32_e32 v17, s41, v16
	v_xor_b32_e32 v16, s40, v16
	; wave barrier
	ds_read_b32 v73, v74 offset:8
	v_and_b32_e32 v76, v76, v77
	v_and_b32_e32 v16, v75, v16
	;; [unrolled: 1-line block ×3, first 2 shown]
	v_mbcnt_lo_u32_b32 v19, v16, 0
	v_mbcnt_hi_u32_b32 v75, v17, v19
	v_cmp_eq_u32_e64 s[40:41], 0, v75
	v_cmp_ne_u64_e64 s[42:43], 0, v[16:17]
	s_and_b64 s[42:43], s[42:43], s[40:41]
	; wave barrier
	s_and_saveexec_b64 s[40:41], s[42:43]
	s_cbranch_execz .LBB247_119
; %bb.118:
	v_bcnt_u32_b32 v16, v16, 0
	v_bcnt_u32_b32 v16, v17, v16
	s_waitcnt lgkmcnt(0)
	v_add_u32_e32 v16, v73, v16
	ds_write_b32 v74, v16 offset:8
.LBB247_119:
	s_or_b64 exec, exec, s[40:41]
	v_lshrrev_b16_e32 v16, 8, v20
	v_cmp_ne_u16_e64 s[40:41], s50, v20
	v_cndmask_b32_e64 v16, v18, v16, s[40:41]
	v_and_b32_e32 v18, s49, v16
	v_and_b32_e32 v17, 1, v18
	v_add_co_u32_e64 v19, s[40:41], -1, v17
	v_addc_co_u32_e64 v77, s[40:41], 0, -1, s[40:41]
	v_cmp_ne_u32_e64 s[40:41], 0, v17
	v_lshlrev_b32_e32 v16, 1, v18
	v_xor_b32_e32 v17, s41, v77
	v_add_lshl_u32 v76, v16, v24, 2
	v_mov_b32_e32 v16, 0
	v_and_b32_e32 v77, exec_hi, v17
	v_lshlrev_b32_e32 v17, 30, v18
	v_xor_b32_e32 v19, s40, v19
	v_cmp_gt_i64_e64 s[40:41], 0, v[16:17]
	v_not_b32_e32 v17, v17
	v_ashrrev_i32_e32 v17, 31, v17
	v_and_b32_e32 v19, exec_lo, v19
	v_xor_b32_e32 v78, s41, v17
	v_xor_b32_e32 v17, s40, v17
	v_and_b32_e32 v19, v19, v17
	v_lshlrev_b32_e32 v17, 29, v18
	v_cmp_gt_i64_e64 s[40:41], 0, v[16:17]
	v_not_b32_e32 v17, v17
	v_ashrrev_i32_e32 v17, 31, v17
	v_and_b32_e32 v77, v77, v78
	v_xor_b32_e32 v78, s41, v17
	v_xor_b32_e32 v17, s40, v17
	v_and_b32_e32 v19, v19, v17
	v_lshlrev_b32_e32 v17, 28, v18
	v_cmp_gt_i64_e64 s[40:41], 0, v[16:17]
	v_not_b32_e32 v17, v17
	v_ashrrev_i32_e32 v17, 31, v17
	v_and_b32_e32 v77, v77, v78
	;; [unrolled: 8-line block ×5, first 2 shown]
	v_xor_b32_e32 v78, s41, v17
	v_xor_b32_e32 v17, s40, v17
	v_and_b32_e32 v19, v19, v17
	v_lshlrev_b32_e32 v17, 24, v18
	v_cmp_gt_i64_e64 s[40:41], 0, v[16:17]
	v_not_b32_e32 v16, v17
	v_ashrrev_i32_e32 v16, 31, v16
	v_xor_b32_e32 v17, s41, v16
	v_xor_b32_e32 v16, s40, v16
	; wave barrier
	ds_read_b32 v24, v76 offset:8
	v_and_b32_e32 v77, v77, v78
	v_and_b32_e32 v16, v19, v16
	;; [unrolled: 1-line block ×3, first 2 shown]
	v_mbcnt_lo_u32_b32 v18, v16, 0
	v_mbcnt_hi_u32_b32 v77, v17, v18
	v_cmp_eq_u32_e64 s[40:41], 0, v77
	v_cmp_ne_u64_e64 s[42:43], 0, v[16:17]
	s_and_b64 s[42:43], s[42:43], s[40:41]
	; wave barrier
	s_and_saveexec_b64 s[40:41], s[42:43]
	s_cbranch_execz .LBB247_121
; %bb.120:
	v_bcnt_u32_b32 v16, v16, 0
	v_bcnt_u32_b32 v16, v17, v16
	s_waitcnt lgkmcnt(0)
	v_add_u32_e32 v16, v24, v16
	ds_write_b32 v76, v16 offset:8
.LBB247_121:
	s_or_b64 exec, exec, s[40:41]
	; wave barrier
	s_waitcnt lgkmcnt(0)
	s_barrier
	ds_read2_b32 v[18:19], v64 offset0:2 offset1:3
	ds_read2_b32 v[16:17], v22 offset0:2 offset1:3
	s_waitcnt lgkmcnt(1)
	v_add_u32_e32 v78, v19, v18
	s_waitcnt lgkmcnt(0)
	v_add3_u32 v17, v78, v16, v17
	s_nop 1
	v_mov_b32_dpp v78, v17 row_shr:1 row_mask:0xf bank_mask:0xf
	v_cndmask_b32_e64 v78, v78, 0, s[20:21]
	v_add_u32_e32 v17, v78, v17
	s_nop 1
	v_mov_b32_dpp v78, v17 row_shr:2 row_mask:0xf bank_mask:0xf
	v_cndmask_b32_e64 v78, 0, v78, s[22:23]
	v_add_u32_e32 v17, v17, v78
	;; [unrolled: 4-line block ×4, first 2 shown]
	s_nop 1
	v_mov_b32_dpp v78, v17 row_bcast:15 row_mask:0xf bank_mask:0xf
	v_cndmask_b32_e64 v78, v78, 0, vcc
	v_add_u32_e32 v17, v17, v78
	s_nop 1
	v_mov_b32_dpp v78, v17 row_bcast:31 row_mask:0xf bank_mask:0xf
	v_cndmask_b32_e64 v78, 0, v78, s[34:35]
	v_add_u32_e32 v78, v17, v78
	s_and_saveexec_b64 s[20:21], s[16:17]
	s_cbranch_execz .LBB247_123
; %bb.122:
	ds_write_b32 v23, v78
.LBB247_123:
	s_or_b64 exec, exec, s[20:21]
	s_waitcnt lgkmcnt(0)
	s_barrier
	s_and_saveexec_b64 s[16:17], s[24:25]
	s_cbranch_execz .LBB247_125
; %bb.124:
	ds_read_b32 v17, v21
	s_waitcnt lgkmcnt(0)
	s_nop 0
	v_mov_b32_dpp v23, v17 row_shr:1 row_mask:0xf bank_mask:0xf
	v_cndmask_b32_e64 v23, v23, 0, s[18:19]
	v_add_u32_e32 v17, v23, v17
	ds_write_b32 v21, v17
.LBB247_125:
	s_or_b64 exec, exec, s[16:17]
	v_mov_b32_e32 v17, 0
	v_mov_b32_e32 v21, 0
	s_waitcnt lgkmcnt(0)
	s_barrier
	s_and_saveexec_b64 s[16:17], s[30:31]
	s_cbranch_execz .LBB247_127
; %bb.126:
	ds_read_b32 v21, v34
.LBB247_127:
	s_or_b64 exec, exec, s[16:17]
	s_waitcnt lgkmcnt(0)
	v_add_u32_e32 v23, v21, v78
	ds_bpermute_b32 v23, v35, v23
	v_lshlrev_b32_e32 v34, 3, v63
	s_mov_b32 s18, 0x5040100
	s_waitcnt lgkmcnt(0)
	v_cndmask_b32_e64 v21, v23, v21, s[36:37]
	v_cndmask_b32_e64 v21, v21, 0, s[38:39]
	v_add_u32_e32 v18, v21, v18
	v_add_u32_e32 v19, v18, v19
	;; [unrolled: 1-line block ×3, first 2 shown]
	ds_write2_b32 v64, v21, v18 offset0:2 offset1:3
	ds_write2_b32 v22, v19, v16 offset0:2 offset1:3
	s_waitcnt lgkmcnt(0)
	s_barrier
	ds_read_b32 v16, v76 offset:8
	ds_read_b32 v18, v74 offset:8
	;; [unrolled: 1-line block ×4, first 2 shown]
	s_waitcnt lgkmcnt(3)
	v_add3_u32 v16, v77, v24, v16
	ds_read_b32 v22, v65 offset:8
	ds_read_b32 v23, v40 offset:8
	;; [unrolled: 1-line block ×4, first 2 shown]
	s_waitcnt lgkmcnt(0)
	s_barrier
	v_add3_u32 v23, v41, v39, v23
	v_add3_u32 v24, v38, v36, v24
	v_add_u32_e32 v32, v32, v33
	v_lshlrev_b32_e32 v33, 1, v32
	ds_write_b16 v33, v31
	v_lshlrev_b32_e32 v31, 1, v24
	v_add3_u32 v22, v66, v46, v22
	ds_write_b16 v31, v30
	v_lshlrev_b32_e32 v30, 1, v23
	v_add3_u32 v21, v69, v67, v21
	;; [unrolled: 3-line block ×4, first 2 shown]
	ds_write_b16 v28, v27
	v_lshlrev_b32_e32 v27, 1, v19
	ds_write_b16 v27, v26
	v_lshlrev_b32_e32 v26, 1, v18
	;; [unrolled: 2-line block ×4, first 2 shown]
	s_waitcnt lgkmcnt(0)
	s_barrier
	v_lshlrev_b32_e32 v26, 3, v21
	v_lshlrev_b32_e32 v27, 3, v19
	;; [unrolled: 1-line block ×3, first 2 shown]
	ds_read_b128 v[18:21], v20
	v_mov_b32_e32 v40, -1
	v_mov_b32_e32 v41, 0x7fff
	v_lshlrev_b32_e32 v25, 3, v32
	v_lshlrev_b32_e32 v24, 3, v24
	s_waitcnt lgkmcnt(0)
	v_cmp_gt_i16_sdwa vcc, v18, v40 src0_sel:WORD_1 src1_sel:DWORD
	v_cndmask_b32_e32 v29, 0, v41, vcc
	v_cmp_lt_i16_e32 vcc, -1, v18
	v_cndmask_b32_e32 v30, 0, v41, vcc
	v_cmp_lt_i16_sdwa s[16:17], v19, v17 src0_sel:WORD_1 src1_sel:DWORD
	v_cmp_gt_i16_e32 vcc, 0, v19
	v_cndmask_b32_e64 v31, v41, 0, s[16:17]
	v_cndmask_b32_e64 v32, v41, 0, vcc
	v_lshlrev_b32_e32 v23, 3, v23
	v_lshlrev_b32_e32 v22, 3, v22
	v_xor_b32_e32 v32, v32, v19
	v_xor_b32_sdwa v19, v31, v19 dst_sel:DWORD dst_unused:UNUSED_PAD src0_sel:DWORD src1_sel:WORD_1
	v_lshlrev_b32_e32 v16, 3, v16
	v_perm_b32 v39, v19, v32, s18
	v_xor_b32_e32 v19, v30, v18
	v_xor_b32_sdwa v18, v29, v18 dst_sel:DWORD dst_unused:UNUSED_PAD src0_sel:DWORD src1_sel:WORD_1
	s_barrier
	ds_write_b64 v25, v[12:13]
	ds_write_b64 v24, v[14:15]
	;; [unrolled: 1-line block ×8, first 2 shown]
	s_waitcnt lgkmcnt(0)
	s_barrier
	ds_read2_b64 v[22:25], v34 offset1:1
	ds_read2_b64 v[26:29], v34 offset0:2 offset1:3
	ds_read2_b64 v[30:33], v34 offset0:4 offset1:5
	;; [unrolled: 1-line block ×3, first 2 shown]
	v_cmp_gt_i16_sdwa vcc, v20, v40 src0_sel:WORD_1 src1_sel:DWORD
	v_cndmask_b32_e32 v0, 0, v41, vcc
	v_cmp_lt_i16_e32 vcc, -1, v20
	v_cndmask_b32_e32 v1, 0, v41, vcc
	v_cmp_lt_i16_sdwa s[16:17], v21, v17 src0_sel:WORD_1 src1_sel:DWORD
	v_cmp_gt_i16_e32 vcc, 0, v21
	v_cndmask_b32_e64 v2, v41, 0, s[16:17]
	v_cndmask_b32_e64 v3, v41, 0, vcc
	v_xor_b32_e32 v3, v3, v21
	v_xor_b32_sdwa v2, v2, v21 dst_sel:DWORD dst_unused:UNUSED_PAD src0_sel:DWORD src1_sel:WORD_1
	v_xor_b32_e32 v1, v1, v20
	v_xor_b32_sdwa v0, v0, v20 dst_sel:DWORD dst_unused:UNUSED_PAD src0_sel:DWORD src1_sel:WORD_1
	v_perm_b32 v38, v18, v19, s18
	v_perm_b32 v41, v2, v3, s18
	;; [unrolled: 1-line block ×3, first 2 shown]
.LBB247_128:
	s_waitcnt lgkmcnt(0)
	s_barrier
	ds_write_b128 v54, v[38:41]
	s_waitcnt lgkmcnt(0)
	s_barrier
	ds_read_u16 v8, v43 offset:256
	ds_read_u16 v7, v48 offset:512
	;; [unrolled: 1-line block ×7, first 2 shown]
	v_mov_b32_e32 v43, 0
	v_lshlrev_b64 v[0:1], 1, v[42:43]
	v_mov_b32_e32 v9, s44
	v_add_co_u32_e32 v0, vcc, s33, v0
	v_addc_co_u32_e32 v1, vcc, v9, v1, vcc
	s_and_saveexec_b64 s[16:17], s[0:1]
	s_cbranch_execnz .LBB247_147
; %bb.129:
	s_or_b64 exec, exec, s[16:17]
	s_and_saveexec_b64 s[16:17], s[2:3]
	s_cbranch_execnz .LBB247_148
.LBB247_130:
	s_or_b64 exec, exec, s[16:17]
	s_and_saveexec_b64 s[16:17], s[4:5]
	s_cbranch_execnz .LBB247_149
.LBB247_131:
	s_or_b64 exec, exec, s[16:17]
	s_and_saveexec_b64 s[16:17], s[6:7]
	s_cbranch_execnz .LBB247_150
.LBB247_132:
	s_or_b64 exec, exec, s[16:17]
	s_and_saveexec_b64 s[16:17], s[8:9]
	s_cbranch_execnz .LBB247_151
.LBB247_133:
	s_or_b64 exec, exec, s[16:17]
	s_and_saveexec_b64 s[16:17], s[10:11]
	s_cbranch_execnz .LBB247_152
.LBB247_134:
	s_or_b64 exec, exec, s[16:17]
	s_and_saveexec_b64 s[16:17], s[12:13]
	s_cbranch_execnz .LBB247_153
.LBB247_135:
	s_or_b64 exec, exec, s[16:17]
	s_and_saveexec_b64 s[16:17], s[14:15]
	s_cbranch_execz .LBB247_137
.LBB247_136:
	s_mul_i32 s18, s46, 0x380
	s_mov_b32 s19, 0
	s_lshl_b64 s[18:19], s[18:19], 1
	s_waitcnt lgkmcnt(1)
	v_mov_b32_e32 v3, s19
	v_add_co_u32_e32 v0, vcc, s18, v0
	v_addc_co_u32_e32 v1, vcc, v1, v3, vcc
	s_waitcnt lgkmcnt(0)
	global_store_short v[0:1], v2, off
.LBB247_137:
	s_or_b64 exec, exec, s[16:17]
	s_waitcnt lgkmcnt(0)
	s_barrier
	ds_write2_b64 v62, v[22:23], v[24:25] offset1:1
	ds_write2_b64 v62, v[26:27], v[28:29] offset0:2 offset1:3
	ds_write2_b64 v62, v[30:31], v[32:33] offset0:4 offset1:5
	;; [unrolled: 1-line block ×3, first 2 shown]
	s_waitcnt lgkmcnt(0)
	s_barrier
	ds_read_b64 v[14:15], v45 offset:1024
	ds_read_b64 v[12:13], v56 offset:2048
	;; [unrolled: 1-line block ×7, first 2 shown]
	v_mov_b32_e32 v45, 0
	v_lshlrev_b64 v[2:3], 3, v[44:45]
	v_mov_b32_e32 v16, s47
	v_add_co_u32_e32 v2, vcc, s45, v2
	v_addc_co_u32_e32 v3, vcc, v16, v3, vcc
	s_and_saveexec_b64 s[16:17], s[0:1]
	s_cbranch_execnz .LBB247_154
; %bb.138:
	s_or_b64 exec, exec, s[16:17]
	s_and_saveexec_b64 s[0:1], s[2:3]
	s_cbranch_execnz .LBB247_155
.LBB247_139:
	s_or_b64 exec, exec, s[0:1]
	s_and_saveexec_b64 s[0:1], s[4:5]
	s_cbranch_execnz .LBB247_156
.LBB247_140:
	s_or_b64 exec, exec, s[0:1]
	s_and_saveexec_b64 s[0:1], s[6:7]
	s_cbranch_execnz .LBB247_157
.LBB247_141:
	s_or_b64 exec, exec, s[0:1]
	s_and_saveexec_b64 s[0:1], s[8:9]
	s_cbranch_execnz .LBB247_158
.LBB247_142:
	s_or_b64 exec, exec, s[0:1]
	s_and_saveexec_b64 s[0:1], s[10:11]
	s_cbranch_execnz .LBB247_159
.LBB247_143:
	s_or_b64 exec, exec, s[0:1]
	s_and_saveexec_b64 s[0:1], s[12:13]
	s_cbranch_execnz .LBB247_160
.LBB247_144:
	s_or_b64 exec, exec, s[0:1]
	s_and_saveexec_b64 s[0:1], s[14:15]
	s_cbranch_execz .LBB247_146
.LBB247_145:
	s_mul_i32 s0, s48, 0x380
	s_mov_b32 s1, 0
	s_lshl_b64 s[0:1], s[0:1], 3
	s_waitcnt lgkmcnt(1)
	v_mov_b32_e32 v4, s1
	v_add_co_u32_e32 v2, vcc, s0, v2
	v_addc_co_u32_e32 v3, vcc, v3, v4, vcc
	s_waitcnt lgkmcnt(0)
	global_store_dwordx2 v[2:3], v[0:1], off
.LBB247_146:
	s_endpgm
.LBB247_147:
	ds_read_u16 v9, v47
	s_waitcnt lgkmcnt(0)
	global_store_short v[0:1], v9, off
	s_or_b64 exec, exec, s[16:17]
	s_and_saveexec_b64 s[16:17], s[2:3]
	s_cbranch_execz .LBB247_130
.LBB247_148:
	s_lshl_b32 s18, s46, 7
	s_mov_b32 s19, 0
	s_lshl_b64 s[18:19], s[18:19], 1
	v_mov_b32_e32 v9, s19
	v_add_co_u32_e32 v10, vcc, s18, v0
	v_addc_co_u32_e32 v11, vcc, v1, v9, vcc
	s_waitcnt lgkmcnt(6)
	global_store_short v[10:11], v8, off
	s_or_b64 exec, exec, s[16:17]
	s_and_saveexec_b64 s[16:17], s[4:5]
	s_cbranch_execz .LBB247_131
.LBB247_149:
	s_lshl_b32 s18, s46, 8
	s_mov_b32 s19, 0
	s_lshl_b64 s[18:19], s[18:19], 1
	v_mov_b32_e32 v9, s19
	s_waitcnt lgkmcnt(6)
	v_add_co_u32_e32 v8, vcc, s18, v0
	v_addc_co_u32_e32 v9, vcc, v1, v9, vcc
	s_waitcnt lgkmcnt(5)
	global_store_short v[8:9], v7, off
	s_or_b64 exec, exec, s[16:17]
	s_and_saveexec_b64 s[16:17], s[6:7]
	s_cbranch_execz .LBB247_132
.LBB247_150:
	s_mul_i32 s18, s46, 0x180
	s_mov_b32 s19, 0
	s_lshl_b64 s[18:19], s[18:19], 1
	s_waitcnt lgkmcnt(5)
	v_mov_b32_e32 v7, s19
	v_add_co_u32_e32 v8, vcc, s18, v0
	v_addc_co_u32_e32 v9, vcc, v1, v7, vcc
	s_waitcnt lgkmcnt(4)
	global_store_short v[8:9], v6, off
	s_or_b64 exec, exec, s[16:17]
	s_and_saveexec_b64 s[16:17], s[8:9]
	s_cbranch_execz .LBB247_133
.LBB247_151:
	s_lshl_b32 s18, s46, 9
	s_mov_b32 s19, 0
	s_lshl_b64 s[18:19], s[18:19], 1
	s_waitcnt lgkmcnt(5)
	v_mov_b32_e32 v7, s19
	s_waitcnt lgkmcnt(4)
	v_add_co_u32_e32 v6, vcc, s18, v0
	v_addc_co_u32_e32 v7, vcc, v1, v7, vcc
	s_waitcnt lgkmcnt(3)
	global_store_short v[6:7], v5, off
	s_or_b64 exec, exec, s[16:17]
	s_and_saveexec_b64 s[16:17], s[10:11]
	s_cbranch_execz .LBB247_134
.LBB247_152:
	s_mul_i32 s18, s46, 0x280
	s_mov_b32 s19, 0
	s_lshl_b64 s[18:19], s[18:19], 1
	s_waitcnt lgkmcnt(3)
	v_mov_b32_e32 v5, s19
	v_add_co_u32_e32 v6, vcc, s18, v0
	v_addc_co_u32_e32 v7, vcc, v1, v5, vcc
	s_waitcnt lgkmcnt(2)
	global_store_short v[6:7], v4, off
	s_or_b64 exec, exec, s[16:17]
	s_and_saveexec_b64 s[16:17], s[12:13]
	s_cbranch_execz .LBB247_135
.LBB247_153:
	s_mul_i32 s18, s46, 0x300
	s_mov_b32 s19, 0
	s_lshl_b64 s[18:19], s[18:19], 1
	s_waitcnt lgkmcnt(3)
	v_mov_b32_e32 v5, s19
	s_waitcnt lgkmcnt(2)
	v_add_co_u32_e32 v4, vcc, s18, v0
	v_addc_co_u32_e32 v5, vcc, v1, v5, vcc
	s_waitcnt lgkmcnt(1)
	global_store_short v[4:5], v3, off
	s_or_b64 exec, exec, s[16:17]
	s_and_saveexec_b64 s[16:17], s[14:15]
	s_cbranch_execnz .LBB247_136
	s_branch .LBB247_137
.LBB247_154:
	ds_read_b64 v[16:17], v55
	s_waitcnt lgkmcnt(0)
	global_store_dwordx2 v[2:3], v[16:17], off
	s_or_b64 exec, exec, s[16:17]
	s_and_saveexec_b64 s[0:1], s[2:3]
	s_cbranch_execz .LBB247_139
.LBB247_155:
	s_lshl_b32 s2, s48, 7
	s_mov_b32 s3, 0
	s_lshl_b64 s[2:3], s[2:3], 3
	v_mov_b32_e32 v17, s3
	v_add_co_u32_e32 v16, vcc, s2, v2
	v_addc_co_u32_e32 v17, vcc, v3, v17, vcc
	s_waitcnt lgkmcnt(6)
	global_store_dwordx2 v[16:17], v[14:15], off
	s_or_b64 exec, exec, s[0:1]
	s_and_saveexec_b64 s[0:1], s[4:5]
	s_cbranch_execz .LBB247_140
.LBB247_156:
	s_lshl_b32 s2, s48, 8
	s_mov_b32 s3, 0
	s_lshl_b64 s[2:3], s[2:3], 3
	s_waitcnt lgkmcnt(6)
	v_mov_b32_e32 v15, s3
	v_add_co_u32_e32 v14, vcc, s2, v2
	v_addc_co_u32_e32 v15, vcc, v3, v15, vcc
	s_waitcnt lgkmcnt(5)
	global_store_dwordx2 v[14:15], v[12:13], off
	s_or_b64 exec, exec, s[0:1]
	s_and_saveexec_b64 s[0:1], s[6:7]
	s_cbranch_execz .LBB247_141
.LBB247_157:
	s_mul_i32 s2, s48, 0x180
	s_mov_b32 s3, 0
	s_lshl_b64 s[2:3], s[2:3], 3
	s_waitcnt lgkmcnt(5)
	v_mov_b32_e32 v13, s3
	v_add_co_u32_e32 v12, vcc, s2, v2
	v_addc_co_u32_e32 v13, vcc, v3, v13, vcc
	s_waitcnt lgkmcnt(4)
	global_store_dwordx2 v[12:13], v[10:11], off
	s_or_b64 exec, exec, s[0:1]
	s_and_saveexec_b64 s[0:1], s[8:9]
	s_cbranch_execz .LBB247_142
.LBB247_158:
	s_lshl_b32 s2, s48, 9
	s_mov_b32 s3, 0
	s_lshl_b64 s[2:3], s[2:3], 3
	s_waitcnt lgkmcnt(4)
	v_mov_b32_e32 v11, s3
	v_add_co_u32_e32 v10, vcc, s2, v2
	v_addc_co_u32_e32 v11, vcc, v3, v11, vcc
	s_waitcnt lgkmcnt(3)
	global_store_dwordx2 v[10:11], v[8:9], off
	s_or_b64 exec, exec, s[0:1]
	s_and_saveexec_b64 s[0:1], s[10:11]
	s_cbranch_execz .LBB247_143
.LBB247_159:
	s_mul_i32 s2, s48, 0x280
	s_mov_b32 s3, 0
	s_lshl_b64 s[2:3], s[2:3], 3
	s_waitcnt lgkmcnt(3)
	v_mov_b32_e32 v9, s3
	v_add_co_u32_e32 v8, vcc, s2, v2
	v_addc_co_u32_e32 v9, vcc, v3, v9, vcc
	s_waitcnt lgkmcnt(2)
	global_store_dwordx2 v[8:9], v[6:7], off
	s_or_b64 exec, exec, s[0:1]
	s_and_saveexec_b64 s[0:1], s[12:13]
	s_cbranch_execz .LBB247_144
.LBB247_160:
	s_mul_i32 s2, s48, 0x300
	s_mov_b32 s3, 0
	s_lshl_b64 s[2:3], s[2:3], 3
	s_waitcnt lgkmcnt(2)
	v_mov_b32_e32 v7, s3
	v_add_co_u32_e32 v6, vcc, s2, v2
	v_addc_co_u32_e32 v7, vcc, v3, v7, vcc
	s_waitcnt lgkmcnt(1)
	global_store_dwordx2 v[6:7], v[4:5], off
	s_or_b64 exec, exec, s[0:1]
	s_and_saveexec_b64 s[0:1], s[14:15]
	s_cbranch_execnz .LBB247_145
	s_branch .LBB247_146
	.section	.rodata,"a",@progbits
	.p2align	6, 0x0
	.amdhsa_kernel _ZN2at6native18radixSortKVInPlaceILi2ELin1ELi128ELi8EN3c108BFloat16EljEEvNS_4cuda6detail10TensorInfoIT3_T5_EES8_S8_S8_NS6_IT4_S8_EES8_b
		.amdhsa_group_segment_fixed_size 8448
		.amdhsa_private_segment_fixed_size 0
		.amdhsa_kernarg_size 712
		.amdhsa_user_sgpr_count 6
		.amdhsa_user_sgpr_private_segment_buffer 1
		.amdhsa_user_sgpr_dispatch_ptr 0
		.amdhsa_user_sgpr_queue_ptr 0
		.amdhsa_user_sgpr_kernarg_segment_ptr 1
		.amdhsa_user_sgpr_dispatch_id 0
		.amdhsa_user_sgpr_flat_scratch_init 0
		.amdhsa_user_sgpr_kernarg_preload_length 0
		.amdhsa_user_sgpr_kernarg_preload_offset 0
		.amdhsa_user_sgpr_private_segment_size 0
		.amdhsa_uses_dynamic_stack 0
		.amdhsa_system_sgpr_private_segment_wavefront_offset 0
		.amdhsa_system_sgpr_workgroup_id_x 1
		.amdhsa_system_sgpr_workgroup_id_y 1
		.amdhsa_system_sgpr_workgroup_id_z 1
		.amdhsa_system_sgpr_workgroup_info 0
		.amdhsa_system_vgpr_workitem_id 2
		.amdhsa_next_free_vgpr 108
		.amdhsa_next_free_sgpr 53
		.amdhsa_accum_offset 108
		.amdhsa_reserve_vcc 1
		.amdhsa_reserve_flat_scratch 0
		.amdhsa_float_round_mode_32 0
		.amdhsa_float_round_mode_16_64 0
		.amdhsa_float_denorm_mode_32 3
		.amdhsa_float_denorm_mode_16_64 3
		.amdhsa_dx10_clamp 1
		.amdhsa_ieee_mode 1
		.amdhsa_fp16_overflow 0
		.amdhsa_tg_split 0
		.amdhsa_exception_fp_ieee_invalid_op 0
		.amdhsa_exception_fp_denorm_src 0
		.amdhsa_exception_fp_ieee_div_zero 0
		.amdhsa_exception_fp_ieee_overflow 0
		.amdhsa_exception_fp_ieee_underflow 0
		.amdhsa_exception_fp_ieee_inexact 0
		.amdhsa_exception_int_div_zero 0
	.end_amdhsa_kernel
	.section	.text._ZN2at6native18radixSortKVInPlaceILi2ELin1ELi128ELi8EN3c108BFloat16EljEEvNS_4cuda6detail10TensorInfoIT3_T5_EES8_S8_S8_NS6_IT4_S8_EES8_b,"axG",@progbits,_ZN2at6native18radixSortKVInPlaceILi2ELin1ELi128ELi8EN3c108BFloat16EljEEvNS_4cuda6detail10TensorInfoIT3_T5_EES8_S8_S8_NS6_IT4_S8_EES8_b,comdat
.Lfunc_end247:
	.size	_ZN2at6native18radixSortKVInPlaceILi2ELin1ELi128ELi8EN3c108BFloat16EljEEvNS_4cuda6detail10TensorInfoIT3_T5_EES8_S8_S8_NS6_IT4_S8_EES8_b, .Lfunc_end247-_ZN2at6native18radixSortKVInPlaceILi2ELin1ELi128ELi8EN3c108BFloat16EljEEvNS_4cuda6detail10TensorInfoIT3_T5_EES8_S8_S8_NS6_IT4_S8_EES8_b
                                        ; -- End function
	.section	.AMDGPU.csdata,"",@progbits
; Kernel info:
; codeLenInByte = 21384
; NumSgprs: 57
; NumVgprs: 108
; NumAgprs: 0
; TotalNumVgprs: 108
; ScratchSize: 0
; MemoryBound: 0
; FloatMode: 240
; IeeeMode: 1
; LDSByteSize: 8448 bytes/workgroup (compile time only)
; SGPRBlocks: 7
; VGPRBlocks: 13
; NumSGPRsForWavesPerEU: 57
; NumVGPRsForWavesPerEU: 108
; AccumOffset: 108
; Occupancy: 4
; WaveLimiterHint : 1
; COMPUTE_PGM_RSRC2:SCRATCH_EN: 0
; COMPUTE_PGM_RSRC2:USER_SGPR: 6
; COMPUTE_PGM_RSRC2:TRAP_HANDLER: 0
; COMPUTE_PGM_RSRC2:TGID_X_EN: 1
; COMPUTE_PGM_RSRC2:TGID_Y_EN: 1
; COMPUTE_PGM_RSRC2:TGID_Z_EN: 1
; COMPUTE_PGM_RSRC2:TIDIG_COMP_CNT: 2
; COMPUTE_PGM_RSRC3_GFX90A:ACCUM_OFFSET: 26
; COMPUTE_PGM_RSRC3_GFX90A:TG_SPLIT: 0
	.section	.text._ZN2at6native18radixSortKVInPlaceILi2ELin1ELi32ELi4EN3c108BFloat16EljEEvNS_4cuda6detail10TensorInfoIT3_T5_EES8_S8_S8_NS6_IT4_S8_EES8_b,"axG",@progbits,_ZN2at6native18radixSortKVInPlaceILi2ELin1ELi32ELi4EN3c108BFloat16EljEEvNS_4cuda6detail10TensorInfoIT3_T5_EES8_S8_S8_NS6_IT4_S8_EES8_b,comdat
	.protected	_ZN2at6native18radixSortKVInPlaceILi2ELin1ELi32ELi4EN3c108BFloat16EljEEvNS_4cuda6detail10TensorInfoIT3_T5_EES8_S8_S8_NS6_IT4_S8_EES8_b ; -- Begin function _ZN2at6native18radixSortKVInPlaceILi2ELin1ELi32ELi4EN3c108BFloat16EljEEvNS_4cuda6detail10TensorInfoIT3_T5_EES8_S8_S8_NS6_IT4_S8_EES8_b
	.globl	_ZN2at6native18radixSortKVInPlaceILi2ELin1ELi32ELi4EN3c108BFloat16EljEEvNS_4cuda6detail10TensorInfoIT3_T5_EES8_S8_S8_NS6_IT4_S8_EES8_b
	.p2align	8
	.type	_ZN2at6native18radixSortKVInPlaceILi2ELin1ELi32ELi4EN3c108BFloat16EljEEvNS_4cuda6detail10TensorInfoIT3_T5_EES8_S8_S8_NS6_IT4_S8_EES8_b,@function
_ZN2at6native18radixSortKVInPlaceILi2ELin1ELi32ELi4EN3c108BFloat16EljEEvNS_4cuda6detail10TensorInfoIT3_T5_EES8_S8_S8_NS6_IT4_S8_EES8_b: ; @_ZN2at6native18radixSortKVInPlaceILi2ELin1ELi32ELi4EN3c108BFloat16EljEEvNS_4cuda6detail10TensorInfoIT3_T5_EES8_S8_S8_NS6_IT4_S8_EES8_b
; %bb.0:
	s_load_dwordx2 s[0:1], s[4:5], 0x1c8
	s_load_dwordx4 s[24:27], s[4:5], 0xd8
	s_waitcnt lgkmcnt(0)
	s_mul_i32 s1, s1, s8
	s_add_i32 s1, s1, s7
	s_mul_i32 s12, s1, s0
	s_add_i32 s12, s12, s6
	s_cmp_ge_u32 s12, s24
	s_cbranch_scc1 .LBB248_60
; %bb.1:
	s_load_dword s13, s[4:5], 0xc
	s_load_dwordx2 s[0:1], s[4:5], 0x6c
	s_load_dword s8, s[4:5], 0x1b8
	s_add_u32 s6, s4, 0xe8
	s_load_dwordx2 s[2:3], s[4:5], 0x0
	s_waitcnt lgkmcnt(0)
	v_cvt_f32_u32_e32 v1, s13
	s_addc_u32 s7, s5, 0
	s_sub_i32 s9, 0, s13
	s_mov_b32 s11, 0
	v_rcp_iflag_f32_e32 v1, v1
	v_mul_f32_e32 v1, 0x4f7ffffe, v1
	v_cvt_u32_f32_e32 v1, v1
	v_readfirstlane_b32 s10, v1
	s_mul_i32 s9, s9, s10
	s_mul_hi_u32 s9, s10, s9
	s_add_i32 s10, s10, s9
	s_mul_hi_u32 s14, s12, s10
	s_cmp_lt_i32 s8, 2
	s_mov_b32 s10, s12
	s_cbranch_scc1 .LBB248_4
; %bb.2:
	s_add_i32 s10, s8, -1
	s_add_i32 s15, s8, 1
	s_lshl_b64 s[8:9], s[10:11], 2
	s_add_u32 s8, s8, s6
	s_addc_u32 s9, s9, s7
	s_add_u32 s8, s8, 8
	s_addc_u32 s9, s9, 0
	s_mov_b32 s10, s12
.LBB248_3:                              ; =>This Inner Loop Header: Depth=1
	s_load_dword s16, s[8:9], 0x0
	s_load_dword s18, s[8:9], 0x64
	s_mov_b32 s17, s10
	s_waitcnt lgkmcnt(0)
	v_cvt_f32_u32_e32 v1, s16
	s_sub_i32 s10, 0, s16
	v_rcp_iflag_f32_e32 v1, v1
	v_mul_f32_e32 v1, 0x4f7ffffe, v1
	v_cvt_u32_f32_e32 v1, v1
	v_readfirstlane_b32 s19, v1
	s_mul_i32 s10, s10, s19
	s_mul_hi_u32 s10, s19, s10
	s_add_i32 s19, s19, s10
	s_mul_hi_u32 s10, s17, s19
	s_mul_i32 s19, s10, s16
	s_sub_i32 s19, s17, s19
	s_add_i32 s20, s10, 1
	s_sub_i32 s21, s19, s16
	s_cmp_ge_u32 s19, s16
	s_cselect_b32 s10, s20, s10
	s_cselect_b32 s19, s21, s19
	s_add_i32 s20, s10, 1
	s_cmp_ge_u32 s19, s16
	s_cselect_b32 s10, s20, s10
	s_mul_i32 s16, s10, s16
	s_sub_i32 s16, s17, s16
	s_mul_i32 s16, s18, s16
	s_add_i32 s15, s15, -1
	s_add_i32 s11, s16, s11
	s_add_u32 s8, s8, -4
	s_addc_u32 s9, s9, -1
	s_cmp_gt_u32 s15, 2
	s_cbranch_scc1 .LBB248_3
.LBB248_4:
	s_mul_i32 s8, s14, s13
	s_sub_i32 s8, s12, s8
	s_add_i32 s9, s14, 1
	s_sub_i32 s15, s8, s13
	s_cmp_ge_u32 s8, s13
	s_cselect_b32 s9, s9, s14
	s_cselect_b32 s8, s15, s8
	s_add_i32 s14, s9, 1
	s_cmp_ge_u32 s8, s13
	s_cselect_b32 s8, s14, s9
	s_load_dwordx2 s[28:29], s[4:5], 0x1c0
	s_mul_i32 s9, s8, s13
	s_sub_i32 s4, s12, s9
	s_mul_i32 s4, s4, s1
	s_mul_i32 s0, s8, s0
	s_add_i32 s0, s0, s4
	s_waitcnt lgkmcnt(0)
	s_bitcmp1_b32 s29, 0
	s_cselect_b64 s[8:9], -1, 0
	s_mov_b32 s1, 0xffff
	s_and_b64 s[4:5], s[8:9], exec
	s_cselect_b32 s16, s1, 0x7fff
	s_mov_b32 s1, 0
	s_lshl_b64 s[0:1], s[0:1], 1
	s_add_u32 s27, s2, s0
	s_addc_u32 s29, s3, s1
	v_cmp_gt_u32_e64 s[0:1], s25, v0
	v_mov_b32_e32 v2, s16
	v_mul_lo_u32 v18, v0, s26
	s_and_saveexec_b64 s[2:3], s[0:1]
	s_cbranch_execz .LBB248_6
; %bb.5:
	v_mov_b32_e32 v19, 0
	v_lshlrev_b64 v[2:3], 1, v[18:19]
	v_mov_b32_e32 v1, s29
	v_add_co_u32_e32 v2, vcc, s27, v2
	v_addc_co_u32_e32 v3, vcc, v1, v3, vcc
	global_load_ushort v2, v[2:3], off
.LBB248_6:
	s_or_b64 exec, exec, s[2:3]
	v_or_b32_e32 v1, 32, v0
	v_cmp_gt_u32_e64 s[2:3], s25, v1
	v_mov_b32_e32 v3, s16
	s_and_saveexec_b64 s[4:5], s[2:3]
	s_cbranch_execz .LBB248_8
; %bb.7:
	v_mul_lo_u32 v4, v1, s26
	v_mov_b32_e32 v5, 0
	v_lshlrev_b64 v[4:5], 1, v[4:5]
	v_mov_b32_e32 v3, s29
	v_add_co_u32_e32 v4, vcc, s27, v4
	v_addc_co_u32_e32 v5, vcc, v3, v5, vcc
	global_load_ushort v3, v[4:5], off
.LBB248_8:
	s_or_b64 exec, exec, s[4:5]
	s_load_dwordx2 s[12:13], s[6:7], 0x0
	v_or_b32_e32 v14, 64, v0
	v_cmp_gt_u32_e64 s[4:5], s25, v14
	v_mov_b32_e32 v4, s16
	s_and_saveexec_b64 s[14:15], s[4:5]
	s_cbranch_execz .LBB248_10
; %bb.9:
	v_mul_lo_u32 v4, v14, s26
	v_mov_b32_e32 v5, 0
	v_lshlrev_b64 v[4:5], 1, v[4:5]
	v_mov_b32_e32 v6, s29
	v_add_co_u32_e32 v4, vcc, s27, v4
	v_addc_co_u32_e32 v5, vcc, v6, v5, vcc
	global_load_ushort v4, v[4:5], off
.LBB248_10:
	s_or_b64 exec, exec, s[14:15]
	s_load_dword s17, s[6:7], 0x6c
	v_or_b32_e32 v11, 0x60, v0
	v_cmp_gt_u32_e64 s[6:7], s25, v11
	v_mov_b32_e32 v5, s16
	s_and_saveexec_b64 s[14:15], s[6:7]
	s_cbranch_execz .LBB248_12
; %bb.11:
	v_mul_lo_u32 v6, v11, s26
	v_mov_b32_e32 v7, 0
	v_lshlrev_b64 v[6:7], 1, v[6:7]
	v_mov_b32_e32 v5, s29
	v_add_co_u32_e32 v6, vcc, s27, v6
	v_addc_co_u32_e32 v7, vcc, v5, v7, vcc
	global_load_ushort v5, v[6:7], off
.LBB248_12:
	s_or_b64 exec, exec, s[14:15]
	v_lshlrev_b32_e32 v34, 1, v0
	v_lshrrev_b32_e32 v13, 5, v14
	s_waitcnt vmcnt(0)
	ds_write_b16 v34, v2
	ds_write_b16 v34, v3 offset:64
	v_and_b32_e32 v2, 2, v13
	v_lshrrev_b32_e32 v12, 5, v11
	v_add_lshl_u32 v19, v2, v0, 1
	v_and_b32_e32 v2, 2, v12
	v_lshlrev_b32_e32 v10, 2, v0
	v_lshrrev_b32_e32 v15, 3, v0
	v_add_lshl_u32 v35, v2, v0, 1
	v_and_or_b32 v2, v15, 2, v10
	v_lshlrev_b32_e32 v36, 1, v2
	s_waitcnt lgkmcnt(0)
	s_mul_i32 s10, s17, s10
	ds_write_b16 v19, v4 offset:128
	ds_write_b16 v35, v5 offset:192
	s_waitcnt lgkmcnt(0)
	; wave barrier
	s_waitcnt lgkmcnt(0)
	ds_read_b64 v[22:23], v36
	s_add_i32 s16, s10, s11
	s_mov_b32 s17, 0
	s_lshl_b64 s[10:11], s[16:17], 3
	s_mov_b32 s16, s17
	s_add_u32 s33, s12, s10
	s_mov_b32 s18, s17
	s_mov_b32 s19, s17
	s_mov_b32 s20, s17
	s_mov_b32 s21, s17
	s_mov_b32 s22, s17
	s_mov_b32 s23, s17
	v_pk_mov_b32 v[2:3], s[16:17], s[16:17] op_sel:[0,1]
	s_addc_u32 s38, s13, s11
	v_pk_mov_b32 v[4:5], s[18:19], s[18:19] op_sel:[0,1]
	v_pk_mov_b32 v[6:7], s[20:21], s[20:21] op_sel:[0,1]
	;; [unrolled: 1-line block ×3, first 2 shown]
	v_pk_mov_b32 v[2:3], 0, 0
	v_mul_lo_u32 v20, v0, s28
	s_waitcnt lgkmcnt(0)
	; wave barrier
	s_waitcnt lgkmcnt(0)
	s_and_saveexec_b64 s[10:11], s[0:1]
	s_cbranch_execnz .LBB248_33
; %bb.13:
	s_or_b64 exec, exec, s[10:11]
	s_and_saveexec_b64 s[10:11], s[2:3]
	s_cbranch_execnz .LBB248_34
.LBB248_14:
	s_or_b64 exec, exec, s[10:11]
	s_and_saveexec_b64 s[10:11], s[4:5]
	s_cbranch_execz .LBB248_16
.LBB248_15:
	v_mul_lo_u32 v6, v14, s28
	v_mov_b32_e32 v7, 0
	v_lshlrev_b64 v[6:7], 3, v[6:7]
	v_mov_b32_e32 v14, s38
	v_add_co_u32_e32 v6, vcc, s33, v6
	v_addc_co_u32_e32 v7, vcc, v14, v7, vcc
	global_load_dwordx2 v[6:7], v[6:7], off
.LBB248_16:
	s_or_b64 exec, exec, s[10:11]
	s_xor_b64 s[24:25], s[8:9], -1
	v_lshrrev_b32_e32 v14, 5, v1
	s_and_saveexec_b64 s[8:9], s[6:7]
	s_cbranch_execz .LBB248_18
; %bb.17:
	v_mul_lo_u32 v8, v11, s28
	v_mov_b32_e32 v9, 0
	v_lshlrev_b64 v[8:9], 3, v[8:9]
	v_mov_b32_e32 v11, s38
	v_add_co_u32_e32 v8, vcc, s33, v8
	v_addc_co_u32_e32 v9, vcc, v11, v9, vcc
	global_load_dwordx2 v[8:9], v[8:9], off
.LBB248_18:
	s_or_b64 exec, exec, s[8:9]
	v_mbcnt_lo_u32_b32 v11, -1, 0
	v_mbcnt_hi_u32_b32 v11, -1, v11
	v_lshlrev_b32_e32 v37, 3, v0
	v_add_lshl_u32 v21, v14, v0, 3
	v_add_lshl_u32 v38, v13, v0, 3
	;; [unrolled: 1-line block ×4, first 2 shown]
	s_getpc_b64 s[8:9]
	s_add_u32 s8, s8, _ZN7rocprim17ROCPRIM_400000_NS16block_radix_sortI12hip_bfloat16Lj32ELj4ElLj1ELj1ELj0ELNS0_26block_radix_rank_algorithmE1ELNS0_18block_padding_hintE2ELNS0_4arch9wavefront6targetE1EE19radix_bits_per_passE@rel32@lo+4
	s_addc_u32 s9, s9, _ZN7rocprim17ROCPRIM_400000_NS16block_radix_sortI12hip_bfloat16Lj32ELj4ElLj1ELj1ELj0ELNS0_26block_radix_rank_algorithmE1ELNS0_18block_padding_hintE2ELNS0_4arch9wavefront6targetE1EE19radix_bits_per_passE@rel32@hi+12
	v_and_b32_e32 v12, 15, v11
	s_waitcnt vmcnt(0)
	ds_write_b64 v37, v[2:3]
	ds_write_b64 v21, v[4:5] offset:256
	ds_write_b64 v38, v[6:7] offset:512
	;; [unrolled: 1-line block ×3, first 2 shown]
	s_waitcnt lgkmcnt(0)
	; wave barrier
	s_waitcnt lgkmcnt(0)
	ds_read2_b64 v[2:5], v40 offset1:1
	ds_read2_b64 v[6:9], v40 offset0:2 offset1:3
	s_load_dword s39, s[8:9], 0x0
	v_cmp_eq_u32_e64 s[10:11], 0, v12
	v_cmp_lt_u32_e64 s[12:13], 1, v12
	v_cmp_lt_u32_e64 s[14:15], 3, v12
	;; [unrolled: 1-line block ×3, first 2 shown]
	v_and_b32_e32 v12, 16, v11
	v_cmp_eq_u32_e64 s[18:19], 0, v12
	v_add_u32_e32 v12, -1, v11
	v_and_b32_e32 v13, 0x60, v11
	v_cmp_lt_i32_e32 vcc, v12, v13
	s_movk_i32 s8, 0x100
	v_cndmask_b32_e32 v12, v12, v11, vcc
	v_cmp_gt_u32_e64 s[8:9], s8, v0
	v_lshlrev_b32_e32 v43, 5, v0
	s_mov_b32 s40, 0
	v_cmp_eq_u32_e64 s[20:21], 31, v0
	v_lshlrev_b32_e32 v44, 2, v12
	v_cmp_eq_u32_e64 s[22:23], 0, v11
	v_lshlrev_b32_e32 v42, 1, v10
	v_lshlrev_b32_e32 v41, 3, v10
	s_and_b64 vcc, exec, s[24:25]
	v_add_u32_e64 v45, 7, 2
	s_waitcnt lgkmcnt(0)
	; wave barrier
	s_waitcnt lgkmcnt(0)
	s_cbranch_vccz .LBB248_35
; %bb.19:
	v_mov_b32_e32 v46, 0xffff8000
	v_cmp_lt_i16_e32 vcc, -1, v22
	v_cndmask_b32_e32 v10, -1, v46, vcc
	v_xor_b32_e32 v32, v10, v22
	v_mov_b32_e32 v10, -1
	v_cmp_gt_i16_sdwa vcc, v22, v10 src0_sel:WORD_1 src1_sel:DWORD
	v_cndmask_b32_e32 v11, -1, v46, vcc
	v_cmp_lt_i16_e32 vcc, -1, v23
	v_xor_b32_sdwa v57, v11, v22 dst_sel:DWORD dst_unused:UNUSED_PAD src0_sel:DWORD src1_sel:WORD_1
	v_cndmask_b32_e32 v11, -1, v46, vcc
	v_cmp_gt_i16_sdwa vcc, v23, v10 src0_sel:WORD_1 src1_sel:DWORD
	v_cndmask_b32_e32 v10, -1, v46, vcc
	v_xor_b32_e32 v33, v11, v23
	v_xor_b32_sdwa v58, v10, v23 dst_sel:DWORD dst_unused:UNUSED_PAD src0_sel:DWORD src1_sel:WORD_1
	v_and_b32_e32 v47, 14, v45
	v_mov_b32_e32 v48, 0
	s_movk_i32 s41, 0x7fff
	s_movk_i32 s42, 0xe0
	v_pk_mov_b32 v[10:11], v[2:3], v[2:3] op_sel:[0,1]
	v_pk_mov_b32 v[12:13], v[4:5], v[4:5] op_sel:[0,1]
	;; [unrolled: 1-line block ×4, first 2 shown]
	s_branch .LBB248_21
.LBB248_20:                             ;   in Loop: Header=BB248_21 Depth=1
	v_lshlrev_b32_e32 v10, 1, v53
	s_waitcnt lgkmcnt(0)
	; wave barrier
	ds_write_b16 v10, v52
	v_lshlrev_b32_e32 v10, 1, v54
	ds_write_b16 v10, v51
	v_lshlrev_b32_e32 v10, 1, v55
	;; [unrolled: 2-line block ×4, first 2 shown]
	s_waitcnt lgkmcnt(0)
	; wave barrier
	s_waitcnt lgkmcnt(0)
	ds_read_b64 v[32:33], v42
	s_waitcnt lgkmcnt(0)
	; wave barrier
	s_waitcnt lgkmcnt(0)
	ds_write_b64 v10, v[30:31]
	v_lshlrev_b32_e32 v10, 3, v54
	ds_write_b64 v10, v[28:29]
	v_lshlrev_b32_e32 v10, 3, v55
	;; [unrolled: 2-line block ×3, first 2 shown]
	ds_write_b64 v10, v[24:25]
	s_waitcnt lgkmcnt(0)
	; wave barrier
	s_waitcnt lgkmcnt(0)
	ds_read2_b64 v[10:13], v41 offset1:1
	ds_read2_b64 v[14:17], v41 offset0:2 offset1:3
	s_add_i32 s40, s40, 4
	v_lshrrev_b32_e32 v57, 16, v32
	v_lshrrev_b32_e32 v58, 16, v33
	s_waitcnt lgkmcnt(0)
	; wave barrier
	s_waitcnt lgkmcnt(0)
	s_cbranch_execz .LBB248_32
.LBB248_21:                             ; =>This Loop Header: Depth=1
                                        ;     Child Loop BB248_24 Depth 2
	v_pk_mov_b32 v[24:25], v[16:17], v[16:17] op_sel:[0,1]
	v_pk_mov_b32 v[26:27], v[14:15], v[14:15] op_sel:[0,1]
	;; [unrolled: 1-line block ×4, first 2 shown]
	v_mov_b32_e32 v52, v32
	v_mov_b32_e32 v51, v57
	;; [unrolled: 1-line block ×4, first 2 shown]
	s_and_saveexec_b64 s[24:25], s[8:9]
	s_cbranch_execz .LBB248_28
; %bb.22:                               ;   in Loop: Header=BB248_21 Depth=1
	s_mov_b32 s43, 0
	s_mov_b64 s[30:31], 0
	v_pk_mov_b32 v[10:11], v[0:1], v[0:1] op_sel:[0,1]
	s_branch .LBB248_24
.LBB248_23:                             ;   in Loop: Header=BB248_24 Depth=2
	s_or_b64 exec, exec, s[36:37]
	s_add_i32 s43, s43, 2
	v_cmp_eq_u32_e32 vcc, s43, v47
	v_add_u32_e32 v11, 64, v11
	s_or_b64 s[30:31], vcc, s[30:31]
	v_add_u32_e32 v10, 64, v10
	s_andn2_b64 exec, exec, s[30:31]
	s_cbranch_execz .LBB248_28
.LBB248_24:                             ;   Parent Loop BB248_21 Depth=1
                                        ; =>  This Inner Loop Header: Depth=2
	s_or_b32 s34, s43, 1
	v_cmp_le_u32_e64 s[34:35], s34, 7
	v_cmp_le_u32_e64 s[44:45], s43, 7
	s_and_saveexec_b64 s[36:37], s[44:45]
	s_cbranch_execz .LBB248_26
; %bb.25:                               ;   in Loop: Header=BB248_24 Depth=2
	v_lshlrev_b32_e32 v12, 2, v10
	ds_write_b32 v12, v48
.LBB248_26:                             ;   in Loop: Header=BB248_24 Depth=2
	s_or_b64 exec, exec, s[36:37]
	s_and_saveexec_b64 s[36:37], s[34:35]
	s_cbranch_execz .LBB248_23
; %bb.27:                               ;   in Loop: Header=BB248_24 Depth=2
	v_lshlrev_b32_e32 v12, 2, v11
	ds_write_b32 v12, v48
	s_branch .LBB248_23
.LBB248_28:                             ;   in Loop: Header=BB248_21 Depth=1
	s_or_b64 exec, exec, s[24:25]
	s_sub_i32 s24, 16, s40
	s_min_u32 s24, s39, s24
	v_cmp_ne_u16_e32 vcc, s41, v52
	s_lshl_b32 s24, -1, s24
	v_cndmask_b32_e32 v10, v46, v52, vcc
	s_not_b32 s24, s24
	v_lshrrev_b32_sdwa v10, s40, v10 dst_sel:DWORD dst_unused:UNUSED_PAD src0_sel:DWORD src1_sel:WORD_0
	v_and_b32_e32 v10, s24, v10
	v_lshrrev_b32_e32 v11, 3, v10
	v_lshlrev_b32_e32 v10, 5, v10
	v_and_or_b32 v10, v10, s42, v0
	v_lshlrev_b32_e32 v10, 1, v10
	v_add_lshl_u32 v33, v10, v11, 1
	ds_read_u16 v32, v33
	v_cmp_ne_u16_e32 vcc, s41, v51
	s_waitcnt lgkmcnt(0)
	v_add_u16_e32 v10, 1, v32
	ds_write_b16 v33, v10
	v_cndmask_b32_e32 v10, v46, v51, vcc
	v_lshrrev_b32_sdwa v10, s40, v10 dst_sel:DWORD dst_unused:UNUSED_PAD src0_sel:DWORD src1_sel:WORD_0
	v_and_b32_e32 v10, s24, v10
	v_lshrrev_b32_e32 v11, 3, v10
	v_lshlrev_b32_e32 v10, 5, v10
	v_and_or_b32 v10, v10, s42, v0
	v_lshlrev_b32_e32 v10, 1, v10
	v_add_lshl_u32 v53, v10, v11, 1
	ds_read_u16 v54, v53
	v_cmp_ne_u16_e32 vcc, s41, v50
	s_waitcnt lgkmcnt(0)
	v_add_u16_e32 v10, 1, v54
	ds_write_b16 v53, v10
	v_cndmask_b32_e32 v10, v46, v50, vcc
	;; [unrolled: 13-line block ×3, first 2 shown]
	v_lshrrev_b32_sdwa v10, s40, v10 dst_sel:DWORD dst_unused:UNUSED_PAD src0_sel:DWORD src1_sel:WORD_0
	v_and_b32_e32 v10, s24, v10
	v_lshrrev_b32_e32 v11, 3, v10
	v_lshlrev_b32_e32 v10, 5, v10
	v_and_or_b32 v10, v10, s42, v0
	v_lshlrev_b32_e32 v10, 1, v10
	v_add_lshl_u32 v58, v10, v11, 1
	ds_read_u16 v57, v58
	s_waitcnt lgkmcnt(0)
	v_add_u16_e32 v10, 1, v57
	ds_write_b16 v58, v10
	s_waitcnt lgkmcnt(0)
	; wave barrier
	s_waitcnt lgkmcnt(0)
	ds_read2_b32 v[16:17], v43 offset1:1
	ds_read2_b32 v[14:15], v43 offset0:2 offset1:3
	ds_read2_b32 v[10:11], v43 offset0:4 offset1:5
	;; [unrolled: 1-line block ×3, first 2 shown]
	s_waitcnt lgkmcnt(3)
	v_add_u32_e32 v59, v17, v16
	s_waitcnt lgkmcnt(2)
	v_add3_u32 v59, v59, v14, v15
	s_waitcnt lgkmcnt(1)
	v_add3_u32 v59, v59, v10, v11
	;; [unrolled: 2-line block ×3, first 2 shown]
	s_nop 1
	v_mov_b32_dpp v59, v13 row_shr:1 row_mask:0xf bank_mask:0xf
	v_cndmask_b32_e64 v59, v59, 0, s[10:11]
	v_add_u32_e32 v13, v59, v13
	s_nop 1
	v_mov_b32_dpp v59, v13 row_shr:2 row_mask:0xf bank_mask:0xf
	v_cndmask_b32_e64 v59, 0, v59, s[12:13]
	v_add_u32_e32 v13, v13, v59
	;; [unrolled: 4-line block ×4, first 2 shown]
	s_nop 1
	v_mov_b32_dpp v59, v13 row_bcast:15 row_mask:0xf bank_mask:0xf
	v_cndmask_b32_e64 v59, v59, 0, s[18:19]
	v_add_u32_e32 v13, v13, v59
	s_and_saveexec_b64 s[24:25], s[20:21]
	s_cbranch_execz .LBB248_30
; %bb.29:                               ;   in Loop: Header=BB248_21 Depth=1
	ds_write_b32 v48, v13 offset:1024
.LBB248_30:                             ;   in Loop: Header=BB248_21 Depth=1
	s_or_b64 exec, exec, s[24:25]
	ds_bpermute_b32 v13, v44, v13
	s_waitcnt lgkmcnt(0)
	; wave barrier
	s_waitcnt lgkmcnt(0)
	ds_read_b32 v59, v48 offset:1024
	s_cmp_gt_u32 s40, 11
	v_cndmask_b32_e64 v13, v13, 0, s[22:23]
	s_waitcnt lgkmcnt(0)
	v_lshl_add_u32 v13, v59, 16, v13
	v_add_u32_e32 v16, v13, v16
	v_add_u32_e32 v17, v16, v17
	ds_write2_b32 v43, v13, v16 offset1:1
	v_add_u32_e32 v13, v17, v14
	v_add_u32_e32 v14, v13, v15
	;; [unrolled: 1-line block ×5, first 2 shown]
	ds_write2_b32 v43, v17, v13 offset0:2 offset1:3
	ds_write2_b32 v43, v14, v10 offset0:4 offset1:5
	;; [unrolled: 1-line block ×3, first 2 shown]
	s_waitcnt lgkmcnt(0)
	; wave barrier
	s_waitcnt lgkmcnt(0)
	ds_read_u16 v10, v33
	ds_read_u16 v11, v53
	;; [unrolled: 1-line block ×4, first 2 shown]
	s_waitcnt lgkmcnt(3)
	v_add_u32_sdwa v53, v10, v32 dst_sel:DWORD dst_unused:UNUSED_PAD src0_sel:DWORD src1_sel:WORD_0
	s_waitcnt lgkmcnt(2)
	v_add_u32_sdwa v54, v11, v54 dst_sel:DWORD dst_unused:UNUSED_PAD src0_sel:DWORD src1_sel:WORD_0
	;; [unrolled: 2-line block ×4, first 2 shown]
	s_cbranch_scc0 .LBB248_20
; %bb.31:
                                        ; implicit-def: $vgpr16_vgpr17
                                        ; implicit-def: $vgpr12_vgpr13
                                        ; implicit-def: $sgpr40
                                        ; implicit-def: $vgpr32
                                        ; implicit-def: $vgpr57
                                        ; implicit-def: $vgpr58
.LBB248_32:
	v_lshlrev_b32_e32 v10, 1, v53
	s_waitcnt lgkmcnt(0)
	; wave barrier
	ds_write_b16 v10, v52
	v_lshlrev_b32_e32 v10, 1, v54
	ds_write_b16 v10, v51
	v_lshlrev_b32_e32 v10, 1, v55
	;; [unrolled: 2-line block ×3, first 2 shown]
	ds_write_b16 v10, v49
	s_waitcnt lgkmcnt(0)
	; wave barrier
	s_waitcnt lgkmcnt(0)
	ds_read_b64 v[32:33], v42
	v_lshlrev_b32_e32 v10, 3, v53
	v_lshlrev_b32_e32 v11, 3, v54
	;; [unrolled: 1-line block ×4, first 2 shown]
	s_waitcnt lgkmcnt(0)
	; wave barrier
	s_waitcnt lgkmcnt(0)
	ds_write_b64 v10, v[30:31]
	ds_write_b64 v11, v[28:29]
	;; [unrolled: 1-line block ×4, first 2 shown]
	v_mov_b32_e32 v25, 0xffff8000
	v_cmp_gt_i16_e32 vcc, 0, v32
	v_mov_b32_e32 v27, 0
	s_waitcnt lgkmcnt(0)
	; wave barrier
	s_waitcnt lgkmcnt(0)
	ds_read2_b64 v[10:13], v41 offset1:1
	ds_read2_b64 v[14:17], v41 offset0:2 offset1:3
	v_mov_b32_e32 v24, -1
	v_cndmask_b32_e32 v26, -1, v25, vcc
	v_cmp_lt_i16_sdwa vcc, v32, v27 src0_sel:WORD_1 src1_sel:DWORD
	v_cndmask_b32_e32 v27, -1, v25, vcc
	v_cmp_lt_i16_e32 vcc, -1, v33
	v_cmp_gt_i16_sdwa s[24:25], v33, v24 src0_sel:WORD_1 src1_sel:DWORD
	v_cndmask_b32_e64 v28, v25, -1, vcc
	v_cndmask_b32_e64 v24, v25, -1, s[24:25]
	v_xor_b32_sdwa v24, v24, v33 dst_sel:DWORD dst_unused:UNUSED_PAD src0_sel:DWORD src1_sel:WORD_1
	v_xor_b32_e32 v25, v28, v33
	s_mov_b32 s24, 0x5040100
	v_perm_b32 v25, v24, v25, s24
	v_xor_b32_sdwa v24, v27, v32 dst_sel:DWORD dst_unused:UNUSED_PAD src0_sel:DWORD src1_sel:WORD_1
	v_xor_b32_e32 v26, v26, v32
	v_perm_b32 v24, v24, v26, s24
	s_branch .LBB248_50
.LBB248_33:
	v_mov_b32_e32 v21, 0
	v_lshlrev_b64 v[2:3], 3, v[20:21]
	v_mov_b32_e32 v4, s38
	v_add_co_u32_e32 v2, vcc, s33, v2
	v_addc_co_u32_e32 v3, vcc, v4, v3, vcc
	global_load_dwordx2 v[2:3], v[2:3], off
	v_mov_b32_e32 v4, v21
	v_mov_b32_e32 v5, v21
	;; [unrolled: 1-line block ×6, first 2 shown]
	s_or_b64 exec, exec, s[10:11]
	s_and_saveexec_b64 s[10:11], s[2:3]
	s_cbranch_execz .LBB248_14
.LBB248_34:
	v_mul_lo_u32 v4, v1, s28
	v_mov_b32_e32 v5, 0
	v_lshlrev_b64 v[4:5], 3, v[4:5]
	v_mov_b32_e32 v16, s38
	v_add_co_u32_e32 v4, vcc, s33, v4
	v_addc_co_u32_e32 v5, vcc, v16, v5, vcc
	global_load_dwordx2 v[4:5], v[4:5], off
	s_or_b64 exec, exec, s[10:11]
	s_and_saveexec_b64 s[10:11], s[4:5]
	s_cbranch_execnz .LBB248_15
	s_branch .LBB248_16
.LBB248_35:
                                        ; implicit-def: $vgpr16_vgpr17
                                        ; implicit-def: $vgpr12_vgpr13
                                        ; implicit-def: $vgpr24_vgpr25
	s_cbranch_execz .LBB248_50
; %bb.36:
	v_mov_b32_e32 v26, 0x7fff
	v_cmp_gt_i16_e32 vcc, 0, v22
	v_mov_b32_e32 v27, 0
	s_waitcnt lgkmcnt(1)
	v_cndmask_b32_e64 v10, v26, 0, vcc
	v_cmp_lt_i16_sdwa s[24:25], v22, v27 src0_sel:WORD_1 src1_sel:DWORD
	v_xor_b32_e32 v24, v10, v22
	v_cndmask_b32_e64 v10, v26, 0, s[24:25]
	v_cmp_gt_i16_e32 vcc, 0, v23
	v_cmp_lt_i16_sdwa s[24:25], v23, v27 src0_sel:WORD_1 src1_sel:DWORD
	v_xor_b32_sdwa v46, v10, v22 dst_sel:DWORD dst_unused:UNUSED_PAD src0_sel:DWORD src1_sel:WORD_1
	v_cndmask_b32_e64 v10, v26, 0, vcc
	v_cndmask_b32_e64 v11, v26, 0, s[24:25]
	s_mov_b32 s24, 0x5040100
	v_perm_b32 v10, v11, v10, s24
	s_mov_b32 s40, 0
	v_xor_b32_e32 v25, v10, v23
	v_and_b32_e32 v22, 14, v45
	s_movk_i32 s41, 0x8000
	s_movk_i32 s42, 0xe0
	s_branch .LBB248_38
.LBB248_37:                             ;   in Loop: Header=BB248_38 Depth=1
	v_lshlrev_b32_e32 v2, 1, v30
	s_waitcnt lgkmcnt(0)
	; wave barrier
	ds_write_b16 v2, v28
	v_lshlrev_b32_e32 v2, 1, v31
	ds_write_b16 v2, v23
	v_lshlrev_b32_e32 v2, 1, v32
	;; [unrolled: 2-line block ×4, first 2 shown]
	s_waitcnt lgkmcnt(0)
	; wave barrier
	s_waitcnt lgkmcnt(0)
	ds_read_b64 v[24:25], v42
	s_waitcnt lgkmcnt(0)
	; wave barrier
	s_waitcnt lgkmcnt(0)
	ds_write_b64 v2, v[16:17]
	v_lshlrev_b32_e32 v2, 3, v31
	ds_write_b64 v2, v[14:15]
	v_lshlrev_b32_e32 v2, 3, v32
	;; [unrolled: 2-line block ×3, first 2 shown]
	ds_write_b64 v2, v[10:11]
	s_waitcnt lgkmcnt(0)
	; wave barrier
	s_waitcnt lgkmcnt(0)
	ds_read2_b64 v[2:5], v41 offset1:1
	ds_read2_b64 v[6:9], v41 offset0:2 offset1:3
	s_add_i32 s40, s40, 4
	v_lshrrev_b32_e32 v46, 16, v24
	s_waitcnt lgkmcnt(0)
	; wave barrier
	s_waitcnt lgkmcnt(0)
	s_cbranch_execz .LBB248_49
.LBB248_38:                             ; =>This Loop Header: Depth=1
                                        ;     Child Loop BB248_41 Depth 2
	v_pk_mov_b32 v[10:11], v[8:9], v[8:9] op_sel:[0,1]
	v_pk_mov_b32 v[12:13], v[6:7], v[6:7] op_sel:[0,1]
	s_waitcnt lgkmcnt(0)
	v_pk_mov_b32 v[14:15], v[4:5], v[4:5] op_sel:[0,1]
	v_pk_mov_b32 v[16:17], v[2:3], v[2:3] op_sel:[0,1]
	v_mov_b32_e32 v28, v24
	v_mov_b32_e32 v23, v46
	s_and_saveexec_b64 s[24:25], s[8:9]
	s_cbranch_execz .LBB248_45
; %bb.39:                               ;   in Loop: Header=BB248_38 Depth=1
	s_mov_b32 s43, 0
	s_mov_b64 s[30:31], 0
	v_pk_mov_b32 v[2:3], v[0:1], v[0:1] op_sel:[0,1]
	s_branch .LBB248_41
.LBB248_40:                             ;   in Loop: Header=BB248_41 Depth=2
	s_or_b64 exec, exec, s[36:37]
	s_add_i32 s43, s43, 2
	v_cmp_eq_u32_e32 vcc, s43, v22
	v_add_u32_e32 v3, 64, v3
	s_or_b64 s[30:31], vcc, s[30:31]
	v_add_u32_e32 v2, 64, v2
	s_andn2_b64 exec, exec, s[30:31]
	s_cbranch_execz .LBB248_45
.LBB248_41:                             ;   Parent Loop BB248_38 Depth=1
                                        ; =>  This Inner Loop Header: Depth=2
	s_or_b32 s34, s43, 1
	v_cmp_le_u32_e64 s[34:35], s34, 7
	v_cmp_le_u32_e64 s[44:45], s43, 7
	s_and_saveexec_b64 s[36:37], s[44:45]
	s_cbranch_execz .LBB248_43
; %bb.42:                               ;   in Loop: Header=BB248_41 Depth=2
	v_lshlrev_b32_e32 v4, 2, v2
	ds_write_b32 v4, v27
.LBB248_43:                             ;   in Loop: Header=BB248_41 Depth=2
	s_or_b64 exec, exec, s[36:37]
	s_and_saveexec_b64 s[36:37], s[34:35]
	s_cbranch_execz .LBB248_40
; %bb.44:                               ;   in Loop: Header=BB248_41 Depth=2
	v_lshlrev_b32_e32 v4, 2, v3
	ds_write_b32 v4, v27
	s_branch .LBB248_40
.LBB248_45:                             ;   in Loop: Header=BB248_38 Depth=1
	s_or_b64 exec, exec, s[24:25]
	s_sub_i32 s24, 16, s40
	s_min_u32 s24, s39, s24
	v_cmp_ne_u16_e32 vcc, s41, v28
	s_lshl_b32 s24, -1, s24
	v_cndmask_b32_e32 v2, v26, v28, vcc
	s_not_b32 s24, s24
	v_lshrrev_b32_sdwa v2, s40, v2 dst_sel:DWORD dst_unused:UNUSED_PAD src0_sel:DWORD src1_sel:WORD_0
	v_and_b32_e32 v2, s24, v2
	v_lshrrev_b32_e32 v3, 3, v2
	v_lshlrev_b32_e32 v2, 5, v2
	v_and_or_b32 v2, v2, s42, v0
	v_lshlrev_b32_e32 v2, 1, v2
	v_add_lshl_u32 v30, v2, v3, 1
	ds_read_u16 v24, v30
	v_cmp_ne_u16_e32 vcc, s41, v23
	v_lshrrev_b32_e32 v29, 16, v25
	s_waitcnt lgkmcnt(0)
	v_add_u16_e32 v2, 1, v24
	ds_write_b16 v30, v2
	v_cndmask_b32_e32 v2, v26, v23, vcc
	v_lshrrev_b32_sdwa v2, s40, v2 dst_sel:DWORD dst_unused:UNUSED_PAD src0_sel:DWORD src1_sel:WORD_0
	v_and_b32_e32 v2, s24, v2
	v_lshrrev_b32_e32 v3, 3, v2
	v_lshlrev_b32_e32 v2, 5, v2
	v_and_or_b32 v2, v2, s42, v0
	v_lshlrev_b32_e32 v2, 1, v2
	v_add_lshl_u32 v32, v2, v3, 1
	ds_read_u16 v31, v32
	v_cmp_ne_u16_e32 vcc, s41, v25
	s_waitcnt lgkmcnt(0)
	v_add_u16_e32 v2, 1, v31
	ds_write_b16 v32, v2
	v_cndmask_b32_e32 v2, v26, v25, vcc
	v_lshrrev_b32_sdwa v2, s40, v2 dst_sel:DWORD dst_unused:UNUSED_PAD src0_sel:DWORD src1_sel:WORD_0
	v_and_b32_e32 v2, s24, v2
	v_lshrrev_b32_e32 v3, 3, v2
	v_lshlrev_b32_e32 v2, 5, v2
	v_and_or_b32 v2, v2, s42, v0
	v_lshlrev_b32_e32 v2, 1, v2
	v_add_lshl_u32 v45, v2, v3, 1
	ds_read_u16 v33, v45
	v_cmp_ne_u16_e32 vcc, s41, v29
	s_waitcnt lgkmcnt(0)
	v_add_u16_e32 v2, 1, v33
	ds_write_b16 v45, v2
	v_cndmask_b32_e32 v2, v26, v29, vcc
	v_lshrrev_b32_sdwa v2, s40, v2 dst_sel:DWORD dst_unused:UNUSED_PAD src0_sel:DWORD src1_sel:WORD_0
	v_and_b32_e32 v2, s24, v2
	v_lshrrev_b32_e32 v3, 3, v2
	v_lshlrev_b32_e32 v2, 5, v2
	v_and_or_b32 v2, v2, s42, v0
	v_lshlrev_b32_e32 v2, 1, v2
	v_add_lshl_u32 v47, v2, v3, 1
	ds_read_u16 v46, v47
	s_waitcnt lgkmcnt(0)
	v_add_u16_e32 v2, 1, v46
	ds_write_b16 v47, v2
	s_waitcnt lgkmcnt(0)
	; wave barrier
	s_waitcnt lgkmcnt(0)
	ds_read2_b32 v[8:9], v43 offset1:1
	ds_read2_b32 v[6:7], v43 offset0:2 offset1:3
	ds_read2_b32 v[2:3], v43 offset0:4 offset1:5
	;; [unrolled: 1-line block ×3, first 2 shown]
	s_waitcnt lgkmcnt(3)
	v_add_u32_e32 v48, v9, v8
	s_waitcnt lgkmcnt(2)
	v_add3_u32 v48, v48, v6, v7
	s_waitcnt lgkmcnt(1)
	v_add3_u32 v48, v48, v2, v3
	;; [unrolled: 2-line block ×3, first 2 shown]
	s_nop 1
	v_mov_b32_dpp v48, v5 row_shr:1 row_mask:0xf bank_mask:0xf
	v_cndmask_b32_e64 v48, v48, 0, s[10:11]
	v_add_u32_e32 v5, v48, v5
	s_nop 1
	v_mov_b32_dpp v48, v5 row_shr:2 row_mask:0xf bank_mask:0xf
	v_cndmask_b32_e64 v48, 0, v48, s[12:13]
	v_add_u32_e32 v5, v5, v48
	;; [unrolled: 4-line block ×4, first 2 shown]
	s_nop 1
	v_mov_b32_dpp v48, v5 row_bcast:15 row_mask:0xf bank_mask:0xf
	v_cndmask_b32_e64 v48, v48, 0, s[18:19]
	v_add_u32_e32 v5, v5, v48
	s_and_saveexec_b64 s[24:25], s[20:21]
	s_cbranch_execz .LBB248_47
; %bb.46:                               ;   in Loop: Header=BB248_38 Depth=1
	ds_write_b32 v27, v5 offset:1024
.LBB248_47:                             ;   in Loop: Header=BB248_38 Depth=1
	s_or_b64 exec, exec, s[24:25]
	ds_bpermute_b32 v5, v44, v5
	s_waitcnt lgkmcnt(0)
	; wave barrier
	s_waitcnt lgkmcnt(0)
	ds_read_b32 v48, v27 offset:1024
	s_cmp_gt_u32 s40, 11
	v_cndmask_b32_e64 v5, v5, 0, s[22:23]
	s_waitcnt lgkmcnt(0)
	v_lshl_add_u32 v5, v48, 16, v5
	v_add_u32_e32 v8, v5, v8
	v_add_u32_e32 v9, v8, v9
	ds_write2_b32 v43, v5, v8 offset1:1
	v_add_u32_e32 v5, v9, v6
	v_add_u32_e32 v6, v5, v7
	;; [unrolled: 1-line block ×5, first 2 shown]
	ds_write2_b32 v43, v9, v5 offset0:2 offset1:3
	ds_write2_b32 v43, v6, v2 offset0:4 offset1:5
	;; [unrolled: 1-line block ×3, first 2 shown]
	s_waitcnt lgkmcnt(0)
	; wave barrier
	s_waitcnt lgkmcnt(0)
	ds_read_u16 v2, v30
	ds_read_u16 v3, v32
	;; [unrolled: 1-line block ×4, first 2 shown]
	v_mov_b32_e32 v45, v25
	s_waitcnt lgkmcnt(3)
	v_add_u32_sdwa v30, v2, v24 dst_sel:DWORD dst_unused:UNUSED_PAD src0_sel:DWORD src1_sel:WORD_0
	s_waitcnt lgkmcnt(2)
	v_add_u32_sdwa v31, v3, v31 dst_sel:DWORD dst_unused:UNUSED_PAD src0_sel:DWORD src1_sel:WORD_0
	;; [unrolled: 2-line block ×4, first 2 shown]
	s_cbranch_scc0 .LBB248_37
; %bb.48:
                                        ; implicit-def: $vgpr8_vgpr9
                                        ; implicit-def: $vgpr4_vgpr5
                                        ; implicit-def: $vgpr25
                                        ; implicit-def: $sgpr40
                                        ; implicit-def: $vgpr46
.LBB248_49:
	v_lshlrev_b32_e32 v0, 1, v30
	s_waitcnt lgkmcnt(0)
	; wave barrier
	ds_write_b16 v0, v28
	v_lshlrev_b32_e32 v0, 1, v31
	ds_write_b16 v0, v23
	v_lshlrev_b32_e32 v0, 1, v32
	;; [unrolled: 2-line block ×3, first 2 shown]
	ds_write_b16 v0, v29
	s_waitcnt lgkmcnt(0)
	; wave barrier
	s_waitcnt lgkmcnt(0)
	ds_read_b64 v[0:1], v42
	v_lshlrev_b32_e32 v2, 3, v30
	v_lshlrev_b32_e32 v3, 3, v31
	;; [unrolled: 1-line block ×4, first 2 shown]
	s_waitcnt lgkmcnt(0)
	; wave barrier
	s_waitcnt lgkmcnt(0)
	ds_write_b64 v2, v[16:17]
	ds_write_b64 v3, v[14:15]
	;; [unrolled: 1-line block ×4, first 2 shown]
	v_mov_b32_e32 v3, 0x7fff
	v_cmp_lt_i16_e32 vcc, -1, v0
	v_mov_b32_e32 v5, -1
	s_waitcnt lgkmcnt(0)
	; wave barrier
	s_waitcnt lgkmcnt(0)
	ds_read2_b64 v[10:13], v41 offset1:1
	ds_read2_b64 v[14:17], v41 offset0:2 offset1:3
	v_mov_b32_e32 v2, 0
	v_cndmask_b32_e32 v4, 0, v3, vcc
	v_cmp_gt_i16_sdwa vcc, v0, v5 src0_sel:WORD_1 src1_sel:DWORD
	v_cndmask_b32_e32 v5, 0, v3, vcc
	v_cmp_gt_i16_e32 vcc, 0, v1
	v_cmp_lt_i16_sdwa s[8:9], v1, v2 src0_sel:WORD_1 src1_sel:DWORD
	v_cndmask_b32_e64 v6, v3, 0, vcc
	v_cndmask_b32_e64 v2, v3, 0, s[8:9]
	v_xor_b32_sdwa v2, v2, v1 dst_sel:DWORD dst_unused:UNUSED_PAD src0_sel:DWORD src1_sel:WORD_1
	v_xor_b32_e32 v1, v6, v1
	s_mov_b32 s8, 0x5040100
	v_perm_b32 v25, v2, v1, s8
	v_xor_b32_sdwa v1, v5, v0 dst_sel:DWORD dst_unused:UNUSED_PAD src0_sel:DWORD src1_sel:WORD_1
	v_xor_b32_e32 v0, v4, v0
	v_perm_b32 v24, v1, v0, s8
.LBB248_50:
	s_waitcnt lgkmcnt(0)
	; wave barrier
	s_waitcnt lgkmcnt(0)
	ds_write_b64 v36, v[24:25]
	s_waitcnt lgkmcnt(0)
	; wave barrier
	s_waitcnt lgkmcnt(0)
	ds_read_u16 v4, v34 offset:64
	ds_read_u16 v3, v19 offset:128
	;; [unrolled: 1-line block ×3, first 2 shown]
	v_mov_b32_e32 v19, 0
	v_lshlrev_b64 v[0:1], 1, v[18:19]
	v_mov_b32_e32 v5, s29
	v_add_co_u32_e32 v0, vcc, s27, v0
	v_addc_co_u32_e32 v1, vcc, v5, v1, vcc
	s_and_saveexec_b64 s[8:9], s[0:1]
	s_cbranch_execnz .LBB248_61
; %bb.51:
	s_or_b64 exec, exec, s[8:9]
	s_and_saveexec_b64 s[8:9], s[2:3]
	s_cbranch_execnz .LBB248_62
.LBB248_52:
	s_or_b64 exec, exec, s[8:9]
	s_and_saveexec_b64 s[8:9], s[4:5]
	s_cbranch_execnz .LBB248_63
.LBB248_53:
	s_or_b64 exec, exec, s[8:9]
	s_and_saveexec_b64 s[8:9], s[6:7]
	s_cbranch_execz .LBB248_55
.LBB248_54:
	s_mul_i32 s10, s26, 0x60
	s_mov_b32 s11, 0
	s_lshl_b64 s[10:11], s[10:11], 1
	s_waitcnt lgkmcnt(1)
	v_mov_b32_e32 v3, s11
	v_add_co_u32_e32 v0, vcc, s10, v0
	v_addc_co_u32_e32 v1, vcc, v1, v3, vcc
	s_waitcnt lgkmcnt(0)
	global_store_short v[0:1], v2, off
.LBB248_55:
	s_or_b64 exec, exec, s[8:9]
	s_waitcnt lgkmcnt(0)
	; wave barrier
	s_waitcnt lgkmcnt(0)
	ds_write2_b64 v40, v[10:11], v[12:13] offset1:1
	ds_write2_b64 v40, v[14:15], v[16:17] offset0:2 offset1:3
	s_waitcnt lgkmcnt(0)
	; wave barrier
	s_waitcnt lgkmcnt(0)
	ds_read_b64 v[6:7], v21 offset:256
	ds_read_b64 v[4:5], v38 offset:512
	;; [unrolled: 1-line block ×3, first 2 shown]
	v_mov_b32_e32 v21, 0
	v_lshlrev_b64 v[2:3], 3, v[20:21]
	v_mov_b32_e32 v8, s38
	v_add_co_u32_e32 v2, vcc, s33, v2
	v_addc_co_u32_e32 v3, vcc, v8, v3, vcc
	s_and_saveexec_b64 s[8:9], s[0:1]
	s_cbranch_execnz .LBB248_64
; %bb.56:
	s_or_b64 exec, exec, s[8:9]
	s_and_saveexec_b64 s[0:1], s[2:3]
	s_cbranch_execnz .LBB248_65
.LBB248_57:
	s_or_b64 exec, exec, s[0:1]
	s_and_saveexec_b64 s[0:1], s[4:5]
	s_cbranch_execnz .LBB248_66
.LBB248_58:
	s_or_b64 exec, exec, s[0:1]
	s_and_saveexec_b64 s[0:1], s[6:7]
	s_cbranch_execz .LBB248_60
.LBB248_59:
	s_mul_i32 s0, s28, 0x60
	s_mov_b32 s1, 0
	s_lshl_b64 s[0:1], s[0:1], 3
	s_waitcnt lgkmcnt(1)
	v_mov_b32_e32 v4, s1
	v_add_co_u32_e32 v2, vcc, s0, v2
	v_addc_co_u32_e32 v3, vcc, v3, v4, vcc
	s_waitcnt lgkmcnt(0)
	global_store_dwordx2 v[2:3], v[0:1], off
.LBB248_60:
	s_endpgm
.LBB248_61:
	ds_read_u16 v5, v34
	s_waitcnt lgkmcnt(0)
	global_store_short v[0:1], v5, off
	s_or_b64 exec, exec, s[8:9]
	s_and_saveexec_b64 s[8:9], s[2:3]
	s_cbranch_execz .LBB248_52
.LBB248_62:
	s_lshl_b32 s10, s26, 5
	s_mov_b32 s11, 0
	s_lshl_b64 s[10:11], s[10:11], 1
	v_mov_b32_e32 v5, s11
	v_add_co_u32_e32 v6, vcc, s10, v0
	v_addc_co_u32_e32 v7, vcc, v1, v5, vcc
	s_waitcnt lgkmcnt(2)
	global_store_short v[6:7], v4, off
	s_or_b64 exec, exec, s[8:9]
	s_and_saveexec_b64 s[8:9], s[4:5]
	s_cbranch_execz .LBB248_53
.LBB248_63:
	s_lshl_b32 s10, s26, 6
	s_mov_b32 s11, 0
	s_lshl_b64 s[10:11], s[10:11], 1
	v_mov_b32_e32 v5, s11
	s_waitcnt lgkmcnt(2)
	v_add_co_u32_e32 v4, vcc, s10, v0
	v_addc_co_u32_e32 v5, vcc, v1, v5, vcc
	s_waitcnt lgkmcnt(1)
	global_store_short v[4:5], v3, off
	s_or_b64 exec, exec, s[8:9]
	s_and_saveexec_b64 s[8:9], s[6:7]
	s_cbranch_execnz .LBB248_54
	s_branch .LBB248_55
.LBB248_64:
	ds_read_b64 v[8:9], v37
	s_waitcnt lgkmcnt(0)
	global_store_dwordx2 v[2:3], v[8:9], off
	s_or_b64 exec, exec, s[8:9]
	s_and_saveexec_b64 s[0:1], s[2:3]
	s_cbranch_execz .LBB248_57
.LBB248_65:
	s_lshl_b32 s2, s28, 5
	s_mov_b32 s3, 0
	s_lshl_b64 s[2:3], s[2:3], 3
	v_mov_b32_e32 v9, s3
	v_add_co_u32_e32 v8, vcc, s2, v2
	v_addc_co_u32_e32 v9, vcc, v3, v9, vcc
	s_waitcnt lgkmcnt(2)
	global_store_dwordx2 v[8:9], v[6:7], off
	s_or_b64 exec, exec, s[0:1]
	s_and_saveexec_b64 s[0:1], s[4:5]
	s_cbranch_execz .LBB248_58
.LBB248_66:
	s_lshl_b32 s2, s28, 6
	s_mov_b32 s3, 0
	s_lshl_b64 s[2:3], s[2:3], 3
	s_waitcnt lgkmcnt(2)
	v_mov_b32_e32 v7, s3
	v_add_co_u32_e32 v6, vcc, s2, v2
	v_addc_co_u32_e32 v7, vcc, v3, v7, vcc
	s_waitcnt lgkmcnt(1)
	global_store_dwordx2 v[6:7], v[4:5], off
	s_or_b64 exec, exec, s[0:1]
	s_and_saveexec_b64 s[0:1], s[6:7]
	s_cbranch_execnz .LBB248_59
	s_branch .LBB248_60
	.section	.rodata,"a",@progbits
	.p2align	6, 0x0
	.amdhsa_kernel _ZN2at6native18radixSortKVInPlaceILi2ELin1ELi32ELi4EN3c108BFloat16EljEEvNS_4cuda6detail10TensorInfoIT3_T5_EES8_S8_S8_NS6_IT4_S8_EES8_b
		.amdhsa_group_segment_fixed_size 1056
		.amdhsa_private_segment_fixed_size 0
		.amdhsa_kernarg_size 712
		.amdhsa_user_sgpr_count 6
		.amdhsa_user_sgpr_private_segment_buffer 1
		.amdhsa_user_sgpr_dispatch_ptr 0
		.amdhsa_user_sgpr_queue_ptr 0
		.amdhsa_user_sgpr_kernarg_segment_ptr 1
		.amdhsa_user_sgpr_dispatch_id 0
		.amdhsa_user_sgpr_flat_scratch_init 0
		.amdhsa_user_sgpr_kernarg_preload_length 0
		.amdhsa_user_sgpr_kernarg_preload_offset 0
		.amdhsa_user_sgpr_private_segment_size 0
		.amdhsa_uses_dynamic_stack 0
		.amdhsa_system_sgpr_private_segment_wavefront_offset 0
		.amdhsa_system_sgpr_workgroup_id_x 1
		.amdhsa_system_sgpr_workgroup_id_y 1
		.amdhsa_system_sgpr_workgroup_id_z 1
		.amdhsa_system_sgpr_workgroup_info 0
		.amdhsa_system_vgpr_workitem_id 0
		.amdhsa_next_free_vgpr 60
		.amdhsa_next_free_sgpr 46
		.amdhsa_accum_offset 60
		.amdhsa_reserve_vcc 1
		.amdhsa_reserve_flat_scratch 0
		.amdhsa_float_round_mode_32 0
		.amdhsa_float_round_mode_16_64 0
		.amdhsa_float_denorm_mode_32 3
		.amdhsa_float_denorm_mode_16_64 3
		.amdhsa_dx10_clamp 1
		.amdhsa_ieee_mode 1
		.amdhsa_fp16_overflow 0
		.amdhsa_tg_split 0
		.amdhsa_exception_fp_ieee_invalid_op 0
		.amdhsa_exception_fp_denorm_src 0
		.amdhsa_exception_fp_ieee_div_zero 0
		.amdhsa_exception_fp_ieee_overflow 0
		.amdhsa_exception_fp_ieee_underflow 0
		.amdhsa_exception_fp_ieee_inexact 0
		.amdhsa_exception_int_div_zero 0
	.end_amdhsa_kernel
	.section	.text._ZN2at6native18radixSortKVInPlaceILi2ELin1ELi32ELi4EN3c108BFloat16EljEEvNS_4cuda6detail10TensorInfoIT3_T5_EES8_S8_S8_NS6_IT4_S8_EES8_b,"axG",@progbits,_ZN2at6native18radixSortKVInPlaceILi2ELin1ELi32ELi4EN3c108BFloat16EljEEvNS_4cuda6detail10TensorInfoIT3_T5_EES8_S8_S8_NS6_IT4_S8_EES8_b,comdat
.Lfunc_end248:
	.size	_ZN2at6native18radixSortKVInPlaceILi2ELin1ELi32ELi4EN3c108BFloat16EljEEvNS_4cuda6detail10TensorInfoIT3_T5_EES8_S8_S8_NS6_IT4_S8_EES8_b, .Lfunc_end248-_ZN2at6native18radixSortKVInPlaceILi2ELin1ELi32ELi4EN3c108BFloat16EljEEvNS_4cuda6detail10TensorInfoIT3_T5_EES8_S8_S8_NS6_IT4_S8_EES8_b
                                        ; -- End function
	.section	.AMDGPU.csdata,"",@progbits
; Kernel info:
; codeLenInByte = 5040
; NumSgprs: 50
; NumVgprs: 60
; NumAgprs: 0
; TotalNumVgprs: 60
; ScratchSize: 0
; MemoryBound: 0
; FloatMode: 240
; IeeeMode: 1
; LDSByteSize: 1056 bytes/workgroup (compile time only)
; SGPRBlocks: 6
; VGPRBlocks: 7
; NumSGPRsForWavesPerEU: 50
; NumVGPRsForWavesPerEU: 60
; AccumOffset: 60
; Occupancy: 8
; WaveLimiterHint : 1
; COMPUTE_PGM_RSRC2:SCRATCH_EN: 0
; COMPUTE_PGM_RSRC2:USER_SGPR: 6
; COMPUTE_PGM_RSRC2:TRAP_HANDLER: 0
; COMPUTE_PGM_RSRC2:TGID_X_EN: 1
; COMPUTE_PGM_RSRC2:TGID_Y_EN: 1
; COMPUTE_PGM_RSRC2:TGID_Z_EN: 1
; COMPUTE_PGM_RSRC2:TIDIG_COMP_CNT: 0
; COMPUTE_PGM_RSRC3_GFX90A:ACCUM_OFFSET: 14
; COMPUTE_PGM_RSRC3_GFX90A:TG_SPLIT: 0
	.section	.text._ZN2at6native18radixSortKVInPlaceILi2ELin1ELi16ELi2EN3c108BFloat16EljEEvNS_4cuda6detail10TensorInfoIT3_T5_EES8_S8_S8_NS6_IT4_S8_EES8_b,"axG",@progbits,_ZN2at6native18radixSortKVInPlaceILi2ELin1ELi16ELi2EN3c108BFloat16EljEEvNS_4cuda6detail10TensorInfoIT3_T5_EES8_S8_S8_NS6_IT4_S8_EES8_b,comdat
	.protected	_ZN2at6native18radixSortKVInPlaceILi2ELin1ELi16ELi2EN3c108BFloat16EljEEvNS_4cuda6detail10TensorInfoIT3_T5_EES8_S8_S8_NS6_IT4_S8_EES8_b ; -- Begin function _ZN2at6native18radixSortKVInPlaceILi2ELin1ELi16ELi2EN3c108BFloat16EljEEvNS_4cuda6detail10TensorInfoIT3_T5_EES8_S8_S8_NS6_IT4_S8_EES8_b
	.globl	_ZN2at6native18radixSortKVInPlaceILi2ELin1ELi16ELi2EN3c108BFloat16EljEEvNS_4cuda6detail10TensorInfoIT3_T5_EES8_S8_S8_NS6_IT4_S8_EES8_b
	.p2align	8
	.type	_ZN2at6native18radixSortKVInPlaceILi2ELin1ELi16ELi2EN3c108BFloat16EljEEvNS_4cuda6detail10TensorInfoIT3_T5_EES8_S8_S8_NS6_IT4_S8_EES8_b,@function
_ZN2at6native18radixSortKVInPlaceILi2ELin1ELi16ELi2EN3c108BFloat16EljEEvNS_4cuda6detail10TensorInfoIT3_T5_EES8_S8_S8_NS6_IT4_S8_EES8_b: ; @_ZN2at6native18radixSortKVInPlaceILi2ELin1ELi16ELi2EN3c108BFloat16EljEEvNS_4cuda6detail10TensorInfoIT3_T5_EES8_S8_S8_NS6_IT4_S8_EES8_b
; %bb.0:
	s_load_dwordx2 s[0:1], s[4:5], 0x1c8
	s_load_dwordx4 s[16:19], s[4:5], 0xd8
	s_waitcnt lgkmcnt(0)
	s_mul_i32 s1, s1, s8
	s_add_i32 s1, s1, s7
	s_mul_i32 s12, s1, s0
	s_add_i32 s12, s12, s6
	s_cmp_ge_u32 s12, s16
	s_cbranch_scc1 .LBB249_50
; %bb.1:
	s_load_dword s13, s[4:5], 0xc
	s_load_dwordx2 s[8:9], s[4:5], 0x6c
	s_load_dword s10, s[4:5], 0x1b8
	s_add_u32 s2, s4, 0xe8
	s_load_dwordx2 s[0:1], s[4:5], 0x0
	s_waitcnt lgkmcnt(0)
	v_cvt_f32_u32_e32 v1, s13
	s_addc_u32 s3, s5, 0
	s_sub_i32 s6, 0, s13
	s_mov_b32 s7, 0
	v_rcp_iflag_f32_e32 v1, v1
	v_mul_f32_e32 v1, 0x4f7ffffe, v1
	v_cvt_u32_f32_e32 v1, v1
	v_readfirstlane_b32 s11, v1
	s_mul_i32 s6, s6, s11
	s_mul_hi_u32 s6, s11, s6
	s_add_i32 s11, s11, s6
	s_mul_hi_u32 s14, s12, s11
	s_cmp_lt_i32 s10, 2
	s_mov_b32 s6, s12
	s_cbranch_scc1 .LBB249_4
; %bb.2:
	s_add_i32 s6, s10, -1
	s_add_i32 s15, s10, 1
	s_lshl_b64 s[10:11], s[6:7], 2
	s_add_u32 s6, s10, s2
	s_addc_u32 s11, s11, s3
	s_add_u32 s10, s6, 8
	s_addc_u32 s11, s11, 0
	s_mov_b32 s6, s12
.LBB249_3:                              ; =>This Inner Loop Header: Depth=1
	s_load_dword s16, s[10:11], 0x0
	s_load_dword s20, s[10:11], 0x64
	s_mov_b32 s19, s6
	s_waitcnt lgkmcnt(0)
	v_cvt_f32_u32_e32 v1, s16
	s_sub_i32 s6, 0, s16
	v_rcp_iflag_f32_e32 v1, v1
	v_mul_f32_e32 v1, 0x4f7ffffe, v1
	v_cvt_u32_f32_e32 v1, v1
	v_readfirstlane_b32 s21, v1
	s_mul_i32 s6, s6, s21
	s_mul_hi_u32 s6, s21, s6
	s_add_i32 s21, s21, s6
	s_mul_hi_u32 s6, s19, s21
	s_mul_i32 s21, s6, s16
	s_sub_i32 s21, s19, s21
	s_add_i32 s22, s6, 1
	s_sub_i32 s23, s21, s16
	s_cmp_ge_u32 s21, s16
	s_cselect_b32 s6, s22, s6
	s_cselect_b32 s21, s23, s21
	s_add_i32 s22, s6, 1
	s_cmp_ge_u32 s21, s16
	s_cselect_b32 s6, s22, s6
	s_mul_i32 s16, s6, s16
	s_sub_i32 s16, s19, s16
	s_mul_i32 s16, s20, s16
	s_add_i32 s15, s15, -1
	s_add_i32 s7, s16, s7
	s_add_u32 s10, s10, -4
	s_addc_u32 s11, s11, -1
	s_cmp_gt_u32 s15, 2
	s_cbranch_scc1 .LBB249_3
.LBB249_4:
	s_mul_i32 s10, s14, s13
	s_sub_i32 s10, s12, s10
	s_add_i32 s11, s14, 1
	s_sub_i32 s15, s10, s13
	s_cmp_ge_u32 s10, s13
	s_cselect_b32 s11, s11, s14
	s_cselect_b32 s10, s15, s10
	s_add_i32 s14, s11, 1
	s_cmp_ge_u32 s10, s13
	s_cselect_b32 s10, s14, s11
	s_load_dwordx2 s[20:21], s[4:5], 0x1c0
	s_mul_i32 s11, s10, s13
	s_sub_i32 s11, s12, s11
	s_mul_i32 s11, s11, s9
	s_mul_i32 s4, s10, s8
	s_add_i32 s10, s4, s11
	s_waitcnt lgkmcnt(0)
	s_bitcmp1_b32 s21, 0
	s_cselect_b64 s[4:5], -1, 0
	s_load_dwordx2 s[8:9], s[2:3], 0x0
	s_mov_b32 s11, 0xffff
	s_and_b64 s[12:13], s[4:5], exec
	s_cselect_b32 s12, s11, 0x7fff
	s_mov_b32 s11, 0
	s_lshl_b64 s[10:11], s[10:11], 1
	s_add_u32 s19, s0, s10
	s_addc_u32 s21, s1, s11
	v_cmp_gt_u32_e64 s[0:1], s17, v0
	v_mov_b32_e32 v2, s12
	v_mul_lo_u32 v10, v0, s18
	s_and_saveexec_b64 s[10:11], s[0:1]
	s_cbranch_execz .LBB249_6
; %bb.5:
	v_mov_b32_e32 v11, 0
	v_lshlrev_b64 v[2:3], 1, v[10:11]
	v_mov_b32_e32 v1, s21
	v_add_co_u32_e32 v2, vcc, s19, v2
	v_addc_co_u32_e32 v3, vcc, v1, v3, vcc
	global_load_ushort v2, v[2:3], off
.LBB249_6:
	s_or_b64 exec, exec, s[10:11]
	s_load_dword s13, s[2:3], 0x6c
	v_or_b32_e32 v1, 16, v0
	v_cmp_gt_u32_e64 s[2:3], s17, v1
	v_mov_b32_e32 v3, s12
	s_and_saveexec_b64 s[10:11], s[2:3]
	s_cbranch_execz .LBB249_8
; %bb.7:
	v_mul_lo_u32 v4, v1, s18
	v_mov_b32_e32 v5, 0
	v_lshlrev_b64 v[4:5], 1, v[4:5]
	v_mov_b32_e32 v3, s21
	v_add_co_u32_e32 v4, vcc, s19, v4
	v_addc_co_u32_e32 v5, vcc, v3, v5, vcc
	global_load_ushort v3, v[4:5], off
.LBB249_8:
	s_or_b64 exec, exec, s[10:11]
	v_lshlrev_b32_e32 v22, 1, v0
	v_lshlrev_b32_e32 v11, 2, v0
	s_waitcnt lgkmcnt(0)
	s_mul_i32 s6, s13, s6
	s_waitcnt vmcnt(0)
	ds_write_b16 v22, v2
	ds_write_b16 v22, v3 offset:32
	s_waitcnt lgkmcnt(0)
	; wave barrier
	s_waitcnt lgkmcnt(0)
	ds_read_u16 v28, v11
	ds_read_u16 v27, v11 offset:2
	s_add_i32 s12, s6, s7
	s_mov_b32 s13, 0
	s_lshl_b64 s[6:7], s[12:13], 3
	s_mov_b32 s12, s13
	s_add_u32 s30, s8, s6
	s_mov_b32 s14, s13
	s_mov_b32 s15, s13
	v_pk_mov_b32 v[2:3], s[12:13], s[12:13] op_sel:[0,1]
	s_addc_u32 s31, s9, s7
	v_pk_mov_b32 v[4:5], s[14:15], s[14:15] op_sel:[0,1]
	v_pk_mov_b32 v[2:3], 0, 0
	v_mul_lo_u32 v12, v0, s20
	s_waitcnt lgkmcnt(0)
	; wave barrier
	s_waitcnt lgkmcnt(0)
	s_and_saveexec_b64 s[6:7], s[0:1]
	s_cbranch_execz .LBB249_10
; %bb.9:
	v_mov_b32_e32 v13, 0
	v_lshlrev_b64 v[2:3], 3, v[12:13]
	v_mov_b32_e32 v4, s31
	v_add_co_u32_e32 v2, vcc, s30, v2
	v_addc_co_u32_e32 v3, vcc, v4, v3, vcc
	global_load_dwordx2 v[2:3], v[2:3], off
	v_mov_b32_e32 v4, v13
	v_mov_b32_e32 v5, v13
.LBB249_10:
	s_or_b64 exec, exec, s[6:7]
	s_xor_b64 s[22:23], s[4:5], -1
	s_and_saveexec_b64 s[4:5], s[2:3]
	s_cbranch_execz .LBB249_12
; %bb.11:
	v_mul_lo_u32 v4, v1, s20
	v_mov_b32_e32 v5, 0
	v_lshlrev_b64 v[4:5], 3, v[4:5]
	v_mov_b32_e32 v6, s31
	v_add_co_u32_e32 v4, vcc, s30, v4
	v_addc_co_u32_e32 v5, vcc, v6, v5, vcc
	global_load_dwordx2 v[4:5], v[4:5], off
.LBB249_12:
	s_or_b64 exec, exec, s[4:5]
	v_mbcnt_lo_u32_b32 v6, -1, 0
	v_lshlrev_b32_e32 v23, 3, v0
	v_lshlrev_b32_e32 v13, 3, v22
	s_getpc_b64 s[4:5]
	s_add_u32 s4, s4, _ZN7rocprim17ROCPRIM_400000_NS16block_radix_sortI12hip_bfloat16Lj16ELj2ElLj1ELj1ELj0ELNS0_26block_radix_rank_algorithmE1ELNS0_18block_padding_hintE2ELNS0_4arch9wavefront6targetE1EE19radix_bits_per_passE@rel32@lo+4
	s_addc_u32 s5, s5, _ZN7rocprim17ROCPRIM_400000_NS16block_radix_sortI12hip_bfloat16Lj16ELj2ElLj1ELj1ELj0ELNS0_26block_radix_rank_algorithmE1ELNS0_18block_padding_hintE2ELNS0_4arch9wavefront6targetE1EE19radix_bits_per_passE@rel32@hi+12
	v_mbcnt_hi_u32_b32 v6, -1, v6
	s_waitcnt vmcnt(0)
	ds_write2_b64 v23, v[2:3], v[4:5] offset1:16
	s_waitcnt lgkmcnt(0)
	; wave barrier
	s_waitcnt lgkmcnt(0)
	ds_read2_b64 v[2:5], v13 offset1:1
	s_load_dword s33, s[4:5], 0x0
	v_and_b32_e32 v7, 15, v6
	v_cmp_eq_u32_e64 s[6:7], 0, v7
	v_cmp_lt_u32_e64 s[8:9], 1, v7
	v_cmp_lt_u32_e64 s[10:11], 3, v7
	;; [unrolled: 1-line block ×3, first 2 shown]
	v_add_u32_e32 v7, -1, v6
	v_and_b32_e32 v8, 0x70, v6
	v_cmp_lt_i32_e32 vcc, v7, v8
	s_movk_i32 s4, 0x80
	v_cndmask_b32_e32 v7, v7, v6, vcc
	v_cmp_gt_u32_e64 s[4:5], s4, v0
	v_lshlrev_b32_e32 v24, 5, v0
	s_mov_b32 s34, 0
	v_cmp_eq_u32_e64 s[14:15], 15, v0
	s_movk_i32 s35, 0x70
	v_lshlrev_b32_e32 v26, 2, v7
	v_cmp_eq_u32_e64 s[16:17], 0, v6
	v_lshlrev_b32_e32 v25, 1, v22
	s_and_b64 vcc, exec, s[22:23]
	v_add_u32_e64 v29, 7, 2
	s_waitcnt lgkmcnt(0)
	; wave barrier
	s_waitcnt lgkmcnt(0)
	s_cbranch_vccz .LBB249_27
; %bb.13:
	v_mov_b32_e32 v30, 0xffff8000
	v_cmp_lt_i16_e32 vcc, -1, v28
	v_cndmask_b32_e32 v6, -1, v30, vcc
	v_cmp_lt_i16_e32 vcc, -1, v27
	v_xor_b32_e32 v20, v6, v28
	v_cndmask_b32_e32 v6, -1, v30, vcc
	v_xor_b32_e32 v21, v6, v27
	v_and_b32_e32 v31, 14, v29
	v_mov_b32_e32 v32, 0
	s_movk_i32 s36, 0x7fff
	v_pk_mov_b32 v[6:7], v[2:3], v[2:3] op_sel:[0,1]
	v_pk_mov_b32 v[8:9], v[4:5], v[4:5] op_sel:[0,1]
	s_branch .LBB249_15
.LBB249_14:                             ;   in Loop: Header=BB249_15 Depth=1
	v_lshlrev_b32_e32 v6, 1, v18
	s_waitcnt lgkmcnt(0)
	; wave barrier
	ds_write_b16 v6, v34
	v_lshlrev_b32_e32 v6, 1, v19
	ds_write_b16 v6, v33
	v_lshlrev_b32_e32 v6, 3, v18
	s_waitcnt lgkmcnt(0)
	; wave barrier
	s_waitcnt lgkmcnt(0)
	ds_read_u16 v20, v25
	ds_read_u16 v21, v25 offset:2
	s_waitcnt lgkmcnt(0)
	; wave barrier
	s_waitcnt lgkmcnt(0)
	ds_write_b64 v6, v[16:17]
	v_lshlrev_b32_e32 v6, 3, v19
	ds_write_b64 v6, v[14:15]
	s_waitcnt lgkmcnt(0)
	; wave barrier
	s_waitcnt lgkmcnt(0)
	ds_read2_b64 v[6:9], v13 offset1:1
	s_add_i32 s34, s34, 4
	s_waitcnt lgkmcnt(0)
	; wave barrier
	s_waitcnt lgkmcnt(0)
	s_cbranch_execz .LBB249_26
.LBB249_15:                             ; =>This Loop Header: Depth=1
                                        ;     Child Loop BB249_18 Depth 2
	v_pk_mov_b32 v[14:15], v[8:9], v[8:9] op_sel:[0,1]
	v_pk_mov_b32 v[16:17], v[6:7], v[6:7] op_sel:[0,1]
	v_mov_b32_e32 v34, v20
	v_mov_b32_e32 v33, v21
	s_and_saveexec_b64 s[22:23], s[4:5]
	s_cbranch_execz .LBB249_22
; %bb.16:                               ;   in Loop: Header=BB249_15 Depth=1
	s_mov_b32 s37, 0
	s_mov_b64 s[24:25], 0
	v_pk_mov_b32 v[6:7], v[0:1], v[0:1] op_sel:[0,1]
	s_branch .LBB249_18
.LBB249_17:                             ;   in Loop: Header=BB249_18 Depth=2
	s_or_b64 exec, exec, s[28:29]
	s_add_i32 s37, s37, 2
	v_cmp_eq_u32_e32 vcc, s37, v31
	v_add_u32_e32 v7, 32, v7
	s_or_b64 s[24:25], vcc, s[24:25]
	v_add_u32_e32 v6, 32, v6
	s_andn2_b64 exec, exec, s[24:25]
	s_cbranch_execz .LBB249_22
.LBB249_18:                             ;   Parent Loop BB249_15 Depth=1
                                        ; =>  This Inner Loop Header: Depth=2
	s_or_b32 s26, s37, 1
	v_cmp_le_u32_e64 s[26:27], s26, 7
	v_cmp_le_u32_e64 s[38:39], s37, 7
	s_and_saveexec_b64 s[28:29], s[38:39]
	s_cbranch_execz .LBB249_20
; %bb.19:                               ;   in Loop: Header=BB249_18 Depth=2
	v_lshlrev_b32_e32 v8, 2, v6
	ds_write_b32 v8, v32
.LBB249_20:                             ;   in Loop: Header=BB249_18 Depth=2
	s_or_b64 exec, exec, s[28:29]
	s_and_saveexec_b64 s[28:29], s[26:27]
	s_cbranch_execz .LBB249_17
; %bb.21:                               ;   in Loop: Header=BB249_18 Depth=2
	v_lshlrev_b32_e32 v8, 2, v7
	ds_write_b32 v8, v32
	s_branch .LBB249_17
.LBB249_22:                             ;   in Loop: Header=BB249_15 Depth=1
	s_or_b64 exec, exec, s[22:23]
	s_sub_i32 s22, 16, s34
	s_min_u32 s22, s33, s22
	v_cmp_ne_u16_e32 vcc, s36, v34
	s_lshl_b32 s22, -1, s22
	v_cndmask_b32_e32 v6, v30, v34, vcc
	s_not_b32 s22, s22
	v_lshrrev_b32_sdwa v6, s34, v6 dst_sel:DWORD dst_unused:UNUSED_PAD src0_sel:DWORD src1_sel:WORD_0
	v_and_b32_e32 v6, s22, v6
	v_lshrrev_b32_e32 v7, 3, v6
	v_lshlrev_b32_e32 v6, 4, v6
	v_and_or_b32 v6, v6, s35, v0
	v_lshlrev_b32_e32 v6, 1, v6
	v_add_lshl_u32 v36, v6, v7, 1
	ds_read_u16 v35, v36
	v_cmp_ne_u16_e32 vcc, s36, v33
	s_waitcnt lgkmcnt(0)
	v_add_u16_e32 v6, 1, v35
	ds_write_b16 v36, v6
	v_cndmask_b32_e32 v6, v30, v33, vcc
	v_lshrrev_b32_sdwa v6, s34, v6 dst_sel:DWORD dst_unused:UNUSED_PAD src0_sel:DWORD src1_sel:WORD_0
	v_and_b32_e32 v6, s22, v6
	v_lshrrev_b32_e32 v7, 3, v6
	v_lshlrev_b32_e32 v6, 4, v6
	v_and_or_b32 v6, v6, s35, v0
	v_lshlrev_b32_e32 v6, 1, v6
	v_add_lshl_u32 v38, v6, v7, 1
	ds_read_u16 v37, v38
	s_waitcnt lgkmcnt(0)
	v_add_u16_e32 v6, 1, v37
	ds_write_b16 v38, v6
	s_waitcnt lgkmcnt(0)
	; wave barrier
	s_waitcnt lgkmcnt(0)
	ds_read2_b32 v[20:21], v24 offset1:1
	ds_read2_b32 v[18:19], v24 offset0:2 offset1:3
	ds_read2_b32 v[6:7], v24 offset0:4 offset1:5
	;; [unrolled: 1-line block ×3, first 2 shown]
	s_waitcnt lgkmcnt(3)
	v_add_u32_e32 v39, v21, v20
	s_waitcnt lgkmcnt(2)
	v_add3_u32 v39, v39, v18, v19
	s_waitcnt lgkmcnt(1)
	v_add3_u32 v39, v39, v6, v7
	;; [unrolled: 2-line block ×3, first 2 shown]
	s_nop 1
	v_mov_b32_dpp v39, v9 row_shr:1 row_mask:0xf bank_mask:0xf
	v_cndmask_b32_e64 v39, v39, 0, s[6:7]
	v_add_u32_e32 v9, v39, v9
	s_nop 1
	v_mov_b32_dpp v39, v9 row_shr:2 row_mask:0xf bank_mask:0xf
	v_cndmask_b32_e64 v39, 0, v39, s[8:9]
	v_add_u32_e32 v9, v9, v39
	;; [unrolled: 4-line block ×4, first 2 shown]
	s_and_saveexec_b64 s[22:23], s[14:15]
	s_cbranch_execz .LBB249_24
; %bb.23:                               ;   in Loop: Header=BB249_15 Depth=1
	ds_write_b32 v32, v9 offset:512
.LBB249_24:                             ;   in Loop: Header=BB249_15 Depth=1
	s_or_b64 exec, exec, s[22:23]
	ds_bpermute_b32 v9, v26, v9
	s_waitcnt lgkmcnt(0)
	; wave barrier
	s_waitcnt lgkmcnt(0)
	ds_read_b32 v39, v32 offset:512
	s_cmp_gt_u32 s34, 11
	v_cndmask_b32_e64 v9, v9, 0, s[16:17]
	s_waitcnt lgkmcnt(0)
	v_lshl_add_u32 v9, v39, 16, v9
	v_add_u32_e32 v20, v9, v20
	v_add_u32_e32 v21, v20, v21
	ds_write2_b32 v24, v9, v20 offset1:1
	v_add_u32_e32 v9, v21, v18
	v_add_u32_e32 v18, v9, v19
	;; [unrolled: 1-line block ×5, first 2 shown]
	ds_write2_b32 v24, v21, v9 offset0:2 offset1:3
	ds_write2_b32 v24, v18, v6 offset0:4 offset1:5
	;; [unrolled: 1-line block ×3, first 2 shown]
	s_waitcnt lgkmcnt(0)
	; wave barrier
	s_waitcnt lgkmcnt(0)
	ds_read_u16 v6, v36
	ds_read_u16 v7, v38
	s_waitcnt lgkmcnt(1)
	v_add_u32_sdwa v18, v6, v35 dst_sel:DWORD dst_unused:UNUSED_PAD src0_sel:DWORD src1_sel:WORD_0
	s_waitcnt lgkmcnt(0)
	v_add_u32_sdwa v19, v7, v37 dst_sel:DWORD dst_unused:UNUSED_PAD src0_sel:DWORD src1_sel:WORD_0
	s_cbranch_scc0 .LBB249_14
; %bb.25:
                                        ; implicit-def: $vgpr8_vgpr9
                                        ; implicit-def: $sgpr34
                                        ; implicit-def: $vgpr20
                                        ; implicit-def: $vgpr21
.LBB249_26:
	v_lshlrev_b32_e32 v6, 1, v18
	s_waitcnt lgkmcnt(0)
	; wave barrier
	ds_write_b16 v6, v34
	v_lshlrev_b32_e32 v6, 1, v19
	ds_write_b16 v6, v33
	s_waitcnt lgkmcnt(0)
	; wave barrier
	s_waitcnt lgkmcnt(0)
	v_lshlrev_b32_e32 v6, 3, v18
	ds_read_b32 v18, v25
	v_lshlrev_b32_e32 v7, 3, v19
	s_waitcnt lgkmcnt(0)
	; wave barrier
	s_waitcnt lgkmcnt(0)
	ds_write_b64 v6, v[16:17]
	ds_write_b64 v7, v[14:15]
	s_waitcnt lgkmcnt(0)
	; wave barrier
	s_waitcnt lgkmcnt(0)
	ds_read2_b64 v[6:9], v13 offset1:1
	v_mov_b32_e32 v14, -1
	v_mov_b32_e32 v15, 0xffff8000
	v_cmp_lt_i16_e32 vcc, -1, v18
	v_cmp_gt_i16_sdwa s[22:23], v18, v14 src0_sel:WORD_1 src1_sel:DWORD
	v_cndmask_b32_e64 v16, v15, -1, vcc
	v_cndmask_b32_e64 v14, v15, -1, s[22:23]
	s_mov_b32 s22, 0x5040100
	v_perm_b32 v14, v14, v16, s22
	v_xor_b32_e32 v14, v14, v18
	s_branch .LBB249_42
.LBB249_27:
                                        ; implicit-def: $vgpr8_vgpr9
                                        ; implicit-def: $vgpr14
	s_cbranch_execz .LBB249_42
; %bb.28:
	v_mov_b32_e32 v18, 0x7fff
	v_cmp_gt_i16_e32 vcc, 0, v28
	s_waitcnt lgkmcnt(0)
	v_cndmask_b32_e64 v6, v18, 0, vcc
	v_cmp_gt_i16_e32 vcc, 0, v27
	v_xor_b32_e32 v16, v6, v28
	v_cndmask_b32_e64 v6, v18, 0, vcc
	s_mov_b32 s34, 0
	v_xor_b32_e32 v17, v6, v27
	v_and_b32_e32 v19, 14, v29
	v_mov_b32_e32 v20, 0
	s_movk_i32 s35, 0x8000
	s_movk_i32 s36, 0x70
	s_branch .LBB249_30
.LBB249_29:                             ;   in Loop: Header=BB249_30 Depth=1
	v_lshlrev_b32_e32 v2, 1, v14
	s_waitcnt lgkmcnt(0)
	; wave barrier
	ds_write_b16 v2, v27
	v_lshlrev_b32_e32 v2, 1, v15
	ds_write_b16 v2, v21
	v_lshlrev_b32_e32 v2, 3, v14
	s_waitcnt lgkmcnt(0)
	; wave barrier
	s_waitcnt lgkmcnt(0)
	ds_read_u16 v16, v25
	ds_read_u16 v17, v25 offset:2
	s_waitcnt lgkmcnt(0)
	; wave barrier
	s_waitcnt lgkmcnt(0)
	ds_write_b64 v2, v[8:9]
	v_lshlrev_b32_e32 v2, 3, v15
	ds_write_b64 v2, v[6:7]
	s_waitcnt lgkmcnt(0)
	; wave barrier
	s_waitcnt lgkmcnt(0)
	ds_read2_b64 v[2:5], v13 offset1:1
	s_add_i32 s34, s34, 4
	s_waitcnt lgkmcnt(0)
	; wave barrier
	s_waitcnt lgkmcnt(0)
	s_cbranch_execz .LBB249_41
.LBB249_30:                             ; =>This Loop Header: Depth=1
                                        ;     Child Loop BB249_33 Depth 2
	v_pk_mov_b32 v[6:7], v[4:5], v[4:5] op_sel:[0,1]
	v_pk_mov_b32 v[8:9], v[2:3], v[2:3] op_sel:[0,1]
	v_mov_b32_e32 v27, v16
	v_mov_b32_e32 v21, v17
	s_and_saveexec_b64 s[22:23], s[4:5]
	s_cbranch_execz .LBB249_37
; %bb.31:                               ;   in Loop: Header=BB249_30 Depth=1
	s_mov_b32 s37, 0
	s_mov_b64 s[24:25], 0
	v_pk_mov_b32 v[2:3], v[0:1], v[0:1] op_sel:[0,1]
	s_branch .LBB249_33
.LBB249_32:                             ;   in Loop: Header=BB249_33 Depth=2
	s_or_b64 exec, exec, s[28:29]
	s_add_i32 s37, s37, 2
	v_cmp_eq_u32_e32 vcc, s37, v19
	v_add_u32_e32 v3, 32, v3
	s_or_b64 s[24:25], vcc, s[24:25]
	v_add_u32_e32 v2, 32, v2
	s_andn2_b64 exec, exec, s[24:25]
	s_cbranch_execz .LBB249_37
.LBB249_33:                             ;   Parent Loop BB249_30 Depth=1
                                        ; =>  This Inner Loop Header: Depth=2
	s_or_b32 s26, s37, 1
	v_cmp_le_u32_e64 s[26:27], s26, 7
	v_cmp_le_u32_e64 s[38:39], s37, 7
	s_and_saveexec_b64 s[28:29], s[38:39]
	s_cbranch_execz .LBB249_35
; %bb.34:                               ;   in Loop: Header=BB249_33 Depth=2
	v_lshlrev_b32_e32 v4, 2, v2
	ds_write_b32 v4, v20
.LBB249_35:                             ;   in Loop: Header=BB249_33 Depth=2
	s_or_b64 exec, exec, s[28:29]
	s_and_saveexec_b64 s[28:29], s[26:27]
	s_cbranch_execz .LBB249_32
; %bb.36:                               ;   in Loop: Header=BB249_33 Depth=2
	v_lshlrev_b32_e32 v4, 2, v3
	ds_write_b32 v4, v20
	s_branch .LBB249_32
.LBB249_37:                             ;   in Loop: Header=BB249_30 Depth=1
	s_or_b64 exec, exec, s[22:23]
	s_sub_i32 s22, 16, s34
	s_min_u32 s22, s33, s22
	v_cmp_ne_u16_e32 vcc, s35, v27
	s_lshl_b32 s22, -1, s22
	v_cndmask_b32_e32 v2, v18, v27, vcc
	s_not_b32 s22, s22
	v_lshrrev_b32_sdwa v2, s34, v2 dst_sel:DWORD dst_unused:UNUSED_PAD src0_sel:DWORD src1_sel:WORD_0
	v_and_b32_e32 v2, s22, v2
	v_lshrrev_b32_e32 v3, 3, v2
	v_lshlrev_b32_e32 v2, 4, v2
	v_and_or_b32 v2, v2, s36, v0
	v_lshlrev_b32_e32 v2, 1, v2
	v_add_lshl_u32 v29, v2, v3, 1
	ds_read_u16 v28, v29
	v_cmp_ne_u16_e32 vcc, s35, v21
	s_waitcnt lgkmcnt(0)
	v_add_u16_e32 v2, 1, v28
	ds_write_b16 v29, v2
	v_cndmask_b32_e32 v2, v18, v21, vcc
	v_lshrrev_b32_sdwa v2, s34, v2 dst_sel:DWORD dst_unused:UNUSED_PAD src0_sel:DWORD src1_sel:WORD_0
	v_and_b32_e32 v2, s22, v2
	v_lshrrev_b32_e32 v3, 3, v2
	v_lshlrev_b32_e32 v2, 4, v2
	v_and_or_b32 v2, v2, s36, v0
	v_lshlrev_b32_e32 v2, 1, v2
	v_add_lshl_u32 v31, v2, v3, 1
	ds_read_u16 v30, v31
	s_waitcnt lgkmcnt(0)
	v_add_u16_e32 v2, 1, v30
	ds_write_b16 v31, v2
	s_waitcnt lgkmcnt(0)
	; wave barrier
	s_waitcnt lgkmcnt(0)
	ds_read2_b32 v[16:17], v24 offset1:1
	ds_read2_b32 v[14:15], v24 offset0:2 offset1:3
	ds_read2_b32 v[2:3], v24 offset0:4 offset1:5
	;; [unrolled: 1-line block ×3, first 2 shown]
	s_waitcnt lgkmcnt(3)
	v_add_u32_e32 v32, v17, v16
	s_waitcnt lgkmcnt(2)
	v_add3_u32 v32, v32, v14, v15
	s_waitcnt lgkmcnt(1)
	v_add3_u32 v32, v32, v2, v3
	;; [unrolled: 2-line block ×3, first 2 shown]
	s_nop 1
	v_mov_b32_dpp v32, v5 row_shr:1 row_mask:0xf bank_mask:0xf
	v_cndmask_b32_e64 v32, v32, 0, s[6:7]
	v_add_u32_e32 v5, v32, v5
	s_nop 1
	v_mov_b32_dpp v32, v5 row_shr:2 row_mask:0xf bank_mask:0xf
	v_cndmask_b32_e64 v32, 0, v32, s[8:9]
	v_add_u32_e32 v5, v5, v32
	;; [unrolled: 4-line block ×4, first 2 shown]
	s_and_saveexec_b64 s[22:23], s[14:15]
	s_cbranch_execz .LBB249_39
; %bb.38:                               ;   in Loop: Header=BB249_30 Depth=1
	ds_write_b32 v20, v5 offset:512
.LBB249_39:                             ;   in Loop: Header=BB249_30 Depth=1
	s_or_b64 exec, exec, s[22:23]
	ds_bpermute_b32 v5, v26, v5
	s_waitcnt lgkmcnt(0)
	; wave barrier
	s_waitcnt lgkmcnt(0)
	ds_read_b32 v32, v20 offset:512
	s_cmp_gt_u32 s34, 11
	v_cndmask_b32_e64 v5, v5, 0, s[16:17]
	s_waitcnt lgkmcnt(0)
	v_lshl_add_u32 v5, v32, 16, v5
	v_add_u32_e32 v16, v5, v16
	v_add_u32_e32 v17, v16, v17
	ds_write2_b32 v24, v5, v16 offset1:1
	v_add_u32_e32 v5, v17, v14
	v_add_u32_e32 v14, v5, v15
	;; [unrolled: 1-line block ×5, first 2 shown]
	ds_write2_b32 v24, v17, v5 offset0:2 offset1:3
	ds_write2_b32 v24, v14, v2 offset0:4 offset1:5
	;; [unrolled: 1-line block ×3, first 2 shown]
	s_waitcnt lgkmcnt(0)
	; wave barrier
	s_waitcnt lgkmcnt(0)
	ds_read_u16 v2, v29
	ds_read_u16 v3, v31
	s_waitcnt lgkmcnt(1)
	v_add_u32_sdwa v14, v2, v28 dst_sel:DWORD dst_unused:UNUSED_PAD src0_sel:DWORD src1_sel:WORD_0
	s_waitcnt lgkmcnt(0)
	v_add_u32_sdwa v15, v3, v30 dst_sel:DWORD dst_unused:UNUSED_PAD src0_sel:DWORD src1_sel:WORD_0
	s_cbranch_scc0 .LBB249_29
; %bb.40:
                                        ; implicit-def: $vgpr4_vgpr5
                                        ; implicit-def: $sgpr34
                                        ; implicit-def: $vgpr16
                                        ; implicit-def: $vgpr17
.LBB249_41:
	v_lshlrev_b32_e32 v0, 1, v14
	s_waitcnt lgkmcnt(0)
	; wave barrier
	ds_write_b16 v0, v27
	v_lshlrev_b32_e32 v0, 1, v15
	ds_write_b16 v0, v21
	s_waitcnt lgkmcnt(0)
	; wave barrier
	s_waitcnt lgkmcnt(0)
	ds_read_b32 v2, v25
	v_lshlrev_b32_e32 v0, 3, v14
	v_lshlrev_b32_e32 v1, 3, v15
	s_waitcnt lgkmcnt(0)
	; wave barrier
	s_waitcnt lgkmcnt(0)
	ds_write_b64 v0, v[8:9]
	ds_write_b64 v1, v[6:7]
	s_waitcnt lgkmcnt(0)
	; wave barrier
	s_waitcnt lgkmcnt(0)
	ds_read2_b64 v[6:9], v13 offset1:1
	v_mov_b32_e32 v0, 0
	v_mov_b32_e32 v1, 0x7fff
	v_cmp_gt_i16_e32 vcc, 0, v2
	v_cmp_lt_i16_sdwa s[4:5], v2, v0 src0_sel:WORD_1 src1_sel:DWORD
	v_cndmask_b32_e64 v3, v1, 0, vcc
	v_cndmask_b32_e64 v0, v1, 0, s[4:5]
	s_mov_b32 s4, 0x5040100
	v_perm_b32 v0, v0, v3, s4
	v_xor_b32_e32 v14, v0, v2
.LBB249_42:
	s_waitcnt lgkmcnt(0)
	; wave barrier
	s_waitcnt lgkmcnt(0)
	ds_write_b32 v11, v14
	s_waitcnt lgkmcnt(0)
	; wave barrier
	s_waitcnt lgkmcnt(0)
	ds_read_u16 v2, v22 offset:32
	v_mov_b32_e32 v11, 0
	v_lshlrev_b64 v[0:1], 1, v[10:11]
	v_mov_b32_e32 v3, s21
	v_add_co_u32_e32 v0, vcc, s19, v0
	v_addc_co_u32_e32 v1, vcc, v3, v1, vcc
	s_and_saveexec_b64 s[4:5], s[0:1]
	s_cbranch_execz .LBB249_44
; %bb.43:
	ds_read_u16 v3, v22
	s_waitcnt lgkmcnt(0)
	global_store_short v[0:1], v3, off
.LBB249_44:
	s_or_b64 exec, exec, s[4:5]
	s_and_saveexec_b64 s[4:5], s[2:3]
	s_cbranch_execz .LBB249_46
; %bb.45:
	s_lshl_b32 s6, s18, 4
	s_mov_b32 s7, 0
	s_lshl_b64 s[6:7], s[6:7], 1
	v_mov_b32_e32 v3, s7
	v_add_co_u32_e32 v0, vcc, s6, v0
	v_addc_co_u32_e32 v1, vcc, v1, v3, vcc
	s_waitcnt lgkmcnt(0)
	global_store_short v[0:1], v2, off
.LBB249_46:
	s_or_b64 exec, exec, s[4:5]
	s_waitcnt lgkmcnt(0)
	; wave barrier
	s_waitcnt lgkmcnt(0)
	ds_write2_b64 v13, v[6:7], v[8:9] offset1:1
	s_waitcnt lgkmcnt(0)
	; wave barrier
	s_waitcnt lgkmcnt(0)
	ds_read_b64 v[0:1], v23 offset:128
	v_mov_b32_e32 v13, 0
	v_lshlrev_b64 v[2:3], 3, v[12:13]
	v_mov_b32_e32 v4, s31
	v_add_co_u32_e32 v2, vcc, s30, v2
	v_addc_co_u32_e32 v3, vcc, v4, v3, vcc
	s_and_saveexec_b64 s[4:5], s[0:1]
	s_cbranch_execz .LBB249_48
; %bb.47:
	ds_read_b64 v[4:5], v23
	s_waitcnt lgkmcnt(0)
	global_store_dwordx2 v[2:3], v[4:5], off
.LBB249_48:
	s_or_b64 exec, exec, s[4:5]
	s_and_saveexec_b64 s[0:1], s[2:3]
	s_cbranch_execz .LBB249_50
; %bb.49:
	s_lshl_b32 s0, s20, 4
	s_mov_b32 s1, 0
	s_lshl_b64 s[0:1], s[0:1], 3
	v_mov_b32_e32 v4, s1
	v_add_co_u32_e32 v2, vcc, s0, v2
	v_addc_co_u32_e32 v3, vcc, v3, v4, vcc
	s_waitcnt lgkmcnt(0)
	global_store_dwordx2 v[2:3], v[0:1], off
.LBB249_50:
	s_endpgm
	.section	.rodata,"a",@progbits
	.p2align	6, 0x0
	.amdhsa_kernel _ZN2at6native18radixSortKVInPlaceILi2ELin1ELi16ELi2EN3c108BFloat16EljEEvNS_4cuda6detail10TensorInfoIT3_T5_EES8_S8_S8_NS6_IT4_S8_EES8_b
		.amdhsa_group_segment_fixed_size 528
		.amdhsa_private_segment_fixed_size 0
		.amdhsa_kernarg_size 712
		.amdhsa_user_sgpr_count 6
		.amdhsa_user_sgpr_private_segment_buffer 1
		.amdhsa_user_sgpr_dispatch_ptr 0
		.amdhsa_user_sgpr_queue_ptr 0
		.amdhsa_user_sgpr_kernarg_segment_ptr 1
		.amdhsa_user_sgpr_dispatch_id 0
		.amdhsa_user_sgpr_flat_scratch_init 0
		.amdhsa_user_sgpr_kernarg_preload_length 0
		.amdhsa_user_sgpr_kernarg_preload_offset 0
		.amdhsa_user_sgpr_private_segment_size 0
		.amdhsa_uses_dynamic_stack 0
		.amdhsa_system_sgpr_private_segment_wavefront_offset 0
		.amdhsa_system_sgpr_workgroup_id_x 1
		.amdhsa_system_sgpr_workgroup_id_y 1
		.amdhsa_system_sgpr_workgroup_id_z 1
		.amdhsa_system_sgpr_workgroup_info 0
		.amdhsa_system_vgpr_workitem_id 0
		.amdhsa_next_free_vgpr 40
		.amdhsa_next_free_sgpr 40
		.amdhsa_accum_offset 40
		.amdhsa_reserve_vcc 1
		.amdhsa_reserve_flat_scratch 0
		.amdhsa_float_round_mode_32 0
		.amdhsa_float_round_mode_16_64 0
		.amdhsa_float_denorm_mode_32 3
		.amdhsa_float_denorm_mode_16_64 3
		.amdhsa_dx10_clamp 1
		.amdhsa_ieee_mode 1
		.amdhsa_fp16_overflow 0
		.amdhsa_tg_split 0
		.amdhsa_exception_fp_ieee_invalid_op 0
		.amdhsa_exception_fp_denorm_src 0
		.amdhsa_exception_fp_ieee_div_zero 0
		.amdhsa_exception_fp_ieee_overflow 0
		.amdhsa_exception_fp_ieee_underflow 0
		.amdhsa_exception_fp_ieee_inexact 0
		.amdhsa_exception_int_div_zero 0
	.end_amdhsa_kernel
	.section	.text._ZN2at6native18radixSortKVInPlaceILi2ELin1ELi16ELi2EN3c108BFloat16EljEEvNS_4cuda6detail10TensorInfoIT3_T5_EES8_S8_S8_NS6_IT4_S8_EES8_b,"axG",@progbits,_ZN2at6native18radixSortKVInPlaceILi2ELin1ELi16ELi2EN3c108BFloat16EljEEvNS_4cuda6detail10TensorInfoIT3_T5_EES8_S8_S8_NS6_IT4_S8_EES8_b,comdat
.Lfunc_end249:
	.size	_ZN2at6native18radixSortKVInPlaceILi2ELin1ELi16ELi2EN3c108BFloat16EljEEvNS_4cuda6detail10TensorInfoIT3_T5_EES8_S8_S8_NS6_IT4_S8_EES8_b, .Lfunc_end249-_ZN2at6native18radixSortKVInPlaceILi2ELin1ELi16ELi2EN3c108BFloat16EljEEvNS_4cuda6detail10TensorInfoIT3_T5_EES8_S8_S8_NS6_IT4_S8_EES8_b
                                        ; -- End function
	.section	.AMDGPU.csdata,"",@progbits
; Kernel info:
; codeLenInByte = 3340
; NumSgprs: 44
; NumVgprs: 40
; NumAgprs: 0
; TotalNumVgprs: 40
; ScratchSize: 0
; MemoryBound: 0
; FloatMode: 240
; IeeeMode: 1
; LDSByteSize: 528 bytes/workgroup (compile time only)
; SGPRBlocks: 5
; VGPRBlocks: 4
; NumSGPRsForWavesPerEU: 44
; NumVGPRsForWavesPerEU: 40
; AccumOffset: 40
; Occupancy: 8
; WaveLimiterHint : 1
; COMPUTE_PGM_RSRC2:SCRATCH_EN: 0
; COMPUTE_PGM_RSRC2:USER_SGPR: 6
; COMPUTE_PGM_RSRC2:TRAP_HANDLER: 0
; COMPUTE_PGM_RSRC2:TGID_X_EN: 1
; COMPUTE_PGM_RSRC2:TGID_Y_EN: 1
; COMPUTE_PGM_RSRC2:TGID_Z_EN: 1
; COMPUTE_PGM_RSRC2:TIDIG_COMP_CNT: 0
; COMPUTE_PGM_RSRC3_GFX90A:ACCUM_OFFSET: 9
; COMPUTE_PGM_RSRC3_GFX90A:TG_SPLIT: 0
	.section	.text._ZN2at6native18radixSortKVInPlaceILin1ELin1ELi512ELi8EN3c108BFloat16EljEEvNS_4cuda6detail10TensorInfoIT3_T5_EES8_S8_S8_NS6_IT4_S8_EES8_b,"axG",@progbits,_ZN2at6native18radixSortKVInPlaceILin1ELin1ELi512ELi8EN3c108BFloat16EljEEvNS_4cuda6detail10TensorInfoIT3_T5_EES8_S8_S8_NS6_IT4_S8_EES8_b,comdat
	.protected	_ZN2at6native18radixSortKVInPlaceILin1ELin1ELi512ELi8EN3c108BFloat16EljEEvNS_4cuda6detail10TensorInfoIT3_T5_EES8_S8_S8_NS6_IT4_S8_EES8_b ; -- Begin function _ZN2at6native18radixSortKVInPlaceILin1ELin1ELi512ELi8EN3c108BFloat16EljEEvNS_4cuda6detail10TensorInfoIT3_T5_EES8_S8_S8_NS6_IT4_S8_EES8_b
	.globl	_ZN2at6native18radixSortKVInPlaceILin1ELin1ELi512ELi8EN3c108BFloat16EljEEvNS_4cuda6detail10TensorInfoIT3_T5_EES8_S8_S8_NS6_IT4_S8_EES8_b
	.p2align	8
	.type	_ZN2at6native18radixSortKVInPlaceILin1ELin1ELi512ELi8EN3c108BFloat16EljEEvNS_4cuda6detail10TensorInfoIT3_T5_EES8_S8_S8_NS6_IT4_S8_EES8_b,@function
_ZN2at6native18radixSortKVInPlaceILin1ELin1ELi512ELi8EN3c108BFloat16EljEEvNS_4cuda6detail10TensorInfoIT3_T5_EES8_S8_S8_NS6_IT4_S8_EES8_b: ; @_ZN2at6native18radixSortKVInPlaceILin1ELin1ELi512ELi8EN3c108BFloat16EljEEvNS_4cuda6detail10TensorInfoIT3_T5_EES8_S8_S8_NS6_IT4_S8_EES8_b
; %bb.0:
	s_load_dwordx2 s[0:1], s[4:5], 0x1c8
	s_load_dwordx4 s[48:51], s[4:5], 0xd8
	s_add_u32 s54, s4, 0x1c8
	s_addc_u32 s55, s5, 0
	s_waitcnt lgkmcnt(0)
	s_mul_i32 s1, s1, s8
	s_add_i32 s1, s1, s7
	s_mul_i32 s0, s1, s0
	s_add_i32 s20, s0, s6
	s_cmp_ge_u32 s20, s48
	s_cbranch_scc1 .LBB250_149
; %bb.1:
	s_load_dword s2, s[4:5], 0xd0
	s_mov_b32 s1, 0
	s_mov_b32 s0, s20
	s_waitcnt lgkmcnt(0)
	s_cmp_lt_i32 s2, 2
	s_cbranch_scc1 .LBB250_4
; %bb.2:
	s_add_i32 s0, s2, -1
	s_add_i32 s6, s2, 1
	s_lshl_b64 s[2:3], s[0:1], 2
	s_add_u32 s0, s2, s4
	s_addc_u32 s3, s3, s5
	s_add_u32 s2, s0, 8
	s_addc_u32 s3, s3, 0
	s_mov_b32 s0, s20
.LBB250_3:                              ; =>This Inner Loop Header: Depth=1
	s_load_dword s7, s[2:3], 0x0
	s_load_dword s9, s[2:3], 0x64
	s_mov_b32 s8, s0
	s_waitcnt lgkmcnt(0)
	v_cvt_f32_u32_e32 v1, s7
	s_sub_i32 s0, 0, s7
	v_rcp_iflag_f32_e32 v1, v1
	v_mul_f32_e32 v1, 0x4f7ffffe, v1
	v_cvt_u32_f32_e32 v1, v1
	v_readfirstlane_b32 s10, v1
	s_mul_i32 s0, s0, s10
	s_mul_hi_u32 s0, s10, s0
	s_add_i32 s10, s10, s0
	s_mul_hi_u32 s0, s8, s10
	s_mul_i32 s10, s0, s7
	s_sub_i32 s10, s8, s10
	s_add_i32 s11, s0, 1
	s_sub_i32 s12, s10, s7
	s_cmp_ge_u32 s10, s7
	s_cselect_b32 s0, s11, s0
	s_cselect_b32 s10, s12, s10
	s_add_i32 s11, s0, 1
	s_cmp_ge_u32 s10, s7
	s_cselect_b32 s0, s11, s0
	s_mul_i32 s7, s0, s7
	s_sub_i32 s7, s8, s7
	s_mul_i32 s7, s9, s7
	s_add_i32 s6, s6, -1
	s_add_i32 s1, s7, s1
	s_add_u32 s2, s2, -4
	s_addc_u32 s3, s3, -1
	s_cmp_gt_u32 s6, 2
	s_cbranch_scc1 .LBB250_3
.LBB250_4:
	s_load_dword s2, s[4:5], 0x1b8
	s_mov_b32 s17, 0
	s_waitcnt lgkmcnt(0)
	s_cmp_lt_i32 s2, 2
	s_cbranch_scc1 .LBB250_7
; %bb.5:
	s_add_i32 s16, s2, -1
	s_add_i32 s6, s2, 1
	s_lshl_b64 s[2:3], s[16:17], 2
	s_add_u32 s2, s2, s4
	s_addc_u32 s3, s3, s5
	s_add_u32 s2, s2, 0xf0
	s_addc_u32 s3, s3, 0
.LBB250_6:                              ; =>This Inner Loop Header: Depth=1
	s_load_dword s7, s[2:3], 0x0
	s_load_dword s9, s[2:3], 0x64
	s_mov_b32 s8, s20
	s_waitcnt lgkmcnt(0)
	v_cvt_f32_u32_e32 v1, s7
	s_sub_i32 s10, 0, s7
	v_rcp_iflag_f32_e32 v1, v1
	v_mul_f32_e32 v1, 0x4f7ffffe, v1
	v_cvt_u32_f32_e32 v1, v1
	v_readfirstlane_b32 s11, v1
	s_mul_i32 s10, s10, s11
	s_mul_hi_u32 s10, s11, s10
	s_add_i32 s11, s11, s10
	s_mul_hi_u32 s10, s20, s11
	s_mul_i32 s11, s10, s7
	s_sub_i32 s11, s20, s11
	s_add_i32 s12, s10, 1
	s_sub_i32 s13, s11, s7
	s_cmp_ge_u32 s11, s7
	s_cselect_b32 s10, s12, s10
	s_cselect_b32 s11, s13, s11
	s_add_i32 s12, s10, 1
	s_cmp_ge_u32 s11, s7
	s_cselect_b32 s20, s12, s10
	s_mul_i32 s7, s20, s7
	s_sub_i32 s7, s8, s7
	s_mul_i32 s7, s9, s7
	s_add_i32 s6, s6, -1
	s_add_i32 s17, s7, s17
	s_add_u32 s2, s2, -4
	s_addc_u32 s3, s3, -1
	s_cmp_gt_u32 s6, 2
	s_cbranch_scc1 .LBB250_6
.LBB250_7:
	s_load_dword s2, s[4:5], 0x6c
	s_load_dwordx2 s[52:53], s[4:5], 0x1c0
	s_mov_b32 s8, 0xffff
	v_and_b32_e32 v46, 0x3ff, v0
	v_mul_lo_u32 v42, v46, s50
	s_waitcnt lgkmcnt(0)
	s_mul_i32 s0, s2, s0
	s_load_dwordx2 s[2:3], s[4:5], 0x0
	s_add_i32 s0, s0, s1
	s_bitcmp1_b32 s53, 0
	s_cselect_b64 s[34:35], -1, 0
	s_and_b64 s[6:7], s[34:35], exec
	s_mov_b32 s1, 0
	s_cselect_b32 s16, s8, 0x7fff
	s_lshl_b64 s[0:1], s[0:1], 1
	s_waitcnt lgkmcnt(0)
	s_add_u32 s33, s2, s0
	s_addc_u32 s48, s3, s1
	v_cmp_gt_u32_e64 s[0:1], s49, v46
	v_mov_b32_e32 v1, s16
	s_and_saveexec_b64 s[2:3], s[0:1]
	s_cbranch_execz .LBB250_9
; %bb.8:
	v_mov_b32_e32 v43, 0
	v_lshlrev_b64 v[2:3], 1, v[42:43]
	v_mov_b32_e32 v1, s48
	v_add_co_u32_e32 v2, vcc, s33, v2
	v_addc_co_u32_e32 v3, vcc, v1, v3, vcc
	global_load_ushort v1, v[2:3], off
.LBB250_9:
	s_or_b64 exec, exec, s[2:3]
	v_add_u32_e32 v36, 0x200, v46
	v_cmp_gt_u32_e64 s[2:3], s49, v36
	v_mov_b32_e32 v2, s16
	s_and_saveexec_b64 s[6:7], s[2:3]
	s_cbranch_execz .LBB250_11
; %bb.10:
	v_mul_lo_u32 v2, v36, s50
	v_mov_b32_e32 v3, 0
	v_lshlrev_b64 v[2:3], 1, v[2:3]
	v_mov_b32_e32 v4, s48
	v_add_co_u32_e32 v2, vcc, s33, v2
	v_addc_co_u32_e32 v3, vcc, v4, v3, vcc
	global_load_ushort v2, v[2:3], off
.LBB250_11:
	s_or_b64 exec, exec, s[6:7]
	v_or_b32_e32 v35, 0x400, v46
	v_cmp_gt_u32_e64 s[44:45], s49, v35
	v_mov_b32_e32 v3, s16
	s_and_saveexec_b64 s[6:7], s[44:45]
	s_cbranch_execz .LBB250_13
; %bb.12:
	v_mul_lo_u32 v4, v35, s50
	v_mov_b32_e32 v5, 0
	v_lshlrev_b64 v[4:5], 1, v[4:5]
	v_mov_b32_e32 v3, s48
	v_add_co_u32_e32 v4, vcc, s33, v4
	v_addc_co_u32_e32 v5, vcc, v3, v5, vcc
	global_load_ushort v3, v[4:5], off
.LBB250_13:
	s_or_b64 exec, exec, s[6:7]
	v_add_u32_e32 v33, 0x600, v46
	v_cmp_gt_u32_e64 s[6:7], s49, v33
	v_mov_b32_e32 v4, s16
	s_and_saveexec_b64 s[8:9], s[6:7]
	s_cbranch_execz .LBB250_15
; %bb.14:
	v_mul_lo_u32 v4, v33, s50
	v_mov_b32_e32 v5, 0
	v_lshlrev_b64 v[4:5], 1, v[4:5]
	v_mov_b32_e32 v6, s48
	v_add_co_u32_e32 v4, vcc, s33, v4
	v_addc_co_u32_e32 v5, vcc, v6, v5, vcc
	global_load_ushort v4, v[4:5], off
.LBB250_15:
	s_or_b64 exec, exec, s[8:9]
	v_or_b32_e32 v30, 0x800, v46
	v_cmp_gt_u32_e64 s[8:9], s49, v30
	v_mov_b32_e32 v5, s16
	s_and_saveexec_b64 s[10:11], s[8:9]
	s_cbranch_execz .LBB250_17
; %bb.16:
	v_mul_lo_u32 v6, v30, s50
	v_mov_b32_e32 v7, 0
	v_lshlrev_b64 v[6:7], 1, v[6:7]
	v_mov_b32_e32 v5, s48
	v_add_co_u32_e32 v6, vcc, s33, v6
	v_addc_co_u32_e32 v7, vcc, v5, v7, vcc
	global_load_ushort v5, v[6:7], off
.LBB250_17:
	s_or_b64 exec, exec, s[10:11]
	v_add_u32_e32 v28, 0xa00, v46
	v_cmp_gt_u32_e64 s[10:11], s49, v28
	v_mov_b32_e32 v6, s16
	s_and_saveexec_b64 s[12:13], s[10:11]
	s_cbranch_execz .LBB250_19
; %bb.18:
	v_mul_lo_u32 v6, v28, s50
	v_mov_b32_e32 v7, 0
	v_lshlrev_b64 v[6:7], 1, v[6:7]
	v_mov_b32_e32 v8, s48
	v_add_co_u32_e32 v6, vcc, s33, v6
	v_addc_co_u32_e32 v7, vcc, v8, v7, vcc
	global_load_ushort v6, v[6:7], off
.LBB250_19:
	s_or_b64 exec, exec, s[12:13]
	s_load_dwordx2 s[18:19], s[4:5], 0xe8
	v_or_b32_e32 v26, 0xc00, v46
	v_cmp_gt_u32_e64 s[12:13], s49, v26
	v_mov_b32_e32 v7, s16
	s_and_saveexec_b64 s[14:15], s[12:13]
	s_cbranch_execz .LBB250_21
; %bb.20:
	v_mul_lo_u32 v8, v26, s50
	v_mov_b32_e32 v9, 0
	v_lshlrev_b64 v[8:9], 1, v[8:9]
	v_mov_b32_e32 v7, s48
	v_add_co_u32_e32 v8, vcc, s33, v8
	v_addc_co_u32_e32 v9, vcc, v7, v9, vcc
	global_load_ushort v7, v[8:9], off
.LBB250_21:
	s_or_b64 exec, exec, s[14:15]
	s_load_dword s21, s[4:5], 0x154
	v_add_u32_e32 v22, 0xe00, v46
	v_cmp_gt_u32_e64 s[14:15], s49, v22
	v_mov_b32_e32 v8, s16
	s_and_saveexec_b64 s[4:5], s[14:15]
	s_cbranch_execz .LBB250_23
; %bb.22:
	v_mul_lo_u32 v8, v22, s50
	v_mov_b32_e32 v9, 0
	v_lshlrev_b64 v[8:9], 1, v[8:9]
	v_mov_b32_e32 v10, s48
	v_add_co_u32_e32 v8, vcc, s33, v8
	v_addc_co_u32_e32 v9, vcc, v10, v9, vcc
	global_load_ushort v8, v[8:9], off
.LBB250_23:
	s_or_b64 exec, exec, s[4:5]
	v_lshrrev_b32_e32 v34, 5, v46
	v_and_b32_e32 v9, 30, v34
	v_add_lshl_u32 v47, v9, v46, 1
	v_lshrrev_b32_e32 v32, 5, v36
	s_waitcnt vmcnt(0)
	ds_write_b16 v47, v1
	v_and_b32_e32 v1, 62, v32
	v_lshrrev_b32_e32 v31, 5, v35
	v_add_lshl_u32 v43, v1, v46, 1
	v_and_b32_e32 v1, 62, v31
	v_lshrrev_b32_e32 v29, 5, v33
	v_add_lshl_u32 v48, v1, v46, 1
	;; [unrolled: 3-line block ×5, first 2 shown]
	v_and_b32_e32 v1, 0x7e, v23
	v_add_lshl_u32 v52, v1, v46, 1
	v_lshrrev_b32_e32 v1, 5, v22
	ds_write_b16 v43, v2 offset:1024
	v_and_b32_e32 v2, 0xfe, v1
	v_lshrrev_b32_e32 v24, 2, v46
	v_add_lshl_u32 v53, v2, v46, 1
	v_lshlrev_b32_e32 v63, 3, v46
	v_and_b32_e32 v2, 0xfe, v24
	s_waitcnt lgkmcnt(0)
	s_mul_i32 s4, s21, s20
	v_add_lshl_u32 v54, v2, v63, 1
	s_add_i32 s16, s4, s17
	s_mov_b32 s17, 0
	ds_write_b16 v48, v3 offset:2048
	ds_write_b16 v49, v4 offset:3072
	;; [unrolled: 1-line block ×6, first 2 shown]
	s_waitcnt lgkmcnt(0)
	s_barrier
	ds_read_b128 v[18:21], v54
	s_lshl_b64 s[4:5], s[16:17], 3
	s_add_u32 s49, s18, s4
	s_mov_b32 s16, s17
	s_addc_u32 s51, s19, s5
	s_mov_b32 s18, s17
	s_mov_b32 s19, s17
	;; [unrolled: 1-line block ×14, first 2 shown]
	v_pk_mov_b32 v[2:3], s[16:17], s[16:17] op_sel:[0,1]
	v_pk_mov_b32 v[4:5], s[18:19], s[18:19] op_sel:[0,1]
	;; [unrolled: 1-line block ×8, first 2 shown]
	v_pk_mov_b32 v[2:3], 0, 0
	v_mul_lo_u32 v44, v46, s52
	s_waitcnt lgkmcnt(0)
	s_barrier
	s_and_saveexec_b64 s[4:5], s[0:1]
	s_cbranch_execnz .LBB250_78
; %bb.24:
	s_or_b64 exec, exec, s[4:5]
	s_and_saveexec_b64 s[4:5], s[2:3]
	s_cbranch_execnz .LBB250_79
.LBB250_25:
	s_or_b64 exec, exec, s[4:5]
	s_and_saveexec_b64 s[4:5], s[44:45]
	s_cbranch_execnz .LBB250_80
.LBB250_26:
	s_or_b64 exec, exec, s[4:5]
	s_and_saveexec_b64 s[4:5], s[6:7]
	s_cbranch_execnz .LBB250_81
.LBB250_27:
	s_or_b64 exec, exec, s[4:5]
	s_and_saveexec_b64 s[4:5], s[8:9]
	s_cbranch_execnz .LBB250_82
.LBB250_28:
	s_or_b64 exec, exec, s[4:5]
	s_and_saveexec_b64 s[4:5], s[10:11]
	s_cbranch_execnz .LBB250_83
.LBB250_29:
	s_or_b64 exec, exec, s[4:5]
	s_and_saveexec_b64 s[4:5], s[12:13]
	s_cbranch_execnz .LBB250_84
.LBB250_30:
	s_or_b64 exec, exec, s[4:5]
	s_xor_b64 s[4:5], s[34:35], -1
	s_and_saveexec_b64 s[16:17], s[14:15]
	s_cbranch_execz .LBB250_32
.LBB250_31:
	v_mul_lo_u32 v16, v22, s52
	v_mov_b32_e32 v17, 0
	v_lshlrev_b64 v[16:17], 3, v[16:17]
	v_mov_b32_e32 v22, s51
	v_add_co_u32_e32 v16, vcc, s49, v16
	v_addc_co_u32_e32 v17, vcc, v22, v17, vcc
	global_load_dwordx2 v[16:17], v[16:17], off
.LBB250_32:
	s_or_b64 exec, exec, s[16:17]
	v_add_lshl_u32 v55, v34, v46, 3
	v_add_lshl_u32 v45, v32, v46, 3
	;; [unrolled: 1-line block ×9, first 2 shown]
	s_waitcnt vmcnt(0)
	ds_write_b64 v55, v[2:3]
	ds_write_b64 v45, v[4:5] offset:4096
	ds_write_b64 v56, v[6:7] offset:8192
	;; [unrolled: 1-line block ×7, first 2 shown]
	s_waitcnt lgkmcnt(0)
	s_barrier
	ds_read2_b64 v[14:17], v62 offset1:1
	ds_read2_b64 v[10:13], v62 offset0:2 offset1:3
	ds_read2_b64 v[6:9], v62 offset0:4 offset1:5
	;; [unrolled: 1-line block ×3, first 2 shown]
	s_and_b64 vcc, exec, s[4:5]
	v_bfe_u32 v65, v0, 10, 10
	v_bfe_u32 v66, v0, 20, 10
	v_mbcnt_lo_u32_b32 v67, -1, 0
	v_lshlrev_b32_e32 v64, 4, v46
	s_waitcnt lgkmcnt(0)
	s_barrier
	s_cbranch_vccz .LBB250_85
; %bb.33:
	s_movk_i32 s4, 0x8000
	v_pk_ashrrev_i16 v24, 15, v18 op_sel_hi:[0,1]
	v_or_b32_e32 v25, 0xffff8000, v24
	v_or_b32_sdwa v24, v24, s4 dst_sel:DWORD dst_unused:UNUSED_PAD src0_sel:WORD_1 src1_sel:DWORD
	v_pk_ashrrev_i16 v22, 15, v19 op_sel_hi:[0,1]
	v_xor_b32_sdwa v26, v24, v18 dst_sel:DWORD dst_unused:UNUSED_PAD src0_sel:DWORD src1_sel:WORD_1
	v_pk_ashrrev_i16 v24, 15, v21 op_sel_hi:[0,1]
	v_pk_ashrrev_i16 v28, 15, v20 op_sel_hi:[0,1]
	v_mbcnt_hi_u32_b32 v76, -1, v67
	v_and_b32_e32 v40, 0x3c0, v46
	v_or_b32_e32 v23, 0xffff8000, v22
	v_or_b32_sdwa v22, v22, s4 dst_sel:DWORD dst_unused:UNUSED_PAD src0_sel:WORD_1 src1_sel:DWORD
	v_xor_b32_e32 v27, v25, v18
	v_or_b32_e32 v25, 0xffff8000, v24
	v_or_b32_e32 v29, 0xffff8000, v28
	v_or_b32_sdwa v24, v24, s4 dst_sel:DWORD dst_unused:UNUSED_PAD src0_sel:WORD_1 src1_sel:DWORD
	v_or_b32_sdwa v28, v28, s4 dst_sel:DWORD dst_unused:UNUSED_PAD src0_sel:WORD_1 src1_sel:DWORD
	v_add_u32_e32 v0, v76, v40
	v_xor_b32_sdwa v22, v22, v19 dst_sel:DWORD dst_unused:UNUSED_PAD src0_sel:DWORD src1_sel:WORD_1
	v_xor_b32_e32 v23, v23, v19
	v_xor_b32_sdwa v28, v28, v20 dst_sel:DWORD dst_unused:UNUSED_PAD src0_sel:DWORD src1_sel:WORD_1
	v_xor_b32_sdwa v24, v24, v21 dst_sel:DWORD dst_unused:UNUSED_PAD src0_sel:DWORD src1_sel:WORD_1
	v_xor_b32_e32 v29, v29, v20
	v_xor_b32_e32 v25, v25, v21
	s_mov_b32 s4, 0x5040100
	v_lshlrev_b32_e32 v1, 4, v0
	v_perm_b32 v25, v24, v25, s4
	v_perm_b32 v24, v28, v29, s4
	;; [unrolled: 1-line block ×4, first 2 shown]
	v_and_b32_e32 v82, 0x1e00, v63
	ds_write_b128 v1, v[22:25]
	v_or_b32_e32 v1, v76, v82
	v_lshlrev_b32_e32 v22, 1, v1
	v_lshlrev_b32_e32 v0, 6, v0
	; wave barrier
	ds_read_u16 v79, v22
	ds_read_u16 v78, v22 offset:128
	ds_read_u16 v77, v22 offset:256
	;; [unrolled: 1-line block ×7, first 2 shown]
	s_waitcnt lgkmcnt(0)
	s_barrier
	ds_write2_b64 v0, v[14:15], v[16:17] offset1:1
	ds_write2_b64 v0, v[10:11], v[12:13] offset0:2 offset1:3
	ds_write2_b64 v0, v[6:7], v[8:9] offset0:4 offset1:5
	;; [unrolled: 1-line block ×3, first 2 shown]
	v_lshlrev_b32_e32 v0, 3, v1
	; wave barrier
	ds_read2st64_b64 v[34:37], v0 offset1:1
	ds_read2st64_b64 v[30:33], v0 offset0:2 offset1:3
	ds_read2st64_b64 v[26:29], v0 offset0:4 offset1:5
	;; [unrolled: 1-line block ×3, first 2 shown]
	s_waitcnt lgkmcnt(0)
	s_barrier
	s_load_dword s16, s[54:55], 0xc
	s_getpc_b64 s[4:5]
	s_add_u32 s4, s4, _ZN7rocprim17ROCPRIM_400000_NS16block_radix_sortI12hip_bfloat16Lj512ELj8ElLj1ELj1ELj0ELNS0_26block_radix_rank_algorithmE1ELNS0_18block_padding_hintE2ELNS0_4arch9wavefront6targetE1EE19radix_bits_per_passE@rel32@lo+4
	s_addc_u32 s5, s5, _ZN7rocprim17ROCPRIM_400000_NS16block_radix_sortI12hip_bfloat16Lj512ELj8ElLj1ELj1ELj0ELNS0_26block_radix_rank_algorithmE1ELNS0_18block_padding_hintE2ELNS0_4arch9wavefront6targetE1EE19radix_bits_per_passE@rel32@hi+12
	s_load_dword s46, s[4:5], 0x0
	s_movk_i32 s17, 0x7fff
	v_mov_b32_e32 v41, 0xffff8000
	s_waitcnt lgkmcnt(0)
	s_lshr_b32 s4, s16, 16
	s_and_b32 s5, s16, 0xffff
	v_mad_u32_u24 v1, v66, s4, v65
	v_mad_u64_u32 v[38:39], s[4:5], v1, s5, v[46:47]
	s_min_u32 s4, s46, 16
	s_lshl_b32 s4, -1, s4
	v_cmp_ne_u16_e32 vcc, s17, v79
	s_not_b32 s16, s4
	v_cndmask_b32_e32 v1, v41, v79, vcc
	v_lshrrev_b32_e32 v68, 6, v38
	v_and_b32_sdwa v38, s16, v1 dst_sel:DWORD dst_unused:UNUSED_PAD src0_sel:DWORD src1_sel:WORD_0
	v_lshlrev_b32_e32 v1, 3, v38
	v_add_lshl_u32 v83, v68, v1, 2
	v_and_b32_e32 v1, 1, v38
	v_add_co_u32_e32 v39, vcc, -1, v1
	v_addc_co_u32_e64 v69, s[4:5], 0, -1, vcc
	v_cmp_ne_u32_e32 vcc, 0, v1
	v_xor_b32_e32 v1, vcc_hi, v69
	v_mov_b32_e32 v0, 0
	v_and_b32_e32 v69, exec_hi, v1
	v_lshlrev_b32_e32 v1, 30, v38
	v_xor_b32_e32 v39, vcc_lo, v39
	v_cmp_gt_i64_e32 vcc, 0, v[0:1]
	v_not_b32_e32 v1, v1
	v_ashrrev_i32_e32 v1, 31, v1
	v_and_b32_e32 v39, exec_lo, v39
	v_xor_b32_e32 v70, vcc_hi, v1
	v_xor_b32_e32 v1, vcc_lo, v1
	v_and_b32_e32 v39, v39, v1
	v_lshlrev_b32_e32 v1, 29, v38
	v_cmp_gt_i64_e32 vcc, 0, v[0:1]
	v_not_b32_e32 v1, v1
	v_ashrrev_i32_e32 v1, 31, v1
	v_and_b32_e32 v69, v69, v70
	v_xor_b32_e32 v70, vcc_hi, v1
	v_xor_b32_e32 v1, vcc_lo, v1
	v_and_b32_e32 v39, v39, v1
	v_lshlrev_b32_e32 v1, 28, v38
	v_cmp_gt_i64_e32 vcc, 0, v[0:1]
	v_not_b32_e32 v1, v1
	v_ashrrev_i32_e32 v1, 31, v1
	v_and_b32_e32 v69, v69, v70
	;; [unrolled: 8-line block ×5, first 2 shown]
	v_xor_b32_e32 v70, vcc_hi, v1
	v_xor_b32_e32 v1, vcc_lo, v1
	v_and_b32_e32 v69, v69, v70
	v_and_b32_e32 v70, v39, v1
	v_lshlrev_b32_e32 v1, 24, v38
	v_cmp_gt_i64_e32 vcc, 0, v[0:1]
	v_not_b32_e32 v1, v1
	v_ashrrev_i32_e32 v1, 31, v1
	v_xor_b32_e32 v38, vcc_hi, v1
	v_xor_b32_e32 v1, vcc_lo, v1
	v_and_b32_e32 v39, v69, v38
	v_and_b32_e32 v38, v70, v1
	v_mbcnt_lo_u32_b32 v1, v38, 0
	v_mbcnt_hi_u32_b32 v84, v39, v1
	v_cmp_eq_u32_e32 vcc, 0, v84
	v_cmp_ne_u64_e64 s[4:5], 0, v[38:39]
	s_and_b64 s[18:19], s[4:5], vcc
	ds_write2_b32 v64, v0, v0 offset0:8 offset1:9
	ds_write2_b32 v64, v0, v0 offset0:10 offset1:11
	s_waitcnt lgkmcnt(0)
	s_barrier
	s_waitcnt lgkmcnt(0)
	; wave barrier
	s_and_saveexec_b64 s[4:5], s[18:19]
	s_cbranch_execz .LBB250_35
; %bb.34:
	v_bcnt_u32_b32 v1, v38, 0
	v_bcnt_u32_b32 v1, v39, v1
	ds_write_b32 v83, v1 offset:32
.LBB250_35:
	s_or_b64 exec, exec, s[4:5]
	v_cmp_ne_u16_e32 vcc, s17, v78
	v_cndmask_b32_e32 v1, v41, v78, vcc
	v_and_b32_sdwa v38, s16, v1 dst_sel:DWORD dst_unused:UNUSED_PAD src0_sel:DWORD src1_sel:WORD_0
	v_lshlrev_b32_e32 v1, 3, v38
	v_add_lshl_u32 v86, v68, v1, 2
	v_and_b32_e32 v1, 1, v38
	v_add_co_u32_e32 v39, vcc, -1, v1
	v_addc_co_u32_e64 v41, s[4:5], 0, -1, vcc
	v_cmp_ne_u32_e32 vcc, 0, v1
	v_xor_b32_e32 v1, vcc_hi, v41
	v_and_b32_e32 v41, exec_hi, v1
	v_lshlrev_b32_e32 v1, 30, v38
	v_xor_b32_e32 v39, vcc_lo, v39
	v_cmp_gt_i64_e32 vcc, 0, v[0:1]
	v_not_b32_e32 v1, v1
	v_ashrrev_i32_e32 v1, 31, v1
	v_and_b32_e32 v39, exec_lo, v39
	v_xor_b32_e32 v69, vcc_hi, v1
	v_xor_b32_e32 v1, vcc_lo, v1
	v_and_b32_e32 v39, v39, v1
	v_lshlrev_b32_e32 v1, 29, v38
	v_cmp_gt_i64_e32 vcc, 0, v[0:1]
	v_not_b32_e32 v1, v1
	v_ashrrev_i32_e32 v1, 31, v1
	v_and_b32_e32 v41, v41, v69
	v_xor_b32_e32 v69, vcc_hi, v1
	v_xor_b32_e32 v1, vcc_lo, v1
	v_and_b32_e32 v39, v39, v1
	v_lshlrev_b32_e32 v1, 28, v38
	v_cmp_gt_i64_e32 vcc, 0, v[0:1]
	v_not_b32_e32 v1, v1
	v_ashrrev_i32_e32 v1, 31, v1
	v_and_b32_e32 v41, v41, v69
	;; [unrolled: 8-line block ×5, first 2 shown]
	v_xor_b32_e32 v69, vcc_hi, v1
	v_xor_b32_e32 v1, vcc_lo, v1
	v_and_b32_e32 v39, v39, v1
	v_lshlrev_b32_e32 v1, 24, v38
	v_cmp_gt_i64_e32 vcc, 0, v[0:1]
	v_not_b32_e32 v0, v1
	v_ashrrev_i32_e32 v0, 31, v0
	v_xor_b32_e32 v1, vcc_hi, v0
	v_xor_b32_e32 v0, vcc_lo, v0
	; wave barrier
	ds_read_b32 v85, v86 offset:32
	v_and_b32_e32 v41, v41, v69
	v_and_b32_e32 v0, v39, v0
	;; [unrolled: 1-line block ×3, first 2 shown]
	v_mbcnt_lo_u32_b32 v38, v0, 0
	v_mbcnt_hi_u32_b32 v87, v1, v38
	v_cmp_eq_u32_e32 vcc, 0, v87
	v_cmp_ne_u64_e64 s[4:5], 0, v[0:1]
	s_and_b64 s[18:19], s[4:5], vcc
	; wave barrier
	s_and_saveexec_b64 s[4:5], s[18:19]
	s_cbranch_execz .LBB250_37
; %bb.36:
	v_bcnt_u32_b32 v0, v0, 0
	v_bcnt_u32_b32 v0, v1, v0
	s_waitcnt lgkmcnt(0)
	v_add_u32_e32 v0, v85, v0
	ds_write_b32 v86, v0 offset:32
.LBB250_37:
	s_or_b64 exec, exec, s[4:5]
	v_mov_b32_e32 v41, 0xffff8000
	v_cmp_ne_u16_e32 vcc, s17, v77
	v_cndmask_b32_e32 v0, v41, v77, vcc
	v_and_b32_sdwa v38, s16, v0 dst_sel:DWORD dst_unused:UNUSED_PAD src0_sel:DWORD src1_sel:WORD_0
	v_and_b32_e32 v1, 1, v38
	v_add_co_u32_e32 v39, vcc, -1, v1
	v_addc_co_u32_e64 v69, s[4:5], 0, -1, vcc
	v_cmp_ne_u32_e32 vcc, 0, v1
	v_lshlrev_b32_e32 v0, 3, v38
	v_xor_b32_e32 v1, vcc_hi, v69
	v_add_lshl_u32 v89, v68, v0, 2
	v_mov_b32_e32 v0, 0
	v_and_b32_e32 v69, exec_hi, v1
	v_lshlrev_b32_e32 v1, 30, v38
	v_xor_b32_e32 v39, vcc_lo, v39
	v_cmp_gt_i64_e32 vcc, 0, v[0:1]
	v_not_b32_e32 v1, v1
	v_ashrrev_i32_e32 v1, 31, v1
	v_and_b32_e32 v39, exec_lo, v39
	v_xor_b32_e32 v70, vcc_hi, v1
	v_xor_b32_e32 v1, vcc_lo, v1
	v_and_b32_e32 v39, v39, v1
	v_lshlrev_b32_e32 v1, 29, v38
	v_cmp_gt_i64_e32 vcc, 0, v[0:1]
	v_not_b32_e32 v1, v1
	v_ashrrev_i32_e32 v1, 31, v1
	v_and_b32_e32 v69, v69, v70
	v_xor_b32_e32 v70, vcc_hi, v1
	v_xor_b32_e32 v1, vcc_lo, v1
	v_and_b32_e32 v39, v39, v1
	v_lshlrev_b32_e32 v1, 28, v38
	v_cmp_gt_i64_e32 vcc, 0, v[0:1]
	v_not_b32_e32 v1, v1
	v_ashrrev_i32_e32 v1, 31, v1
	v_and_b32_e32 v69, v69, v70
	;; [unrolled: 8-line block ×5, first 2 shown]
	v_xor_b32_e32 v70, vcc_hi, v1
	v_xor_b32_e32 v1, vcc_lo, v1
	v_and_b32_e32 v69, v69, v70
	v_and_b32_e32 v70, v39, v1
	v_lshlrev_b32_e32 v1, 24, v38
	v_cmp_gt_i64_e32 vcc, 0, v[0:1]
	v_not_b32_e32 v1, v1
	v_ashrrev_i32_e32 v1, 31, v1
	v_xor_b32_e32 v38, vcc_hi, v1
	v_xor_b32_e32 v1, vcc_lo, v1
	; wave barrier
	ds_read_b32 v88, v89 offset:32
	v_and_b32_e32 v39, v69, v38
	v_and_b32_e32 v38, v70, v1
	v_mbcnt_lo_u32_b32 v1, v38, 0
	v_mbcnt_hi_u32_b32 v90, v39, v1
	v_cmp_eq_u32_e32 vcc, 0, v90
	v_cmp_ne_u64_e64 s[4:5], 0, v[38:39]
	s_and_b64 s[18:19], s[4:5], vcc
	; wave barrier
	s_and_saveexec_b64 s[4:5], s[18:19]
	s_cbranch_execz .LBB250_39
; %bb.38:
	v_bcnt_u32_b32 v1, v38, 0
	v_bcnt_u32_b32 v1, v39, v1
	s_waitcnt lgkmcnt(0)
	v_add_u32_e32 v1, v88, v1
	ds_write_b32 v89, v1 offset:32
.LBB250_39:
	s_or_b64 exec, exec, s[4:5]
	v_cmp_ne_u16_e32 vcc, s17, v75
	v_cndmask_b32_e32 v1, v41, v75, vcc
	v_and_b32_sdwa v38, s16, v1 dst_sel:DWORD dst_unused:UNUSED_PAD src0_sel:DWORD src1_sel:WORD_0
	v_lshlrev_b32_e32 v1, 3, v38
	v_add_lshl_u32 v92, v68, v1, 2
	v_and_b32_e32 v1, 1, v38
	v_add_co_u32_e32 v39, vcc, -1, v1
	v_addc_co_u32_e64 v41, s[4:5], 0, -1, vcc
	v_cmp_ne_u32_e32 vcc, 0, v1
	v_xor_b32_e32 v1, vcc_hi, v41
	v_and_b32_e32 v41, exec_hi, v1
	v_lshlrev_b32_e32 v1, 30, v38
	v_xor_b32_e32 v39, vcc_lo, v39
	v_cmp_gt_i64_e32 vcc, 0, v[0:1]
	v_not_b32_e32 v1, v1
	v_ashrrev_i32_e32 v1, 31, v1
	v_and_b32_e32 v39, exec_lo, v39
	v_xor_b32_e32 v69, vcc_hi, v1
	v_xor_b32_e32 v1, vcc_lo, v1
	v_and_b32_e32 v39, v39, v1
	v_lshlrev_b32_e32 v1, 29, v38
	v_cmp_gt_i64_e32 vcc, 0, v[0:1]
	v_not_b32_e32 v1, v1
	v_ashrrev_i32_e32 v1, 31, v1
	v_and_b32_e32 v41, v41, v69
	v_xor_b32_e32 v69, vcc_hi, v1
	v_xor_b32_e32 v1, vcc_lo, v1
	v_and_b32_e32 v39, v39, v1
	v_lshlrev_b32_e32 v1, 28, v38
	v_cmp_gt_i64_e32 vcc, 0, v[0:1]
	v_not_b32_e32 v1, v1
	v_ashrrev_i32_e32 v1, 31, v1
	v_and_b32_e32 v41, v41, v69
	;; [unrolled: 8-line block ×5, first 2 shown]
	v_xor_b32_e32 v69, vcc_hi, v1
	v_xor_b32_e32 v1, vcc_lo, v1
	v_and_b32_e32 v39, v39, v1
	v_lshlrev_b32_e32 v1, 24, v38
	v_cmp_gt_i64_e32 vcc, 0, v[0:1]
	v_not_b32_e32 v0, v1
	v_ashrrev_i32_e32 v0, 31, v0
	v_xor_b32_e32 v1, vcc_hi, v0
	v_xor_b32_e32 v0, vcc_lo, v0
	; wave barrier
	ds_read_b32 v91, v92 offset:32
	v_and_b32_e32 v41, v41, v69
	v_and_b32_e32 v0, v39, v0
	;; [unrolled: 1-line block ×3, first 2 shown]
	v_mbcnt_lo_u32_b32 v38, v0, 0
	v_mbcnt_hi_u32_b32 v93, v1, v38
	v_cmp_eq_u32_e32 vcc, 0, v93
	v_cmp_ne_u64_e64 s[4:5], 0, v[0:1]
	s_and_b64 s[18:19], s[4:5], vcc
	; wave barrier
	s_and_saveexec_b64 s[4:5], s[18:19]
	s_cbranch_execz .LBB250_41
; %bb.40:
	v_bcnt_u32_b32 v0, v0, 0
	v_bcnt_u32_b32 v0, v1, v0
	s_waitcnt lgkmcnt(0)
	v_add_u32_e32 v0, v91, v0
	ds_write_b32 v92, v0 offset:32
.LBB250_41:
	s_or_b64 exec, exec, s[4:5]
	v_mov_b32_e32 v41, 0xffff8000
	v_cmp_ne_u16_e32 vcc, s17, v74
	v_cndmask_b32_e32 v0, v41, v74, vcc
	v_and_b32_sdwa v38, s16, v0 dst_sel:DWORD dst_unused:UNUSED_PAD src0_sel:DWORD src1_sel:WORD_0
	v_and_b32_e32 v1, 1, v38
	v_add_co_u32_e32 v39, vcc, -1, v1
	v_addc_co_u32_e64 v69, s[4:5], 0, -1, vcc
	v_cmp_ne_u32_e32 vcc, 0, v1
	v_lshlrev_b32_e32 v0, 3, v38
	v_xor_b32_e32 v1, vcc_hi, v69
	v_add_lshl_u32 v95, v68, v0, 2
	v_mov_b32_e32 v0, 0
	v_and_b32_e32 v69, exec_hi, v1
	v_lshlrev_b32_e32 v1, 30, v38
	v_xor_b32_e32 v39, vcc_lo, v39
	v_cmp_gt_i64_e32 vcc, 0, v[0:1]
	v_not_b32_e32 v1, v1
	v_ashrrev_i32_e32 v1, 31, v1
	v_and_b32_e32 v39, exec_lo, v39
	v_xor_b32_e32 v70, vcc_hi, v1
	v_xor_b32_e32 v1, vcc_lo, v1
	v_and_b32_e32 v39, v39, v1
	v_lshlrev_b32_e32 v1, 29, v38
	v_cmp_gt_i64_e32 vcc, 0, v[0:1]
	v_not_b32_e32 v1, v1
	v_ashrrev_i32_e32 v1, 31, v1
	v_and_b32_e32 v69, v69, v70
	v_xor_b32_e32 v70, vcc_hi, v1
	v_xor_b32_e32 v1, vcc_lo, v1
	v_and_b32_e32 v39, v39, v1
	v_lshlrev_b32_e32 v1, 28, v38
	v_cmp_gt_i64_e32 vcc, 0, v[0:1]
	v_not_b32_e32 v1, v1
	v_ashrrev_i32_e32 v1, 31, v1
	v_and_b32_e32 v69, v69, v70
	;; [unrolled: 8-line block ×5, first 2 shown]
	v_xor_b32_e32 v70, vcc_hi, v1
	v_xor_b32_e32 v1, vcc_lo, v1
	v_and_b32_e32 v69, v69, v70
	v_and_b32_e32 v70, v39, v1
	v_lshlrev_b32_e32 v1, 24, v38
	v_cmp_gt_i64_e32 vcc, 0, v[0:1]
	v_not_b32_e32 v1, v1
	v_ashrrev_i32_e32 v1, 31, v1
	v_xor_b32_e32 v38, vcc_hi, v1
	v_xor_b32_e32 v1, vcc_lo, v1
	; wave barrier
	ds_read_b32 v94, v95 offset:32
	v_and_b32_e32 v39, v69, v38
	v_and_b32_e32 v38, v70, v1
	v_mbcnt_lo_u32_b32 v1, v38, 0
	v_mbcnt_hi_u32_b32 v96, v39, v1
	v_cmp_eq_u32_e32 vcc, 0, v96
	v_cmp_ne_u64_e64 s[4:5], 0, v[38:39]
	s_and_b64 s[18:19], s[4:5], vcc
	; wave barrier
	s_and_saveexec_b64 s[4:5], s[18:19]
	s_cbranch_execz .LBB250_43
; %bb.42:
	v_bcnt_u32_b32 v1, v38, 0
	v_bcnt_u32_b32 v1, v39, v1
	s_waitcnt lgkmcnt(0)
	v_add_u32_e32 v1, v94, v1
	ds_write_b32 v95, v1 offset:32
.LBB250_43:
	s_or_b64 exec, exec, s[4:5]
	v_cmp_ne_u16_e32 vcc, s17, v73
	v_cndmask_b32_e32 v1, v41, v73, vcc
	v_and_b32_sdwa v38, s16, v1 dst_sel:DWORD dst_unused:UNUSED_PAD src0_sel:DWORD src1_sel:WORD_0
	v_lshlrev_b32_e32 v1, 3, v38
	v_add_lshl_u32 v98, v68, v1, 2
	v_and_b32_e32 v1, 1, v38
	v_add_co_u32_e32 v39, vcc, -1, v1
	v_addc_co_u32_e64 v41, s[4:5], 0, -1, vcc
	v_cmp_ne_u32_e32 vcc, 0, v1
	v_xor_b32_e32 v1, vcc_hi, v41
	v_and_b32_e32 v41, exec_hi, v1
	v_lshlrev_b32_e32 v1, 30, v38
	v_xor_b32_e32 v39, vcc_lo, v39
	v_cmp_gt_i64_e32 vcc, 0, v[0:1]
	v_not_b32_e32 v1, v1
	v_ashrrev_i32_e32 v1, 31, v1
	v_and_b32_e32 v39, exec_lo, v39
	v_xor_b32_e32 v69, vcc_hi, v1
	v_xor_b32_e32 v1, vcc_lo, v1
	v_and_b32_e32 v39, v39, v1
	v_lshlrev_b32_e32 v1, 29, v38
	v_cmp_gt_i64_e32 vcc, 0, v[0:1]
	v_not_b32_e32 v1, v1
	v_ashrrev_i32_e32 v1, 31, v1
	v_and_b32_e32 v41, v41, v69
	v_xor_b32_e32 v69, vcc_hi, v1
	v_xor_b32_e32 v1, vcc_lo, v1
	v_and_b32_e32 v39, v39, v1
	v_lshlrev_b32_e32 v1, 28, v38
	v_cmp_gt_i64_e32 vcc, 0, v[0:1]
	v_not_b32_e32 v1, v1
	v_ashrrev_i32_e32 v1, 31, v1
	v_and_b32_e32 v41, v41, v69
	;; [unrolled: 8-line block ×5, first 2 shown]
	v_xor_b32_e32 v69, vcc_hi, v1
	v_xor_b32_e32 v1, vcc_lo, v1
	v_and_b32_e32 v39, v39, v1
	v_lshlrev_b32_e32 v1, 24, v38
	v_cmp_gt_i64_e32 vcc, 0, v[0:1]
	v_not_b32_e32 v0, v1
	v_ashrrev_i32_e32 v0, 31, v0
	v_xor_b32_e32 v1, vcc_hi, v0
	v_xor_b32_e32 v0, vcc_lo, v0
	; wave barrier
	ds_read_b32 v97, v98 offset:32
	v_and_b32_e32 v41, v41, v69
	v_and_b32_e32 v0, v39, v0
	;; [unrolled: 1-line block ×3, first 2 shown]
	v_mbcnt_lo_u32_b32 v38, v0, 0
	v_mbcnt_hi_u32_b32 v99, v1, v38
	v_cmp_eq_u32_e32 vcc, 0, v99
	v_cmp_ne_u64_e64 s[4:5], 0, v[0:1]
	s_and_b64 s[18:19], s[4:5], vcc
	; wave barrier
	s_and_saveexec_b64 s[4:5], s[18:19]
	s_cbranch_execz .LBB250_45
; %bb.44:
	v_bcnt_u32_b32 v0, v0, 0
	v_bcnt_u32_b32 v0, v1, v0
	s_waitcnt lgkmcnt(0)
	v_add_u32_e32 v0, v97, v0
	ds_write_b32 v98, v0 offset:32
.LBB250_45:
	s_or_b64 exec, exec, s[4:5]
	v_mov_b32_e32 v41, 0xffff8000
	v_cmp_ne_u16_e32 vcc, s17, v72
	v_cndmask_b32_e32 v0, v41, v72, vcc
	v_and_b32_sdwa v38, s16, v0 dst_sel:DWORD dst_unused:UNUSED_PAD src0_sel:DWORD src1_sel:WORD_0
	v_and_b32_e32 v1, 1, v38
	v_add_co_u32_e32 v39, vcc, -1, v1
	v_addc_co_u32_e64 v69, s[4:5], 0, -1, vcc
	v_cmp_ne_u32_e32 vcc, 0, v1
	v_lshlrev_b32_e32 v0, 3, v38
	v_xor_b32_e32 v1, vcc_hi, v69
	v_add_lshl_u32 v101, v68, v0, 2
	v_mov_b32_e32 v0, 0
	v_and_b32_e32 v69, exec_hi, v1
	v_lshlrev_b32_e32 v1, 30, v38
	v_xor_b32_e32 v39, vcc_lo, v39
	v_cmp_gt_i64_e32 vcc, 0, v[0:1]
	v_not_b32_e32 v1, v1
	v_ashrrev_i32_e32 v1, 31, v1
	v_and_b32_e32 v39, exec_lo, v39
	v_xor_b32_e32 v70, vcc_hi, v1
	v_xor_b32_e32 v1, vcc_lo, v1
	v_and_b32_e32 v39, v39, v1
	v_lshlrev_b32_e32 v1, 29, v38
	v_cmp_gt_i64_e32 vcc, 0, v[0:1]
	v_not_b32_e32 v1, v1
	v_ashrrev_i32_e32 v1, 31, v1
	v_and_b32_e32 v69, v69, v70
	v_xor_b32_e32 v70, vcc_hi, v1
	v_xor_b32_e32 v1, vcc_lo, v1
	v_and_b32_e32 v39, v39, v1
	v_lshlrev_b32_e32 v1, 28, v38
	v_cmp_gt_i64_e32 vcc, 0, v[0:1]
	v_not_b32_e32 v1, v1
	v_ashrrev_i32_e32 v1, 31, v1
	v_and_b32_e32 v69, v69, v70
	;; [unrolled: 8-line block ×5, first 2 shown]
	v_xor_b32_e32 v70, vcc_hi, v1
	v_xor_b32_e32 v1, vcc_lo, v1
	v_and_b32_e32 v69, v69, v70
	v_and_b32_e32 v70, v39, v1
	v_lshlrev_b32_e32 v1, 24, v38
	v_cmp_gt_i64_e32 vcc, 0, v[0:1]
	v_not_b32_e32 v1, v1
	v_ashrrev_i32_e32 v1, 31, v1
	v_xor_b32_e32 v38, vcc_hi, v1
	v_xor_b32_e32 v1, vcc_lo, v1
	; wave barrier
	ds_read_b32 v100, v101 offset:32
	v_and_b32_e32 v39, v69, v38
	v_and_b32_e32 v38, v70, v1
	v_mbcnt_lo_u32_b32 v1, v38, 0
	v_mbcnt_hi_u32_b32 v102, v39, v1
	v_cmp_eq_u32_e32 vcc, 0, v102
	v_cmp_ne_u64_e64 s[4:5], 0, v[38:39]
	s_and_b64 s[18:19], s[4:5], vcc
	; wave barrier
	s_and_saveexec_b64 s[4:5], s[18:19]
	s_cbranch_execz .LBB250_47
; %bb.46:
	v_bcnt_u32_b32 v1, v38, 0
	v_bcnt_u32_b32 v1, v39, v1
	s_waitcnt lgkmcnt(0)
	v_add_u32_e32 v1, v100, v1
	ds_write_b32 v101, v1 offset:32
.LBB250_47:
	s_or_b64 exec, exec, s[4:5]
	v_cmp_ne_u16_e32 vcc, s17, v71
	v_cndmask_b32_e32 v1, v41, v71, vcc
	v_and_b32_sdwa v38, s16, v1 dst_sel:DWORD dst_unused:UNUSED_PAD src0_sel:DWORD src1_sel:WORD_0
	v_lshlrev_b32_e32 v1, 3, v38
	v_add_lshl_u32 v104, v68, v1, 2
	v_and_b32_e32 v1, 1, v38
	v_add_co_u32_e32 v39, vcc, -1, v1
	v_min_u32_e32 v80, 0x1c0, v40
	v_addc_co_u32_e64 v40, s[4:5], 0, -1, vcc
	v_cmp_ne_u32_e32 vcc, 0, v1
	v_xor_b32_e32 v1, vcc_hi, v40
	v_and_b32_e32 v40, exec_hi, v1
	v_lshlrev_b32_e32 v1, 30, v38
	v_xor_b32_e32 v39, vcc_lo, v39
	v_cmp_gt_i64_e32 vcc, 0, v[0:1]
	v_not_b32_e32 v1, v1
	v_ashrrev_i32_e32 v1, 31, v1
	v_and_b32_e32 v39, exec_lo, v39
	v_xor_b32_e32 v41, vcc_hi, v1
	v_xor_b32_e32 v1, vcc_lo, v1
	v_and_b32_e32 v39, v39, v1
	v_lshlrev_b32_e32 v1, 29, v38
	v_cmp_gt_i64_e32 vcc, 0, v[0:1]
	v_not_b32_e32 v1, v1
	v_ashrrev_i32_e32 v1, 31, v1
	v_and_b32_e32 v40, v40, v41
	v_xor_b32_e32 v41, vcc_hi, v1
	v_xor_b32_e32 v1, vcc_lo, v1
	v_and_b32_e32 v39, v39, v1
	v_lshlrev_b32_e32 v1, 28, v38
	v_cmp_gt_i64_e32 vcc, 0, v[0:1]
	v_not_b32_e32 v1, v1
	v_ashrrev_i32_e32 v1, 31, v1
	v_and_b32_e32 v40, v40, v41
	;; [unrolled: 8-line block ×5, first 2 shown]
	v_xor_b32_e32 v41, vcc_hi, v1
	v_xor_b32_e32 v1, vcc_lo, v1
	v_and_b32_e32 v39, v39, v1
	v_lshlrev_b32_e32 v1, 24, v38
	v_cmp_gt_i64_e32 vcc, 0, v[0:1]
	v_not_b32_e32 v0, v1
	v_ashrrev_i32_e32 v0, 31, v0
	v_xor_b32_e32 v1, vcc_hi, v0
	v_xor_b32_e32 v0, vcc_lo, v0
	; wave barrier
	ds_read_b32 v103, v104 offset:32
	v_and_b32_e32 v40, v40, v41
	v_and_b32_e32 v0, v39, v0
	;; [unrolled: 1-line block ×3, first 2 shown]
	v_mbcnt_lo_u32_b32 v38, v0, 0
	v_mbcnt_hi_u32_b32 v105, v1, v38
	v_cmp_eq_u32_e32 vcc, 0, v105
	v_cmp_ne_u64_e64 s[4:5], 0, v[0:1]
	v_add_u32_e32 v69, 32, v64
	v_lshrrev_b32_e32 v70, 6, v46
	s_and_b64 s[16:17], s[4:5], vcc
	; wave barrier
	s_and_saveexec_b64 s[4:5], s[16:17]
	s_cbranch_execz .LBB250_49
; %bb.48:
	v_bcnt_u32_b32 v0, v0, 0
	v_bcnt_u32_b32 v0, v1, v0
	s_waitcnt lgkmcnt(0)
	v_add_u32_e32 v0, v103, v0
	ds_write_b32 v104, v0 offset:32
.LBB250_49:
	s_or_b64 exec, exec, s[4:5]
	; wave barrier
	s_waitcnt lgkmcnt(0)
	s_barrier
	ds_read2_b32 v[38:39], v64 offset0:8 offset1:9
	ds_read2_b32 v[40:41], v69 offset0:2 offset1:3
	v_and_b32_e32 v1, 16, v76
	v_cmp_eq_u32_e32 vcc, 0, v1
	v_or_b32_e32 v1, 63, v80
	v_cmp_eq_u32_e64 s[16:17], v1, v46
	s_waitcnt lgkmcnt(1)
	v_add_u32_e32 v1, v39, v38
	v_and_b32_e32 v0, 15, v76
	s_waitcnt lgkmcnt(0)
	v_add3_u32 v1, v1, v40, v41
	v_cmp_eq_u32_e64 s[24:25], 0, v0
	v_cmp_lt_u32_e64 s[26:27], 1, v0
	v_mov_b32_dpp v41, v1 row_shr:1 row_mask:0xf bank_mask:0xf
	v_cndmask_b32_e64 v41, v41, 0, s[24:25]
	v_add_u32_e32 v1, v41, v1
	v_cmp_lt_u32_e64 s[30:31], 3, v0
	v_cmp_lt_u32_e64 s[34:35], 7, v0
	v_mov_b32_dpp v41, v1 row_shr:2 row_mask:0xf bank_mask:0xf
	v_cndmask_b32_e64 v41, 0, v41, s[26:27]
	v_add_u32_e32 v1, v1, v41
	v_bfe_i32 v81, v76, 4, 1
	v_cmp_lt_u32_e64 s[36:37], 31, v76
	v_mov_b32_dpp v41, v1 row_shr:4 row_mask:0xf bank_mask:0xf
	v_cndmask_b32_e64 v41, 0, v41, s[30:31]
	v_add_u32_e32 v1, v1, v41
	v_lshlrev_b32_e32 v70, 2, v70
	s_nop 0
	v_mov_b32_dpp v41, v1 row_shr:8 row_mask:0xf bank_mask:0xf
	v_cndmask_b32_e64 v0, 0, v41, s[34:35]
	v_add_u32_e32 v0, v1, v0
	s_nop 1
	v_mov_b32_dpp v1, v0 row_bcast:15 row_mask:0xf bank_mask:0xf
	v_and_b32_e32 v1, v81, v1
	v_add_u32_e32 v0, v0, v1
	s_nop 1
	v_mov_b32_dpp v1, v0 row_bcast:31 row_mask:0xf bank_mask:0xf
	v_cndmask_b32_e64 v1, 0, v1, s[36:37]
	v_add_u32_e32 v1, v0, v1
	s_and_saveexec_b64 s[4:5], s[16:17]
	s_cbranch_execz .LBB250_51
; %bb.50:
	ds_write_b32 v70, v1
.LBB250_51:
	s_or_b64 exec, exec, s[4:5]
	v_and_b32_e32 v0, 7, v76
	v_cmp_gt_u32_e64 s[28:29], 8, v46
	v_lshlrev_b32_e32 v41, 2, v46
	v_cmp_eq_u32_e64 s[22:23], 0, v0
	v_cmp_lt_u32_e64 s[20:21], 1, v0
	v_cmp_lt_u32_e64 s[18:19], 3, v0
	s_waitcnt lgkmcnt(0)
	s_barrier
	s_and_saveexec_b64 s[4:5], s[28:29]
	s_cbranch_execz .LBB250_53
; %bb.52:
	ds_read_b32 v0, v41
	s_waitcnt lgkmcnt(0)
	s_nop 0
	v_mov_b32_dpp v80, v0 row_shr:1 row_mask:0xf bank_mask:0xf
	v_cndmask_b32_e64 v80, v80, 0, s[22:23]
	v_add_u32_e32 v0, v80, v0
	s_nop 1
	v_mov_b32_dpp v80, v0 row_shr:2 row_mask:0xf bank_mask:0xf
	v_cndmask_b32_e64 v80, 0, v80, s[20:21]
	v_add_u32_e32 v0, v0, v80
	;; [unrolled: 4-line block ×3, first 2 shown]
	ds_write_b32 v41, v0
.LBB250_53:
	s_or_b64 exec, exec, s[4:5]
	v_cmp_lt_u32_e64 s[38:39], 63, v46
	v_add_u32_e32 v80, -4, v70
	v_mov_b32_e32 v0, 0
	v_mov_b32_e32 v106, 0
	s_waitcnt lgkmcnt(0)
	s_barrier
	s_and_saveexec_b64 s[4:5], s[38:39]
	s_cbranch_execz .LBB250_55
; %bb.54:
	ds_read_b32 v106, v80
.LBB250_55:
	s_or_b64 exec, exec, s[4:5]
	v_add_u32_e32 v81, -1, v76
	v_and_b32_e32 v107, 64, v76
	v_cmp_lt_i32_e64 s[4:5], v81, v107
	v_cndmask_b32_e64 v81, v81, v76, s[4:5]
	v_lshlrev_b32_e32 v81, 2, v81
	s_waitcnt lgkmcnt(0)
	v_add_u32_e32 v1, v106, v1
	ds_bpermute_b32 v1, v81, v1
	v_cmp_eq_u32_e64 s[40:41], 0, v76
	v_cmp_eq_u32_e64 s[42:43], 0, v46
	v_and_or_b32 v82, v76, 63, v82
	v_lshlrev_b32_e32 v107, 1, v82
	s_waitcnt lgkmcnt(0)
	v_cndmask_b32_e64 v1, v1, v106, s[40:41]
	v_cndmask_b32_e64 v1, v1, 0, s[42:43]
	v_add_u32_e32 v38, v1, v38
	v_add_u32_e32 v39, v38, v39
	;; [unrolled: 1-line block ×3, first 2 shown]
	ds_write2_b32 v64, v1, v38 offset0:8 offset1:9
	ds_write2_b32 v69, v39, v40 offset0:2 offset1:3
	s_waitcnt lgkmcnt(0)
	s_barrier
	ds_read_b32 v1, v83 offset:32
	ds_read_b32 v38, v86 offset:32
	;; [unrolled: 1-line block ×8, first 2 shown]
	s_waitcnt lgkmcnt(7)
	v_add_u32_e32 v1, v1, v84
	s_waitcnt lgkmcnt(6)
	v_add3_u32 v38, v87, v85, v38
	s_waitcnt lgkmcnt(4)
	v_add3_u32 v84, v93, v91, v40
	v_lshlrev_b32_e32 v40, 1, v1
	v_add3_u32 v39, v90, v88, v39
	s_waitcnt lgkmcnt(0)
	s_barrier
	ds_write_b16 v40, v79
	v_lshlrev_b32_e32 v40, 1, v38
	ds_write_b16 v40, v78
	v_lshlrev_b32_e32 v40, 1, v39
	v_add3_u32 v85, v96, v94, v76
	ds_write_b16 v40, v77
	v_lshlrev_b32_e32 v40, 1, v84
	v_add3_u32 v83, v99, v97, v83
	;; [unrolled: 3-line block ×4, first 2 shown]
	ds_write_b16 v40, v73
	v_lshlrev_b32_e32 v40, 1, v86
	ds_write_b16 v40, v72
	v_lshlrev_b32_e32 v40, 1, v87
	v_lshlrev_b32_e32 v1, 3, v1
	ds_write_b16 v40, v71
	s_waitcnt lgkmcnt(0)
	s_barrier
	ds_read_u16 v77, v107
	ds_read_u16 v76, v107 offset:128
	ds_read_u16 v75, v107 offset:256
	;; [unrolled: 1-line block ×7, first 2 shown]
	s_waitcnt lgkmcnt(0)
	s_barrier
	ds_write_b64 v1, v[34:35]
	v_lshlrev_b32_e32 v1, 3, v38
	ds_write_b64 v1, v[36:37]
	v_lshlrev_b32_e32 v1, 3, v39
	;; [unrolled: 2-line block ×6, first 2 shown]
	s_min_u32 s4, s46, 8
	ds_write_b64 v1, v[22:23]
	v_lshlrev_b32_e32 v1, 3, v87
	s_lshl_b32 s4, -1, s4
	s_movk_i32 s56, 0x7fff
	ds_write_b64 v1, v[24:25]
	s_not_b32 s53, s4
	v_lshrrev_b16_e32 v1, 8, v77
	v_mov_b32_e32 v38, 0x80
	v_cmp_ne_u16_e64 s[4:5], s56, v77
	v_cndmask_b32_e64 v1, v38, v1, s[4:5]
	v_and_b32_sdwa v39, v1, s53 dst_sel:DWORD dst_unused:UNUSED_PAD src0_sel:WORD_0 src1_sel:DWORD
	v_lshlrev_b32_e32 v1, 3, v39
	v_add_lshl_u32 v78, v1, v68, 2
	v_and_b32_e32 v1, 1, v39
	v_lshlrev_b32_e32 v82, 3, v82
	v_add_co_u32_e64 v79, s[4:5], -1, v1
	s_waitcnt lgkmcnt(0)
	s_barrier
	ds_read2st64_b64 v[34:37], v82 offset1:1
	ds_read2st64_b64 v[30:33], v82 offset0:2 offset1:3
	ds_read2st64_b64 v[26:29], v82 offset0:4 offset1:5
	;; [unrolled: 1-line block ×3, first 2 shown]
	v_addc_co_u32_e64 v82, s[4:5], 0, -1, s[4:5]
	v_cmp_ne_u32_e64 s[4:5], 0, v1
	v_xor_b32_e32 v1, s5, v82
	v_and_b32_e32 v82, exec_hi, v1
	v_lshlrev_b32_e32 v1, 30, v39
	v_xor_b32_e32 v79, s4, v79
	v_cmp_gt_i64_e64 s[4:5], 0, v[0:1]
	v_not_b32_e32 v1, v1
	v_ashrrev_i32_e32 v1, 31, v1
	v_and_b32_e32 v79, exec_lo, v79
	v_xor_b32_e32 v83, s5, v1
	v_xor_b32_e32 v1, s4, v1
	v_and_b32_e32 v79, v79, v1
	v_lshlrev_b32_e32 v1, 29, v39
	v_cmp_gt_i64_e64 s[4:5], 0, v[0:1]
	v_not_b32_e32 v1, v1
	v_ashrrev_i32_e32 v1, 31, v1
	v_and_b32_e32 v82, v82, v83
	v_xor_b32_e32 v83, s5, v1
	v_xor_b32_e32 v1, s4, v1
	v_and_b32_e32 v79, v79, v1
	v_lshlrev_b32_e32 v1, 28, v39
	v_cmp_gt_i64_e64 s[4:5], 0, v[0:1]
	v_not_b32_e32 v1, v1
	v_ashrrev_i32_e32 v1, 31, v1
	v_and_b32_e32 v82, v82, v83
	;; [unrolled: 8-line block ×5, first 2 shown]
	v_xor_b32_e32 v83, s5, v1
	v_xor_b32_e32 v1, s4, v1
	v_and_b32_e32 v79, v79, v1
	v_lshlrev_b32_e32 v1, 24, v39
	s_waitcnt lgkmcnt(0)
	s_barrier
	ds_write2_b32 v64, v0, v0 offset0:8 offset1:9
	ds_write2_b32 v69, v0, v0 offset0:2 offset1:3
	v_cmp_gt_i64_e64 s[4:5], 0, v[0:1]
	v_not_b32_e32 v0, v1
	v_ashrrev_i32_e32 v0, 31, v0
	v_xor_b32_e32 v1, s5, v0
	v_xor_b32_e32 v0, s4, v0
	v_and_b32_e32 v82, v82, v83
	v_and_b32_e32 v0, v79, v0
	;; [unrolled: 1-line block ×3, first 2 shown]
	v_mbcnt_lo_u32_b32 v39, v0, 0
	v_mbcnt_hi_u32_b32 v79, v1, v39
	v_cmp_eq_u32_e64 s[4:5], 0, v79
	v_cmp_ne_u64_e64 s[46:47], 0, v[0:1]
	s_and_b64 s[46:47], s[46:47], s[4:5]
	s_waitcnt lgkmcnt(0)
	s_barrier
	s_waitcnt lgkmcnt(0)
	; wave barrier
	s_and_saveexec_b64 s[4:5], s[46:47]
	s_cbranch_execz .LBB250_57
; %bb.56:
	v_bcnt_u32_b32 v0, v0, 0
	v_bcnt_u32_b32 v0, v1, v0
	ds_write_b32 v78, v0 offset:32
.LBB250_57:
	s_or_b64 exec, exec, s[4:5]
	v_lshrrev_b16_e32 v0, 8, v76
	v_cmp_ne_u16_e64 s[4:5], s56, v76
	v_cndmask_b32_e64 v0, v38, v0, s[4:5]
	v_and_b32_e32 v38, s53, v0
	v_and_b32_e32 v1, 1, v38
	v_add_co_u32_e64 v39, s[4:5], -1, v1
	v_addc_co_u32_e64 v84, s[4:5], 0, -1, s[4:5]
	v_cmp_ne_u32_e64 s[4:5], 0, v1
	v_lshlrev_b32_e32 v0, 3, v38
	v_xor_b32_e32 v1, s5, v84
	v_add_lshl_u32 v83, v0, v68, 2
	v_mov_b32_e32 v0, 0
	v_and_b32_e32 v84, exec_hi, v1
	v_lshlrev_b32_e32 v1, 30, v38
	v_xor_b32_e32 v39, s4, v39
	v_cmp_gt_i64_e64 s[4:5], 0, v[0:1]
	v_not_b32_e32 v1, v1
	v_ashrrev_i32_e32 v1, 31, v1
	v_and_b32_e32 v39, exec_lo, v39
	v_xor_b32_e32 v85, s5, v1
	v_xor_b32_e32 v1, s4, v1
	v_and_b32_e32 v39, v39, v1
	v_lshlrev_b32_e32 v1, 29, v38
	v_cmp_gt_i64_e64 s[4:5], 0, v[0:1]
	v_not_b32_e32 v1, v1
	v_ashrrev_i32_e32 v1, 31, v1
	v_and_b32_e32 v84, v84, v85
	v_xor_b32_e32 v85, s5, v1
	v_xor_b32_e32 v1, s4, v1
	v_and_b32_e32 v39, v39, v1
	v_lshlrev_b32_e32 v1, 28, v38
	v_cmp_gt_i64_e64 s[4:5], 0, v[0:1]
	v_not_b32_e32 v1, v1
	v_ashrrev_i32_e32 v1, 31, v1
	v_and_b32_e32 v84, v84, v85
	;; [unrolled: 8-line block ×5, first 2 shown]
	v_xor_b32_e32 v85, s5, v1
	v_xor_b32_e32 v1, s4, v1
	v_and_b32_e32 v84, v84, v85
	v_and_b32_e32 v85, v39, v1
	v_lshlrev_b32_e32 v1, 24, v38
	v_cmp_gt_i64_e64 s[4:5], 0, v[0:1]
	v_not_b32_e32 v1, v1
	v_ashrrev_i32_e32 v1, 31, v1
	v_xor_b32_e32 v38, s5, v1
	v_xor_b32_e32 v1, s4, v1
	; wave barrier
	ds_read_b32 v82, v83 offset:32
	v_and_b32_e32 v39, v84, v38
	v_and_b32_e32 v38, v85, v1
	v_mbcnt_lo_u32_b32 v1, v38, 0
	v_mbcnt_hi_u32_b32 v84, v39, v1
	v_cmp_eq_u32_e64 s[4:5], 0, v84
	v_cmp_ne_u64_e64 s[46:47], 0, v[38:39]
	s_and_b64 s[46:47], s[46:47], s[4:5]
	; wave barrier
	s_and_saveexec_b64 s[4:5], s[46:47]
	s_cbranch_execz .LBB250_59
; %bb.58:
	v_bcnt_u32_b32 v1, v38, 0
	v_bcnt_u32_b32 v1, v39, v1
	s_waitcnt lgkmcnt(0)
	v_add_u32_e32 v1, v82, v1
	ds_write_b32 v83, v1 offset:32
.LBB250_59:
	s_or_b64 exec, exec, s[4:5]
	v_lshrrev_b16_e32 v1, 8, v75
	v_mov_b32_e32 v38, 0x80
	v_cmp_ne_u16_e64 s[4:5], s56, v75
	v_cndmask_b32_e64 v1, v38, v1, s[4:5]
	v_and_b32_e32 v39, s53, v1
	v_lshlrev_b32_e32 v1, 3, v39
	v_add_lshl_u32 v86, v1, v68, 2
	v_and_b32_e32 v1, 1, v39
	v_add_co_u32_e64 v87, s[4:5], -1, v1
	v_addc_co_u32_e64 v88, s[4:5], 0, -1, s[4:5]
	v_cmp_ne_u32_e64 s[4:5], 0, v1
	v_xor_b32_e32 v1, s5, v88
	v_and_b32_e32 v88, exec_hi, v1
	v_lshlrev_b32_e32 v1, 30, v39
	v_xor_b32_e32 v87, s4, v87
	v_cmp_gt_i64_e64 s[4:5], 0, v[0:1]
	v_not_b32_e32 v1, v1
	v_ashrrev_i32_e32 v1, 31, v1
	v_and_b32_e32 v87, exec_lo, v87
	v_xor_b32_e32 v89, s5, v1
	v_xor_b32_e32 v1, s4, v1
	v_and_b32_e32 v87, v87, v1
	v_lshlrev_b32_e32 v1, 29, v39
	v_cmp_gt_i64_e64 s[4:5], 0, v[0:1]
	v_not_b32_e32 v1, v1
	v_ashrrev_i32_e32 v1, 31, v1
	v_and_b32_e32 v88, v88, v89
	v_xor_b32_e32 v89, s5, v1
	v_xor_b32_e32 v1, s4, v1
	v_and_b32_e32 v87, v87, v1
	v_lshlrev_b32_e32 v1, 28, v39
	v_cmp_gt_i64_e64 s[4:5], 0, v[0:1]
	v_not_b32_e32 v1, v1
	v_ashrrev_i32_e32 v1, 31, v1
	v_and_b32_e32 v88, v88, v89
	;; [unrolled: 8-line block ×5, first 2 shown]
	v_xor_b32_e32 v89, s5, v1
	v_xor_b32_e32 v1, s4, v1
	v_and_b32_e32 v87, v87, v1
	v_lshlrev_b32_e32 v1, 24, v39
	v_cmp_gt_i64_e64 s[4:5], 0, v[0:1]
	v_not_b32_e32 v0, v1
	v_ashrrev_i32_e32 v0, 31, v0
	v_xor_b32_e32 v1, s5, v0
	v_xor_b32_e32 v0, s4, v0
	; wave barrier
	ds_read_b32 v85, v86 offset:32
	v_and_b32_e32 v88, v88, v89
	v_and_b32_e32 v0, v87, v0
	;; [unrolled: 1-line block ×3, first 2 shown]
	v_mbcnt_lo_u32_b32 v39, v0, 0
	v_mbcnt_hi_u32_b32 v87, v1, v39
	v_cmp_eq_u32_e64 s[4:5], 0, v87
	v_cmp_ne_u64_e64 s[46:47], 0, v[0:1]
	s_and_b64 s[46:47], s[46:47], s[4:5]
	; wave barrier
	s_and_saveexec_b64 s[4:5], s[46:47]
	s_cbranch_execz .LBB250_61
; %bb.60:
	v_bcnt_u32_b32 v0, v0, 0
	v_bcnt_u32_b32 v0, v1, v0
	s_waitcnt lgkmcnt(0)
	v_add_u32_e32 v0, v85, v0
	ds_write_b32 v86, v0 offset:32
.LBB250_61:
	s_or_b64 exec, exec, s[4:5]
	v_lshrrev_b16_e32 v0, 8, v74
	v_cmp_ne_u16_e64 s[4:5], s56, v74
	v_cndmask_b32_e64 v0, v38, v0, s[4:5]
	v_and_b32_e32 v38, s53, v0
	v_and_b32_e32 v1, 1, v38
	v_add_co_u32_e64 v39, s[4:5], -1, v1
	v_addc_co_u32_e64 v90, s[4:5], 0, -1, s[4:5]
	v_cmp_ne_u32_e64 s[4:5], 0, v1
	v_lshlrev_b32_e32 v0, 3, v38
	v_xor_b32_e32 v1, s5, v90
	v_add_lshl_u32 v89, v0, v68, 2
	v_mov_b32_e32 v0, 0
	v_and_b32_e32 v90, exec_hi, v1
	v_lshlrev_b32_e32 v1, 30, v38
	v_xor_b32_e32 v39, s4, v39
	v_cmp_gt_i64_e64 s[4:5], 0, v[0:1]
	v_not_b32_e32 v1, v1
	v_ashrrev_i32_e32 v1, 31, v1
	v_and_b32_e32 v39, exec_lo, v39
	v_xor_b32_e32 v91, s5, v1
	v_xor_b32_e32 v1, s4, v1
	v_and_b32_e32 v39, v39, v1
	v_lshlrev_b32_e32 v1, 29, v38
	v_cmp_gt_i64_e64 s[4:5], 0, v[0:1]
	v_not_b32_e32 v1, v1
	v_ashrrev_i32_e32 v1, 31, v1
	v_and_b32_e32 v90, v90, v91
	v_xor_b32_e32 v91, s5, v1
	v_xor_b32_e32 v1, s4, v1
	v_and_b32_e32 v39, v39, v1
	v_lshlrev_b32_e32 v1, 28, v38
	v_cmp_gt_i64_e64 s[4:5], 0, v[0:1]
	v_not_b32_e32 v1, v1
	v_ashrrev_i32_e32 v1, 31, v1
	v_and_b32_e32 v90, v90, v91
	;; [unrolled: 8-line block ×5, first 2 shown]
	v_xor_b32_e32 v91, s5, v1
	v_xor_b32_e32 v1, s4, v1
	v_and_b32_e32 v90, v90, v91
	v_and_b32_e32 v91, v39, v1
	v_lshlrev_b32_e32 v1, 24, v38
	v_cmp_gt_i64_e64 s[4:5], 0, v[0:1]
	v_not_b32_e32 v1, v1
	v_ashrrev_i32_e32 v1, 31, v1
	v_xor_b32_e32 v38, s5, v1
	v_xor_b32_e32 v1, s4, v1
	; wave barrier
	ds_read_b32 v88, v89 offset:32
	v_and_b32_e32 v39, v90, v38
	v_and_b32_e32 v38, v91, v1
	v_mbcnt_lo_u32_b32 v1, v38, 0
	v_mbcnt_hi_u32_b32 v90, v39, v1
	v_cmp_eq_u32_e64 s[4:5], 0, v90
	v_cmp_ne_u64_e64 s[46:47], 0, v[38:39]
	s_and_b64 s[46:47], s[46:47], s[4:5]
	; wave barrier
	s_and_saveexec_b64 s[4:5], s[46:47]
	s_cbranch_execz .LBB250_63
; %bb.62:
	v_bcnt_u32_b32 v1, v38, 0
	v_bcnt_u32_b32 v1, v39, v1
	s_waitcnt lgkmcnt(0)
	v_add_u32_e32 v1, v88, v1
	ds_write_b32 v89, v1 offset:32
.LBB250_63:
	s_or_b64 exec, exec, s[4:5]
	v_lshrrev_b16_e32 v1, 8, v73
	v_mov_b32_e32 v38, 0x80
	v_cmp_ne_u16_e64 s[4:5], s56, v73
	v_cndmask_b32_e64 v1, v38, v1, s[4:5]
	v_and_b32_e32 v39, s53, v1
	v_lshlrev_b32_e32 v1, 3, v39
	v_add_lshl_u32 v92, v1, v68, 2
	v_and_b32_e32 v1, 1, v39
	v_add_co_u32_e64 v93, s[4:5], -1, v1
	v_addc_co_u32_e64 v94, s[4:5], 0, -1, s[4:5]
	v_cmp_ne_u32_e64 s[4:5], 0, v1
	v_xor_b32_e32 v1, s5, v94
	v_and_b32_e32 v94, exec_hi, v1
	v_lshlrev_b32_e32 v1, 30, v39
	v_xor_b32_e32 v93, s4, v93
	v_cmp_gt_i64_e64 s[4:5], 0, v[0:1]
	v_not_b32_e32 v1, v1
	v_ashrrev_i32_e32 v1, 31, v1
	v_and_b32_e32 v93, exec_lo, v93
	v_xor_b32_e32 v95, s5, v1
	v_xor_b32_e32 v1, s4, v1
	v_and_b32_e32 v93, v93, v1
	v_lshlrev_b32_e32 v1, 29, v39
	v_cmp_gt_i64_e64 s[4:5], 0, v[0:1]
	v_not_b32_e32 v1, v1
	v_ashrrev_i32_e32 v1, 31, v1
	v_and_b32_e32 v94, v94, v95
	v_xor_b32_e32 v95, s5, v1
	v_xor_b32_e32 v1, s4, v1
	v_and_b32_e32 v93, v93, v1
	v_lshlrev_b32_e32 v1, 28, v39
	v_cmp_gt_i64_e64 s[4:5], 0, v[0:1]
	v_not_b32_e32 v1, v1
	v_ashrrev_i32_e32 v1, 31, v1
	v_and_b32_e32 v94, v94, v95
	;; [unrolled: 8-line block ×5, first 2 shown]
	v_xor_b32_e32 v95, s5, v1
	v_xor_b32_e32 v1, s4, v1
	v_and_b32_e32 v93, v93, v1
	v_lshlrev_b32_e32 v1, 24, v39
	v_cmp_gt_i64_e64 s[4:5], 0, v[0:1]
	v_not_b32_e32 v0, v1
	v_ashrrev_i32_e32 v0, 31, v0
	v_xor_b32_e32 v1, s5, v0
	v_xor_b32_e32 v0, s4, v0
	; wave barrier
	ds_read_b32 v91, v92 offset:32
	v_and_b32_e32 v94, v94, v95
	v_and_b32_e32 v0, v93, v0
	;; [unrolled: 1-line block ×3, first 2 shown]
	v_mbcnt_lo_u32_b32 v39, v0, 0
	v_mbcnt_hi_u32_b32 v93, v1, v39
	v_cmp_eq_u32_e64 s[4:5], 0, v93
	v_cmp_ne_u64_e64 s[46:47], 0, v[0:1]
	s_and_b64 s[46:47], s[46:47], s[4:5]
	; wave barrier
	s_and_saveexec_b64 s[4:5], s[46:47]
	s_cbranch_execz .LBB250_65
; %bb.64:
	v_bcnt_u32_b32 v0, v0, 0
	v_bcnt_u32_b32 v0, v1, v0
	s_waitcnt lgkmcnt(0)
	v_add_u32_e32 v0, v91, v0
	ds_write_b32 v92, v0 offset:32
.LBB250_65:
	s_or_b64 exec, exec, s[4:5]
	v_lshrrev_b16_e32 v0, 8, v72
	v_cmp_ne_u16_e64 s[4:5], s56, v72
	v_cndmask_b32_e64 v0, v38, v0, s[4:5]
	v_and_b32_e32 v38, s53, v0
	v_and_b32_e32 v1, 1, v38
	v_add_co_u32_e64 v39, s[4:5], -1, v1
	v_addc_co_u32_e64 v96, s[4:5], 0, -1, s[4:5]
	v_cmp_ne_u32_e64 s[4:5], 0, v1
	v_lshlrev_b32_e32 v0, 3, v38
	v_xor_b32_e32 v1, s5, v96
	v_add_lshl_u32 v95, v0, v68, 2
	v_mov_b32_e32 v0, 0
	v_and_b32_e32 v96, exec_hi, v1
	v_lshlrev_b32_e32 v1, 30, v38
	v_xor_b32_e32 v39, s4, v39
	v_cmp_gt_i64_e64 s[4:5], 0, v[0:1]
	v_not_b32_e32 v1, v1
	v_ashrrev_i32_e32 v1, 31, v1
	v_and_b32_e32 v39, exec_lo, v39
	v_xor_b32_e32 v97, s5, v1
	v_xor_b32_e32 v1, s4, v1
	v_and_b32_e32 v39, v39, v1
	v_lshlrev_b32_e32 v1, 29, v38
	v_cmp_gt_i64_e64 s[4:5], 0, v[0:1]
	v_not_b32_e32 v1, v1
	v_ashrrev_i32_e32 v1, 31, v1
	v_and_b32_e32 v96, v96, v97
	v_xor_b32_e32 v97, s5, v1
	v_xor_b32_e32 v1, s4, v1
	v_and_b32_e32 v39, v39, v1
	v_lshlrev_b32_e32 v1, 28, v38
	v_cmp_gt_i64_e64 s[4:5], 0, v[0:1]
	v_not_b32_e32 v1, v1
	v_ashrrev_i32_e32 v1, 31, v1
	v_and_b32_e32 v96, v96, v97
	;; [unrolled: 8-line block ×5, first 2 shown]
	v_xor_b32_e32 v97, s5, v1
	v_xor_b32_e32 v1, s4, v1
	v_and_b32_e32 v96, v96, v97
	v_and_b32_e32 v97, v39, v1
	v_lshlrev_b32_e32 v1, 24, v38
	v_cmp_gt_i64_e64 s[4:5], 0, v[0:1]
	v_not_b32_e32 v1, v1
	v_ashrrev_i32_e32 v1, 31, v1
	v_xor_b32_e32 v38, s5, v1
	v_xor_b32_e32 v1, s4, v1
	; wave barrier
	ds_read_b32 v94, v95 offset:32
	v_and_b32_e32 v39, v96, v38
	v_and_b32_e32 v38, v97, v1
	v_mbcnt_lo_u32_b32 v1, v38, 0
	v_mbcnt_hi_u32_b32 v96, v39, v1
	v_cmp_eq_u32_e64 s[4:5], 0, v96
	v_cmp_ne_u64_e64 s[46:47], 0, v[38:39]
	s_and_b64 s[46:47], s[46:47], s[4:5]
	; wave barrier
	s_and_saveexec_b64 s[4:5], s[46:47]
	s_cbranch_execz .LBB250_67
; %bb.66:
	v_bcnt_u32_b32 v1, v38, 0
	v_bcnt_u32_b32 v1, v39, v1
	s_waitcnt lgkmcnt(0)
	v_add_u32_e32 v1, v94, v1
	ds_write_b32 v95, v1 offset:32
.LBB250_67:
	s_or_b64 exec, exec, s[4:5]
	v_lshrrev_b16_e32 v1, 8, v71
	v_mov_b32_e32 v38, 0x80
	v_cmp_ne_u16_e64 s[4:5], s56, v71
	v_cndmask_b32_e64 v1, v38, v1, s[4:5]
	v_and_b32_e32 v39, s53, v1
	v_lshlrev_b32_e32 v1, 3, v39
	v_add_lshl_u32 v98, v1, v68, 2
	v_and_b32_e32 v1, 1, v39
	v_add_co_u32_e64 v99, s[4:5], -1, v1
	v_addc_co_u32_e64 v100, s[4:5], 0, -1, s[4:5]
	v_cmp_ne_u32_e64 s[4:5], 0, v1
	v_xor_b32_e32 v1, s5, v100
	v_and_b32_e32 v100, exec_hi, v1
	v_lshlrev_b32_e32 v1, 30, v39
	v_xor_b32_e32 v99, s4, v99
	v_cmp_gt_i64_e64 s[4:5], 0, v[0:1]
	v_not_b32_e32 v1, v1
	v_ashrrev_i32_e32 v1, 31, v1
	v_and_b32_e32 v99, exec_lo, v99
	v_xor_b32_e32 v101, s5, v1
	v_xor_b32_e32 v1, s4, v1
	v_and_b32_e32 v99, v99, v1
	v_lshlrev_b32_e32 v1, 29, v39
	v_cmp_gt_i64_e64 s[4:5], 0, v[0:1]
	v_not_b32_e32 v1, v1
	v_ashrrev_i32_e32 v1, 31, v1
	v_and_b32_e32 v100, v100, v101
	v_xor_b32_e32 v101, s5, v1
	v_xor_b32_e32 v1, s4, v1
	v_and_b32_e32 v99, v99, v1
	v_lshlrev_b32_e32 v1, 28, v39
	v_cmp_gt_i64_e64 s[4:5], 0, v[0:1]
	v_not_b32_e32 v1, v1
	v_ashrrev_i32_e32 v1, 31, v1
	v_and_b32_e32 v100, v100, v101
	;; [unrolled: 8-line block ×5, first 2 shown]
	v_xor_b32_e32 v101, s5, v1
	v_xor_b32_e32 v1, s4, v1
	v_and_b32_e32 v99, v99, v1
	v_lshlrev_b32_e32 v1, 24, v39
	v_cmp_gt_i64_e64 s[4:5], 0, v[0:1]
	v_not_b32_e32 v0, v1
	v_ashrrev_i32_e32 v0, 31, v0
	v_xor_b32_e32 v1, s5, v0
	v_xor_b32_e32 v0, s4, v0
	; wave barrier
	ds_read_b32 v97, v98 offset:32
	v_and_b32_e32 v100, v100, v101
	v_and_b32_e32 v0, v99, v0
	;; [unrolled: 1-line block ×3, first 2 shown]
	v_mbcnt_lo_u32_b32 v39, v0, 0
	v_mbcnt_hi_u32_b32 v99, v1, v39
	v_cmp_eq_u32_e64 s[4:5], 0, v99
	v_cmp_ne_u64_e64 s[46:47], 0, v[0:1]
	s_and_b64 s[46:47], s[46:47], s[4:5]
	; wave barrier
	s_and_saveexec_b64 s[4:5], s[46:47]
	s_cbranch_execz .LBB250_69
; %bb.68:
	v_bcnt_u32_b32 v0, v0, 0
	v_bcnt_u32_b32 v0, v1, v0
	s_waitcnt lgkmcnt(0)
	v_add_u32_e32 v0, v97, v0
	ds_write_b32 v98, v0 offset:32
.LBB250_69:
	s_or_b64 exec, exec, s[4:5]
	v_lshrrev_b16_e32 v0, 8, v40
	v_cmp_ne_u16_e64 s[4:5], s56, v40
	v_cndmask_b32_e64 v0, v38, v0, s[4:5]
	v_and_b32_e32 v38, s53, v0
	v_and_b32_e32 v1, 1, v38
	v_add_co_u32_e64 v39, s[4:5], -1, v1
	v_addc_co_u32_e64 v101, s[4:5], 0, -1, s[4:5]
	v_cmp_ne_u32_e64 s[4:5], 0, v1
	v_lshlrev_b32_e32 v0, 3, v38
	v_xor_b32_e32 v1, s5, v101
	v_add_lshl_u32 v100, v0, v68, 2
	v_mov_b32_e32 v0, 0
	v_and_b32_e32 v101, exec_hi, v1
	v_lshlrev_b32_e32 v1, 30, v38
	v_xor_b32_e32 v39, s4, v39
	v_cmp_gt_i64_e64 s[4:5], 0, v[0:1]
	v_not_b32_e32 v1, v1
	v_ashrrev_i32_e32 v1, 31, v1
	v_and_b32_e32 v39, exec_lo, v39
	v_xor_b32_e32 v102, s5, v1
	v_xor_b32_e32 v1, s4, v1
	v_and_b32_e32 v39, v39, v1
	v_lshlrev_b32_e32 v1, 29, v38
	v_cmp_gt_i64_e64 s[4:5], 0, v[0:1]
	v_not_b32_e32 v1, v1
	v_ashrrev_i32_e32 v1, 31, v1
	v_and_b32_e32 v101, v101, v102
	v_xor_b32_e32 v102, s5, v1
	v_xor_b32_e32 v1, s4, v1
	v_and_b32_e32 v39, v39, v1
	v_lshlrev_b32_e32 v1, 28, v38
	v_cmp_gt_i64_e64 s[4:5], 0, v[0:1]
	v_not_b32_e32 v1, v1
	v_ashrrev_i32_e32 v1, 31, v1
	v_and_b32_e32 v101, v101, v102
	;; [unrolled: 8-line block ×5, first 2 shown]
	v_xor_b32_e32 v102, s5, v1
	v_xor_b32_e32 v1, s4, v1
	v_and_b32_e32 v39, v39, v1
	v_lshlrev_b32_e32 v1, 24, v38
	v_cmp_gt_i64_e64 s[4:5], 0, v[0:1]
	v_not_b32_e32 v0, v1
	v_ashrrev_i32_e32 v0, 31, v0
	v_xor_b32_e32 v1, s5, v0
	v_xor_b32_e32 v0, s4, v0
	; wave barrier
	ds_read_b32 v68, v100 offset:32
	v_and_b32_e32 v101, v101, v102
	v_and_b32_e32 v0, v39, v0
	v_and_b32_e32 v1, v101, v1
	v_mbcnt_lo_u32_b32 v38, v0, 0
	v_mbcnt_hi_u32_b32 v101, v1, v38
	v_cmp_eq_u32_e64 s[4:5], 0, v101
	v_cmp_ne_u64_e64 s[46:47], 0, v[0:1]
	s_and_b64 s[46:47], s[46:47], s[4:5]
	; wave barrier
	s_and_saveexec_b64 s[4:5], s[46:47]
	s_cbranch_execz .LBB250_71
; %bb.70:
	v_bcnt_u32_b32 v0, v0, 0
	v_bcnt_u32_b32 v0, v1, v0
	s_waitcnt lgkmcnt(0)
	v_add_u32_e32 v0, v68, v0
	ds_write_b32 v100, v0 offset:32
.LBB250_71:
	s_or_b64 exec, exec, s[4:5]
	; wave barrier
	s_waitcnt lgkmcnt(0)
	s_barrier
	ds_read2_b32 v[38:39], v64 offset0:8 offset1:9
	ds_read2_b32 v[0:1], v69 offset0:2 offset1:3
	s_waitcnt lgkmcnt(1)
	v_add_u32_e32 v102, v39, v38
	s_waitcnt lgkmcnt(0)
	v_add3_u32 v1, v102, v0, v1
	s_nop 1
	v_mov_b32_dpp v102, v1 row_shr:1 row_mask:0xf bank_mask:0xf
	v_cndmask_b32_e64 v102, v102, 0, s[24:25]
	v_add_u32_e32 v1, v102, v1
	s_nop 1
	v_mov_b32_dpp v102, v1 row_shr:2 row_mask:0xf bank_mask:0xf
	v_cndmask_b32_e64 v102, 0, v102, s[26:27]
	v_add_u32_e32 v1, v1, v102
	s_nop 1
	v_mov_b32_dpp v102, v1 row_shr:4 row_mask:0xf bank_mask:0xf
	v_cndmask_b32_e64 v102, 0, v102, s[30:31]
	v_add_u32_e32 v1, v1, v102
	s_nop 1
	v_mov_b32_dpp v102, v1 row_shr:8 row_mask:0xf bank_mask:0xf
	v_cndmask_b32_e64 v102, 0, v102, s[34:35]
	v_add_u32_e32 v1, v1, v102
	s_nop 1
	v_mov_b32_dpp v102, v1 row_bcast:15 row_mask:0xf bank_mask:0xf
	v_cndmask_b32_e64 v102, v102, 0, vcc
	v_add_u32_e32 v1, v1, v102
	s_nop 1
	v_mov_b32_dpp v102, v1 row_bcast:31 row_mask:0xf bank_mask:0xf
	v_cndmask_b32_e64 v102, 0, v102, s[36:37]
	v_add_u32_e32 v102, v1, v102
	s_and_saveexec_b64 s[4:5], s[16:17]
	s_cbranch_execz .LBB250_73
; %bb.72:
	ds_write_b32 v70, v102
.LBB250_73:
	s_or_b64 exec, exec, s[4:5]
	s_waitcnt lgkmcnt(0)
	s_barrier
	s_and_saveexec_b64 s[4:5], s[28:29]
	s_cbranch_execz .LBB250_75
; %bb.74:
	ds_read_b32 v1, v41
	s_waitcnt lgkmcnt(0)
	s_nop 0
	v_mov_b32_dpp v70, v1 row_shr:1 row_mask:0xf bank_mask:0xf
	v_cndmask_b32_e64 v70, v70, 0, s[22:23]
	v_add_u32_e32 v1, v70, v1
	s_nop 1
	v_mov_b32_dpp v70, v1 row_shr:2 row_mask:0xf bank_mask:0xf
	v_cndmask_b32_e64 v70, 0, v70, s[20:21]
	v_add_u32_e32 v1, v1, v70
	;; [unrolled: 4-line block ×3, first 2 shown]
	ds_write_b32 v41, v1
.LBB250_75:
	s_or_b64 exec, exec, s[4:5]
	v_mov_b32_e32 v1, 0
	v_mov_b32_e32 v41, 0
	s_waitcnt lgkmcnt(0)
	s_barrier
	s_and_saveexec_b64 s[4:5], s[38:39]
	s_cbranch_execz .LBB250_77
; %bb.76:
	ds_read_b32 v41, v80
.LBB250_77:
	s_or_b64 exec, exec, s[4:5]
	s_waitcnt lgkmcnt(0)
	v_add_u32_e32 v70, v41, v102
	ds_bpermute_b32 v70, v81, v70
	s_mov_b32 s16, 0x5040100
	s_waitcnt lgkmcnt(0)
	v_cndmask_b32_e64 v41, v70, v41, s[40:41]
	v_cndmask_b32_e64 v41, v41, 0, s[42:43]
	v_add_u32_e32 v38, v41, v38
	v_add_u32_e32 v39, v38, v39
	;; [unrolled: 1-line block ×3, first 2 shown]
	ds_write2_b32 v64, v41, v38 offset0:8 offset1:9
	ds_write2_b32 v69, v39, v0 offset0:2 offset1:3
	s_waitcnt lgkmcnt(0)
	s_barrier
	ds_read_b32 v0, v100 offset:32
	ds_read_b32 v38, v98 offset:32
	;; [unrolled: 1-line block ×4, first 2 shown]
	s_waitcnt lgkmcnt(3)
	v_add3_u32 v0, v101, v68, v0
	ds_read_b32 v68, v89 offset:32
	ds_read_b32 v69, v86 offset:32
	;; [unrolled: 1-line block ×4, first 2 shown]
	s_waitcnt lgkmcnt(0)
	s_barrier
	v_add3_u32 v69, v87, v85, v69
	v_add3_u32 v70, v84, v82, v70
	v_add_u32_e32 v78, v78, v79
	v_lshlrev_b32_e32 v79, 1, v78
	ds_write_b16 v79, v77
	v_lshlrev_b32_e32 v77, 1, v70
	v_add3_u32 v68, v90, v88, v68
	ds_write_b16 v77, v76
	v_lshlrev_b32_e32 v76, 1, v69
	v_add3_u32 v41, v93, v91, v41
	;; [unrolled: 3-line block ×4, first 2 shown]
	ds_write_b16 v74, v73
	v_lshlrev_b32_e32 v73, 1, v39
	ds_write_b16 v73, v72
	v_lshlrev_b32_e32 v72, 1, v38
	;; [unrolled: 2-line block ×4, first 2 shown]
	s_waitcnt lgkmcnt(0)
	s_barrier
	v_lshlrev_b32_e32 v72, 3, v41
	v_lshlrev_b32_e32 v73, 3, v39
	;; [unrolled: 1-line block ×3, first 2 shown]
	ds_read_b128 v[38:41], v40
	v_mov_b32_e32 v77, 0xffff8000
	v_lshlrev_b32_e32 v71, 3, v78
	v_lshlrev_b32_e32 v75, 3, v63
	;; [unrolled: 1-line block ×3, first 2 shown]
	s_waitcnt lgkmcnt(0)
	v_cmp_lt_i16_sdwa vcc, v38, v1 src0_sel:WORD_1 src1_sel:DWORD
	v_cndmask_b32_e32 v78, -1, v77, vcc
	v_cmp_gt_i16_e32 vcc, 0, v38
	v_lshlrev_b32_e32 v69, 3, v69
	v_lshlrev_b32_e32 v68, 3, v68
	;; [unrolled: 1-line block ×3, first 2 shown]
	v_cndmask_b32_e32 v79, -1, v77, vcc
	v_cmp_lt_i16_e32 vcc, -1, v39
	s_barrier
	ds_write_b64 v71, v[34:35]
	ds_write_b64 v70, v[36:37]
	;; [unrolled: 1-line block ×8, first 2 shown]
	s_waitcnt lgkmcnt(0)
	s_barrier
	ds_read2_b64 v[22:25], v75 offset1:1
	ds_read2_b64 v[26:29], v75 offset0:2 offset1:3
	ds_read2_b64 v[30:33], v75 offset0:4 offset1:5
	;; [unrolled: 1-line block ×3, first 2 shown]
	v_mov_b32_e32 v76, -1
	v_cndmask_b32_e64 v81, v77, -1, vcc
	v_cmp_lt_i16_sdwa vcc, v40, v1 src0_sel:WORD_1 src1_sel:DWORD
	v_cmp_gt_i16_sdwa s[4:5], v39, v76 src0_sel:WORD_1 src1_sel:DWORD
	v_cndmask_b32_e32 v0, -1, v77, vcc
	v_cmp_gt_i16_e32 vcc, 0, v40
	v_cndmask_b32_e64 v80, v77, -1, s[4:5]
	v_cndmask_b32_e32 v1, -1, v77, vcc
	v_cmp_gt_i16_sdwa s[4:5], v41, v76 src0_sel:WORD_1 src1_sel:DWORD
	v_cmp_lt_i16_e32 vcc, -1, v41
	v_cndmask_b32_e64 v68, v77, -1, s[4:5]
	v_cndmask_b32_e64 v69, v77, -1, vcc
	v_xor_b32_e32 v81, v81, v39
	v_xor_b32_sdwa v39, v80, v39 dst_sel:DWORD dst_unused:UNUSED_PAD src0_sel:DWORD src1_sel:WORD_1
	v_xor_b32_e32 v79, v79, v38
	v_xor_b32_sdwa v38, v78, v38 dst_sel:DWORD dst_unused:UNUSED_PAD src0_sel:DWORD src1_sel:WORD_1
	;; [unrolled: 2-line block ×4, first 2 shown]
	v_perm_b32 v39, v39, v81, s16
	v_perm_b32 v38, v38, v79, s16
	v_perm_b32 v41, v41, v69, s16
	v_perm_b32 v40, v0, v1, s16
	s_branch .LBB250_131
.LBB250_78:
	v_mov_b32_e32 v45, 0
	v_lshlrev_b64 v[2:3], 3, v[44:45]
	v_mov_b32_e32 v4, s51
	v_add_co_u32_e32 v2, vcc, s49, v2
	v_addc_co_u32_e32 v3, vcc, v4, v3, vcc
	global_load_dwordx2 v[2:3], v[2:3], off
	v_mov_b32_e32 v4, v45
	v_mov_b32_e32 v5, v45
	;; [unrolled: 1-line block ×14, first 2 shown]
	s_or_b64 exec, exec, s[4:5]
	s_and_saveexec_b64 s[4:5], s[2:3]
	s_cbranch_execz .LBB250_25
.LBB250_79:
	v_mul_lo_u32 v4, v36, s52
	v_mov_b32_e32 v5, 0
	v_lshlrev_b64 v[4:5], 3, v[4:5]
	v_mov_b32_e32 v36, s51
	v_add_co_u32_e32 v4, vcc, s49, v4
	v_addc_co_u32_e32 v5, vcc, v36, v5, vcc
	global_load_dwordx2 v[4:5], v[4:5], off
	s_or_b64 exec, exec, s[4:5]
	s_and_saveexec_b64 s[4:5], s[44:45]
	s_cbranch_execz .LBB250_26
.LBB250_80:
	v_mul_lo_u32 v6, v35, s52
	v_mov_b32_e32 v7, 0
	v_lshlrev_b64 v[6:7], 3, v[6:7]
	v_mov_b32_e32 v35, s51
	v_add_co_u32_e32 v6, vcc, s49, v6
	v_addc_co_u32_e32 v7, vcc, v35, v7, vcc
	global_load_dwordx2 v[6:7], v[6:7], off
	s_or_b64 exec, exec, s[4:5]
	s_and_saveexec_b64 s[4:5], s[6:7]
	s_cbranch_execz .LBB250_27
.LBB250_81:
	v_mul_lo_u32 v8, v33, s52
	v_mov_b32_e32 v9, 0
	v_lshlrev_b64 v[8:9], 3, v[8:9]
	v_mov_b32_e32 v33, s51
	v_add_co_u32_e32 v8, vcc, s49, v8
	v_addc_co_u32_e32 v9, vcc, v33, v9, vcc
	global_load_dwordx2 v[8:9], v[8:9], off
	s_or_b64 exec, exec, s[4:5]
	s_and_saveexec_b64 s[4:5], s[8:9]
	s_cbranch_execz .LBB250_28
.LBB250_82:
	v_mul_lo_u32 v10, v30, s52
	v_mov_b32_e32 v11, 0
	v_lshlrev_b64 v[10:11], 3, v[10:11]
	v_mov_b32_e32 v30, s51
	v_add_co_u32_e32 v10, vcc, s49, v10
	v_addc_co_u32_e32 v11, vcc, v30, v11, vcc
	global_load_dwordx2 v[10:11], v[10:11], off
	s_or_b64 exec, exec, s[4:5]
	s_and_saveexec_b64 s[4:5], s[10:11]
	s_cbranch_execz .LBB250_29
.LBB250_83:
	v_mul_lo_u32 v12, v28, s52
	v_mov_b32_e32 v13, 0
	v_lshlrev_b64 v[12:13], 3, v[12:13]
	v_mov_b32_e32 v28, s51
	v_add_co_u32_e32 v12, vcc, s49, v12
	v_addc_co_u32_e32 v13, vcc, v28, v13, vcc
	global_load_dwordx2 v[12:13], v[12:13], off
	s_or_b64 exec, exec, s[4:5]
	s_and_saveexec_b64 s[4:5], s[12:13]
	s_cbranch_execz .LBB250_30
.LBB250_84:
	v_mul_lo_u32 v14, v26, s52
	v_mov_b32_e32 v15, 0
	v_lshlrev_b64 v[14:15], 3, v[14:15]
	v_mov_b32_e32 v26, s51
	v_add_co_u32_e32 v14, vcc, s49, v14
	v_addc_co_u32_e32 v15, vcc, v26, v15, vcc
	global_load_dwordx2 v[14:15], v[14:15], off
	s_or_b64 exec, exec, s[4:5]
	s_xor_b64 s[4:5], s[34:35], -1
	s_and_saveexec_b64 s[16:17], s[14:15]
	s_cbranch_execnz .LBB250_31
	s_branch .LBB250_32
.LBB250_85:
                                        ; implicit-def: $vgpr36_vgpr37
                                        ; implicit-def: $vgpr32_vgpr33
                                        ; implicit-def: $vgpr28_vgpr29
                                        ; implicit-def: $vgpr24_vgpr25
                                        ; implicit-def: $vgpr40_vgpr41
	s_cbranch_execz .LBB250_131
; %bb.86:
	s_waitcnt lgkmcnt(3)
	v_mov_b32_e32 v22, 0
	s_waitcnt lgkmcnt(0)
	v_mov_b32_e32 v35, 0x7fff
	v_cmp_gt_i16_e32 vcc, 0, v19
	v_cmp_lt_i16_sdwa s[4:5], v19, v22 src0_sel:WORD_1 src1_sel:DWORD
	v_cndmask_b32_e64 v23, v35, 0, vcc
	v_cmp_gt_i16_e32 vcc, 0, v18
	v_cndmask_b32_e64 v25, v35, 0, s[4:5]
	v_cmp_lt_i16_sdwa s[4:5], v18, v22 src0_sel:WORD_1 src1_sel:DWORD
	v_cndmask_b32_e64 v24, v35, 0, vcc
	v_cndmask_b32_e64 v27, v35, 0, s[4:5]
	v_cmp_gt_i16_e32 vcc, 0, v21
	v_cmp_lt_i16_sdwa s[4:5], v21, v22 src0_sel:WORD_1 src1_sel:DWORD
	v_xor_b32_sdwa v25, v25, v19 dst_sel:DWORD dst_unused:UNUSED_PAD src0_sel:DWORD src1_sel:WORD_1
	v_xor_b32_e32 v19, v23, v19
	v_cndmask_b32_e64 v23, v35, 0, vcc
	v_cmp_gt_i16_e32 vcc, 0, v20
	v_cndmask_b32_e64 v28, v35, 0, s[4:5]
	v_cmp_lt_i16_sdwa s[4:5], v20, v22 src0_sel:WORD_1 src1_sel:DWORD
	v_mbcnt_hi_u32_b32 v26, -1, v67
	v_and_b32_e32 v34, 0x3c0, v46
	v_xor_b32_sdwa v27, v27, v18 dst_sel:DWORD dst_unused:UNUSED_PAD src0_sel:DWORD src1_sel:WORD_1
	v_xor_b32_e32 v18, v24, v18
	v_cndmask_b32_e64 v24, v35, 0, vcc
	v_cndmask_b32_e64 v29, v35, 0, s[4:5]
	v_add_u32_e32 v0, v26, v34
	v_xor_b32_sdwa v29, v29, v20 dst_sel:DWORD dst_unused:UNUSED_PAD src0_sel:DWORD src1_sel:WORD_1
	v_xor_b32_sdwa v28, v28, v21 dst_sel:DWORD dst_unused:UNUSED_PAD src0_sel:DWORD src1_sel:WORD_1
	v_xor_b32_e32 v20, v24, v20
	v_xor_b32_e32 v21, v23, v21
	s_mov_b32 s4, 0x5040100
	v_lshlrev_b32_e32 v1, 4, v0
	v_perm_b32 v21, v28, v21, s4
	v_perm_b32 v20, v29, v20, s4
	;; [unrolled: 1-line block ×4, first 2 shown]
	v_and_b32_e32 v36, 0x1e00, v63
	ds_write_b128 v1, v[18:21]
	v_or_b32_e32 v1, v26, v36
	v_lshlrev_b32_e32 v18, 1, v1
	v_lshlrev_b32_e32 v0, 6, v0
	; wave barrier
	ds_read_u16 v33, v18
	ds_read_u16 v32, v18 offset:128
	ds_read_u16 v31, v18 offset:256
	;; [unrolled: 1-line block ×7, first 2 shown]
	s_waitcnt lgkmcnt(0)
	s_barrier
	ds_write2_b64 v0, v[14:15], v[16:17] offset1:1
	ds_write2_b64 v0, v[10:11], v[12:13] offset0:2 offset1:3
	ds_write2_b64 v0, v[6:7], v[8:9] offset0:4 offset1:5
	;; [unrolled: 1-line block ×3, first 2 shown]
	v_lshlrev_b32_e32 v0, 3, v1
	; wave barrier
	ds_read2st64_b64 v[12:15], v0 offset1:1
	ds_read2st64_b64 v[8:11], v0 offset0:2 offset1:3
	ds_read2st64_b64 v[4:7], v0 offset0:4 offset1:5
	;; [unrolled: 1-line block ×3, first 2 shown]
	s_waitcnt lgkmcnt(0)
	s_barrier
	s_load_dword s16, s[54:55], 0xc
	s_getpc_b64 s[4:5]
	s_add_u32 s4, s4, _ZN7rocprim17ROCPRIM_400000_NS16block_radix_sortI12hip_bfloat16Lj512ELj8ElLj1ELj1ELj0ELNS0_26block_radix_rank_algorithmE1ELNS0_18block_padding_hintE2ELNS0_4arch9wavefront6targetE1EE19radix_bits_per_passE@rel32@lo+4
	s_addc_u32 s5, s5, _ZN7rocprim17ROCPRIM_400000_NS16block_radix_sortI12hip_bfloat16Lj512ELj8ElLj1ELj1ELj0ELNS0_26block_radix_rank_algorithmE1ELNS0_18block_padding_hintE2ELNS0_4arch9wavefront6targetE1EE19radix_bits_per_passE@rel32@hi+12
	s_load_dword s46, s[4:5], 0x0
	s_movk_i32 s17, 0x8000
	v_cmp_ne_u16_e32 vcc, s17, v33
	s_waitcnt lgkmcnt(0)
	s_lshr_b32 s4, s16, 16
	s_and_b32 s5, s16, 0xffff
	v_mad_u32_u24 v16, v66, s4, v65
	v_mad_u64_u32 v[16:17], s[4:5], v16, s5, v[46:47]
	s_min_u32 s4, s46, 16
	s_lshl_b32 s4, -1, s4
	v_lshrrev_b32_e32 v24, 6, v16
	s_not_b32 s16, s4
	v_cndmask_b32_e32 v16, v35, v33, vcc
	v_and_b32_sdwa v16, s16, v16 dst_sel:DWORD dst_unused:UNUSED_PAD src0_sel:DWORD src1_sel:WORD_0
	v_lshlrev_b32_e32 v17, 3, v16
	v_add_lshl_u32 v37, v24, v17, 2
	v_and_b32_e32 v17, 1, v16
	v_add_co_u32_e32 v18, vcc, -1, v17
	v_addc_co_u32_e64 v19, s[4:5], 0, -1, vcc
	v_cmp_ne_u32_e32 vcc, 0, v17
	v_lshlrev_b32_e32 v23, 30, v16
	v_xor_b32_e32 v17, vcc_hi, v19
	v_not_b32_e32 v19, v23
	v_xor_b32_e32 v18, vcc_lo, v18
	v_cmp_gt_i64_e32 vcc, 0, v[22:23]
	v_ashrrev_i32_e32 v19, 31, v19
	v_and_b32_e32 v18, exec_lo, v18
	v_xor_b32_e32 v20, vcc_hi, v19
	v_xor_b32_e32 v19, vcc_lo, v19
	v_lshlrev_b32_e32 v23, 29, v16
	v_and_b32_e32 v18, v18, v19
	v_not_b32_e32 v19, v23
	v_and_b32_e32 v17, exec_hi, v17
	v_cmp_gt_i64_e32 vcc, 0, v[22:23]
	v_ashrrev_i32_e32 v19, 31, v19
	v_and_b32_e32 v17, v17, v20
	v_xor_b32_e32 v20, vcc_hi, v19
	v_xor_b32_e32 v19, vcc_lo, v19
	v_lshlrev_b32_e32 v23, 28, v16
	v_and_b32_e32 v18, v18, v19
	v_not_b32_e32 v19, v23
	v_cmp_gt_i64_e32 vcc, 0, v[22:23]
	v_ashrrev_i32_e32 v19, 31, v19
	v_and_b32_e32 v17, v17, v20
	v_xor_b32_e32 v20, vcc_hi, v19
	v_xor_b32_e32 v19, vcc_lo, v19
	v_lshlrev_b32_e32 v23, 27, v16
	v_and_b32_e32 v18, v18, v19
	v_not_b32_e32 v19, v23
	;; [unrolled: 8-line block ×3, first 2 shown]
	v_cmp_gt_i64_e32 vcc, 0, v[22:23]
	v_ashrrev_i32_e32 v19, 31, v19
	v_and_b32_e32 v17, v17, v20
	v_xor_b32_e32 v20, vcc_hi, v19
	v_xor_b32_e32 v19, vcc_lo, v19
	v_lshlrev_b32_e32 v23, 25, v16
	v_and_b32_e32 v18, v18, v19
	v_cmp_gt_i64_e32 vcc, 0, v[22:23]
	v_not_b32_e32 v19, v23
	v_lshlrev_b32_e32 v23, 24, v16
	v_ashrrev_i32_e32 v19, 31, v19
	v_not_b32_e32 v16, v23
	v_and_b32_e32 v17, v17, v20
	v_xor_b32_e32 v20, vcc_hi, v19
	v_xor_b32_e32 v19, vcc_lo, v19
	v_cmp_gt_i64_e32 vcc, 0, v[22:23]
	v_ashrrev_i32_e32 v16, 31, v16
	v_and_b32_e32 v18, v18, v19
	v_xor_b32_e32 v19, vcc_hi, v16
	v_xor_b32_e32 v16, vcc_lo, v16
	v_and_b32_e32 v17, v17, v20
	v_and_b32_e32 v16, v18, v16
	;; [unrolled: 1-line block ×3, first 2 shown]
	v_mbcnt_lo_u32_b32 v18, v16, 0
	v_mbcnt_hi_u32_b32 v38, v17, v18
	v_cmp_eq_u32_e32 vcc, 0, v38
	v_cmp_ne_u64_e64 s[4:5], 0, v[16:17]
	s_and_b64 s[18:19], s[4:5], vcc
	ds_write2_b32 v64, v22, v22 offset0:8 offset1:9
	ds_write2_b32 v64, v22, v22 offset0:10 offset1:11
	s_waitcnt lgkmcnt(0)
	s_barrier
	s_waitcnt lgkmcnt(0)
	; wave barrier
	s_and_saveexec_b64 s[4:5], s[18:19]
	s_cbranch_execz .LBB250_88
; %bb.87:
	v_bcnt_u32_b32 v16, v16, 0
	v_bcnt_u32_b32 v16, v17, v16
	ds_write_b32 v37, v16 offset:32
.LBB250_88:
	s_or_b64 exec, exec, s[4:5]
	v_cmp_ne_u16_e32 vcc, s17, v32
	v_cndmask_b32_e32 v16, v35, v32, vcc
	v_and_b32_sdwa v16, s16, v16 dst_sel:DWORD dst_unused:UNUSED_PAD src0_sel:DWORD src1_sel:WORD_0
	v_lshlrev_b32_e32 v17, 3, v16
	v_add_lshl_u32 v40, v24, v17, 2
	v_and_b32_e32 v17, 1, v16
	v_add_co_u32_e32 v18, vcc, -1, v17
	v_addc_co_u32_e64 v19, s[4:5], 0, -1, vcc
	v_cmp_ne_u32_e32 vcc, 0, v17
	v_lshlrev_b32_e32 v23, 30, v16
	v_xor_b32_e32 v17, vcc_hi, v19
	v_not_b32_e32 v19, v23
	v_xor_b32_e32 v18, vcc_lo, v18
	v_cmp_gt_i64_e32 vcc, 0, v[22:23]
	v_ashrrev_i32_e32 v19, 31, v19
	v_and_b32_e32 v18, exec_lo, v18
	v_xor_b32_e32 v20, vcc_hi, v19
	v_xor_b32_e32 v19, vcc_lo, v19
	v_lshlrev_b32_e32 v23, 29, v16
	v_and_b32_e32 v18, v18, v19
	v_not_b32_e32 v19, v23
	v_and_b32_e32 v17, exec_hi, v17
	v_cmp_gt_i64_e32 vcc, 0, v[22:23]
	v_ashrrev_i32_e32 v19, 31, v19
	v_and_b32_e32 v17, v17, v20
	v_xor_b32_e32 v20, vcc_hi, v19
	v_xor_b32_e32 v19, vcc_lo, v19
	v_lshlrev_b32_e32 v23, 28, v16
	v_and_b32_e32 v18, v18, v19
	v_not_b32_e32 v19, v23
	v_cmp_gt_i64_e32 vcc, 0, v[22:23]
	v_ashrrev_i32_e32 v19, 31, v19
	v_and_b32_e32 v17, v17, v20
	v_xor_b32_e32 v20, vcc_hi, v19
	v_xor_b32_e32 v19, vcc_lo, v19
	v_lshlrev_b32_e32 v23, 27, v16
	v_and_b32_e32 v18, v18, v19
	v_not_b32_e32 v19, v23
	;; [unrolled: 8-line block ×3, first 2 shown]
	v_cmp_gt_i64_e32 vcc, 0, v[22:23]
	v_ashrrev_i32_e32 v19, 31, v19
	v_and_b32_e32 v17, v17, v20
	v_xor_b32_e32 v20, vcc_hi, v19
	v_xor_b32_e32 v19, vcc_lo, v19
	v_lshlrev_b32_e32 v23, 25, v16
	v_and_b32_e32 v18, v18, v19
	v_cmp_gt_i64_e32 vcc, 0, v[22:23]
	v_not_b32_e32 v19, v23
	v_lshlrev_b32_e32 v23, 24, v16
	v_ashrrev_i32_e32 v19, 31, v19
	v_not_b32_e32 v16, v23
	v_and_b32_e32 v17, v17, v20
	v_xor_b32_e32 v20, vcc_hi, v19
	v_xor_b32_e32 v19, vcc_lo, v19
	v_cmp_gt_i64_e32 vcc, 0, v[22:23]
	v_ashrrev_i32_e32 v16, 31, v16
	v_and_b32_e32 v18, v18, v19
	v_xor_b32_e32 v19, vcc_hi, v16
	v_xor_b32_e32 v16, vcc_lo, v16
	; wave barrier
	ds_read_b32 v39, v40 offset:32
	v_and_b32_e32 v17, v17, v20
	v_and_b32_e32 v16, v18, v16
	;; [unrolled: 1-line block ×3, first 2 shown]
	v_mbcnt_lo_u32_b32 v18, v16, 0
	v_mbcnt_hi_u32_b32 v41, v17, v18
	v_cmp_eq_u32_e32 vcc, 0, v41
	v_cmp_ne_u64_e64 s[4:5], 0, v[16:17]
	s_and_b64 s[18:19], s[4:5], vcc
	; wave barrier
	s_and_saveexec_b64 s[4:5], s[18:19]
	s_cbranch_execz .LBB250_90
; %bb.89:
	v_bcnt_u32_b32 v16, v16, 0
	v_bcnt_u32_b32 v16, v17, v16
	s_waitcnt lgkmcnt(0)
	v_add_u32_e32 v16, v39, v16
	ds_write_b32 v40, v16 offset:32
.LBB250_90:
	s_or_b64 exec, exec, s[4:5]
	v_mov_b32_e32 v20, 0x7fff
	v_cmp_ne_u16_e32 vcc, s17, v31
	v_cndmask_b32_e32 v16, v20, v31, vcc
	v_and_b32_sdwa v18, s16, v16 dst_sel:DWORD dst_unused:UNUSED_PAD src0_sel:DWORD src1_sel:WORD_0
	v_and_b32_e32 v17, 1, v18
	v_add_co_u32_e32 v19, vcc, -1, v17
	v_addc_co_u32_e64 v21, s[4:5], 0, -1, vcc
	v_cmp_ne_u32_e32 vcc, 0, v17
	v_lshlrev_b32_e32 v16, 3, v18
	v_xor_b32_e32 v17, vcc_hi, v21
	v_add_lshl_u32 v66, v24, v16, 2
	v_mov_b32_e32 v16, 0
	v_and_b32_e32 v21, exec_hi, v17
	v_lshlrev_b32_e32 v17, 30, v18
	v_xor_b32_e32 v19, vcc_lo, v19
	v_cmp_gt_i64_e32 vcc, 0, v[16:17]
	v_not_b32_e32 v17, v17
	v_ashrrev_i32_e32 v17, 31, v17
	v_and_b32_e32 v19, exec_lo, v19
	v_xor_b32_e32 v22, vcc_hi, v17
	v_xor_b32_e32 v17, vcc_lo, v17
	v_and_b32_e32 v19, v19, v17
	v_lshlrev_b32_e32 v17, 29, v18
	v_cmp_gt_i64_e32 vcc, 0, v[16:17]
	v_not_b32_e32 v17, v17
	v_ashrrev_i32_e32 v17, 31, v17
	v_and_b32_e32 v21, v21, v22
	v_xor_b32_e32 v22, vcc_hi, v17
	v_xor_b32_e32 v17, vcc_lo, v17
	v_and_b32_e32 v19, v19, v17
	v_lshlrev_b32_e32 v17, 28, v18
	v_cmp_gt_i64_e32 vcc, 0, v[16:17]
	v_not_b32_e32 v17, v17
	v_ashrrev_i32_e32 v17, 31, v17
	v_and_b32_e32 v21, v21, v22
	;; [unrolled: 8-line block ×5, first 2 shown]
	v_xor_b32_e32 v22, vcc_hi, v17
	v_xor_b32_e32 v17, vcc_lo, v17
	v_and_b32_e32 v21, v21, v22
	v_and_b32_e32 v22, v19, v17
	v_lshlrev_b32_e32 v17, 24, v18
	v_cmp_gt_i64_e32 vcc, 0, v[16:17]
	v_not_b32_e32 v17, v17
	v_ashrrev_i32_e32 v17, 31, v17
	v_xor_b32_e32 v18, vcc_hi, v17
	v_xor_b32_e32 v17, vcc_lo, v17
	; wave barrier
	ds_read_b32 v65, v66 offset:32
	v_and_b32_e32 v19, v21, v18
	v_and_b32_e32 v18, v22, v17
	v_mbcnt_lo_u32_b32 v17, v18, 0
	v_mbcnt_hi_u32_b32 v67, v19, v17
	v_cmp_eq_u32_e32 vcc, 0, v67
	v_cmp_ne_u64_e64 s[4:5], 0, v[18:19]
	s_and_b64 s[18:19], s[4:5], vcc
	; wave barrier
	s_and_saveexec_b64 s[4:5], s[18:19]
	s_cbranch_execz .LBB250_92
; %bb.91:
	v_bcnt_u32_b32 v17, v18, 0
	v_bcnt_u32_b32 v17, v19, v17
	s_waitcnt lgkmcnt(0)
	v_add_u32_e32 v17, v65, v17
	ds_write_b32 v66, v17 offset:32
.LBB250_92:
	s_or_b64 exec, exec, s[4:5]
	v_cmp_ne_u16_e32 vcc, s17, v30
	v_cndmask_b32_e32 v17, v20, v30, vcc
	v_and_b32_sdwa v18, s16, v17 dst_sel:DWORD dst_unused:UNUSED_PAD src0_sel:DWORD src1_sel:WORD_0
	v_lshlrev_b32_e32 v17, 3, v18
	v_add_lshl_u32 v69, v24, v17, 2
	v_and_b32_e32 v17, 1, v18
	v_add_co_u32_e32 v19, vcc, -1, v17
	v_addc_co_u32_e64 v20, s[4:5], 0, -1, vcc
	v_cmp_ne_u32_e32 vcc, 0, v17
	v_xor_b32_e32 v17, vcc_hi, v20
	v_and_b32_e32 v20, exec_hi, v17
	v_lshlrev_b32_e32 v17, 30, v18
	v_xor_b32_e32 v19, vcc_lo, v19
	v_cmp_gt_i64_e32 vcc, 0, v[16:17]
	v_not_b32_e32 v17, v17
	v_ashrrev_i32_e32 v17, 31, v17
	v_and_b32_e32 v19, exec_lo, v19
	v_xor_b32_e32 v21, vcc_hi, v17
	v_xor_b32_e32 v17, vcc_lo, v17
	v_and_b32_e32 v19, v19, v17
	v_lshlrev_b32_e32 v17, 29, v18
	v_cmp_gt_i64_e32 vcc, 0, v[16:17]
	v_not_b32_e32 v17, v17
	v_ashrrev_i32_e32 v17, 31, v17
	v_and_b32_e32 v20, v20, v21
	v_xor_b32_e32 v21, vcc_hi, v17
	v_xor_b32_e32 v17, vcc_lo, v17
	v_and_b32_e32 v19, v19, v17
	v_lshlrev_b32_e32 v17, 28, v18
	v_cmp_gt_i64_e32 vcc, 0, v[16:17]
	v_not_b32_e32 v17, v17
	v_ashrrev_i32_e32 v17, 31, v17
	v_and_b32_e32 v20, v20, v21
	;; [unrolled: 8-line block ×5, first 2 shown]
	v_xor_b32_e32 v21, vcc_hi, v17
	v_xor_b32_e32 v17, vcc_lo, v17
	v_and_b32_e32 v19, v19, v17
	v_lshlrev_b32_e32 v17, 24, v18
	v_cmp_gt_i64_e32 vcc, 0, v[16:17]
	v_not_b32_e32 v16, v17
	v_ashrrev_i32_e32 v16, 31, v16
	v_xor_b32_e32 v17, vcc_hi, v16
	v_xor_b32_e32 v16, vcc_lo, v16
	; wave barrier
	ds_read_b32 v68, v69 offset:32
	v_and_b32_e32 v20, v20, v21
	v_and_b32_e32 v16, v19, v16
	v_and_b32_e32 v17, v20, v17
	v_mbcnt_lo_u32_b32 v18, v16, 0
	v_mbcnt_hi_u32_b32 v70, v17, v18
	v_cmp_eq_u32_e32 vcc, 0, v70
	v_cmp_ne_u64_e64 s[4:5], 0, v[16:17]
	s_and_b64 s[18:19], s[4:5], vcc
	; wave barrier
	s_and_saveexec_b64 s[4:5], s[18:19]
	s_cbranch_execz .LBB250_94
; %bb.93:
	v_bcnt_u32_b32 v16, v16, 0
	v_bcnt_u32_b32 v16, v17, v16
	s_waitcnt lgkmcnt(0)
	v_add_u32_e32 v16, v68, v16
	ds_write_b32 v69, v16 offset:32
.LBB250_94:
	s_or_b64 exec, exec, s[4:5]
	v_mov_b32_e32 v20, 0x7fff
	v_cmp_ne_u16_e32 vcc, s17, v29
	v_cndmask_b32_e32 v16, v20, v29, vcc
	v_and_b32_sdwa v18, s16, v16 dst_sel:DWORD dst_unused:UNUSED_PAD src0_sel:DWORD src1_sel:WORD_0
	v_and_b32_e32 v17, 1, v18
	v_add_co_u32_e32 v19, vcc, -1, v17
	v_addc_co_u32_e64 v21, s[4:5], 0, -1, vcc
	v_cmp_ne_u32_e32 vcc, 0, v17
	v_lshlrev_b32_e32 v16, 3, v18
	v_xor_b32_e32 v17, vcc_hi, v21
	v_add_lshl_u32 v72, v24, v16, 2
	v_mov_b32_e32 v16, 0
	v_and_b32_e32 v21, exec_hi, v17
	v_lshlrev_b32_e32 v17, 30, v18
	v_xor_b32_e32 v19, vcc_lo, v19
	v_cmp_gt_i64_e32 vcc, 0, v[16:17]
	v_not_b32_e32 v17, v17
	v_ashrrev_i32_e32 v17, 31, v17
	v_and_b32_e32 v19, exec_lo, v19
	v_xor_b32_e32 v22, vcc_hi, v17
	v_xor_b32_e32 v17, vcc_lo, v17
	v_and_b32_e32 v19, v19, v17
	v_lshlrev_b32_e32 v17, 29, v18
	v_cmp_gt_i64_e32 vcc, 0, v[16:17]
	v_not_b32_e32 v17, v17
	v_ashrrev_i32_e32 v17, 31, v17
	v_and_b32_e32 v21, v21, v22
	v_xor_b32_e32 v22, vcc_hi, v17
	v_xor_b32_e32 v17, vcc_lo, v17
	v_and_b32_e32 v19, v19, v17
	v_lshlrev_b32_e32 v17, 28, v18
	v_cmp_gt_i64_e32 vcc, 0, v[16:17]
	v_not_b32_e32 v17, v17
	v_ashrrev_i32_e32 v17, 31, v17
	v_and_b32_e32 v21, v21, v22
	;; [unrolled: 8-line block ×5, first 2 shown]
	v_xor_b32_e32 v22, vcc_hi, v17
	v_xor_b32_e32 v17, vcc_lo, v17
	v_and_b32_e32 v21, v21, v22
	v_and_b32_e32 v22, v19, v17
	v_lshlrev_b32_e32 v17, 24, v18
	v_cmp_gt_i64_e32 vcc, 0, v[16:17]
	v_not_b32_e32 v17, v17
	v_ashrrev_i32_e32 v17, 31, v17
	v_xor_b32_e32 v18, vcc_hi, v17
	v_xor_b32_e32 v17, vcc_lo, v17
	; wave barrier
	ds_read_b32 v71, v72 offset:32
	v_and_b32_e32 v19, v21, v18
	v_and_b32_e32 v18, v22, v17
	v_mbcnt_lo_u32_b32 v17, v18, 0
	v_mbcnt_hi_u32_b32 v73, v19, v17
	v_cmp_eq_u32_e32 vcc, 0, v73
	v_cmp_ne_u64_e64 s[4:5], 0, v[18:19]
	s_and_b64 s[18:19], s[4:5], vcc
	; wave barrier
	s_and_saveexec_b64 s[4:5], s[18:19]
	s_cbranch_execz .LBB250_96
; %bb.95:
	v_bcnt_u32_b32 v17, v18, 0
	v_bcnt_u32_b32 v17, v19, v17
	s_waitcnt lgkmcnt(0)
	v_add_u32_e32 v17, v71, v17
	ds_write_b32 v72, v17 offset:32
.LBB250_96:
	s_or_b64 exec, exec, s[4:5]
	v_cmp_ne_u16_e32 vcc, s17, v28
	v_cndmask_b32_e32 v17, v20, v28, vcc
	v_and_b32_sdwa v18, s16, v17 dst_sel:DWORD dst_unused:UNUSED_PAD src0_sel:DWORD src1_sel:WORD_0
	v_lshlrev_b32_e32 v17, 3, v18
	v_add_lshl_u32 v75, v24, v17, 2
	v_and_b32_e32 v17, 1, v18
	v_add_co_u32_e32 v19, vcc, -1, v17
	v_addc_co_u32_e64 v20, s[4:5], 0, -1, vcc
	v_cmp_ne_u32_e32 vcc, 0, v17
	v_xor_b32_e32 v17, vcc_hi, v20
	v_and_b32_e32 v20, exec_hi, v17
	v_lshlrev_b32_e32 v17, 30, v18
	v_xor_b32_e32 v19, vcc_lo, v19
	v_cmp_gt_i64_e32 vcc, 0, v[16:17]
	v_not_b32_e32 v17, v17
	v_ashrrev_i32_e32 v17, 31, v17
	v_and_b32_e32 v19, exec_lo, v19
	v_xor_b32_e32 v21, vcc_hi, v17
	v_xor_b32_e32 v17, vcc_lo, v17
	v_and_b32_e32 v19, v19, v17
	v_lshlrev_b32_e32 v17, 29, v18
	v_cmp_gt_i64_e32 vcc, 0, v[16:17]
	v_not_b32_e32 v17, v17
	v_ashrrev_i32_e32 v17, 31, v17
	v_and_b32_e32 v20, v20, v21
	v_xor_b32_e32 v21, vcc_hi, v17
	v_xor_b32_e32 v17, vcc_lo, v17
	v_and_b32_e32 v19, v19, v17
	v_lshlrev_b32_e32 v17, 28, v18
	v_cmp_gt_i64_e32 vcc, 0, v[16:17]
	v_not_b32_e32 v17, v17
	v_ashrrev_i32_e32 v17, 31, v17
	v_and_b32_e32 v20, v20, v21
	;; [unrolled: 8-line block ×5, first 2 shown]
	v_xor_b32_e32 v21, vcc_hi, v17
	v_xor_b32_e32 v17, vcc_lo, v17
	v_and_b32_e32 v19, v19, v17
	v_lshlrev_b32_e32 v17, 24, v18
	v_cmp_gt_i64_e32 vcc, 0, v[16:17]
	v_not_b32_e32 v16, v17
	v_ashrrev_i32_e32 v16, 31, v16
	v_xor_b32_e32 v17, vcc_hi, v16
	v_xor_b32_e32 v16, vcc_lo, v16
	; wave barrier
	ds_read_b32 v74, v75 offset:32
	v_and_b32_e32 v20, v20, v21
	v_and_b32_e32 v16, v19, v16
	;; [unrolled: 1-line block ×3, first 2 shown]
	v_mbcnt_lo_u32_b32 v18, v16, 0
	v_mbcnt_hi_u32_b32 v76, v17, v18
	v_cmp_eq_u32_e32 vcc, 0, v76
	v_cmp_ne_u64_e64 s[4:5], 0, v[16:17]
	s_and_b64 s[18:19], s[4:5], vcc
	; wave barrier
	s_and_saveexec_b64 s[4:5], s[18:19]
	s_cbranch_execz .LBB250_98
; %bb.97:
	v_bcnt_u32_b32 v16, v16, 0
	v_bcnt_u32_b32 v16, v17, v16
	s_waitcnt lgkmcnt(0)
	v_add_u32_e32 v16, v74, v16
	ds_write_b32 v75, v16 offset:32
.LBB250_98:
	s_or_b64 exec, exec, s[4:5]
	v_mov_b32_e32 v20, 0x7fff
	v_cmp_ne_u16_e32 vcc, s17, v27
	v_cndmask_b32_e32 v16, v20, v27, vcc
	v_and_b32_sdwa v18, s16, v16 dst_sel:DWORD dst_unused:UNUSED_PAD src0_sel:DWORD src1_sel:WORD_0
	v_and_b32_e32 v17, 1, v18
	v_add_co_u32_e32 v19, vcc, -1, v17
	v_addc_co_u32_e64 v21, s[4:5], 0, -1, vcc
	v_cmp_ne_u32_e32 vcc, 0, v17
	v_lshlrev_b32_e32 v16, 3, v18
	v_xor_b32_e32 v17, vcc_hi, v21
	v_add_lshl_u32 v78, v24, v16, 2
	v_mov_b32_e32 v16, 0
	v_and_b32_e32 v21, exec_hi, v17
	v_lshlrev_b32_e32 v17, 30, v18
	v_xor_b32_e32 v19, vcc_lo, v19
	v_cmp_gt_i64_e32 vcc, 0, v[16:17]
	v_not_b32_e32 v17, v17
	v_ashrrev_i32_e32 v17, 31, v17
	v_and_b32_e32 v19, exec_lo, v19
	v_xor_b32_e32 v22, vcc_hi, v17
	v_xor_b32_e32 v17, vcc_lo, v17
	v_and_b32_e32 v19, v19, v17
	v_lshlrev_b32_e32 v17, 29, v18
	v_cmp_gt_i64_e32 vcc, 0, v[16:17]
	v_not_b32_e32 v17, v17
	v_ashrrev_i32_e32 v17, 31, v17
	v_and_b32_e32 v21, v21, v22
	v_xor_b32_e32 v22, vcc_hi, v17
	v_xor_b32_e32 v17, vcc_lo, v17
	v_and_b32_e32 v19, v19, v17
	v_lshlrev_b32_e32 v17, 28, v18
	v_cmp_gt_i64_e32 vcc, 0, v[16:17]
	v_not_b32_e32 v17, v17
	v_ashrrev_i32_e32 v17, 31, v17
	v_and_b32_e32 v21, v21, v22
	;; [unrolled: 8-line block ×5, first 2 shown]
	v_xor_b32_e32 v22, vcc_hi, v17
	v_xor_b32_e32 v17, vcc_lo, v17
	v_and_b32_e32 v21, v21, v22
	v_and_b32_e32 v22, v19, v17
	v_lshlrev_b32_e32 v17, 24, v18
	v_cmp_gt_i64_e32 vcc, 0, v[16:17]
	v_not_b32_e32 v17, v17
	v_ashrrev_i32_e32 v17, 31, v17
	v_xor_b32_e32 v18, vcc_hi, v17
	v_xor_b32_e32 v17, vcc_lo, v17
	; wave barrier
	ds_read_b32 v77, v78 offset:32
	v_and_b32_e32 v19, v21, v18
	v_and_b32_e32 v18, v22, v17
	v_mbcnt_lo_u32_b32 v17, v18, 0
	v_mbcnt_hi_u32_b32 v79, v19, v17
	v_cmp_eq_u32_e32 vcc, 0, v79
	v_cmp_ne_u64_e64 s[4:5], 0, v[18:19]
	s_and_b64 s[18:19], s[4:5], vcc
	; wave barrier
	s_and_saveexec_b64 s[4:5], s[18:19]
	s_cbranch_execz .LBB250_100
; %bb.99:
	v_bcnt_u32_b32 v17, v18, 0
	v_bcnt_u32_b32 v17, v19, v17
	s_waitcnt lgkmcnt(0)
	v_add_u32_e32 v17, v77, v17
	ds_write_b32 v78, v17 offset:32
.LBB250_100:
	s_or_b64 exec, exec, s[4:5]
	v_cmp_ne_u16_e32 vcc, s17, v25
	v_cndmask_b32_e32 v17, v20, v25, vcc
	v_and_b32_sdwa v18, s16, v17 dst_sel:DWORD dst_unused:UNUSED_PAD src0_sel:DWORD src1_sel:WORD_0
	v_lshlrev_b32_e32 v17, 3, v18
	v_add_lshl_u32 v81, v24, v17, 2
	v_and_b32_e32 v17, 1, v18
	v_add_co_u32_e32 v19, vcc, -1, v17
	v_addc_co_u32_e64 v20, s[4:5], 0, -1, vcc
	v_cmp_ne_u32_e32 vcc, 0, v17
	v_xor_b32_e32 v17, vcc_hi, v20
	v_and_b32_e32 v20, exec_hi, v17
	v_lshlrev_b32_e32 v17, 30, v18
	v_xor_b32_e32 v19, vcc_lo, v19
	v_cmp_gt_i64_e32 vcc, 0, v[16:17]
	v_not_b32_e32 v17, v17
	v_ashrrev_i32_e32 v17, 31, v17
	v_and_b32_e32 v19, exec_lo, v19
	v_xor_b32_e32 v21, vcc_hi, v17
	v_xor_b32_e32 v17, vcc_lo, v17
	v_and_b32_e32 v19, v19, v17
	v_lshlrev_b32_e32 v17, 29, v18
	v_cmp_gt_i64_e32 vcc, 0, v[16:17]
	v_not_b32_e32 v17, v17
	v_ashrrev_i32_e32 v17, 31, v17
	v_and_b32_e32 v20, v20, v21
	v_xor_b32_e32 v21, vcc_hi, v17
	v_xor_b32_e32 v17, vcc_lo, v17
	v_and_b32_e32 v19, v19, v17
	v_lshlrev_b32_e32 v17, 28, v18
	v_cmp_gt_i64_e32 vcc, 0, v[16:17]
	v_not_b32_e32 v17, v17
	v_ashrrev_i32_e32 v17, 31, v17
	v_and_b32_e32 v20, v20, v21
	;; [unrolled: 8-line block ×5, first 2 shown]
	v_xor_b32_e32 v21, vcc_hi, v17
	v_xor_b32_e32 v17, vcc_lo, v17
	v_and_b32_e32 v19, v19, v17
	v_lshlrev_b32_e32 v17, 24, v18
	v_cmp_gt_i64_e32 vcc, 0, v[16:17]
	v_not_b32_e32 v16, v17
	v_ashrrev_i32_e32 v16, 31, v16
	v_xor_b32_e32 v17, vcc_hi, v16
	v_xor_b32_e32 v16, vcc_lo, v16
	; wave barrier
	ds_read_b32 v80, v81 offset:32
	v_and_b32_e32 v20, v20, v21
	v_and_b32_e32 v16, v19, v16
	;; [unrolled: 1-line block ×3, first 2 shown]
	v_mbcnt_lo_u32_b32 v18, v16, 0
	v_mbcnt_hi_u32_b32 v82, v17, v18
	v_cmp_eq_u32_e32 vcc, 0, v82
	v_cmp_ne_u64_e64 s[4:5], 0, v[16:17]
	v_add_u32_e32 v22, 32, v64
	v_lshrrev_b32_e32 v23, 6, v46
	v_min_u32_e32 v34, 0x1c0, v34
	s_and_b64 s[16:17], s[4:5], vcc
	; wave barrier
	s_and_saveexec_b64 s[4:5], s[16:17]
	s_cbranch_execz .LBB250_102
; %bb.101:
	v_bcnt_u32_b32 v16, v16, 0
	v_bcnt_u32_b32 v16, v17, v16
	s_waitcnt lgkmcnt(0)
	v_add_u32_e32 v16, v80, v16
	ds_write_b32 v81, v16 offset:32
.LBB250_102:
	s_or_b64 exec, exec, s[4:5]
	; wave barrier
	s_waitcnt lgkmcnt(0)
	s_barrier
	ds_read2_b32 v[18:19], v64 offset0:8 offset1:9
	ds_read2_b32 v[20:21], v22 offset0:2 offset1:3
	v_and_b32_e32 v17, 16, v26
	v_cmp_eq_u32_e32 vcc, 0, v17
	v_or_b32_e32 v17, 63, v34
	v_cmp_eq_u32_e64 s[16:17], v17, v46
	s_waitcnt lgkmcnt(1)
	v_add_u32_e32 v17, v19, v18
	v_and_b32_e32 v16, 15, v26
	s_waitcnt lgkmcnt(0)
	v_add3_u32 v17, v17, v20, v21
	v_cmp_eq_u32_e64 s[24:25], 0, v16
	v_cmp_lt_u32_e64 s[26:27], 1, v16
	v_mov_b32_dpp v21, v17 row_shr:1 row_mask:0xf bank_mask:0xf
	v_cndmask_b32_e64 v21, v21, 0, s[24:25]
	v_add_u32_e32 v17, v21, v17
	v_cmp_lt_u32_e64 s[30:31], 3, v16
	v_cmp_lt_u32_e64 s[34:35], 7, v16
	v_mov_b32_dpp v21, v17 row_shr:2 row_mask:0xf bank_mask:0xf
	v_cndmask_b32_e64 v21, 0, v21, s[26:27]
	v_add_u32_e32 v17, v17, v21
	v_bfe_i32 v35, v26, 4, 1
	v_cmp_lt_u32_e64 s[36:37], 31, v26
	v_mov_b32_dpp v21, v17 row_shr:4 row_mask:0xf bank_mask:0xf
	v_cndmask_b32_e64 v21, 0, v21, s[30:31]
	v_add_u32_e32 v17, v17, v21
	v_lshlrev_b32_e32 v23, 2, v23
	s_nop 0
	v_mov_b32_dpp v21, v17 row_shr:8 row_mask:0xf bank_mask:0xf
	v_cndmask_b32_e64 v16, 0, v21, s[34:35]
	v_add_u32_e32 v16, v17, v16
	s_nop 1
	v_mov_b32_dpp v17, v16 row_bcast:15 row_mask:0xf bank_mask:0xf
	v_and_b32_e32 v17, v35, v17
	v_add_u32_e32 v16, v16, v17
	s_nop 1
	v_mov_b32_dpp v17, v16 row_bcast:31 row_mask:0xf bank_mask:0xf
	v_cndmask_b32_e64 v17, 0, v17, s[36:37]
	v_add_u32_e32 v17, v16, v17
	s_and_saveexec_b64 s[4:5], s[16:17]
	s_cbranch_execz .LBB250_104
; %bb.103:
	ds_write_b32 v23, v17
.LBB250_104:
	s_or_b64 exec, exec, s[4:5]
	v_and_b32_e32 v16, 7, v26
	v_cmp_gt_u32_e64 s[28:29], 8, v46
	v_lshlrev_b32_e32 v21, 2, v46
	v_cmp_eq_u32_e64 s[22:23], 0, v16
	v_cmp_lt_u32_e64 s[20:21], 1, v16
	v_cmp_lt_u32_e64 s[18:19], 3, v16
	s_waitcnt lgkmcnt(0)
	s_barrier
	s_and_saveexec_b64 s[4:5], s[28:29]
	s_cbranch_execz .LBB250_106
; %bb.105:
	ds_read_b32 v16, v21
	s_waitcnt lgkmcnt(0)
	s_nop 0
	v_mov_b32_dpp v34, v16 row_shr:1 row_mask:0xf bank_mask:0xf
	v_cndmask_b32_e64 v34, v34, 0, s[22:23]
	v_add_u32_e32 v16, v34, v16
	s_nop 1
	v_mov_b32_dpp v34, v16 row_shr:2 row_mask:0xf bank_mask:0xf
	v_cndmask_b32_e64 v34, 0, v34, s[20:21]
	v_add_u32_e32 v16, v16, v34
	;; [unrolled: 4-line block ×3, first 2 shown]
	ds_write_b32 v21, v16
.LBB250_106:
	s_or_b64 exec, exec, s[4:5]
	v_cmp_lt_u32_e64 s[38:39], 63, v46
	v_add_u32_e32 v34, -4, v23
	v_mov_b32_e32 v16, 0
	v_mov_b32_e32 v83, 0
	s_waitcnt lgkmcnt(0)
	s_barrier
	s_and_saveexec_b64 s[4:5], s[38:39]
	s_cbranch_execz .LBB250_108
; %bb.107:
	ds_read_b32 v83, v34
.LBB250_108:
	s_or_b64 exec, exec, s[4:5]
	v_add_u32_e32 v35, -1, v26
	v_and_b32_e32 v84, 64, v26
	v_cmp_lt_i32_e64 s[4:5], v35, v84
	v_cndmask_b32_e64 v35, v35, v26, s[4:5]
	v_lshlrev_b32_e32 v35, 2, v35
	s_waitcnt lgkmcnt(0)
	v_add_u32_e32 v17, v83, v17
	ds_bpermute_b32 v17, v35, v17
	v_cmp_eq_u32_e64 s[40:41], 0, v26
	v_cmp_eq_u32_e64 s[42:43], 0, v46
	v_and_or_b32 v36, v26, 63, v36
	v_lshlrev_b32_e32 v84, 1, v36
	s_waitcnt lgkmcnt(0)
	v_cndmask_b32_e64 v17, v17, v83, s[40:41]
	v_cndmask_b32_e64 v17, v17, 0, s[42:43]
	v_add_u32_e32 v18, v17, v18
	v_add_u32_e32 v19, v18, v19
	;; [unrolled: 1-line block ×3, first 2 shown]
	ds_write2_b32 v64, v17, v18 offset0:8 offset1:9
	ds_write2_b32 v22, v19, v20 offset0:2 offset1:3
	s_waitcnt lgkmcnt(0)
	s_barrier
	ds_read_b32 v17, v37 offset:32
	ds_read_b32 v18, v40 offset:32
	;; [unrolled: 1-line block ×8, first 2 shown]
	s_waitcnt lgkmcnt(7)
	v_add_u32_e32 v17, v17, v38
	s_waitcnt lgkmcnt(6)
	v_add3_u32 v18, v41, v39, v18
	s_waitcnt lgkmcnt(4)
	v_add3_u32 v38, v70, v68, v20
	v_lshlrev_b32_e32 v20, 1, v17
	v_add3_u32 v19, v67, v65, v19
	s_waitcnt lgkmcnt(0)
	s_barrier
	ds_write_b16 v20, v33
	v_lshlrev_b32_e32 v20, 1, v18
	ds_write_b16 v20, v32
	v_lshlrev_b32_e32 v20, 1, v19
	v_add3_u32 v39, v73, v71, v26
	ds_write_b16 v20, v31
	v_lshlrev_b32_e32 v20, 1, v38
	v_add3_u32 v37, v76, v74, v37
	;; [unrolled: 3-line block ×4, first 2 shown]
	ds_write_b16 v20, v28
	v_lshlrev_b32_e32 v20, 1, v40
	ds_write_b16 v20, v27
	v_lshlrev_b32_e32 v20, 1, v41
	v_lshlrev_b32_e32 v17, 3, v17
	s_min_u32 s4, s46, 8
	ds_write_b16 v20, v25
	s_waitcnt lgkmcnt(0)
	s_barrier
	ds_read_u16 v31, v84
	ds_read_u16 v30, v84 offset:128
	ds_read_u16 v29, v84 offset:256
	;; [unrolled: 1-line block ×7, first 2 shown]
	s_waitcnt lgkmcnt(0)
	s_barrier
	ds_write_b64 v17, v[12:13]
	v_lshlrev_b32_e32 v12, 3, v18
	s_lshl_b32 s4, -1, s4
	s_movk_i32 s54, 0x8000
	ds_write_b64 v12, v[14:15]
	v_lshlrev_b32_e32 v12, 3, v19
	s_not_b32 s53, s4
	v_lshrrev_b16_e32 v17, 8, v31
	v_mov_b32_e32 v18, 0x7f
	v_cmp_ne_u16_e64 s[4:5], s54, v31
	ds_write_b64 v12, v[8:9]
	v_lshlrev_b32_e32 v8, 3, v38
	v_cndmask_b32_e64 v17, v18, v17, s[4:5]
	ds_write_b64 v8, v[10:11]
	v_lshlrev_b32_e32 v8, 3, v39
	v_and_b32_sdwa v19, v17, s53 dst_sel:DWORD dst_unused:UNUSED_PAD src0_sel:WORD_0 src1_sel:DWORD
	ds_write_b64 v8, v[4:5]
	v_lshlrev_b32_e32 v4, 3, v37
	v_lshlrev_b32_e32 v17, 3, v19
	ds_write_b64 v4, v[6:7]
	v_lshlrev_b32_e32 v4, 3, v40
	v_add_lshl_u32 v32, v17, v24, 2
	v_and_b32_e32 v17, 1, v19
	v_lshlrev_b32_e32 v36, 3, v36
	ds_write_b64 v4, v[0:1]
	v_lshlrev_b32_e32 v0, 3, v41
	v_add_co_u32_e64 v33, s[4:5], -1, v17
	ds_write_b64 v0, v[2:3]
	s_waitcnt lgkmcnt(0)
	s_barrier
	ds_read2st64_b64 v[12:15], v36 offset1:1
	ds_read2st64_b64 v[8:11], v36 offset0:2 offset1:3
	ds_read2st64_b64 v[4:7], v36 offset0:4 offset1:5
	;; [unrolled: 1-line block ×3, first 2 shown]
	v_addc_co_u32_e64 v36, s[4:5], 0, -1, s[4:5]
	v_cmp_ne_u32_e64 s[4:5], 0, v17
	v_xor_b32_e32 v17, s5, v36
	v_and_b32_e32 v36, exec_hi, v17
	v_lshlrev_b32_e32 v17, 30, v19
	v_xor_b32_e32 v33, s4, v33
	v_cmp_gt_i64_e64 s[4:5], 0, v[16:17]
	v_not_b32_e32 v17, v17
	v_ashrrev_i32_e32 v17, 31, v17
	v_and_b32_e32 v33, exec_lo, v33
	v_xor_b32_e32 v37, s5, v17
	v_xor_b32_e32 v17, s4, v17
	v_and_b32_e32 v33, v33, v17
	v_lshlrev_b32_e32 v17, 29, v19
	v_cmp_gt_i64_e64 s[4:5], 0, v[16:17]
	v_not_b32_e32 v17, v17
	v_ashrrev_i32_e32 v17, 31, v17
	v_and_b32_e32 v36, v36, v37
	v_xor_b32_e32 v37, s5, v17
	v_xor_b32_e32 v17, s4, v17
	v_and_b32_e32 v33, v33, v17
	v_lshlrev_b32_e32 v17, 28, v19
	v_cmp_gt_i64_e64 s[4:5], 0, v[16:17]
	v_not_b32_e32 v17, v17
	v_ashrrev_i32_e32 v17, 31, v17
	v_and_b32_e32 v36, v36, v37
	;; [unrolled: 8-line block ×5, first 2 shown]
	v_xor_b32_e32 v37, s5, v17
	v_xor_b32_e32 v17, s4, v17
	v_and_b32_e32 v33, v33, v17
	v_lshlrev_b32_e32 v17, 24, v19
	s_waitcnt lgkmcnt(0)
	s_barrier
	ds_write2_b32 v64, v16, v16 offset0:8 offset1:9
	ds_write2_b32 v22, v16, v16 offset0:2 offset1:3
	v_cmp_gt_i64_e64 s[4:5], 0, v[16:17]
	v_not_b32_e32 v16, v17
	v_ashrrev_i32_e32 v16, 31, v16
	v_xor_b32_e32 v17, s5, v16
	v_xor_b32_e32 v16, s4, v16
	v_and_b32_e32 v36, v36, v37
	v_and_b32_e32 v16, v33, v16
	;; [unrolled: 1-line block ×3, first 2 shown]
	v_mbcnt_lo_u32_b32 v19, v16, 0
	v_mbcnt_hi_u32_b32 v33, v17, v19
	v_cmp_eq_u32_e64 s[4:5], 0, v33
	v_cmp_ne_u64_e64 s[46:47], 0, v[16:17]
	s_and_b64 s[46:47], s[46:47], s[4:5]
	s_waitcnt lgkmcnt(0)
	s_barrier
	s_waitcnt lgkmcnt(0)
	; wave barrier
	s_and_saveexec_b64 s[4:5], s[46:47]
	s_cbranch_execz .LBB250_110
; %bb.109:
	v_bcnt_u32_b32 v16, v16, 0
	v_bcnt_u32_b32 v16, v17, v16
	ds_write_b32 v32, v16 offset:32
.LBB250_110:
	s_or_b64 exec, exec, s[4:5]
	v_lshrrev_b16_e32 v16, 8, v30
	v_cmp_ne_u16_e64 s[4:5], s54, v30
	v_cndmask_b32_e64 v16, v18, v16, s[4:5]
	v_and_b32_e32 v18, s53, v16
	v_and_b32_e32 v17, 1, v18
	v_add_co_u32_e64 v19, s[4:5], -1, v17
	v_addc_co_u32_e64 v38, s[4:5], 0, -1, s[4:5]
	v_cmp_ne_u32_e64 s[4:5], 0, v17
	v_lshlrev_b32_e32 v16, 3, v18
	v_xor_b32_e32 v17, s5, v38
	v_add_lshl_u32 v37, v16, v24, 2
	v_mov_b32_e32 v16, 0
	v_and_b32_e32 v38, exec_hi, v17
	v_lshlrev_b32_e32 v17, 30, v18
	v_xor_b32_e32 v19, s4, v19
	v_cmp_gt_i64_e64 s[4:5], 0, v[16:17]
	v_not_b32_e32 v17, v17
	v_ashrrev_i32_e32 v17, 31, v17
	v_and_b32_e32 v19, exec_lo, v19
	v_xor_b32_e32 v39, s5, v17
	v_xor_b32_e32 v17, s4, v17
	v_and_b32_e32 v19, v19, v17
	v_lshlrev_b32_e32 v17, 29, v18
	v_cmp_gt_i64_e64 s[4:5], 0, v[16:17]
	v_not_b32_e32 v17, v17
	v_ashrrev_i32_e32 v17, 31, v17
	v_and_b32_e32 v38, v38, v39
	v_xor_b32_e32 v39, s5, v17
	v_xor_b32_e32 v17, s4, v17
	v_and_b32_e32 v19, v19, v17
	v_lshlrev_b32_e32 v17, 28, v18
	v_cmp_gt_i64_e64 s[4:5], 0, v[16:17]
	v_not_b32_e32 v17, v17
	v_ashrrev_i32_e32 v17, 31, v17
	v_and_b32_e32 v38, v38, v39
	;; [unrolled: 8-line block ×5, first 2 shown]
	v_xor_b32_e32 v39, s5, v17
	v_xor_b32_e32 v17, s4, v17
	v_and_b32_e32 v38, v38, v39
	v_and_b32_e32 v39, v19, v17
	v_lshlrev_b32_e32 v17, 24, v18
	v_cmp_gt_i64_e64 s[4:5], 0, v[16:17]
	v_not_b32_e32 v17, v17
	v_ashrrev_i32_e32 v17, 31, v17
	v_xor_b32_e32 v18, s5, v17
	v_xor_b32_e32 v17, s4, v17
	; wave barrier
	ds_read_b32 v36, v37 offset:32
	v_and_b32_e32 v19, v38, v18
	v_and_b32_e32 v18, v39, v17
	v_mbcnt_lo_u32_b32 v17, v18, 0
	v_mbcnt_hi_u32_b32 v38, v19, v17
	v_cmp_eq_u32_e64 s[4:5], 0, v38
	v_cmp_ne_u64_e64 s[46:47], 0, v[18:19]
	s_and_b64 s[46:47], s[46:47], s[4:5]
	; wave barrier
	s_and_saveexec_b64 s[4:5], s[46:47]
	s_cbranch_execz .LBB250_112
; %bb.111:
	v_bcnt_u32_b32 v17, v18, 0
	v_bcnt_u32_b32 v17, v19, v17
	s_waitcnt lgkmcnt(0)
	v_add_u32_e32 v17, v36, v17
	ds_write_b32 v37, v17 offset:32
.LBB250_112:
	s_or_b64 exec, exec, s[4:5]
	v_lshrrev_b16_e32 v17, 8, v29
	v_mov_b32_e32 v18, 0x7f
	v_cmp_ne_u16_e64 s[4:5], s54, v29
	v_cndmask_b32_e64 v17, v18, v17, s[4:5]
	v_and_b32_e32 v19, s53, v17
	v_lshlrev_b32_e32 v17, 3, v19
	v_add_lshl_u32 v40, v17, v24, 2
	v_and_b32_e32 v17, 1, v19
	v_add_co_u32_e64 v41, s[4:5], -1, v17
	v_addc_co_u32_e64 v46, s[4:5], 0, -1, s[4:5]
	v_cmp_ne_u32_e64 s[4:5], 0, v17
	v_xor_b32_e32 v17, s5, v46
	v_and_b32_e32 v46, exec_hi, v17
	v_lshlrev_b32_e32 v17, 30, v19
	v_xor_b32_e32 v41, s4, v41
	v_cmp_gt_i64_e64 s[4:5], 0, v[16:17]
	v_not_b32_e32 v17, v17
	v_ashrrev_i32_e32 v17, 31, v17
	v_and_b32_e32 v41, exec_lo, v41
	v_xor_b32_e32 v65, s5, v17
	v_xor_b32_e32 v17, s4, v17
	v_and_b32_e32 v41, v41, v17
	v_lshlrev_b32_e32 v17, 29, v19
	v_cmp_gt_i64_e64 s[4:5], 0, v[16:17]
	v_not_b32_e32 v17, v17
	v_ashrrev_i32_e32 v17, 31, v17
	v_and_b32_e32 v46, v46, v65
	v_xor_b32_e32 v65, s5, v17
	v_xor_b32_e32 v17, s4, v17
	v_and_b32_e32 v41, v41, v17
	v_lshlrev_b32_e32 v17, 28, v19
	v_cmp_gt_i64_e64 s[4:5], 0, v[16:17]
	v_not_b32_e32 v17, v17
	v_ashrrev_i32_e32 v17, 31, v17
	v_and_b32_e32 v46, v46, v65
	;; [unrolled: 8-line block ×5, first 2 shown]
	v_xor_b32_e32 v65, s5, v17
	v_xor_b32_e32 v17, s4, v17
	v_and_b32_e32 v41, v41, v17
	v_lshlrev_b32_e32 v17, 24, v19
	v_cmp_gt_i64_e64 s[4:5], 0, v[16:17]
	v_not_b32_e32 v16, v17
	v_ashrrev_i32_e32 v16, 31, v16
	v_xor_b32_e32 v17, s5, v16
	v_xor_b32_e32 v16, s4, v16
	; wave barrier
	ds_read_b32 v39, v40 offset:32
	v_and_b32_e32 v46, v46, v65
	v_and_b32_e32 v16, v41, v16
	;; [unrolled: 1-line block ×3, first 2 shown]
	v_mbcnt_lo_u32_b32 v19, v16, 0
	v_mbcnt_hi_u32_b32 v41, v17, v19
	v_cmp_eq_u32_e64 s[4:5], 0, v41
	v_cmp_ne_u64_e64 s[46:47], 0, v[16:17]
	s_and_b64 s[46:47], s[46:47], s[4:5]
	; wave barrier
	s_and_saveexec_b64 s[4:5], s[46:47]
	s_cbranch_execz .LBB250_114
; %bb.113:
	v_bcnt_u32_b32 v16, v16, 0
	v_bcnt_u32_b32 v16, v17, v16
	s_waitcnt lgkmcnt(0)
	v_add_u32_e32 v16, v39, v16
	ds_write_b32 v40, v16 offset:32
.LBB250_114:
	s_or_b64 exec, exec, s[4:5]
	v_lshrrev_b16_e32 v16, 8, v28
	v_cmp_ne_u16_e64 s[4:5], s54, v28
	v_cndmask_b32_e64 v16, v18, v16, s[4:5]
	v_and_b32_e32 v18, s53, v16
	v_and_b32_e32 v17, 1, v18
	v_add_co_u32_e64 v19, s[4:5], -1, v17
	v_addc_co_u32_e64 v66, s[4:5], 0, -1, s[4:5]
	v_cmp_ne_u32_e64 s[4:5], 0, v17
	v_lshlrev_b32_e32 v16, 3, v18
	v_xor_b32_e32 v17, s5, v66
	v_add_lshl_u32 v65, v16, v24, 2
	v_mov_b32_e32 v16, 0
	v_and_b32_e32 v66, exec_hi, v17
	v_lshlrev_b32_e32 v17, 30, v18
	v_xor_b32_e32 v19, s4, v19
	v_cmp_gt_i64_e64 s[4:5], 0, v[16:17]
	v_not_b32_e32 v17, v17
	v_ashrrev_i32_e32 v17, 31, v17
	v_and_b32_e32 v19, exec_lo, v19
	v_xor_b32_e32 v67, s5, v17
	v_xor_b32_e32 v17, s4, v17
	v_and_b32_e32 v19, v19, v17
	v_lshlrev_b32_e32 v17, 29, v18
	v_cmp_gt_i64_e64 s[4:5], 0, v[16:17]
	v_not_b32_e32 v17, v17
	v_ashrrev_i32_e32 v17, 31, v17
	v_and_b32_e32 v66, v66, v67
	v_xor_b32_e32 v67, s5, v17
	v_xor_b32_e32 v17, s4, v17
	v_and_b32_e32 v19, v19, v17
	v_lshlrev_b32_e32 v17, 28, v18
	v_cmp_gt_i64_e64 s[4:5], 0, v[16:17]
	v_not_b32_e32 v17, v17
	v_ashrrev_i32_e32 v17, 31, v17
	v_and_b32_e32 v66, v66, v67
	;; [unrolled: 8-line block ×5, first 2 shown]
	v_xor_b32_e32 v67, s5, v17
	v_xor_b32_e32 v17, s4, v17
	v_and_b32_e32 v66, v66, v67
	v_and_b32_e32 v67, v19, v17
	v_lshlrev_b32_e32 v17, 24, v18
	v_cmp_gt_i64_e64 s[4:5], 0, v[16:17]
	v_not_b32_e32 v17, v17
	v_ashrrev_i32_e32 v17, 31, v17
	v_xor_b32_e32 v18, s5, v17
	v_xor_b32_e32 v17, s4, v17
	; wave barrier
	ds_read_b32 v46, v65 offset:32
	v_and_b32_e32 v19, v66, v18
	v_and_b32_e32 v18, v67, v17
	v_mbcnt_lo_u32_b32 v17, v18, 0
	v_mbcnt_hi_u32_b32 v66, v19, v17
	v_cmp_eq_u32_e64 s[4:5], 0, v66
	v_cmp_ne_u64_e64 s[46:47], 0, v[18:19]
	s_and_b64 s[46:47], s[46:47], s[4:5]
	; wave barrier
	s_and_saveexec_b64 s[4:5], s[46:47]
	s_cbranch_execz .LBB250_116
; %bb.115:
	v_bcnt_u32_b32 v17, v18, 0
	v_bcnt_u32_b32 v17, v19, v17
	s_waitcnt lgkmcnt(0)
	v_add_u32_e32 v17, v46, v17
	ds_write_b32 v65, v17 offset:32
.LBB250_116:
	s_or_b64 exec, exec, s[4:5]
	v_lshrrev_b16_e32 v17, 8, v27
	v_mov_b32_e32 v18, 0x7f
	v_cmp_ne_u16_e64 s[4:5], s54, v27
	v_cndmask_b32_e64 v17, v18, v17, s[4:5]
	v_and_b32_e32 v19, s53, v17
	v_lshlrev_b32_e32 v17, 3, v19
	v_add_lshl_u32 v68, v17, v24, 2
	v_and_b32_e32 v17, 1, v19
	v_add_co_u32_e64 v69, s[4:5], -1, v17
	v_addc_co_u32_e64 v70, s[4:5], 0, -1, s[4:5]
	v_cmp_ne_u32_e64 s[4:5], 0, v17
	v_xor_b32_e32 v17, s5, v70
	v_and_b32_e32 v70, exec_hi, v17
	v_lshlrev_b32_e32 v17, 30, v19
	v_xor_b32_e32 v69, s4, v69
	v_cmp_gt_i64_e64 s[4:5], 0, v[16:17]
	v_not_b32_e32 v17, v17
	v_ashrrev_i32_e32 v17, 31, v17
	v_and_b32_e32 v69, exec_lo, v69
	v_xor_b32_e32 v71, s5, v17
	v_xor_b32_e32 v17, s4, v17
	v_and_b32_e32 v69, v69, v17
	v_lshlrev_b32_e32 v17, 29, v19
	v_cmp_gt_i64_e64 s[4:5], 0, v[16:17]
	v_not_b32_e32 v17, v17
	v_ashrrev_i32_e32 v17, 31, v17
	v_and_b32_e32 v70, v70, v71
	v_xor_b32_e32 v71, s5, v17
	v_xor_b32_e32 v17, s4, v17
	v_and_b32_e32 v69, v69, v17
	v_lshlrev_b32_e32 v17, 28, v19
	v_cmp_gt_i64_e64 s[4:5], 0, v[16:17]
	v_not_b32_e32 v17, v17
	v_ashrrev_i32_e32 v17, 31, v17
	v_and_b32_e32 v70, v70, v71
	;; [unrolled: 8-line block ×5, first 2 shown]
	v_xor_b32_e32 v71, s5, v17
	v_xor_b32_e32 v17, s4, v17
	v_and_b32_e32 v69, v69, v17
	v_lshlrev_b32_e32 v17, 24, v19
	v_cmp_gt_i64_e64 s[4:5], 0, v[16:17]
	v_not_b32_e32 v16, v17
	v_ashrrev_i32_e32 v16, 31, v16
	v_xor_b32_e32 v17, s5, v16
	v_xor_b32_e32 v16, s4, v16
	; wave barrier
	ds_read_b32 v67, v68 offset:32
	v_and_b32_e32 v70, v70, v71
	v_and_b32_e32 v16, v69, v16
	;; [unrolled: 1-line block ×3, first 2 shown]
	v_mbcnt_lo_u32_b32 v19, v16, 0
	v_mbcnt_hi_u32_b32 v69, v17, v19
	v_cmp_eq_u32_e64 s[4:5], 0, v69
	v_cmp_ne_u64_e64 s[46:47], 0, v[16:17]
	s_and_b64 s[46:47], s[46:47], s[4:5]
	; wave barrier
	s_and_saveexec_b64 s[4:5], s[46:47]
	s_cbranch_execz .LBB250_118
; %bb.117:
	v_bcnt_u32_b32 v16, v16, 0
	v_bcnt_u32_b32 v16, v17, v16
	s_waitcnt lgkmcnt(0)
	v_add_u32_e32 v16, v67, v16
	ds_write_b32 v68, v16 offset:32
.LBB250_118:
	s_or_b64 exec, exec, s[4:5]
	v_lshrrev_b16_e32 v16, 8, v26
	v_cmp_ne_u16_e64 s[4:5], s54, v26
	v_cndmask_b32_e64 v16, v18, v16, s[4:5]
	v_and_b32_e32 v18, s53, v16
	v_and_b32_e32 v17, 1, v18
	v_add_co_u32_e64 v19, s[4:5], -1, v17
	v_addc_co_u32_e64 v72, s[4:5], 0, -1, s[4:5]
	v_cmp_ne_u32_e64 s[4:5], 0, v17
	v_lshlrev_b32_e32 v16, 3, v18
	v_xor_b32_e32 v17, s5, v72
	v_add_lshl_u32 v71, v16, v24, 2
	v_mov_b32_e32 v16, 0
	v_and_b32_e32 v72, exec_hi, v17
	v_lshlrev_b32_e32 v17, 30, v18
	v_xor_b32_e32 v19, s4, v19
	v_cmp_gt_i64_e64 s[4:5], 0, v[16:17]
	v_not_b32_e32 v17, v17
	v_ashrrev_i32_e32 v17, 31, v17
	v_and_b32_e32 v19, exec_lo, v19
	v_xor_b32_e32 v73, s5, v17
	v_xor_b32_e32 v17, s4, v17
	v_and_b32_e32 v19, v19, v17
	v_lshlrev_b32_e32 v17, 29, v18
	v_cmp_gt_i64_e64 s[4:5], 0, v[16:17]
	v_not_b32_e32 v17, v17
	v_ashrrev_i32_e32 v17, 31, v17
	v_and_b32_e32 v72, v72, v73
	v_xor_b32_e32 v73, s5, v17
	v_xor_b32_e32 v17, s4, v17
	v_and_b32_e32 v19, v19, v17
	v_lshlrev_b32_e32 v17, 28, v18
	v_cmp_gt_i64_e64 s[4:5], 0, v[16:17]
	v_not_b32_e32 v17, v17
	v_ashrrev_i32_e32 v17, 31, v17
	v_and_b32_e32 v72, v72, v73
	;; [unrolled: 8-line block ×5, first 2 shown]
	v_xor_b32_e32 v73, s5, v17
	v_xor_b32_e32 v17, s4, v17
	v_and_b32_e32 v72, v72, v73
	v_and_b32_e32 v73, v19, v17
	v_lshlrev_b32_e32 v17, 24, v18
	v_cmp_gt_i64_e64 s[4:5], 0, v[16:17]
	v_not_b32_e32 v17, v17
	v_ashrrev_i32_e32 v17, 31, v17
	v_xor_b32_e32 v18, s5, v17
	v_xor_b32_e32 v17, s4, v17
	; wave barrier
	ds_read_b32 v70, v71 offset:32
	v_and_b32_e32 v19, v72, v18
	v_and_b32_e32 v18, v73, v17
	v_mbcnt_lo_u32_b32 v17, v18, 0
	v_mbcnt_hi_u32_b32 v72, v19, v17
	v_cmp_eq_u32_e64 s[4:5], 0, v72
	v_cmp_ne_u64_e64 s[46:47], 0, v[18:19]
	s_and_b64 s[46:47], s[46:47], s[4:5]
	; wave barrier
	s_and_saveexec_b64 s[4:5], s[46:47]
	s_cbranch_execz .LBB250_120
; %bb.119:
	v_bcnt_u32_b32 v17, v18, 0
	v_bcnt_u32_b32 v17, v19, v17
	s_waitcnt lgkmcnt(0)
	v_add_u32_e32 v17, v70, v17
	ds_write_b32 v71, v17 offset:32
.LBB250_120:
	s_or_b64 exec, exec, s[4:5]
	v_lshrrev_b16_e32 v17, 8, v25
	v_mov_b32_e32 v18, 0x7f
	v_cmp_ne_u16_e64 s[4:5], s54, v25
	v_cndmask_b32_e64 v17, v18, v17, s[4:5]
	v_and_b32_e32 v19, s53, v17
	v_lshlrev_b32_e32 v17, 3, v19
	v_add_lshl_u32 v74, v17, v24, 2
	v_and_b32_e32 v17, 1, v19
	v_add_co_u32_e64 v75, s[4:5], -1, v17
	v_addc_co_u32_e64 v76, s[4:5], 0, -1, s[4:5]
	v_cmp_ne_u32_e64 s[4:5], 0, v17
	v_xor_b32_e32 v17, s5, v76
	v_and_b32_e32 v76, exec_hi, v17
	v_lshlrev_b32_e32 v17, 30, v19
	v_xor_b32_e32 v75, s4, v75
	v_cmp_gt_i64_e64 s[4:5], 0, v[16:17]
	v_not_b32_e32 v17, v17
	v_ashrrev_i32_e32 v17, 31, v17
	v_and_b32_e32 v75, exec_lo, v75
	v_xor_b32_e32 v77, s5, v17
	v_xor_b32_e32 v17, s4, v17
	v_and_b32_e32 v75, v75, v17
	v_lshlrev_b32_e32 v17, 29, v19
	v_cmp_gt_i64_e64 s[4:5], 0, v[16:17]
	v_not_b32_e32 v17, v17
	v_ashrrev_i32_e32 v17, 31, v17
	v_and_b32_e32 v76, v76, v77
	v_xor_b32_e32 v77, s5, v17
	v_xor_b32_e32 v17, s4, v17
	v_and_b32_e32 v75, v75, v17
	v_lshlrev_b32_e32 v17, 28, v19
	v_cmp_gt_i64_e64 s[4:5], 0, v[16:17]
	v_not_b32_e32 v17, v17
	v_ashrrev_i32_e32 v17, 31, v17
	v_and_b32_e32 v76, v76, v77
	;; [unrolled: 8-line block ×5, first 2 shown]
	v_xor_b32_e32 v77, s5, v17
	v_xor_b32_e32 v17, s4, v17
	v_and_b32_e32 v75, v75, v17
	v_lshlrev_b32_e32 v17, 24, v19
	v_cmp_gt_i64_e64 s[4:5], 0, v[16:17]
	v_not_b32_e32 v16, v17
	v_ashrrev_i32_e32 v16, 31, v16
	v_xor_b32_e32 v17, s5, v16
	v_xor_b32_e32 v16, s4, v16
	; wave barrier
	ds_read_b32 v73, v74 offset:32
	v_and_b32_e32 v76, v76, v77
	v_and_b32_e32 v16, v75, v16
	;; [unrolled: 1-line block ×3, first 2 shown]
	v_mbcnt_lo_u32_b32 v19, v16, 0
	v_mbcnt_hi_u32_b32 v75, v17, v19
	v_cmp_eq_u32_e64 s[4:5], 0, v75
	v_cmp_ne_u64_e64 s[46:47], 0, v[16:17]
	s_and_b64 s[46:47], s[46:47], s[4:5]
	; wave barrier
	s_and_saveexec_b64 s[4:5], s[46:47]
	s_cbranch_execz .LBB250_122
; %bb.121:
	v_bcnt_u32_b32 v16, v16, 0
	v_bcnt_u32_b32 v16, v17, v16
	s_waitcnt lgkmcnt(0)
	v_add_u32_e32 v16, v73, v16
	ds_write_b32 v74, v16 offset:32
.LBB250_122:
	s_or_b64 exec, exec, s[4:5]
	v_lshrrev_b16_e32 v16, 8, v20
	v_cmp_ne_u16_e64 s[4:5], s54, v20
	v_cndmask_b32_e64 v16, v18, v16, s[4:5]
	v_and_b32_e32 v18, s53, v16
	v_and_b32_e32 v17, 1, v18
	v_add_co_u32_e64 v19, s[4:5], -1, v17
	v_addc_co_u32_e64 v77, s[4:5], 0, -1, s[4:5]
	v_cmp_ne_u32_e64 s[4:5], 0, v17
	v_lshlrev_b32_e32 v16, 3, v18
	v_xor_b32_e32 v17, s5, v77
	v_add_lshl_u32 v76, v16, v24, 2
	v_mov_b32_e32 v16, 0
	v_and_b32_e32 v77, exec_hi, v17
	v_lshlrev_b32_e32 v17, 30, v18
	v_xor_b32_e32 v19, s4, v19
	v_cmp_gt_i64_e64 s[4:5], 0, v[16:17]
	v_not_b32_e32 v17, v17
	v_ashrrev_i32_e32 v17, 31, v17
	v_and_b32_e32 v19, exec_lo, v19
	v_xor_b32_e32 v78, s5, v17
	v_xor_b32_e32 v17, s4, v17
	v_and_b32_e32 v19, v19, v17
	v_lshlrev_b32_e32 v17, 29, v18
	v_cmp_gt_i64_e64 s[4:5], 0, v[16:17]
	v_not_b32_e32 v17, v17
	v_ashrrev_i32_e32 v17, 31, v17
	v_and_b32_e32 v77, v77, v78
	v_xor_b32_e32 v78, s5, v17
	v_xor_b32_e32 v17, s4, v17
	v_and_b32_e32 v19, v19, v17
	v_lshlrev_b32_e32 v17, 28, v18
	v_cmp_gt_i64_e64 s[4:5], 0, v[16:17]
	v_not_b32_e32 v17, v17
	v_ashrrev_i32_e32 v17, 31, v17
	v_and_b32_e32 v77, v77, v78
	;; [unrolled: 8-line block ×5, first 2 shown]
	v_xor_b32_e32 v78, s5, v17
	v_xor_b32_e32 v17, s4, v17
	v_and_b32_e32 v19, v19, v17
	v_lshlrev_b32_e32 v17, 24, v18
	v_cmp_gt_i64_e64 s[4:5], 0, v[16:17]
	v_not_b32_e32 v16, v17
	v_ashrrev_i32_e32 v16, 31, v16
	v_xor_b32_e32 v17, s5, v16
	v_xor_b32_e32 v16, s4, v16
	; wave barrier
	ds_read_b32 v24, v76 offset:32
	v_and_b32_e32 v77, v77, v78
	v_and_b32_e32 v16, v19, v16
	;; [unrolled: 1-line block ×3, first 2 shown]
	v_mbcnt_lo_u32_b32 v18, v16, 0
	v_mbcnt_hi_u32_b32 v77, v17, v18
	v_cmp_eq_u32_e64 s[4:5], 0, v77
	v_cmp_ne_u64_e64 s[46:47], 0, v[16:17]
	s_and_b64 s[46:47], s[46:47], s[4:5]
	; wave barrier
	s_and_saveexec_b64 s[4:5], s[46:47]
	s_cbranch_execz .LBB250_124
; %bb.123:
	v_bcnt_u32_b32 v16, v16, 0
	v_bcnt_u32_b32 v16, v17, v16
	s_waitcnt lgkmcnt(0)
	v_add_u32_e32 v16, v24, v16
	ds_write_b32 v76, v16 offset:32
.LBB250_124:
	s_or_b64 exec, exec, s[4:5]
	; wave barrier
	s_waitcnt lgkmcnt(0)
	s_barrier
	ds_read2_b32 v[18:19], v64 offset0:8 offset1:9
	ds_read2_b32 v[16:17], v22 offset0:2 offset1:3
	s_waitcnt lgkmcnt(1)
	v_add_u32_e32 v78, v19, v18
	s_waitcnt lgkmcnt(0)
	v_add3_u32 v17, v78, v16, v17
	s_nop 1
	v_mov_b32_dpp v78, v17 row_shr:1 row_mask:0xf bank_mask:0xf
	v_cndmask_b32_e64 v78, v78, 0, s[24:25]
	v_add_u32_e32 v17, v78, v17
	s_nop 1
	v_mov_b32_dpp v78, v17 row_shr:2 row_mask:0xf bank_mask:0xf
	v_cndmask_b32_e64 v78, 0, v78, s[26:27]
	v_add_u32_e32 v17, v17, v78
	;; [unrolled: 4-line block ×4, first 2 shown]
	s_nop 1
	v_mov_b32_dpp v78, v17 row_bcast:15 row_mask:0xf bank_mask:0xf
	v_cndmask_b32_e64 v78, v78, 0, vcc
	v_add_u32_e32 v17, v17, v78
	s_nop 1
	v_mov_b32_dpp v78, v17 row_bcast:31 row_mask:0xf bank_mask:0xf
	v_cndmask_b32_e64 v78, 0, v78, s[36:37]
	v_add_u32_e32 v78, v17, v78
	s_and_saveexec_b64 s[4:5], s[16:17]
	s_cbranch_execz .LBB250_126
; %bb.125:
	ds_write_b32 v23, v78
.LBB250_126:
	s_or_b64 exec, exec, s[4:5]
	s_waitcnt lgkmcnt(0)
	s_barrier
	s_and_saveexec_b64 s[4:5], s[28:29]
	s_cbranch_execz .LBB250_128
; %bb.127:
	ds_read_b32 v17, v21
	s_waitcnt lgkmcnt(0)
	s_nop 0
	v_mov_b32_dpp v23, v17 row_shr:1 row_mask:0xf bank_mask:0xf
	v_cndmask_b32_e64 v23, v23, 0, s[22:23]
	v_add_u32_e32 v17, v23, v17
	s_nop 1
	v_mov_b32_dpp v23, v17 row_shr:2 row_mask:0xf bank_mask:0xf
	v_cndmask_b32_e64 v23, 0, v23, s[20:21]
	v_add_u32_e32 v17, v17, v23
	;; [unrolled: 4-line block ×3, first 2 shown]
	ds_write_b32 v21, v17
.LBB250_128:
	s_or_b64 exec, exec, s[4:5]
	v_mov_b32_e32 v17, 0
	v_mov_b32_e32 v21, 0
	s_waitcnt lgkmcnt(0)
	s_barrier
	s_and_saveexec_b64 s[4:5], s[38:39]
	s_cbranch_execz .LBB250_130
; %bb.129:
	ds_read_b32 v21, v34
.LBB250_130:
	s_or_b64 exec, exec, s[4:5]
	s_waitcnt lgkmcnt(0)
	v_add_u32_e32 v23, v21, v78
	ds_bpermute_b32 v23, v35, v23
	v_lshlrev_b32_e32 v34, 3, v63
	s_mov_b32 s16, 0x5040100
	s_waitcnt lgkmcnt(0)
	v_cndmask_b32_e64 v21, v23, v21, s[40:41]
	v_cndmask_b32_e64 v21, v21, 0, s[42:43]
	v_add_u32_e32 v18, v21, v18
	v_add_u32_e32 v19, v18, v19
	;; [unrolled: 1-line block ×3, first 2 shown]
	ds_write2_b32 v64, v21, v18 offset0:8 offset1:9
	ds_write2_b32 v22, v19, v16 offset0:2 offset1:3
	s_waitcnt lgkmcnt(0)
	s_barrier
	ds_read_b32 v16, v76 offset:32
	ds_read_b32 v18, v74 offset:32
	;; [unrolled: 1-line block ×4, first 2 shown]
	s_waitcnt lgkmcnt(3)
	v_add3_u32 v16, v77, v24, v16
	ds_read_b32 v22, v65 offset:32
	ds_read_b32 v23, v40 offset:32
	ds_read_b32 v24, v37 offset:32
	ds_read_b32 v32, v32 offset:32
	s_waitcnt lgkmcnt(0)
	s_barrier
	v_add3_u32 v23, v41, v39, v23
	v_add3_u32 v24, v38, v36, v24
	v_add_u32_e32 v32, v32, v33
	v_lshlrev_b32_e32 v33, 1, v32
	ds_write_b16 v33, v31
	v_lshlrev_b32_e32 v31, 1, v24
	v_add3_u32 v22, v66, v46, v22
	ds_write_b16 v31, v30
	v_lshlrev_b32_e32 v30, 1, v23
	v_add3_u32 v21, v69, v67, v21
	;; [unrolled: 3-line block ×4, first 2 shown]
	ds_write_b16 v28, v27
	v_lshlrev_b32_e32 v27, 1, v19
	ds_write_b16 v27, v26
	v_lshlrev_b32_e32 v26, 1, v18
	ds_write_b16 v26, v25
	v_lshlrev_b32_e32 v25, 1, v16
	ds_write_b16 v25, v20
	v_lshlrev_b32_e32 v20, 1, v63
	s_waitcnt lgkmcnt(0)
	s_barrier
	v_lshlrev_b32_e32 v26, 3, v21
	v_lshlrev_b32_e32 v27, 3, v19
	;; [unrolled: 1-line block ×3, first 2 shown]
	ds_read_b128 v[18:21], v20
	v_mov_b32_e32 v40, -1
	v_mov_b32_e32 v41, 0x7fff
	v_lshlrev_b32_e32 v25, 3, v32
	v_lshlrev_b32_e32 v24, 3, v24
	s_waitcnt lgkmcnt(0)
	v_cmp_gt_i16_sdwa vcc, v18, v40 src0_sel:WORD_1 src1_sel:DWORD
	v_cndmask_b32_e32 v29, 0, v41, vcc
	v_cmp_lt_i16_e32 vcc, -1, v18
	v_cndmask_b32_e32 v30, 0, v41, vcc
	v_cmp_lt_i16_sdwa s[4:5], v19, v17 src0_sel:WORD_1 src1_sel:DWORD
	v_cmp_gt_i16_e32 vcc, 0, v19
	v_cndmask_b32_e64 v31, v41, 0, s[4:5]
	v_cndmask_b32_e64 v32, v41, 0, vcc
	v_lshlrev_b32_e32 v23, 3, v23
	v_lshlrev_b32_e32 v22, 3, v22
	v_xor_b32_e32 v32, v32, v19
	v_xor_b32_sdwa v19, v31, v19 dst_sel:DWORD dst_unused:UNUSED_PAD src0_sel:DWORD src1_sel:WORD_1
	v_lshlrev_b32_e32 v16, 3, v16
	v_perm_b32 v39, v19, v32, s16
	v_xor_b32_e32 v19, v30, v18
	v_xor_b32_sdwa v18, v29, v18 dst_sel:DWORD dst_unused:UNUSED_PAD src0_sel:DWORD src1_sel:WORD_1
	s_barrier
	ds_write_b64 v25, v[12:13]
	ds_write_b64 v24, v[14:15]
	;; [unrolled: 1-line block ×8, first 2 shown]
	s_waitcnt lgkmcnt(0)
	s_barrier
	ds_read2_b64 v[22:25], v34 offset1:1
	ds_read2_b64 v[26:29], v34 offset0:2 offset1:3
	ds_read2_b64 v[30:33], v34 offset0:4 offset1:5
	;; [unrolled: 1-line block ×3, first 2 shown]
	v_cmp_gt_i16_sdwa vcc, v20, v40 src0_sel:WORD_1 src1_sel:DWORD
	v_cndmask_b32_e32 v0, 0, v41, vcc
	v_cmp_lt_i16_e32 vcc, -1, v20
	v_cndmask_b32_e32 v1, 0, v41, vcc
	v_cmp_lt_i16_sdwa s[4:5], v21, v17 src0_sel:WORD_1 src1_sel:DWORD
	v_cmp_gt_i16_e32 vcc, 0, v21
	v_cndmask_b32_e64 v2, v41, 0, s[4:5]
	v_cndmask_b32_e64 v3, v41, 0, vcc
	v_xor_b32_e32 v3, v3, v21
	v_xor_b32_sdwa v2, v2, v21 dst_sel:DWORD dst_unused:UNUSED_PAD src0_sel:DWORD src1_sel:WORD_1
	v_xor_b32_e32 v1, v1, v20
	v_xor_b32_sdwa v0, v0, v20 dst_sel:DWORD dst_unused:UNUSED_PAD src0_sel:DWORD src1_sel:WORD_1
	v_perm_b32 v38, v18, v19, s16
	v_perm_b32 v41, v2, v3, s16
	v_perm_b32 v40, v0, v1, s16
.LBB250_131:
	s_waitcnt lgkmcnt(0)
	s_barrier
	ds_write_b128 v54, v[38:41]
	s_waitcnt lgkmcnt(0)
	s_barrier
	ds_read_u16 v8, v43 offset:1024
	ds_read_u16 v7, v48 offset:2048
	;; [unrolled: 1-line block ×7, first 2 shown]
	v_mov_b32_e32 v43, 0
	v_lshlrev_b64 v[0:1], 1, v[42:43]
	v_mov_b32_e32 v9, s48
	v_add_co_u32_e32 v0, vcc, s33, v0
	v_addc_co_u32_e32 v1, vcc, v9, v1, vcc
	s_and_saveexec_b64 s[4:5], s[0:1]
	s_cbranch_execnz .LBB250_150
; %bb.132:
	s_or_b64 exec, exec, s[4:5]
	s_and_saveexec_b64 s[4:5], s[2:3]
	s_cbranch_execnz .LBB250_151
.LBB250_133:
	s_or_b64 exec, exec, s[4:5]
	s_and_saveexec_b64 s[4:5], s[44:45]
	s_cbranch_execnz .LBB250_152
.LBB250_134:
	s_or_b64 exec, exec, s[4:5]
	s_and_saveexec_b64 s[4:5], s[6:7]
	s_cbranch_execnz .LBB250_153
.LBB250_135:
	s_or_b64 exec, exec, s[4:5]
	s_and_saveexec_b64 s[4:5], s[8:9]
	s_cbranch_execnz .LBB250_154
.LBB250_136:
	s_or_b64 exec, exec, s[4:5]
	s_and_saveexec_b64 s[4:5], s[10:11]
	s_cbranch_execnz .LBB250_155
.LBB250_137:
	s_or_b64 exec, exec, s[4:5]
	s_and_saveexec_b64 s[4:5], s[12:13]
	s_cbranch_execnz .LBB250_156
.LBB250_138:
	s_or_b64 exec, exec, s[4:5]
	s_and_saveexec_b64 s[4:5], s[14:15]
	s_cbranch_execz .LBB250_140
.LBB250_139:
	s_mul_i32 s16, s50, 0xe00
	s_mov_b32 s17, 0
	s_lshl_b64 s[16:17], s[16:17], 1
	s_waitcnt lgkmcnt(1)
	v_mov_b32_e32 v3, s17
	v_add_co_u32_e32 v0, vcc, s16, v0
	v_addc_co_u32_e32 v1, vcc, v1, v3, vcc
	s_waitcnt lgkmcnt(0)
	global_store_short v[0:1], v2, off
.LBB250_140:
	s_or_b64 exec, exec, s[4:5]
	s_waitcnt lgkmcnt(0)
	s_barrier
	ds_write2_b64 v62, v[22:23], v[24:25] offset1:1
	ds_write2_b64 v62, v[26:27], v[28:29] offset0:2 offset1:3
	ds_write2_b64 v62, v[30:31], v[32:33] offset0:4 offset1:5
	;; [unrolled: 1-line block ×3, first 2 shown]
	s_waitcnt lgkmcnt(0)
	s_barrier
	ds_read_b64 v[14:15], v45 offset:4096
	ds_read_b64 v[12:13], v56 offset:8192
	;; [unrolled: 1-line block ×7, first 2 shown]
	v_mov_b32_e32 v45, 0
	v_lshlrev_b64 v[2:3], 3, v[44:45]
	v_mov_b32_e32 v16, s51
	v_add_co_u32_e32 v2, vcc, s49, v2
	v_addc_co_u32_e32 v3, vcc, v16, v3, vcc
	s_and_saveexec_b64 s[4:5], s[0:1]
	s_cbranch_execnz .LBB250_157
; %bb.141:
	s_or_b64 exec, exec, s[4:5]
	s_and_saveexec_b64 s[0:1], s[2:3]
	s_cbranch_execnz .LBB250_158
.LBB250_142:
	s_or_b64 exec, exec, s[0:1]
	s_and_saveexec_b64 s[0:1], s[44:45]
	s_cbranch_execnz .LBB250_159
.LBB250_143:
	s_or_b64 exec, exec, s[0:1]
	s_and_saveexec_b64 s[0:1], s[6:7]
	s_cbranch_execnz .LBB250_160
.LBB250_144:
	s_or_b64 exec, exec, s[0:1]
	s_and_saveexec_b64 s[0:1], s[8:9]
	s_cbranch_execnz .LBB250_161
.LBB250_145:
	s_or_b64 exec, exec, s[0:1]
	s_and_saveexec_b64 s[0:1], s[10:11]
	s_cbranch_execnz .LBB250_162
.LBB250_146:
	s_or_b64 exec, exec, s[0:1]
	s_and_saveexec_b64 s[0:1], s[12:13]
	s_cbranch_execnz .LBB250_163
.LBB250_147:
	s_or_b64 exec, exec, s[0:1]
	s_and_saveexec_b64 s[0:1], s[14:15]
	s_cbranch_execz .LBB250_149
.LBB250_148:
	s_mul_i32 s0, s52, 0xe00
	s_mov_b32 s1, 0
	s_lshl_b64 s[0:1], s[0:1], 3
	s_waitcnt lgkmcnt(1)
	v_mov_b32_e32 v4, s1
	v_add_co_u32_e32 v2, vcc, s0, v2
	v_addc_co_u32_e32 v3, vcc, v3, v4, vcc
	s_waitcnt lgkmcnt(0)
	global_store_dwordx2 v[2:3], v[0:1], off
.LBB250_149:
	s_endpgm
.LBB250_150:
	ds_read_u16 v9, v47
	s_waitcnt lgkmcnt(0)
	global_store_short v[0:1], v9, off
	s_or_b64 exec, exec, s[4:5]
	s_and_saveexec_b64 s[4:5], s[2:3]
	s_cbranch_execz .LBB250_133
.LBB250_151:
	s_lshl_b32 s16, s50, 9
	s_mov_b32 s17, 0
	s_lshl_b64 s[16:17], s[16:17], 1
	v_mov_b32_e32 v9, s17
	v_add_co_u32_e32 v10, vcc, s16, v0
	v_addc_co_u32_e32 v11, vcc, v1, v9, vcc
	s_waitcnt lgkmcnt(6)
	global_store_short v[10:11], v8, off
	s_or_b64 exec, exec, s[4:5]
	s_and_saveexec_b64 s[4:5], s[44:45]
	s_cbranch_execz .LBB250_134
.LBB250_152:
	s_lshl_b32 s16, s50, 10
	s_mov_b32 s17, 0
	s_lshl_b64 s[16:17], s[16:17], 1
	v_mov_b32_e32 v9, s17
	s_waitcnt lgkmcnt(6)
	v_add_co_u32_e32 v8, vcc, s16, v0
	v_addc_co_u32_e32 v9, vcc, v1, v9, vcc
	s_waitcnt lgkmcnt(5)
	global_store_short v[8:9], v7, off
	s_or_b64 exec, exec, s[4:5]
	s_and_saveexec_b64 s[4:5], s[6:7]
	s_cbranch_execz .LBB250_135
.LBB250_153:
	s_mul_i32 s16, s50, 0x600
	s_mov_b32 s17, 0
	s_lshl_b64 s[16:17], s[16:17], 1
	s_waitcnt lgkmcnt(5)
	v_mov_b32_e32 v7, s17
	v_add_co_u32_e32 v8, vcc, s16, v0
	v_addc_co_u32_e32 v9, vcc, v1, v7, vcc
	s_waitcnt lgkmcnt(4)
	global_store_short v[8:9], v6, off
	s_or_b64 exec, exec, s[4:5]
	s_and_saveexec_b64 s[4:5], s[8:9]
	s_cbranch_execz .LBB250_136
.LBB250_154:
	s_lshl_b32 s16, s50, 11
	s_mov_b32 s17, 0
	s_lshl_b64 s[16:17], s[16:17], 1
	s_waitcnt lgkmcnt(5)
	v_mov_b32_e32 v7, s17
	s_waitcnt lgkmcnt(4)
	v_add_co_u32_e32 v6, vcc, s16, v0
	v_addc_co_u32_e32 v7, vcc, v1, v7, vcc
	s_waitcnt lgkmcnt(3)
	global_store_short v[6:7], v5, off
	s_or_b64 exec, exec, s[4:5]
	s_and_saveexec_b64 s[4:5], s[10:11]
	s_cbranch_execz .LBB250_137
.LBB250_155:
	s_mul_i32 s16, s50, 0xa00
	s_mov_b32 s17, 0
	s_lshl_b64 s[16:17], s[16:17], 1
	s_waitcnt lgkmcnt(3)
	v_mov_b32_e32 v5, s17
	v_add_co_u32_e32 v6, vcc, s16, v0
	v_addc_co_u32_e32 v7, vcc, v1, v5, vcc
	s_waitcnt lgkmcnt(2)
	global_store_short v[6:7], v4, off
	s_or_b64 exec, exec, s[4:5]
	s_and_saveexec_b64 s[4:5], s[12:13]
	s_cbranch_execz .LBB250_138
.LBB250_156:
	s_mul_i32 s16, s50, 0xc00
	s_mov_b32 s17, 0
	s_lshl_b64 s[16:17], s[16:17], 1
	s_waitcnt lgkmcnt(3)
	v_mov_b32_e32 v5, s17
	s_waitcnt lgkmcnt(2)
	v_add_co_u32_e32 v4, vcc, s16, v0
	v_addc_co_u32_e32 v5, vcc, v1, v5, vcc
	s_waitcnt lgkmcnt(1)
	global_store_short v[4:5], v3, off
	s_or_b64 exec, exec, s[4:5]
	s_and_saveexec_b64 s[4:5], s[14:15]
	s_cbranch_execnz .LBB250_139
	s_branch .LBB250_140
.LBB250_157:
	ds_read_b64 v[16:17], v55
	s_waitcnt lgkmcnt(0)
	global_store_dwordx2 v[2:3], v[16:17], off
	s_or_b64 exec, exec, s[4:5]
	s_and_saveexec_b64 s[0:1], s[2:3]
	s_cbranch_execz .LBB250_142
.LBB250_158:
	s_lshl_b32 s2, s52, 9
	s_mov_b32 s3, 0
	s_lshl_b64 s[2:3], s[2:3], 3
	v_mov_b32_e32 v17, s3
	v_add_co_u32_e32 v16, vcc, s2, v2
	v_addc_co_u32_e32 v17, vcc, v3, v17, vcc
	s_waitcnt lgkmcnt(6)
	global_store_dwordx2 v[16:17], v[14:15], off
	s_or_b64 exec, exec, s[0:1]
	s_and_saveexec_b64 s[0:1], s[44:45]
	s_cbranch_execz .LBB250_143
.LBB250_159:
	s_lshl_b32 s2, s52, 10
	s_mov_b32 s3, 0
	s_lshl_b64 s[2:3], s[2:3], 3
	s_waitcnt lgkmcnt(6)
	v_mov_b32_e32 v15, s3
	v_add_co_u32_e32 v14, vcc, s2, v2
	v_addc_co_u32_e32 v15, vcc, v3, v15, vcc
	s_waitcnt lgkmcnt(5)
	global_store_dwordx2 v[14:15], v[12:13], off
	s_or_b64 exec, exec, s[0:1]
	s_and_saveexec_b64 s[0:1], s[6:7]
	s_cbranch_execz .LBB250_144
.LBB250_160:
	s_mul_i32 s2, s52, 0x600
	s_mov_b32 s3, 0
	s_lshl_b64 s[2:3], s[2:3], 3
	s_waitcnt lgkmcnt(5)
	v_mov_b32_e32 v13, s3
	v_add_co_u32_e32 v12, vcc, s2, v2
	v_addc_co_u32_e32 v13, vcc, v3, v13, vcc
	s_waitcnt lgkmcnt(4)
	global_store_dwordx2 v[12:13], v[10:11], off
	s_or_b64 exec, exec, s[0:1]
	s_and_saveexec_b64 s[0:1], s[8:9]
	s_cbranch_execz .LBB250_145
.LBB250_161:
	s_lshl_b32 s2, s52, 11
	s_mov_b32 s3, 0
	s_lshl_b64 s[2:3], s[2:3], 3
	s_waitcnt lgkmcnt(4)
	v_mov_b32_e32 v11, s3
	v_add_co_u32_e32 v10, vcc, s2, v2
	v_addc_co_u32_e32 v11, vcc, v3, v11, vcc
	s_waitcnt lgkmcnt(3)
	global_store_dwordx2 v[10:11], v[8:9], off
	s_or_b64 exec, exec, s[0:1]
	s_and_saveexec_b64 s[0:1], s[10:11]
	s_cbranch_execz .LBB250_146
.LBB250_162:
	s_mul_i32 s2, s52, 0xa00
	s_mov_b32 s3, 0
	s_lshl_b64 s[2:3], s[2:3], 3
	s_waitcnt lgkmcnt(3)
	v_mov_b32_e32 v9, s3
	v_add_co_u32_e32 v8, vcc, s2, v2
	v_addc_co_u32_e32 v9, vcc, v3, v9, vcc
	s_waitcnt lgkmcnt(2)
	global_store_dwordx2 v[8:9], v[6:7], off
	s_or_b64 exec, exec, s[0:1]
	s_and_saveexec_b64 s[0:1], s[12:13]
	s_cbranch_execz .LBB250_147
.LBB250_163:
	s_mul_i32 s2, s52, 0xc00
	s_mov_b32 s3, 0
	s_lshl_b64 s[2:3], s[2:3], 3
	s_waitcnt lgkmcnt(2)
	v_mov_b32_e32 v7, s3
	v_add_co_u32_e32 v6, vcc, s2, v2
	v_addc_co_u32_e32 v7, vcc, v3, v7, vcc
	s_waitcnt lgkmcnt(1)
	global_store_dwordx2 v[6:7], v[4:5], off
	s_or_b64 exec, exec, s[0:1]
	s_and_saveexec_b64 s[0:1], s[14:15]
	s_cbranch_execnz .LBB250_148
	s_branch .LBB250_149
	.section	.rodata,"a",@progbits
	.p2align	6, 0x0
	.amdhsa_kernel _ZN2at6native18radixSortKVInPlaceILin1ELin1ELi512ELi8EN3c108BFloat16EljEEvNS_4cuda6detail10TensorInfoIT3_T5_EES8_S8_S8_NS6_IT4_S8_EES8_b
		.amdhsa_group_segment_fixed_size 33792
		.amdhsa_private_segment_fixed_size 0
		.amdhsa_kernarg_size 712
		.amdhsa_user_sgpr_count 6
		.amdhsa_user_sgpr_private_segment_buffer 1
		.amdhsa_user_sgpr_dispatch_ptr 0
		.amdhsa_user_sgpr_queue_ptr 0
		.amdhsa_user_sgpr_kernarg_segment_ptr 1
		.amdhsa_user_sgpr_dispatch_id 0
		.amdhsa_user_sgpr_flat_scratch_init 0
		.amdhsa_user_sgpr_kernarg_preload_length 0
		.amdhsa_user_sgpr_kernarg_preload_offset 0
		.amdhsa_user_sgpr_private_segment_size 0
		.amdhsa_uses_dynamic_stack 0
		.amdhsa_system_sgpr_private_segment_wavefront_offset 0
		.amdhsa_system_sgpr_workgroup_id_x 1
		.amdhsa_system_sgpr_workgroup_id_y 1
		.amdhsa_system_sgpr_workgroup_id_z 1
		.amdhsa_system_sgpr_workgroup_info 0
		.amdhsa_system_vgpr_workitem_id 2
		.amdhsa_next_free_vgpr 108
		.amdhsa_next_free_sgpr 57
		.amdhsa_accum_offset 108
		.amdhsa_reserve_vcc 1
		.amdhsa_reserve_flat_scratch 0
		.amdhsa_float_round_mode_32 0
		.amdhsa_float_round_mode_16_64 0
		.amdhsa_float_denorm_mode_32 3
		.amdhsa_float_denorm_mode_16_64 3
		.amdhsa_dx10_clamp 1
		.amdhsa_ieee_mode 1
		.amdhsa_fp16_overflow 0
		.amdhsa_tg_split 0
		.amdhsa_exception_fp_ieee_invalid_op 0
		.amdhsa_exception_fp_denorm_src 0
		.amdhsa_exception_fp_ieee_div_zero 0
		.amdhsa_exception_fp_ieee_overflow 0
		.amdhsa_exception_fp_ieee_underflow 0
		.amdhsa_exception_fp_ieee_inexact 0
		.amdhsa_exception_int_div_zero 0
	.end_amdhsa_kernel
	.section	.text._ZN2at6native18radixSortKVInPlaceILin1ELin1ELi512ELi8EN3c108BFloat16EljEEvNS_4cuda6detail10TensorInfoIT3_T5_EES8_S8_S8_NS6_IT4_S8_EES8_b,"axG",@progbits,_ZN2at6native18radixSortKVInPlaceILin1ELin1ELi512ELi8EN3c108BFloat16EljEEvNS_4cuda6detail10TensorInfoIT3_T5_EES8_S8_S8_NS6_IT4_S8_EES8_b,comdat
.Lfunc_end250:
	.size	_ZN2at6native18radixSortKVInPlaceILin1ELin1ELi512ELi8EN3c108BFloat16EljEEvNS_4cuda6detail10TensorInfoIT3_T5_EES8_S8_S8_NS6_IT4_S8_EES8_b, .Lfunc_end250-_ZN2at6native18radixSortKVInPlaceILin1ELin1ELi512ELi8EN3c108BFloat16EljEEvNS_4cuda6detail10TensorInfoIT3_T5_EES8_S8_S8_NS6_IT4_S8_EES8_b
                                        ; -- End function
	.section	.AMDGPU.csdata,"",@progbits
; Kernel info:
; codeLenInByte = 21724
; NumSgprs: 61
; NumVgprs: 108
; NumAgprs: 0
; TotalNumVgprs: 108
; ScratchSize: 0
; MemoryBound: 0
; FloatMode: 240
; IeeeMode: 1
; LDSByteSize: 33792 bytes/workgroup (compile time only)
; SGPRBlocks: 7
; VGPRBlocks: 13
; NumSGPRsForWavesPerEU: 61
; NumVGPRsForWavesPerEU: 108
; AccumOffset: 108
; Occupancy: 2
; WaveLimiterHint : 1
; COMPUTE_PGM_RSRC2:SCRATCH_EN: 0
; COMPUTE_PGM_RSRC2:USER_SGPR: 6
; COMPUTE_PGM_RSRC2:TRAP_HANDLER: 0
; COMPUTE_PGM_RSRC2:TGID_X_EN: 1
; COMPUTE_PGM_RSRC2:TGID_Y_EN: 1
; COMPUTE_PGM_RSRC2:TGID_Z_EN: 1
; COMPUTE_PGM_RSRC2:TIDIG_COMP_CNT: 2
; COMPUTE_PGM_RSRC3_GFX90A:ACCUM_OFFSET: 26
; COMPUTE_PGM_RSRC3_GFX90A:TG_SPLIT: 0
	.section	.text._ZN2at6native18radixSortKVInPlaceILin1ELin1ELi256ELi8EN3c108BFloat16EljEEvNS_4cuda6detail10TensorInfoIT3_T5_EES8_S8_S8_NS6_IT4_S8_EES8_b,"axG",@progbits,_ZN2at6native18radixSortKVInPlaceILin1ELin1ELi256ELi8EN3c108BFloat16EljEEvNS_4cuda6detail10TensorInfoIT3_T5_EES8_S8_S8_NS6_IT4_S8_EES8_b,comdat
	.protected	_ZN2at6native18radixSortKVInPlaceILin1ELin1ELi256ELi8EN3c108BFloat16EljEEvNS_4cuda6detail10TensorInfoIT3_T5_EES8_S8_S8_NS6_IT4_S8_EES8_b ; -- Begin function _ZN2at6native18radixSortKVInPlaceILin1ELin1ELi256ELi8EN3c108BFloat16EljEEvNS_4cuda6detail10TensorInfoIT3_T5_EES8_S8_S8_NS6_IT4_S8_EES8_b
	.globl	_ZN2at6native18radixSortKVInPlaceILin1ELin1ELi256ELi8EN3c108BFloat16EljEEvNS_4cuda6detail10TensorInfoIT3_T5_EES8_S8_S8_NS6_IT4_S8_EES8_b
	.p2align	8
	.type	_ZN2at6native18radixSortKVInPlaceILin1ELin1ELi256ELi8EN3c108BFloat16EljEEvNS_4cuda6detail10TensorInfoIT3_T5_EES8_S8_S8_NS6_IT4_S8_EES8_b,@function
_ZN2at6native18radixSortKVInPlaceILin1ELin1ELi256ELi8EN3c108BFloat16EljEEvNS_4cuda6detail10TensorInfoIT3_T5_EES8_S8_S8_NS6_IT4_S8_EES8_b: ; @_ZN2at6native18radixSortKVInPlaceILin1ELin1ELi256ELi8EN3c108BFloat16EljEEvNS_4cuda6detail10TensorInfoIT3_T5_EES8_S8_S8_NS6_IT4_S8_EES8_b
; %bb.0:
	s_load_dwordx2 s[0:1], s[4:5], 0x1c8
	s_load_dwordx4 s[44:47], s[4:5], 0xd8
	s_add_u32 s50, s4, 0x1c8
	s_addc_u32 s51, s5, 0
	s_waitcnt lgkmcnt(0)
	s_mul_i32 s1, s1, s8
	s_add_i32 s1, s1, s7
	s_mul_i32 s0, s1, s0
	s_add_i32 s20, s0, s6
	s_cmp_ge_u32 s20, s44
	s_cbranch_scc1 .LBB251_149
; %bb.1:
	s_load_dword s2, s[4:5], 0xd0
	s_mov_b32 s1, 0
	s_mov_b32 s0, s20
	s_waitcnt lgkmcnt(0)
	s_cmp_lt_i32 s2, 2
	s_cbranch_scc1 .LBB251_4
; %bb.2:
	s_add_i32 s0, s2, -1
	s_add_i32 s6, s2, 1
	s_lshl_b64 s[2:3], s[0:1], 2
	s_add_u32 s0, s2, s4
	s_addc_u32 s3, s3, s5
	s_add_u32 s2, s0, 8
	s_addc_u32 s3, s3, 0
	s_mov_b32 s0, s20
.LBB251_3:                              ; =>This Inner Loop Header: Depth=1
	s_load_dword s7, s[2:3], 0x0
	s_load_dword s9, s[2:3], 0x64
	s_mov_b32 s8, s0
	s_waitcnt lgkmcnt(0)
	v_cvt_f32_u32_e32 v1, s7
	s_sub_i32 s0, 0, s7
	v_rcp_iflag_f32_e32 v1, v1
	v_mul_f32_e32 v1, 0x4f7ffffe, v1
	v_cvt_u32_f32_e32 v1, v1
	v_readfirstlane_b32 s10, v1
	s_mul_i32 s0, s0, s10
	s_mul_hi_u32 s0, s10, s0
	s_add_i32 s10, s10, s0
	s_mul_hi_u32 s0, s8, s10
	s_mul_i32 s10, s0, s7
	s_sub_i32 s10, s8, s10
	s_add_i32 s11, s0, 1
	s_sub_i32 s12, s10, s7
	s_cmp_ge_u32 s10, s7
	s_cselect_b32 s0, s11, s0
	s_cselect_b32 s10, s12, s10
	s_add_i32 s11, s0, 1
	s_cmp_ge_u32 s10, s7
	s_cselect_b32 s0, s11, s0
	s_mul_i32 s7, s0, s7
	s_sub_i32 s7, s8, s7
	s_mul_i32 s7, s9, s7
	s_add_i32 s6, s6, -1
	s_add_i32 s1, s7, s1
	s_add_u32 s2, s2, -4
	s_addc_u32 s3, s3, -1
	s_cmp_gt_u32 s6, 2
	s_cbranch_scc1 .LBB251_3
.LBB251_4:
	s_load_dword s2, s[4:5], 0x1b8
	s_mov_b32 s17, 0
	s_waitcnt lgkmcnt(0)
	s_cmp_lt_i32 s2, 2
	s_cbranch_scc1 .LBB251_7
; %bb.5:
	s_add_i32 s16, s2, -1
	s_add_i32 s6, s2, 1
	s_lshl_b64 s[2:3], s[16:17], 2
	s_add_u32 s2, s2, s4
	s_addc_u32 s3, s3, s5
	s_add_u32 s2, s2, 0xf0
	s_addc_u32 s3, s3, 0
.LBB251_6:                              ; =>This Inner Loop Header: Depth=1
	s_load_dword s7, s[2:3], 0x0
	s_load_dword s9, s[2:3], 0x64
	s_mov_b32 s8, s20
	s_waitcnt lgkmcnt(0)
	v_cvt_f32_u32_e32 v1, s7
	s_sub_i32 s10, 0, s7
	v_rcp_iflag_f32_e32 v1, v1
	v_mul_f32_e32 v1, 0x4f7ffffe, v1
	v_cvt_u32_f32_e32 v1, v1
	v_readfirstlane_b32 s11, v1
	s_mul_i32 s10, s10, s11
	s_mul_hi_u32 s10, s11, s10
	s_add_i32 s11, s11, s10
	s_mul_hi_u32 s10, s20, s11
	s_mul_i32 s11, s10, s7
	s_sub_i32 s11, s20, s11
	s_add_i32 s12, s10, 1
	s_sub_i32 s13, s11, s7
	s_cmp_ge_u32 s11, s7
	s_cselect_b32 s10, s12, s10
	s_cselect_b32 s11, s13, s11
	s_add_i32 s12, s10, 1
	s_cmp_ge_u32 s11, s7
	s_cselect_b32 s20, s12, s10
	s_mul_i32 s7, s20, s7
	s_sub_i32 s7, s8, s7
	s_mul_i32 s7, s9, s7
	s_add_i32 s6, s6, -1
	s_add_i32 s17, s7, s17
	s_add_u32 s2, s2, -4
	s_addc_u32 s3, s3, -1
	s_cmp_gt_u32 s6, 2
	s_cbranch_scc1 .LBB251_6
.LBB251_7:
	s_load_dword s2, s[4:5], 0x6c
	s_load_dwordx2 s[48:49], s[4:5], 0x1c0
	s_mov_b32 s8, 0xffff
	v_and_b32_e32 v46, 0x3ff, v0
	v_mul_lo_u32 v42, v46, s46
	s_waitcnt lgkmcnt(0)
	s_mul_i32 s0, s2, s0
	s_load_dwordx2 s[2:3], s[4:5], 0x0
	s_add_i32 s0, s0, s1
	s_bitcmp1_b32 s49, 0
	s_cselect_b64 s[34:35], -1, 0
	s_and_b64 s[6:7], s[34:35], exec
	s_mov_b32 s1, 0
	s_cselect_b32 s16, s8, 0x7fff
	s_lshl_b64 s[0:1], s[0:1], 1
	s_waitcnt lgkmcnt(0)
	s_add_u32 s33, s2, s0
	s_addc_u32 s47, s3, s1
	v_cmp_gt_u32_e64 s[0:1], s45, v46
	v_mov_b32_e32 v1, s16
	s_and_saveexec_b64 s[2:3], s[0:1]
	s_cbranch_execz .LBB251_9
; %bb.8:
	v_mov_b32_e32 v43, 0
	v_lshlrev_b64 v[2:3], 1, v[42:43]
	v_mov_b32_e32 v1, s47
	v_add_co_u32_e32 v2, vcc, s33, v2
	v_addc_co_u32_e32 v3, vcc, v1, v3, vcc
	global_load_ushort v1, v[2:3], off
.LBB251_9:
	s_or_b64 exec, exec, s[2:3]
	v_add_u32_e32 v36, 0x100, v46
	v_cmp_gt_u32_e64 s[2:3], s45, v36
	v_mov_b32_e32 v2, s16
	s_and_saveexec_b64 s[6:7], s[2:3]
	s_cbranch_execz .LBB251_11
; %bb.10:
	v_mul_lo_u32 v2, v36, s46
	v_mov_b32_e32 v3, 0
	v_lshlrev_b64 v[2:3], 1, v[2:3]
	v_mov_b32_e32 v4, s47
	v_add_co_u32_e32 v2, vcc, s33, v2
	v_addc_co_u32_e32 v3, vcc, v4, v3, vcc
	global_load_ushort v2, v[2:3], off
.LBB251_11:
	s_or_b64 exec, exec, s[6:7]
	v_add_u32_e32 v35, 0x200, v46
	v_cmp_gt_u32_e64 s[42:43], s45, v35
	v_mov_b32_e32 v3, s16
	s_and_saveexec_b64 s[6:7], s[42:43]
	s_cbranch_execz .LBB251_13
; %bb.12:
	v_mul_lo_u32 v4, v35, s46
	v_mov_b32_e32 v5, 0
	v_lshlrev_b64 v[4:5], 1, v[4:5]
	v_mov_b32_e32 v3, s47
	v_add_co_u32_e32 v4, vcc, s33, v4
	v_addc_co_u32_e32 v5, vcc, v3, v5, vcc
	global_load_ushort v3, v[4:5], off
.LBB251_13:
	;; [unrolled: 15-line block ×3, first 2 shown]
	s_or_b64 exec, exec, s[8:9]
	v_or_b32_e32 v30, 0x400, v46
	v_cmp_gt_u32_e64 s[8:9], s45, v30
	v_mov_b32_e32 v5, s16
	s_and_saveexec_b64 s[10:11], s[8:9]
	s_cbranch_execz .LBB251_17
; %bb.16:
	v_mul_lo_u32 v6, v30, s46
	v_mov_b32_e32 v7, 0
	v_lshlrev_b64 v[6:7], 1, v[6:7]
	v_mov_b32_e32 v5, s47
	v_add_co_u32_e32 v6, vcc, s33, v6
	v_addc_co_u32_e32 v7, vcc, v5, v7, vcc
	global_load_ushort v5, v[6:7], off
.LBB251_17:
	s_or_b64 exec, exec, s[10:11]
	v_add_u32_e32 v28, 0x500, v46
	v_cmp_gt_u32_e64 s[10:11], s45, v28
	v_mov_b32_e32 v6, s16
	s_and_saveexec_b64 s[12:13], s[10:11]
	s_cbranch_execz .LBB251_19
; %bb.18:
	v_mul_lo_u32 v6, v28, s46
	v_mov_b32_e32 v7, 0
	v_lshlrev_b64 v[6:7], 1, v[6:7]
	v_mov_b32_e32 v8, s47
	v_add_co_u32_e32 v6, vcc, s33, v6
	v_addc_co_u32_e32 v7, vcc, v8, v7, vcc
	global_load_ushort v6, v[6:7], off
.LBB251_19:
	s_or_b64 exec, exec, s[12:13]
	s_load_dwordx2 s[18:19], s[4:5], 0xe8
	v_add_u32_e32 v26, 0x600, v46
	v_cmp_gt_u32_e64 s[12:13], s45, v26
	v_mov_b32_e32 v7, s16
	s_and_saveexec_b64 s[14:15], s[12:13]
	s_cbranch_execz .LBB251_21
; %bb.20:
	v_mul_lo_u32 v8, v26, s46
	v_mov_b32_e32 v9, 0
	v_lshlrev_b64 v[8:9], 1, v[8:9]
	v_mov_b32_e32 v7, s47
	v_add_co_u32_e32 v8, vcc, s33, v8
	v_addc_co_u32_e32 v9, vcc, v7, v9, vcc
	global_load_ushort v7, v[8:9], off
.LBB251_21:
	s_or_b64 exec, exec, s[14:15]
	s_load_dword s21, s[4:5], 0x154
	v_add_u32_e32 v22, 0x700, v46
	v_cmp_gt_u32_e64 s[14:15], s45, v22
	v_mov_b32_e32 v8, s16
	s_and_saveexec_b64 s[4:5], s[14:15]
	s_cbranch_execz .LBB251_23
; %bb.22:
	v_mul_lo_u32 v8, v22, s46
	v_mov_b32_e32 v9, 0
	v_lshlrev_b64 v[8:9], 1, v[8:9]
	v_mov_b32_e32 v10, s47
	v_add_co_u32_e32 v8, vcc, s33, v8
	v_addc_co_u32_e32 v9, vcc, v10, v9, vcc
	global_load_ushort v8, v[8:9], off
.LBB251_23:
	s_or_b64 exec, exec, s[4:5]
	v_lshrrev_b32_e32 v34, 5, v46
	v_and_b32_e32 v9, 30, v34
	v_add_lshl_u32 v47, v9, v46, 1
	v_lshrrev_b32_e32 v32, 5, v36
	s_waitcnt vmcnt(0)
	ds_write_b16 v47, v1
	v_and_b32_e32 v1, 62, v32
	v_lshrrev_b32_e32 v31, 5, v35
	v_add_lshl_u32 v43, v1, v46, 1
	v_and_b32_e32 v1, 62, v31
	v_lshrrev_b32_e32 v29, 5, v33
	v_add_lshl_u32 v48, v1, v46, 1
	;; [unrolled: 3-line block ×5, first 2 shown]
	v_and_b32_e32 v1, 0x7e, v23
	v_add_lshl_u32 v52, v1, v46, 1
	v_lshrrev_b32_e32 v1, 5, v22
	ds_write_b16 v43, v2 offset:512
	v_and_b32_e32 v2, 0x7e, v1
	v_lshrrev_b32_e32 v24, 2, v46
	v_add_lshl_u32 v53, v2, v46, 1
	v_lshlrev_b32_e32 v63, 3, v46
	v_and_b32_e32 v2, 0xfe, v24
	s_waitcnt lgkmcnt(0)
	s_mul_i32 s4, s21, s20
	v_add_lshl_u32 v54, v2, v63, 1
	s_add_i32 s16, s4, s17
	s_mov_b32 s17, 0
	ds_write_b16 v48, v3 offset:1024
	ds_write_b16 v49, v4 offset:1536
	;; [unrolled: 1-line block ×6, first 2 shown]
	s_waitcnt lgkmcnt(0)
	s_barrier
	ds_read_b128 v[18:21], v54
	s_lshl_b64 s[4:5], s[16:17], 3
	s_add_u32 s49, s18, s4
	s_mov_b32 s16, s17
	s_addc_u32 s52, s19, s5
	s_mov_b32 s18, s17
	s_mov_b32 s19, s17
	;; [unrolled: 1-line block ×14, first 2 shown]
	v_pk_mov_b32 v[2:3], s[16:17], s[16:17] op_sel:[0,1]
	v_pk_mov_b32 v[4:5], s[18:19], s[18:19] op_sel:[0,1]
	;; [unrolled: 1-line block ×8, first 2 shown]
	v_pk_mov_b32 v[2:3], 0, 0
	v_mul_lo_u32 v44, v46, s48
	s_waitcnt lgkmcnt(0)
	s_barrier
	s_and_saveexec_b64 s[4:5], s[0:1]
	s_cbranch_execnz .LBB251_78
; %bb.24:
	s_or_b64 exec, exec, s[4:5]
	s_and_saveexec_b64 s[4:5], s[2:3]
	s_cbranch_execnz .LBB251_79
.LBB251_25:
	s_or_b64 exec, exec, s[4:5]
	s_and_saveexec_b64 s[4:5], s[42:43]
	s_cbranch_execnz .LBB251_80
.LBB251_26:
	s_or_b64 exec, exec, s[4:5]
	s_and_saveexec_b64 s[4:5], s[6:7]
	s_cbranch_execnz .LBB251_81
.LBB251_27:
	s_or_b64 exec, exec, s[4:5]
	s_and_saveexec_b64 s[4:5], s[8:9]
	s_cbranch_execnz .LBB251_82
.LBB251_28:
	s_or_b64 exec, exec, s[4:5]
	s_and_saveexec_b64 s[4:5], s[10:11]
	s_cbranch_execnz .LBB251_83
.LBB251_29:
	s_or_b64 exec, exec, s[4:5]
	s_and_saveexec_b64 s[4:5], s[12:13]
	s_cbranch_execnz .LBB251_84
.LBB251_30:
	s_or_b64 exec, exec, s[4:5]
	s_xor_b64 s[4:5], s[34:35], -1
	s_and_saveexec_b64 s[16:17], s[14:15]
	s_cbranch_execz .LBB251_32
.LBB251_31:
	v_mul_lo_u32 v16, v22, s48
	v_mov_b32_e32 v17, 0
	v_lshlrev_b64 v[16:17], 3, v[16:17]
	v_mov_b32_e32 v22, s52
	v_add_co_u32_e32 v16, vcc, s49, v16
	v_addc_co_u32_e32 v17, vcc, v22, v17, vcc
	global_load_dwordx2 v[16:17], v[16:17], off
.LBB251_32:
	s_or_b64 exec, exec, s[16:17]
	v_add_lshl_u32 v55, v34, v46, 3
	v_add_lshl_u32 v45, v32, v46, 3
	;; [unrolled: 1-line block ×9, first 2 shown]
	s_waitcnt vmcnt(0)
	ds_write_b64 v55, v[2:3]
	ds_write_b64 v45, v[4:5] offset:2048
	ds_write_b64 v56, v[6:7] offset:4096
	;; [unrolled: 1-line block ×7, first 2 shown]
	s_waitcnt lgkmcnt(0)
	s_barrier
	ds_read2_b64 v[14:17], v62 offset1:1
	ds_read2_b64 v[10:13], v62 offset0:2 offset1:3
	ds_read2_b64 v[6:9], v62 offset0:4 offset1:5
	;; [unrolled: 1-line block ×3, first 2 shown]
	s_and_b64 vcc, exec, s[4:5]
	v_bfe_u32 v65, v0, 10, 10
	v_bfe_u32 v66, v0, 20, 10
	v_mbcnt_lo_u32_b32 v67, -1, 0
	v_lshlrev_b32_e32 v64, 4, v46
	s_waitcnt lgkmcnt(0)
	s_barrier
	s_cbranch_vccz .LBB251_85
; %bb.33:
	s_movk_i32 s4, 0x8000
	v_pk_ashrrev_i16 v24, 15, v18 op_sel_hi:[0,1]
	v_or_b32_e32 v25, 0xffff8000, v24
	v_or_b32_sdwa v24, v24, s4 dst_sel:DWORD dst_unused:UNUSED_PAD src0_sel:WORD_1 src1_sel:DWORD
	v_pk_ashrrev_i16 v22, 15, v19 op_sel_hi:[0,1]
	v_xor_b32_sdwa v26, v24, v18 dst_sel:DWORD dst_unused:UNUSED_PAD src0_sel:DWORD src1_sel:WORD_1
	v_pk_ashrrev_i16 v24, 15, v21 op_sel_hi:[0,1]
	v_pk_ashrrev_i16 v28, 15, v20 op_sel_hi:[0,1]
	v_mbcnt_hi_u32_b32 v76, -1, v67
	v_and_b32_e32 v40, 0x3c0, v46
	v_or_b32_e32 v23, 0xffff8000, v22
	v_or_b32_sdwa v22, v22, s4 dst_sel:DWORD dst_unused:UNUSED_PAD src0_sel:WORD_1 src1_sel:DWORD
	v_xor_b32_e32 v27, v25, v18
	v_or_b32_e32 v25, 0xffff8000, v24
	v_or_b32_e32 v29, 0xffff8000, v28
	v_or_b32_sdwa v24, v24, s4 dst_sel:DWORD dst_unused:UNUSED_PAD src0_sel:WORD_1 src1_sel:DWORD
	v_or_b32_sdwa v28, v28, s4 dst_sel:DWORD dst_unused:UNUSED_PAD src0_sel:WORD_1 src1_sel:DWORD
	v_add_u32_e32 v0, v76, v40
	v_xor_b32_sdwa v22, v22, v19 dst_sel:DWORD dst_unused:UNUSED_PAD src0_sel:DWORD src1_sel:WORD_1
	v_xor_b32_e32 v23, v23, v19
	v_xor_b32_sdwa v28, v28, v20 dst_sel:DWORD dst_unused:UNUSED_PAD src0_sel:DWORD src1_sel:WORD_1
	v_xor_b32_sdwa v24, v24, v21 dst_sel:DWORD dst_unused:UNUSED_PAD src0_sel:DWORD src1_sel:WORD_1
	v_xor_b32_e32 v29, v29, v20
	v_xor_b32_e32 v25, v25, v21
	s_mov_b32 s4, 0x5040100
	v_lshlrev_b32_e32 v1, 4, v0
	v_perm_b32 v25, v24, v25, s4
	v_perm_b32 v24, v28, v29, s4
	;; [unrolled: 1-line block ×4, first 2 shown]
	v_and_b32_e32 v82, 0x1e00, v63
	ds_write_b128 v1, v[22:25]
	v_or_b32_e32 v1, v76, v82
	v_lshlrev_b32_e32 v22, 1, v1
	v_lshlrev_b32_e32 v0, 6, v0
	; wave barrier
	ds_read_u16 v79, v22
	ds_read_u16 v78, v22 offset:128
	ds_read_u16 v77, v22 offset:256
	;; [unrolled: 1-line block ×7, first 2 shown]
	s_waitcnt lgkmcnt(0)
	s_barrier
	ds_write2_b64 v0, v[14:15], v[16:17] offset1:1
	ds_write2_b64 v0, v[10:11], v[12:13] offset0:2 offset1:3
	ds_write2_b64 v0, v[6:7], v[8:9] offset0:4 offset1:5
	;; [unrolled: 1-line block ×3, first 2 shown]
	v_lshlrev_b32_e32 v0, 3, v1
	; wave barrier
	ds_read2st64_b64 v[34:37], v0 offset1:1
	ds_read2st64_b64 v[30:33], v0 offset0:2 offset1:3
	ds_read2st64_b64 v[26:29], v0 offset0:4 offset1:5
	;; [unrolled: 1-line block ×3, first 2 shown]
	s_waitcnt lgkmcnt(0)
	s_barrier
	s_load_dword s16, s[50:51], 0xc
	s_getpc_b64 s[4:5]
	s_add_u32 s4, s4, _ZN7rocprim17ROCPRIM_400000_NS16block_radix_sortI12hip_bfloat16Lj256ELj8ElLj1ELj1ELj0ELNS0_26block_radix_rank_algorithmE1ELNS0_18block_padding_hintE2ELNS0_4arch9wavefront6targetE1EE19radix_bits_per_passE@rel32@lo+4
	s_addc_u32 s5, s5, _ZN7rocprim17ROCPRIM_400000_NS16block_radix_sortI12hip_bfloat16Lj256ELj8ElLj1ELj1ELj0ELNS0_26block_radix_rank_algorithmE1ELNS0_18block_padding_hintE2ELNS0_4arch9wavefront6targetE1EE19radix_bits_per_passE@rel32@hi+12
	s_load_dword s44, s[4:5], 0x0
	s_movk_i32 s17, 0x7fff
	v_mov_b32_e32 v41, 0xffff8000
	s_waitcnt lgkmcnt(0)
	s_lshr_b32 s4, s16, 16
	s_and_b32 s5, s16, 0xffff
	v_mad_u32_u24 v1, v66, s4, v65
	v_mad_u64_u32 v[38:39], s[4:5], v1, s5, v[46:47]
	s_min_u32 s4, s44, 16
	s_lshl_b32 s4, -1, s4
	v_cmp_ne_u16_e32 vcc, s17, v79
	s_not_b32 s16, s4
	v_cndmask_b32_e32 v1, v41, v79, vcc
	v_lshrrev_b32_e32 v68, 6, v38
	v_and_b32_sdwa v38, s16, v1 dst_sel:DWORD dst_unused:UNUSED_PAD src0_sel:DWORD src1_sel:WORD_0
	v_lshlrev_b32_e32 v1, 2, v38
	v_add_lshl_u32 v83, v68, v1, 2
	v_and_b32_e32 v1, 1, v38
	v_add_co_u32_e32 v39, vcc, -1, v1
	v_addc_co_u32_e64 v69, s[4:5], 0, -1, vcc
	v_cmp_ne_u32_e32 vcc, 0, v1
	v_xor_b32_e32 v1, vcc_hi, v69
	v_mov_b32_e32 v0, 0
	v_and_b32_e32 v69, exec_hi, v1
	v_lshlrev_b32_e32 v1, 30, v38
	v_xor_b32_e32 v39, vcc_lo, v39
	v_cmp_gt_i64_e32 vcc, 0, v[0:1]
	v_not_b32_e32 v1, v1
	v_ashrrev_i32_e32 v1, 31, v1
	v_and_b32_e32 v39, exec_lo, v39
	v_xor_b32_e32 v70, vcc_hi, v1
	v_xor_b32_e32 v1, vcc_lo, v1
	v_and_b32_e32 v39, v39, v1
	v_lshlrev_b32_e32 v1, 29, v38
	v_cmp_gt_i64_e32 vcc, 0, v[0:1]
	v_not_b32_e32 v1, v1
	v_ashrrev_i32_e32 v1, 31, v1
	v_and_b32_e32 v69, v69, v70
	v_xor_b32_e32 v70, vcc_hi, v1
	v_xor_b32_e32 v1, vcc_lo, v1
	v_and_b32_e32 v39, v39, v1
	v_lshlrev_b32_e32 v1, 28, v38
	v_cmp_gt_i64_e32 vcc, 0, v[0:1]
	v_not_b32_e32 v1, v1
	v_ashrrev_i32_e32 v1, 31, v1
	v_and_b32_e32 v69, v69, v70
	;; [unrolled: 8-line block ×5, first 2 shown]
	v_xor_b32_e32 v70, vcc_hi, v1
	v_xor_b32_e32 v1, vcc_lo, v1
	v_and_b32_e32 v69, v69, v70
	v_and_b32_e32 v70, v39, v1
	v_lshlrev_b32_e32 v1, 24, v38
	v_cmp_gt_i64_e32 vcc, 0, v[0:1]
	v_not_b32_e32 v1, v1
	v_ashrrev_i32_e32 v1, 31, v1
	v_xor_b32_e32 v38, vcc_hi, v1
	v_xor_b32_e32 v1, vcc_lo, v1
	v_and_b32_e32 v39, v69, v38
	v_and_b32_e32 v38, v70, v1
	v_mbcnt_lo_u32_b32 v1, v38, 0
	v_mbcnt_hi_u32_b32 v84, v39, v1
	v_cmp_eq_u32_e32 vcc, 0, v84
	v_cmp_ne_u64_e64 s[4:5], 0, v[38:39]
	s_and_b64 s[18:19], s[4:5], vcc
	ds_write2_b32 v64, v0, v0 offset0:4 offset1:5
	ds_write2_b32 v64, v0, v0 offset0:6 offset1:7
	s_waitcnt lgkmcnt(0)
	s_barrier
	s_waitcnt lgkmcnt(0)
	; wave barrier
	s_and_saveexec_b64 s[4:5], s[18:19]
	s_cbranch_execz .LBB251_35
; %bb.34:
	v_bcnt_u32_b32 v1, v38, 0
	v_bcnt_u32_b32 v1, v39, v1
	ds_write_b32 v83, v1 offset:16
.LBB251_35:
	s_or_b64 exec, exec, s[4:5]
	v_cmp_ne_u16_e32 vcc, s17, v78
	v_cndmask_b32_e32 v1, v41, v78, vcc
	v_and_b32_sdwa v38, s16, v1 dst_sel:DWORD dst_unused:UNUSED_PAD src0_sel:DWORD src1_sel:WORD_0
	v_lshlrev_b32_e32 v1, 2, v38
	v_add_lshl_u32 v86, v68, v1, 2
	v_and_b32_e32 v1, 1, v38
	v_add_co_u32_e32 v39, vcc, -1, v1
	v_addc_co_u32_e64 v41, s[4:5], 0, -1, vcc
	v_cmp_ne_u32_e32 vcc, 0, v1
	v_xor_b32_e32 v1, vcc_hi, v41
	v_and_b32_e32 v41, exec_hi, v1
	v_lshlrev_b32_e32 v1, 30, v38
	v_xor_b32_e32 v39, vcc_lo, v39
	v_cmp_gt_i64_e32 vcc, 0, v[0:1]
	v_not_b32_e32 v1, v1
	v_ashrrev_i32_e32 v1, 31, v1
	v_and_b32_e32 v39, exec_lo, v39
	v_xor_b32_e32 v69, vcc_hi, v1
	v_xor_b32_e32 v1, vcc_lo, v1
	v_and_b32_e32 v39, v39, v1
	v_lshlrev_b32_e32 v1, 29, v38
	v_cmp_gt_i64_e32 vcc, 0, v[0:1]
	v_not_b32_e32 v1, v1
	v_ashrrev_i32_e32 v1, 31, v1
	v_and_b32_e32 v41, v41, v69
	v_xor_b32_e32 v69, vcc_hi, v1
	v_xor_b32_e32 v1, vcc_lo, v1
	v_and_b32_e32 v39, v39, v1
	v_lshlrev_b32_e32 v1, 28, v38
	v_cmp_gt_i64_e32 vcc, 0, v[0:1]
	v_not_b32_e32 v1, v1
	v_ashrrev_i32_e32 v1, 31, v1
	v_and_b32_e32 v41, v41, v69
	;; [unrolled: 8-line block ×5, first 2 shown]
	v_xor_b32_e32 v69, vcc_hi, v1
	v_xor_b32_e32 v1, vcc_lo, v1
	v_and_b32_e32 v39, v39, v1
	v_lshlrev_b32_e32 v1, 24, v38
	v_cmp_gt_i64_e32 vcc, 0, v[0:1]
	v_not_b32_e32 v0, v1
	v_ashrrev_i32_e32 v0, 31, v0
	v_xor_b32_e32 v1, vcc_hi, v0
	v_xor_b32_e32 v0, vcc_lo, v0
	; wave barrier
	ds_read_b32 v85, v86 offset:16
	v_and_b32_e32 v41, v41, v69
	v_and_b32_e32 v0, v39, v0
	;; [unrolled: 1-line block ×3, first 2 shown]
	v_mbcnt_lo_u32_b32 v38, v0, 0
	v_mbcnt_hi_u32_b32 v87, v1, v38
	v_cmp_eq_u32_e32 vcc, 0, v87
	v_cmp_ne_u64_e64 s[4:5], 0, v[0:1]
	s_and_b64 s[18:19], s[4:5], vcc
	; wave barrier
	s_and_saveexec_b64 s[4:5], s[18:19]
	s_cbranch_execz .LBB251_37
; %bb.36:
	v_bcnt_u32_b32 v0, v0, 0
	v_bcnt_u32_b32 v0, v1, v0
	s_waitcnt lgkmcnt(0)
	v_add_u32_e32 v0, v85, v0
	ds_write_b32 v86, v0 offset:16
.LBB251_37:
	s_or_b64 exec, exec, s[4:5]
	v_mov_b32_e32 v41, 0xffff8000
	v_cmp_ne_u16_e32 vcc, s17, v77
	v_cndmask_b32_e32 v0, v41, v77, vcc
	v_and_b32_sdwa v38, s16, v0 dst_sel:DWORD dst_unused:UNUSED_PAD src0_sel:DWORD src1_sel:WORD_0
	v_and_b32_e32 v1, 1, v38
	v_add_co_u32_e32 v39, vcc, -1, v1
	v_addc_co_u32_e64 v69, s[4:5], 0, -1, vcc
	v_cmp_ne_u32_e32 vcc, 0, v1
	v_lshlrev_b32_e32 v0, 2, v38
	v_xor_b32_e32 v1, vcc_hi, v69
	v_add_lshl_u32 v89, v68, v0, 2
	v_mov_b32_e32 v0, 0
	v_and_b32_e32 v69, exec_hi, v1
	v_lshlrev_b32_e32 v1, 30, v38
	v_xor_b32_e32 v39, vcc_lo, v39
	v_cmp_gt_i64_e32 vcc, 0, v[0:1]
	v_not_b32_e32 v1, v1
	v_ashrrev_i32_e32 v1, 31, v1
	v_and_b32_e32 v39, exec_lo, v39
	v_xor_b32_e32 v70, vcc_hi, v1
	v_xor_b32_e32 v1, vcc_lo, v1
	v_and_b32_e32 v39, v39, v1
	v_lshlrev_b32_e32 v1, 29, v38
	v_cmp_gt_i64_e32 vcc, 0, v[0:1]
	v_not_b32_e32 v1, v1
	v_ashrrev_i32_e32 v1, 31, v1
	v_and_b32_e32 v69, v69, v70
	v_xor_b32_e32 v70, vcc_hi, v1
	v_xor_b32_e32 v1, vcc_lo, v1
	v_and_b32_e32 v39, v39, v1
	v_lshlrev_b32_e32 v1, 28, v38
	v_cmp_gt_i64_e32 vcc, 0, v[0:1]
	v_not_b32_e32 v1, v1
	v_ashrrev_i32_e32 v1, 31, v1
	v_and_b32_e32 v69, v69, v70
	v_xor_b32_e32 v70, vcc_hi, v1
	v_xor_b32_e32 v1, vcc_lo, v1
	v_and_b32_e32 v39, v39, v1
	v_lshlrev_b32_e32 v1, 27, v38
	v_cmp_gt_i64_e32 vcc, 0, v[0:1]
	v_not_b32_e32 v1, v1
	v_ashrrev_i32_e32 v1, 31, v1
	v_and_b32_e32 v69, v69, v70
	v_xor_b32_e32 v70, vcc_hi, v1
	v_xor_b32_e32 v1, vcc_lo, v1
	v_and_b32_e32 v39, v39, v1
	v_lshlrev_b32_e32 v1, 26, v38
	v_cmp_gt_i64_e32 vcc, 0, v[0:1]
	v_not_b32_e32 v1, v1
	v_ashrrev_i32_e32 v1, 31, v1
	v_and_b32_e32 v69, v69, v70
	v_xor_b32_e32 v70, vcc_hi, v1
	v_xor_b32_e32 v1, vcc_lo, v1
	v_and_b32_e32 v39, v39, v1
	v_lshlrev_b32_e32 v1, 25, v38
	v_cmp_gt_i64_e32 vcc, 0, v[0:1]
	v_not_b32_e32 v1, v1
	v_ashrrev_i32_e32 v1, 31, v1
	v_and_b32_e32 v69, v69, v70
	v_xor_b32_e32 v70, vcc_hi, v1
	v_xor_b32_e32 v1, vcc_lo, v1
	v_and_b32_e32 v69, v69, v70
	v_and_b32_e32 v70, v39, v1
	v_lshlrev_b32_e32 v1, 24, v38
	v_cmp_gt_i64_e32 vcc, 0, v[0:1]
	v_not_b32_e32 v1, v1
	v_ashrrev_i32_e32 v1, 31, v1
	v_xor_b32_e32 v38, vcc_hi, v1
	v_xor_b32_e32 v1, vcc_lo, v1
	; wave barrier
	ds_read_b32 v88, v89 offset:16
	v_and_b32_e32 v39, v69, v38
	v_and_b32_e32 v38, v70, v1
	v_mbcnt_lo_u32_b32 v1, v38, 0
	v_mbcnt_hi_u32_b32 v90, v39, v1
	v_cmp_eq_u32_e32 vcc, 0, v90
	v_cmp_ne_u64_e64 s[4:5], 0, v[38:39]
	s_and_b64 s[18:19], s[4:5], vcc
	; wave barrier
	s_and_saveexec_b64 s[4:5], s[18:19]
	s_cbranch_execz .LBB251_39
; %bb.38:
	v_bcnt_u32_b32 v1, v38, 0
	v_bcnt_u32_b32 v1, v39, v1
	s_waitcnt lgkmcnt(0)
	v_add_u32_e32 v1, v88, v1
	ds_write_b32 v89, v1 offset:16
.LBB251_39:
	s_or_b64 exec, exec, s[4:5]
	v_cmp_ne_u16_e32 vcc, s17, v75
	v_cndmask_b32_e32 v1, v41, v75, vcc
	v_and_b32_sdwa v38, s16, v1 dst_sel:DWORD dst_unused:UNUSED_PAD src0_sel:DWORD src1_sel:WORD_0
	v_lshlrev_b32_e32 v1, 2, v38
	v_add_lshl_u32 v92, v68, v1, 2
	v_and_b32_e32 v1, 1, v38
	v_add_co_u32_e32 v39, vcc, -1, v1
	v_addc_co_u32_e64 v41, s[4:5], 0, -1, vcc
	v_cmp_ne_u32_e32 vcc, 0, v1
	v_xor_b32_e32 v1, vcc_hi, v41
	v_and_b32_e32 v41, exec_hi, v1
	v_lshlrev_b32_e32 v1, 30, v38
	v_xor_b32_e32 v39, vcc_lo, v39
	v_cmp_gt_i64_e32 vcc, 0, v[0:1]
	v_not_b32_e32 v1, v1
	v_ashrrev_i32_e32 v1, 31, v1
	v_and_b32_e32 v39, exec_lo, v39
	v_xor_b32_e32 v69, vcc_hi, v1
	v_xor_b32_e32 v1, vcc_lo, v1
	v_and_b32_e32 v39, v39, v1
	v_lshlrev_b32_e32 v1, 29, v38
	v_cmp_gt_i64_e32 vcc, 0, v[0:1]
	v_not_b32_e32 v1, v1
	v_ashrrev_i32_e32 v1, 31, v1
	v_and_b32_e32 v41, v41, v69
	v_xor_b32_e32 v69, vcc_hi, v1
	v_xor_b32_e32 v1, vcc_lo, v1
	v_and_b32_e32 v39, v39, v1
	v_lshlrev_b32_e32 v1, 28, v38
	v_cmp_gt_i64_e32 vcc, 0, v[0:1]
	v_not_b32_e32 v1, v1
	v_ashrrev_i32_e32 v1, 31, v1
	v_and_b32_e32 v41, v41, v69
	;; [unrolled: 8-line block ×5, first 2 shown]
	v_xor_b32_e32 v69, vcc_hi, v1
	v_xor_b32_e32 v1, vcc_lo, v1
	v_and_b32_e32 v39, v39, v1
	v_lshlrev_b32_e32 v1, 24, v38
	v_cmp_gt_i64_e32 vcc, 0, v[0:1]
	v_not_b32_e32 v0, v1
	v_ashrrev_i32_e32 v0, 31, v0
	v_xor_b32_e32 v1, vcc_hi, v0
	v_xor_b32_e32 v0, vcc_lo, v0
	; wave barrier
	ds_read_b32 v91, v92 offset:16
	v_and_b32_e32 v41, v41, v69
	v_and_b32_e32 v0, v39, v0
	;; [unrolled: 1-line block ×3, first 2 shown]
	v_mbcnt_lo_u32_b32 v38, v0, 0
	v_mbcnt_hi_u32_b32 v93, v1, v38
	v_cmp_eq_u32_e32 vcc, 0, v93
	v_cmp_ne_u64_e64 s[4:5], 0, v[0:1]
	s_and_b64 s[18:19], s[4:5], vcc
	; wave barrier
	s_and_saveexec_b64 s[4:5], s[18:19]
	s_cbranch_execz .LBB251_41
; %bb.40:
	v_bcnt_u32_b32 v0, v0, 0
	v_bcnt_u32_b32 v0, v1, v0
	s_waitcnt lgkmcnt(0)
	v_add_u32_e32 v0, v91, v0
	ds_write_b32 v92, v0 offset:16
.LBB251_41:
	s_or_b64 exec, exec, s[4:5]
	v_mov_b32_e32 v41, 0xffff8000
	v_cmp_ne_u16_e32 vcc, s17, v74
	v_cndmask_b32_e32 v0, v41, v74, vcc
	v_and_b32_sdwa v38, s16, v0 dst_sel:DWORD dst_unused:UNUSED_PAD src0_sel:DWORD src1_sel:WORD_0
	v_and_b32_e32 v1, 1, v38
	v_add_co_u32_e32 v39, vcc, -1, v1
	v_addc_co_u32_e64 v69, s[4:5], 0, -1, vcc
	v_cmp_ne_u32_e32 vcc, 0, v1
	v_lshlrev_b32_e32 v0, 2, v38
	v_xor_b32_e32 v1, vcc_hi, v69
	v_add_lshl_u32 v95, v68, v0, 2
	v_mov_b32_e32 v0, 0
	v_and_b32_e32 v69, exec_hi, v1
	v_lshlrev_b32_e32 v1, 30, v38
	v_xor_b32_e32 v39, vcc_lo, v39
	v_cmp_gt_i64_e32 vcc, 0, v[0:1]
	v_not_b32_e32 v1, v1
	v_ashrrev_i32_e32 v1, 31, v1
	v_and_b32_e32 v39, exec_lo, v39
	v_xor_b32_e32 v70, vcc_hi, v1
	v_xor_b32_e32 v1, vcc_lo, v1
	v_and_b32_e32 v39, v39, v1
	v_lshlrev_b32_e32 v1, 29, v38
	v_cmp_gt_i64_e32 vcc, 0, v[0:1]
	v_not_b32_e32 v1, v1
	v_ashrrev_i32_e32 v1, 31, v1
	v_and_b32_e32 v69, v69, v70
	v_xor_b32_e32 v70, vcc_hi, v1
	v_xor_b32_e32 v1, vcc_lo, v1
	v_and_b32_e32 v39, v39, v1
	v_lshlrev_b32_e32 v1, 28, v38
	v_cmp_gt_i64_e32 vcc, 0, v[0:1]
	v_not_b32_e32 v1, v1
	v_ashrrev_i32_e32 v1, 31, v1
	v_and_b32_e32 v69, v69, v70
	;; [unrolled: 8-line block ×5, first 2 shown]
	v_xor_b32_e32 v70, vcc_hi, v1
	v_xor_b32_e32 v1, vcc_lo, v1
	v_and_b32_e32 v69, v69, v70
	v_and_b32_e32 v70, v39, v1
	v_lshlrev_b32_e32 v1, 24, v38
	v_cmp_gt_i64_e32 vcc, 0, v[0:1]
	v_not_b32_e32 v1, v1
	v_ashrrev_i32_e32 v1, 31, v1
	v_xor_b32_e32 v38, vcc_hi, v1
	v_xor_b32_e32 v1, vcc_lo, v1
	; wave barrier
	ds_read_b32 v94, v95 offset:16
	v_and_b32_e32 v39, v69, v38
	v_and_b32_e32 v38, v70, v1
	v_mbcnt_lo_u32_b32 v1, v38, 0
	v_mbcnt_hi_u32_b32 v96, v39, v1
	v_cmp_eq_u32_e32 vcc, 0, v96
	v_cmp_ne_u64_e64 s[4:5], 0, v[38:39]
	s_and_b64 s[18:19], s[4:5], vcc
	; wave barrier
	s_and_saveexec_b64 s[4:5], s[18:19]
	s_cbranch_execz .LBB251_43
; %bb.42:
	v_bcnt_u32_b32 v1, v38, 0
	v_bcnt_u32_b32 v1, v39, v1
	s_waitcnt lgkmcnt(0)
	v_add_u32_e32 v1, v94, v1
	ds_write_b32 v95, v1 offset:16
.LBB251_43:
	s_or_b64 exec, exec, s[4:5]
	v_cmp_ne_u16_e32 vcc, s17, v73
	v_cndmask_b32_e32 v1, v41, v73, vcc
	v_and_b32_sdwa v38, s16, v1 dst_sel:DWORD dst_unused:UNUSED_PAD src0_sel:DWORD src1_sel:WORD_0
	v_lshlrev_b32_e32 v1, 2, v38
	v_add_lshl_u32 v98, v68, v1, 2
	v_and_b32_e32 v1, 1, v38
	v_add_co_u32_e32 v39, vcc, -1, v1
	v_addc_co_u32_e64 v41, s[4:5], 0, -1, vcc
	v_cmp_ne_u32_e32 vcc, 0, v1
	v_xor_b32_e32 v1, vcc_hi, v41
	v_and_b32_e32 v41, exec_hi, v1
	v_lshlrev_b32_e32 v1, 30, v38
	v_xor_b32_e32 v39, vcc_lo, v39
	v_cmp_gt_i64_e32 vcc, 0, v[0:1]
	v_not_b32_e32 v1, v1
	v_ashrrev_i32_e32 v1, 31, v1
	v_and_b32_e32 v39, exec_lo, v39
	v_xor_b32_e32 v69, vcc_hi, v1
	v_xor_b32_e32 v1, vcc_lo, v1
	v_and_b32_e32 v39, v39, v1
	v_lshlrev_b32_e32 v1, 29, v38
	v_cmp_gt_i64_e32 vcc, 0, v[0:1]
	v_not_b32_e32 v1, v1
	v_ashrrev_i32_e32 v1, 31, v1
	v_and_b32_e32 v41, v41, v69
	v_xor_b32_e32 v69, vcc_hi, v1
	v_xor_b32_e32 v1, vcc_lo, v1
	v_and_b32_e32 v39, v39, v1
	v_lshlrev_b32_e32 v1, 28, v38
	v_cmp_gt_i64_e32 vcc, 0, v[0:1]
	v_not_b32_e32 v1, v1
	v_ashrrev_i32_e32 v1, 31, v1
	v_and_b32_e32 v41, v41, v69
	;; [unrolled: 8-line block ×5, first 2 shown]
	v_xor_b32_e32 v69, vcc_hi, v1
	v_xor_b32_e32 v1, vcc_lo, v1
	v_and_b32_e32 v39, v39, v1
	v_lshlrev_b32_e32 v1, 24, v38
	v_cmp_gt_i64_e32 vcc, 0, v[0:1]
	v_not_b32_e32 v0, v1
	v_ashrrev_i32_e32 v0, 31, v0
	v_xor_b32_e32 v1, vcc_hi, v0
	v_xor_b32_e32 v0, vcc_lo, v0
	; wave barrier
	ds_read_b32 v97, v98 offset:16
	v_and_b32_e32 v41, v41, v69
	v_and_b32_e32 v0, v39, v0
	;; [unrolled: 1-line block ×3, first 2 shown]
	v_mbcnt_lo_u32_b32 v38, v0, 0
	v_mbcnt_hi_u32_b32 v99, v1, v38
	v_cmp_eq_u32_e32 vcc, 0, v99
	v_cmp_ne_u64_e64 s[4:5], 0, v[0:1]
	s_and_b64 s[18:19], s[4:5], vcc
	; wave barrier
	s_and_saveexec_b64 s[4:5], s[18:19]
	s_cbranch_execz .LBB251_45
; %bb.44:
	v_bcnt_u32_b32 v0, v0, 0
	v_bcnt_u32_b32 v0, v1, v0
	s_waitcnt lgkmcnt(0)
	v_add_u32_e32 v0, v97, v0
	ds_write_b32 v98, v0 offset:16
.LBB251_45:
	s_or_b64 exec, exec, s[4:5]
	v_mov_b32_e32 v41, 0xffff8000
	v_cmp_ne_u16_e32 vcc, s17, v72
	v_cndmask_b32_e32 v0, v41, v72, vcc
	v_and_b32_sdwa v38, s16, v0 dst_sel:DWORD dst_unused:UNUSED_PAD src0_sel:DWORD src1_sel:WORD_0
	v_and_b32_e32 v1, 1, v38
	v_add_co_u32_e32 v39, vcc, -1, v1
	v_addc_co_u32_e64 v69, s[4:5], 0, -1, vcc
	v_cmp_ne_u32_e32 vcc, 0, v1
	v_lshlrev_b32_e32 v0, 2, v38
	v_xor_b32_e32 v1, vcc_hi, v69
	v_add_lshl_u32 v101, v68, v0, 2
	v_mov_b32_e32 v0, 0
	v_and_b32_e32 v69, exec_hi, v1
	v_lshlrev_b32_e32 v1, 30, v38
	v_xor_b32_e32 v39, vcc_lo, v39
	v_cmp_gt_i64_e32 vcc, 0, v[0:1]
	v_not_b32_e32 v1, v1
	v_ashrrev_i32_e32 v1, 31, v1
	v_and_b32_e32 v39, exec_lo, v39
	v_xor_b32_e32 v70, vcc_hi, v1
	v_xor_b32_e32 v1, vcc_lo, v1
	v_and_b32_e32 v39, v39, v1
	v_lshlrev_b32_e32 v1, 29, v38
	v_cmp_gt_i64_e32 vcc, 0, v[0:1]
	v_not_b32_e32 v1, v1
	v_ashrrev_i32_e32 v1, 31, v1
	v_and_b32_e32 v69, v69, v70
	v_xor_b32_e32 v70, vcc_hi, v1
	v_xor_b32_e32 v1, vcc_lo, v1
	v_and_b32_e32 v39, v39, v1
	v_lshlrev_b32_e32 v1, 28, v38
	v_cmp_gt_i64_e32 vcc, 0, v[0:1]
	v_not_b32_e32 v1, v1
	v_ashrrev_i32_e32 v1, 31, v1
	v_and_b32_e32 v69, v69, v70
	;; [unrolled: 8-line block ×5, first 2 shown]
	v_xor_b32_e32 v70, vcc_hi, v1
	v_xor_b32_e32 v1, vcc_lo, v1
	v_and_b32_e32 v69, v69, v70
	v_and_b32_e32 v70, v39, v1
	v_lshlrev_b32_e32 v1, 24, v38
	v_cmp_gt_i64_e32 vcc, 0, v[0:1]
	v_not_b32_e32 v1, v1
	v_ashrrev_i32_e32 v1, 31, v1
	v_xor_b32_e32 v38, vcc_hi, v1
	v_xor_b32_e32 v1, vcc_lo, v1
	; wave barrier
	ds_read_b32 v100, v101 offset:16
	v_and_b32_e32 v39, v69, v38
	v_and_b32_e32 v38, v70, v1
	v_mbcnt_lo_u32_b32 v1, v38, 0
	v_mbcnt_hi_u32_b32 v102, v39, v1
	v_cmp_eq_u32_e32 vcc, 0, v102
	v_cmp_ne_u64_e64 s[4:5], 0, v[38:39]
	s_and_b64 s[18:19], s[4:5], vcc
	; wave barrier
	s_and_saveexec_b64 s[4:5], s[18:19]
	s_cbranch_execz .LBB251_47
; %bb.46:
	v_bcnt_u32_b32 v1, v38, 0
	v_bcnt_u32_b32 v1, v39, v1
	s_waitcnt lgkmcnt(0)
	v_add_u32_e32 v1, v100, v1
	ds_write_b32 v101, v1 offset:16
.LBB251_47:
	s_or_b64 exec, exec, s[4:5]
	v_cmp_ne_u16_e32 vcc, s17, v71
	v_cndmask_b32_e32 v1, v41, v71, vcc
	v_and_b32_sdwa v38, s16, v1 dst_sel:DWORD dst_unused:UNUSED_PAD src0_sel:DWORD src1_sel:WORD_0
	v_lshlrev_b32_e32 v1, 2, v38
	v_add_lshl_u32 v104, v68, v1, 2
	v_and_b32_e32 v1, 1, v38
	v_add_co_u32_e32 v39, vcc, -1, v1
	v_min_u32_e32 v80, 0xc0, v40
	v_addc_co_u32_e64 v40, s[4:5], 0, -1, vcc
	v_cmp_ne_u32_e32 vcc, 0, v1
	v_xor_b32_e32 v1, vcc_hi, v40
	v_and_b32_e32 v40, exec_hi, v1
	v_lshlrev_b32_e32 v1, 30, v38
	v_xor_b32_e32 v39, vcc_lo, v39
	v_cmp_gt_i64_e32 vcc, 0, v[0:1]
	v_not_b32_e32 v1, v1
	v_ashrrev_i32_e32 v1, 31, v1
	v_and_b32_e32 v39, exec_lo, v39
	v_xor_b32_e32 v41, vcc_hi, v1
	v_xor_b32_e32 v1, vcc_lo, v1
	v_and_b32_e32 v39, v39, v1
	v_lshlrev_b32_e32 v1, 29, v38
	v_cmp_gt_i64_e32 vcc, 0, v[0:1]
	v_not_b32_e32 v1, v1
	v_ashrrev_i32_e32 v1, 31, v1
	v_and_b32_e32 v40, v40, v41
	v_xor_b32_e32 v41, vcc_hi, v1
	v_xor_b32_e32 v1, vcc_lo, v1
	v_and_b32_e32 v39, v39, v1
	v_lshlrev_b32_e32 v1, 28, v38
	v_cmp_gt_i64_e32 vcc, 0, v[0:1]
	v_not_b32_e32 v1, v1
	v_ashrrev_i32_e32 v1, 31, v1
	v_and_b32_e32 v40, v40, v41
	;; [unrolled: 8-line block ×5, first 2 shown]
	v_xor_b32_e32 v41, vcc_hi, v1
	v_xor_b32_e32 v1, vcc_lo, v1
	v_and_b32_e32 v39, v39, v1
	v_lshlrev_b32_e32 v1, 24, v38
	v_cmp_gt_i64_e32 vcc, 0, v[0:1]
	v_not_b32_e32 v0, v1
	v_ashrrev_i32_e32 v0, 31, v0
	v_xor_b32_e32 v1, vcc_hi, v0
	v_xor_b32_e32 v0, vcc_lo, v0
	; wave barrier
	ds_read_b32 v103, v104 offset:16
	v_and_b32_e32 v40, v40, v41
	v_and_b32_e32 v0, v39, v0
	;; [unrolled: 1-line block ×3, first 2 shown]
	v_mbcnt_lo_u32_b32 v38, v0, 0
	v_mbcnt_hi_u32_b32 v105, v1, v38
	v_cmp_eq_u32_e32 vcc, 0, v105
	v_cmp_ne_u64_e64 s[4:5], 0, v[0:1]
	v_add_u32_e32 v69, 16, v64
	v_lshrrev_b32_e32 v70, 6, v46
	s_and_b64 s[16:17], s[4:5], vcc
	; wave barrier
	s_and_saveexec_b64 s[4:5], s[16:17]
	s_cbranch_execz .LBB251_49
; %bb.48:
	v_bcnt_u32_b32 v0, v0, 0
	v_bcnt_u32_b32 v0, v1, v0
	s_waitcnt lgkmcnt(0)
	v_add_u32_e32 v0, v103, v0
	ds_write_b32 v104, v0 offset:16
.LBB251_49:
	s_or_b64 exec, exec, s[4:5]
	; wave barrier
	s_waitcnt lgkmcnt(0)
	s_barrier
	ds_read2_b32 v[38:39], v64 offset0:4 offset1:5
	ds_read2_b32 v[40:41], v69 offset0:2 offset1:3
	v_and_b32_e32 v1, 16, v76
	v_cmp_eq_u32_e32 vcc, 0, v1
	v_or_b32_e32 v1, 63, v80
	v_cmp_eq_u32_e64 s[16:17], v1, v46
	s_waitcnt lgkmcnt(1)
	v_add_u32_e32 v1, v39, v38
	v_and_b32_e32 v0, 15, v76
	s_waitcnt lgkmcnt(0)
	v_add3_u32 v1, v1, v40, v41
	v_cmp_eq_u32_e64 s[22:23], 0, v0
	v_cmp_lt_u32_e64 s[24:25], 1, v0
	v_mov_b32_dpp v41, v1 row_shr:1 row_mask:0xf bank_mask:0xf
	v_cndmask_b32_e64 v41, v41, 0, s[22:23]
	v_add_u32_e32 v1, v41, v1
	v_cmp_lt_u32_e64 s[28:29], 3, v0
	v_cmp_lt_u32_e64 s[30:31], 7, v0
	v_mov_b32_dpp v41, v1 row_shr:2 row_mask:0xf bank_mask:0xf
	v_cndmask_b32_e64 v41, 0, v41, s[24:25]
	v_add_u32_e32 v1, v1, v41
	v_bfe_i32 v81, v76, 4, 1
	v_cmp_lt_u32_e64 s[34:35], 31, v76
	v_mov_b32_dpp v41, v1 row_shr:4 row_mask:0xf bank_mask:0xf
	v_cndmask_b32_e64 v41, 0, v41, s[28:29]
	v_add_u32_e32 v1, v1, v41
	v_lshlrev_b32_e32 v70, 2, v70
	s_nop 0
	v_mov_b32_dpp v41, v1 row_shr:8 row_mask:0xf bank_mask:0xf
	v_cndmask_b32_e64 v0, 0, v41, s[30:31]
	v_add_u32_e32 v0, v1, v0
	s_nop 1
	v_mov_b32_dpp v1, v0 row_bcast:15 row_mask:0xf bank_mask:0xf
	v_and_b32_e32 v1, v81, v1
	v_add_u32_e32 v0, v0, v1
	s_nop 1
	v_mov_b32_dpp v1, v0 row_bcast:31 row_mask:0xf bank_mask:0xf
	v_cndmask_b32_e64 v1, 0, v1, s[34:35]
	v_add_u32_e32 v1, v0, v1
	s_and_saveexec_b64 s[4:5], s[16:17]
	s_cbranch_execz .LBB251_51
; %bb.50:
	ds_write_b32 v70, v1
.LBB251_51:
	s_or_b64 exec, exec, s[4:5]
	v_and_b32_e32 v0, 3, v76
	v_cmp_gt_u32_e64 s[26:27], 4, v46
	v_lshlrev_b32_e32 v41, 2, v46
	v_cmp_eq_u32_e64 s[20:21], 0, v0
	v_cmp_lt_u32_e64 s[18:19], 1, v0
	s_waitcnt lgkmcnt(0)
	s_barrier
	s_and_saveexec_b64 s[4:5], s[26:27]
	s_cbranch_execz .LBB251_53
; %bb.52:
	ds_read_b32 v0, v41
	s_waitcnt lgkmcnt(0)
	s_nop 0
	v_mov_b32_dpp v80, v0 row_shr:1 row_mask:0xf bank_mask:0xf
	v_cndmask_b32_e64 v80, v80, 0, s[20:21]
	v_add_u32_e32 v0, v80, v0
	s_nop 1
	v_mov_b32_dpp v80, v0 row_shr:2 row_mask:0xf bank_mask:0xf
	v_cndmask_b32_e64 v80, 0, v80, s[18:19]
	v_add_u32_e32 v0, v0, v80
	ds_write_b32 v41, v0
.LBB251_53:
	s_or_b64 exec, exec, s[4:5]
	v_cmp_lt_u32_e64 s[36:37], 63, v46
	v_add_u32_e32 v80, -4, v70
	v_mov_b32_e32 v0, 0
	v_mov_b32_e32 v106, 0
	s_waitcnt lgkmcnt(0)
	s_barrier
	s_and_saveexec_b64 s[4:5], s[36:37]
	s_cbranch_execz .LBB251_55
; %bb.54:
	ds_read_b32 v106, v80
.LBB251_55:
	s_or_b64 exec, exec, s[4:5]
	v_add_u32_e32 v81, -1, v76
	v_and_b32_e32 v107, 64, v76
	v_cmp_lt_i32_e64 s[4:5], v81, v107
	v_cndmask_b32_e64 v81, v81, v76, s[4:5]
	v_lshlrev_b32_e32 v81, 2, v81
	s_waitcnt lgkmcnt(0)
	v_add_u32_e32 v1, v106, v1
	ds_bpermute_b32 v1, v81, v1
	v_cmp_eq_u32_e64 s[38:39], 0, v76
	v_cmp_eq_u32_e64 s[40:41], 0, v46
	v_and_or_b32 v82, v76, 63, v82
	v_lshlrev_b32_e32 v107, 1, v82
	s_waitcnt lgkmcnt(0)
	v_cndmask_b32_e64 v1, v1, v106, s[38:39]
	v_cndmask_b32_e64 v1, v1, 0, s[40:41]
	v_add_u32_e32 v38, v1, v38
	v_add_u32_e32 v39, v38, v39
	;; [unrolled: 1-line block ×3, first 2 shown]
	ds_write2_b32 v64, v1, v38 offset0:4 offset1:5
	ds_write2_b32 v69, v39, v40 offset0:2 offset1:3
	s_waitcnt lgkmcnt(0)
	s_barrier
	ds_read_b32 v1, v83 offset:16
	ds_read_b32 v38, v86 offset:16
	;; [unrolled: 1-line block ×8, first 2 shown]
	s_waitcnt lgkmcnt(7)
	v_add_u32_e32 v1, v1, v84
	s_waitcnt lgkmcnt(6)
	v_add3_u32 v38, v87, v85, v38
	s_waitcnt lgkmcnt(4)
	v_add3_u32 v84, v93, v91, v40
	v_lshlrev_b32_e32 v40, 1, v1
	v_add3_u32 v39, v90, v88, v39
	s_waitcnt lgkmcnt(0)
	s_barrier
	ds_write_b16 v40, v79
	v_lshlrev_b32_e32 v40, 1, v38
	ds_write_b16 v40, v78
	v_lshlrev_b32_e32 v40, 1, v39
	v_add3_u32 v85, v96, v94, v76
	ds_write_b16 v40, v77
	v_lshlrev_b32_e32 v40, 1, v84
	v_add3_u32 v83, v99, v97, v83
	;; [unrolled: 3-line block ×4, first 2 shown]
	ds_write_b16 v40, v73
	v_lshlrev_b32_e32 v40, 1, v86
	ds_write_b16 v40, v72
	v_lshlrev_b32_e32 v40, 1, v87
	v_lshlrev_b32_e32 v1, 3, v1
	ds_write_b16 v40, v71
	s_waitcnt lgkmcnt(0)
	s_barrier
	ds_read_u16 v77, v107
	ds_read_u16 v76, v107 offset:128
	ds_read_u16 v75, v107 offset:256
	;; [unrolled: 1-line block ×7, first 2 shown]
	s_waitcnt lgkmcnt(0)
	s_barrier
	ds_write_b64 v1, v[34:35]
	v_lshlrev_b32_e32 v1, 3, v38
	ds_write_b64 v1, v[36:37]
	v_lshlrev_b32_e32 v1, 3, v39
	;; [unrolled: 2-line block ×6, first 2 shown]
	s_min_u32 s4, s44, 8
	ds_write_b64 v1, v[22:23]
	v_lshlrev_b32_e32 v1, 3, v87
	s_lshl_b32 s4, -1, s4
	s_movk_i32 s54, 0x7fff
	ds_write_b64 v1, v[24:25]
	s_not_b32 s53, s4
	v_lshrrev_b16_e32 v1, 8, v77
	v_mov_b32_e32 v38, 0x80
	v_cmp_ne_u16_e64 s[4:5], s54, v77
	v_cndmask_b32_e64 v1, v38, v1, s[4:5]
	v_and_b32_sdwa v39, v1, s53 dst_sel:DWORD dst_unused:UNUSED_PAD src0_sel:WORD_0 src1_sel:DWORD
	v_lshlrev_b32_e32 v1, 2, v39
	v_add_lshl_u32 v78, v1, v68, 2
	v_and_b32_e32 v1, 1, v39
	v_lshlrev_b32_e32 v82, 3, v82
	v_add_co_u32_e64 v79, s[4:5], -1, v1
	s_waitcnt lgkmcnt(0)
	s_barrier
	ds_read2st64_b64 v[34:37], v82 offset1:1
	ds_read2st64_b64 v[30:33], v82 offset0:2 offset1:3
	ds_read2st64_b64 v[26:29], v82 offset0:4 offset1:5
	;; [unrolled: 1-line block ×3, first 2 shown]
	v_addc_co_u32_e64 v82, s[4:5], 0, -1, s[4:5]
	v_cmp_ne_u32_e64 s[4:5], 0, v1
	v_xor_b32_e32 v1, s5, v82
	v_and_b32_e32 v82, exec_hi, v1
	v_lshlrev_b32_e32 v1, 30, v39
	v_xor_b32_e32 v79, s4, v79
	v_cmp_gt_i64_e64 s[4:5], 0, v[0:1]
	v_not_b32_e32 v1, v1
	v_ashrrev_i32_e32 v1, 31, v1
	v_and_b32_e32 v79, exec_lo, v79
	v_xor_b32_e32 v83, s5, v1
	v_xor_b32_e32 v1, s4, v1
	v_and_b32_e32 v79, v79, v1
	v_lshlrev_b32_e32 v1, 29, v39
	v_cmp_gt_i64_e64 s[4:5], 0, v[0:1]
	v_not_b32_e32 v1, v1
	v_ashrrev_i32_e32 v1, 31, v1
	v_and_b32_e32 v82, v82, v83
	v_xor_b32_e32 v83, s5, v1
	v_xor_b32_e32 v1, s4, v1
	v_and_b32_e32 v79, v79, v1
	v_lshlrev_b32_e32 v1, 28, v39
	v_cmp_gt_i64_e64 s[4:5], 0, v[0:1]
	v_not_b32_e32 v1, v1
	v_ashrrev_i32_e32 v1, 31, v1
	v_and_b32_e32 v82, v82, v83
	;; [unrolled: 8-line block ×5, first 2 shown]
	v_xor_b32_e32 v83, s5, v1
	v_xor_b32_e32 v1, s4, v1
	v_and_b32_e32 v79, v79, v1
	v_lshlrev_b32_e32 v1, 24, v39
	s_waitcnt lgkmcnt(0)
	s_barrier
	ds_write2_b32 v64, v0, v0 offset0:4 offset1:5
	ds_write2_b32 v69, v0, v0 offset0:2 offset1:3
	v_cmp_gt_i64_e64 s[4:5], 0, v[0:1]
	v_not_b32_e32 v0, v1
	v_ashrrev_i32_e32 v0, 31, v0
	v_xor_b32_e32 v1, s5, v0
	v_xor_b32_e32 v0, s4, v0
	v_and_b32_e32 v82, v82, v83
	v_and_b32_e32 v0, v79, v0
	;; [unrolled: 1-line block ×3, first 2 shown]
	v_mbcnt_lo_u32_b32 v39, v0, 0
	v_mbcnt_hi_u32_b32 v79, v1, v39
	v_cmp_eq_u32_e64 s[4:5], 0, v79
	v_cmp_ne_u64_e64 s[44:45], 0, v[0:1]
	s_and_b64 s[44:45], s[44:45], s[4:5]
	s_waitcnt lgkmcnt(0)
	s_barrier
	s_waitcnt lgkmcnt(0)
	; wave barrier
	s_and_saveexec_b64 s[4:5], s[44:45]
	s_cbranch_execz .LBB251_57
; %bb.56:
	v_bcnt_u32_b32 v0, v0, 0
	v_bcnt_u32_b32 v0, v1, v0
	ds_write_b32 v78, v0 offset:16
.LBB251_57:
	s_or_b64 exec, exec, s[4:5]
	v_lshrrev_b16_e32 v0, 8, v76
	v_cmp_ne_u16_e64 s[4:5], s54, v76
	v_cndmask_b32_e64 v0, v38, v0, s[4:5]
	v_and_b32_e32 v38, s53, v0
	v_and_b32_e32 v1, 1, v38
	v_add_co_u32_e64 v39, s[4:5], -1, v1
	v_addc_co_u32_e64 v84, s[4:5], 0, -1, s[4:5]
	v_cmp_ne_u32_e64 s[4:5], 0, v1
	v_lshlrev_b32_e32 v0, 2, v38
	v_xor_b32_e32 v1, s5, v84
	v_add_lshl_u32 v83, v0, v68, 2
	v_mov_b32_e32 v0, 0
	v_and_b32_e32 v84, exec_hi, v1
	v_lshlrev_b32_e32 v1, 30, v38
	v_xor_b32_e32 v39, s4, v39
	v_cmp_gt_i64_e64 s[4:5], 0, v[0:1]
	v_not_b32_e32 v1, v1
	v_ashrrev_i32_e32 v1, 31, v1
	v_and_b32_e32 v39, exec_lo, v39
	v_xor_b32_e32 v85, s5, v1
	v_xor_b32_e32 v1, s4, v1
	v_and_b32_e32 v39, v39, v1
	v_lshlrev_b32_e32 v1, 29, v38
	v_cmp_gt_i64_e64 s[4:5], 0, v[0:1]
	v_not_b32_e32 v1, v1
	v_ashrrev_i32_e32 v1, 31, v1
	v_and_b32_e32 v84, v84, v85
	v_xor_b32_e32 v85, s5, v1
	v_xor_b32_e32 v1, s4, v1
	v_and_b32_e32 v39, v39, v1
	v_lshlrev_b32_e32 v1, 28, v38
	v_cmp_gt_i64_e64 s[4:5], 0, v[0:1]
	v_not_b32_e32 v1, v1
	v_ashrrev_i32_e32 v1, 31, v1
	v_and_b32_e32 v84, v84, v85
	;; [unrolled: 8-line block ×5, first 2 shown]
	v_xor_b32_e32 v85, s5, v1
	v_xor_b32_e32 v1, s4, v1
	v_and_b32_e32 v84, v84, v85
	v_and_b32_e32 v85, v39, v1
	v_lshlrev_b32_e32 v1, 24, v38
	v_cmp_gt_i64_e64 s[4:5], 0, v[0:1]
	v_not_b32_e32 v1, v1
	v_ashrrev_i32_e32 v1, 31, v1
	v_xor_b32_e32 v38, s5, v1
	v_xor_b32_e32 v1, s4, v1
	; wave barrier
	ds_read_b32 v82, v83 offset:16
	v_and_b32_e32 v39, v84, v38
	v_and_b32_e32 v38, v85, v1
	v_mbcnt_lo_u32_b32 v1, v38, 0
	v_mbcnt_hi_u32_b32 v84, v39, v1
	v_cmp_eq_u32_e64 s[4:5], 0, v84
	v_cmp_ne_u64_e64 s[44:45], 0, v[38:39]
	s_and_b64 s[44:45], s[44:45], s[4:5]
	; wave barrier
	s_and_saveexec_b64 s[4:5], s[44:45]
	s_cbranch_execz .LBB251_59
; %bb.58:
	v_bcnt_u32_b32 v1, v38, 0
	v_bcnt_u32_b32 v1, v39, v1
	s_waitcnt lgkmcnt(0)
	v_add_u32_e32 v1, v82, v1
	ds_write_b32 v83, v1 offset:16
.LBB251_59:
	s_or_b64 exec, exec, s[4:5]
	v_lshrrev_b16_e32 v1, 8, v75
	v_mov_b32_e32 v38, 0x80
	v_cmp_ne_u16_e64 s[4:5], s54, v75
	v_cndmask_b32_e64 v1, v38, v1, s[4:5]
	v_and_b32_e32 v39, s53, v1
	v_lshlrev_b32_e32 v1, 2, v39
	v_add_lshl_u32 v86, v1, v68, 2
	v_and_b32_e32 v1, 1, v39
	v_add_co_u32_e64 v87, s[4:5], -1, v1
	v_addc_co_u32_e64 v88, s[4:5], 0, -1, s[4:5]
	v_cmp_ne_u32_e64 s[4:5], 0, v1
	v_xor_b32_e32 v1, s5, v88
	v_and_b32_e32 v88, exec_hi, v1
	v_lshlrev_b32_e32 v1, 30, v39
	v_xor_b32_e32 v87, s4, v87
	v_cmp_gt_i64_e64 s[4:5], 0, v[0:1]
	v_not_b32_e32 v1, v1
	v_ashrrev_i32_e32 v1, 31, v1
	v_and_b32_e32 v87, exec_lo, v87
	v_xor_b32_e32 v89, s5, v1
	v_xor_b32_e32 v1, s4, v1
	v_and_b32_e32 v87, v87, v1
	v_lshlrev_b32_e32 v1, 29, v39
	v_cmp_gt_i64_e64 s[4:5], 0, v[0:1]
	v_not_b32_e32 v1, v1
	v_ashrrev_i32_e32 v1, 31, v1
	v_and_b32_e32 v88, v88, v89
	v_xor_b32_e32 v89, s5, v1
	v_xor_b32_e32 v1, s4, v1
	v_and_b32_e32 v87, v87, v1
	v_lshlrev_b32_e32 v1, 28, v39
	v_cmp_gt_i64_e64 s[4:5], 0, v[0:1]
	v_not_b32_e32 v1, v1
	v_ashrrev_i32_e32 v1, 31, v1
	v_and_b32_e32 v88, v88, v89
	;; [unrolled: 8-line block ×5, first 2 shown]
	v_xor_b32_e32 v89, s5, v1
	v_xor_b32_e32 v1, s4, v1
	v_and_b32_e32 v87, v87, v1
	v_lshlrev_b32_e32 v1, 24, v39
	v_cmp_gt_i64_e64 s[4:5], 0, v[0:1]
	v_not_b32_e32 v0, v1
	v_ashrrev_i32_e32 v0, 31, v0
	v_xor_b32_e32 v1, s5, v0
	v_xor_b32_e32 v0, s4, v0
	; wave barrier
	ds_read_b32 v85, v86 offset:16
	v_and_b32_e32 v88, v88, v89
	v_and_b32_e32 v0, v87, v0
	;; [unrolled: 1-line block ×3, first 2 shown]
	v_mbcnt_lo_u32_b32 v39, v0, 0
	v_mbcnt_hi_u32_b32 v87, v1, v39
	v_cmp_eq_u32_e64 s[4:5], 0, v87
	v_cmp_ne_u64_e64 s[44:45], 0, v[0:1]
	s_and_b64 s[44:45], s[44:45], s[4:5]
	; wave barrier
	s_and_saveexec_b64 s[4:5], s[44:45]
	s_cbranch_execz .LBB251_61
; %bb.60:
	v_bcnt_u32_b32 v0, v0, 0
	v_bcnt_u32_b32 v0, v1, v0
	s_waitcnt lgkmcnt(0)
	v_add_u32_e32 v0, v85, v0
	ds_write_b32 v86, v0 offset:16
.LBB251_61:
	s_or_b64 exec, exec, s[4:5]
	v_lshrrev_b16_e32 v0, 8, v74
	v_cmp_ne_u16_e64 s[4:5], s54, v74
	v_cndmask_b32_e64 v0, v38, v0, s[4:5]
	v_and_b32_e32 v38, s53, v0
	v_and_b32_e32 v1, 1, v38
	v_add_co_u32_e64 v39, s[4:5], -1, v1
	v_addc_co_u32_e64 v90, s[4:5], 0, -1, s[4:5]
	v_cmp_ne_u32_e64 s[4:5], 0, v1
	v_lshlrev_b32_e32 v0, 2, v38
	v_xor_b32_e32 v1, s5, v90
	v_add_lshl_u32 v89, v0, v68, 2
	v_mov_b32_e32 v0, 0
	v_and_b32_e32 v90, exec_hi, v1
	v_lshlrev_b32_e32 v1, 30, v38
	v_xor_b32_e32 v39, s4, v39
	v_cmp_gt_i64_e64 s[4:5], 0, v[0:1]
	v_not_b32_e32 v1, v1
	v_ashrrev_i32_e32 v1, 31, v1
	v_and_b32_e32 v39, exec_lo, v39
	v_xor_b32_e32 v91, s5, v1
	v_xor_b32_e32 v1, s4, v1
	v_and_b32_e32 v39, v39, v1
	v_lshlrev_b32_e32 v1, 29, v38
	v_cmp_gt_i64_e64 s[4:5], 0, v[0:1]
	v_not_b32_e32 v1, v1
	v_ashrrev_i32_e32 v1, 31, v1
	v_and_b32_e32 v90, v90, v91
	v_xor_b32_e32 v91, s5, v1
	v_xor_b32_e32 v1, s4, v1
	v_and_b32_e32 v39, v39, v1
	v_lshlrev_b32_e32 v1, 28, v38
	v_cmp_gt_i64_e64 s[4:5], 0, v[0:1]
	v_not_b32_e32 v1, v1
	v_ashrrev_i32_e32 v1, 31, v1
	v_and_b32_e32 v90, v90, v91
	;; [unrolled: 8-line block ×5, first 2 shown]
	v_xor_b32_e32 v91, s5, v1
	v_xor_b32_e32 v1, s4, v1
	v_and_b32_e32 v90, v90, v91
	v_and_b32_e32 v91, v39, v1
	v_lshlrev_b32_e32 v1, 24, v38
	v_cmp_gt_i64_e64 s[4:5], 0, v[0:1]
	v_not_b32_e32 v1, v1
	v_ashrrev_i32_e32 v1, 31, v1
	v_xor_b32_e32 v38, s5, v1
	v_xor_b32_e32 v1, s4, v1
	; wave barrier
	ds_read_b32 v88, v89 offset:16
	v_and_b32_e32 v39, v90, v38
	v_and_b32_e32 v38, v91, v1
	v_mbcnt_lo_u32_b32 v1, v38, 0
	v_mbcnt_hi_u32_b32 v90, v39, v1
	v_cmp_eq_u32_e64 s[4:5], 0, v90
	v_cmp_ne_u64_e64 s[44:45], 0, v[38:39]
	s_and_b64 s[44:45], s[44:45], s[4:5]
	; wave barrier
	s_and_saveexec_b64 s[4:5], s[44:45]
	s_cbranch_execz .LBB251_63
; %bb.62:
	v_bcnt_u32_b32 v1, v38, 0
	v_bcnt_u32_b32 v1, v39, v1
	s_waitcnt lgkmcnt(0)
	v_add_u32_e32 v1, v88, v1
	ds_write_b32 v89, v1 offset:16
.LBB251_63:
	s_or_b64 exec, exec, s[4:5]
	v_lshrrev_b16_e32 v1, 8, v73
	v_mov_b32_e32 v38, 0x80
	v_cmp_ne_u16_e64 s[4:5], s54, v73
	v_cndmask_b32_e64 v1, v38, v1, s[4:5]
	v_and_b32_e32 v39, s53, v1
	v_lshlrev_b32_e32 v1, 2, v39
	v_add_lshl_u32 v92, v1, v68, 2
	v_and_b32_e32 v1, 1, v39
	v_add_co_u32_e64 v93, s[4:5], -1, v1
	v_addc_co_u32_e64 v94, s[4:5], 0, -1, s[4:5]
	v_cmp_ne_u32_e64 s[4:5], 0, v1
	v_xor_b32_e32 v1, s5, v94
	v_and_b32_e32 v94, exec_hi, v1
	v_lshlrev_b32_e32 v1, 30, v39
	v_xor_b32_e32 v93, s4, v93
	v_cmp_gt_i64_e64 s[4:5], 0, v[0:1]
	v_not_b32_e32 v1, v1
	v_ashrrev_i32_e32 v1, 31, v1
	v_and_b32_e32 v93, exec_lo, v93
	v_xor_b32_e32 v95, s5, v1
	v_xor_b32_e32 v1, s4, v1
	v_and_b32_e32 v93, v93, v1
	v_lshlrev_b32_e32 v1, 29, v39
	v_cmp_gt_i64_e64 s[4:5], 0, v[0:1]
	v_not_b32_e32 v1, v1
	v_ashrrev_i32_e32 v1, 31, v1
	v_and_b32_e32 v94, v94, v95
	v_xor_b32_e32 v95, s5, v1
	v_xor_b32_e32 v1, s4, v1
	v_and_b32_e32 v93, v93, v1
	v_lshlrev_b32_e32 v1, 28, v39
	v_cmp_gt_i64_e64 s[4:5], 0, v[0:1]
	v_not_b32_e32 v1, v1
	v_ashrrev_i32_e32 v1, 31, v1
	v_and_b32_e32 v94, v94, v95
	;; [unrolled: 8-line block ×5, first 2 shown]
	v_xor_b32_e32 v95, s5, v1
	v_xor_b32_e32 v1, s4, v1
	v_and_b32_e32 v93, v93, v1
	v_lshlrev_b32_e32 v1, 24, v39
	v_cmp_gt_i64_e64 s[4:5], 0, v[0:1]
	v_not_b32_e32 v0, v1
	v_ashrrev_i32_e32 v0, 31, v0
	v_xor_b32_e32 v1, s5, v0
	v_xor_b32_e32 v0, s4, v0
	; wave barrier
	ds_read_b32 v91, v92 offset:16
	v_and_b32_e32 v94, v94, v95
	v_and_b32_e32 v0, v93, v0
	;; [unrolled: 1-line block ×3, first 2 shown]
	v_mbcnt_lo_u32_b32 v39, v0, 0
	v_mbcnt_hi_u32_b32 v93, v1, v39
	v_cmp_eq_u32_e64 s[4:5], 0, v93
	v_cmp_ne_u64_e64 s[44:45], 0, v[0:1]
	s_and_b64 s[44:45], s[44:45], s[4:5]
	; wave barrier
	s_and_saveexec_b64 s[4:5], s[44:45]
	s_cbranch_execz .LBB251_65
; %bb.64:
	v_bcnt_u32_b32 v0, v0, 0
	v_bcnt_u32_b32 v0, v1, v0
	s_waitcnt lgkmcnt(0)
	v_add_u32_e32 v0, v91, v0
	ds_write_b32 v92, v0 offset:16
.LBB251_65:
	s_or_b64 exec, exec, s[4:5]
	v_lshrrev_b16_e32 v0, 8, v72
	v_cmp_ne_u16_e64 s[4:5], s54, v72
	v_cndmask_b32_e64 v0, v38, v0, s[4:5]
	v_and_b32_e32 v38, s53, v0
	v_and_b32_e32 v1, 1, v38
	v_add_co_u32_e64 v39, s[4:5], -1, v1
	v_addc_co_u32_e64 v96, s[4:5], 0, -1, s[4:5]
	v_cmp_ne_u32_e64 s[4:5], 0, v1
	v_lshlrev_b32_e32 v0, 2, v38
	v_xor_b32_e32 v1, s5, v96
	v_add_lshl_u32 v95, v0, v68, 2
	v_mov_b32_e32 v0, 0
	v_and_b32_e32 v96, exec_hi, v1
	v_lshlrev_b32_e32 v1, 30, v38
	v_xor_b32_e32 v39, s4, v39
	v_cmp_gt_i64_e64 s[4:5], 0, v[0:1]
	v_not_b32_e32 v1, v1
	v_ashrrev_i32_e32 v1, 31, v1
	v_and_b32_e32 v39, exec_lo, v39
	v_xor_b32_e32 v97, s5, v1
	v_xor_b32_e32 v1, s4, v1
	v_and_b32_e32 v39, v39, v1
	v_lshlrev_b32_e32 v1, 29, v38
	v_cmp_gt_i64_e64 s[4:5], 0, v[0:1]
	v_not_b32_e32 v1, v1
	v_ashrrev_i32_e32 v1, 31, v1
	v_and_b32_e32 v96, v96, v97
	v_xor_b32_e32 v97, s5, v1
	v_xor_b32_e32 v1, s4, v1
	v_and_b32_e32 v39, v39, v1
	v_lshlrev_b32_e32 v1, 28, v38
	v_cmp_gt_i64_e64 s[4:5], 0, v[0:1]
	v_not_b32_e32 v1, v1
	v_ashrrev_i32_e32 v1, 31, v1
	v_and_b32_e32 v96, v96, v97
	;; [unrolled: 8-line block ×5, first 2 shown]
	v_xor_b32_e32 v97, s5, v1
	v_xor_b32_e32 v1, s4, v1
	v_and_b32_e32 v96, v96, v97
	v_and_b32_e32 v97, v39, v1
	v_lshlrev_b32_e32 v1, 24, v38
	v_cmp_gt_i64_e64 s[4:5], 0, v[0:1]
	v_not_b32_e32 v1, v1
	v_ashrrev_i32_e32 v1, 31, v1
	v_xor_b32_e32 v38, s5, v1
	v_xor_b32_e32 v1, s4, v1
	; wave barrier
	ds_read_b32 v94, v95 offset:16
	v_and_b32_e32 v39, v96, v38
	v_and_b32_e32 v38, v97, v1
	v_mbcnt_lo_u32_b32 v1, v38, 0
	v_mbcnt_hi_u32_b32 v96, v39, v1
	v_cmp_eq_u32_e64 s[4:5], 0, v96
	v_cmp_ne_u64_e64 s[44:45], 0, v[38:39]
	s_and_b64 s[44:45], s[44:45], s[4:5]
	; wave barrier
	s_and_saveexec_b64 s[4:5], s[44:45]
	s_cbranch_execz .LBB251_67
; %bb.66:
	v_bcnt_u32_b32 v1, v38, 0
	v_bcnt_u32_b32 v1, v39, v1
	s_waitcnt lgkmcnt(0)
	v_add_u32_e32 v1, v94, v1
	ds_write_b32 v95, v1 offset:16
.LBB251_67:
	s_or_b64 exec, exec, s[4:5]
	v_lshrrev_b16_e32 v1, 8, v71
	v_mov_b32_e32 v38, 0x80
	v_cmp_ne_u16_e64 s[4:5], s54, v71
	v_cndmask_b32_e64 v1, v38, v1, s[4:5]
	v_and_b32_e32 v39, s53, v1
	v_lshlrev_b32_e32 v1, 2, v39
	v_add_lshl_u32 v98, v1, v68, 2
	v_and_b32_e32 v1, 1, v39
	v_add_co_u32_e64 v99, s[4:5], -1, v1
	v_addc_co_u32_e64 v100, s[4:5], 0, -1, s[4:5]
	v_cmp_ne_u32_e64 s[4:5], 0, v1
	v_xor_b32_e32 v1, s5, v100
	v_and_b32_e32 v100, exec_hi, v1
	v_lshlrev_b32_e32 v1, 30, v39
	v_xor_b32_e32 v99, s4, v99
	v_cmp_gt_i64_e64 s[4:5], 0, v[0:1]
	v_not_b32_e32 v1, v1
	v_ashrrev_i32_e32 v1, 31, v1
	v_and_b32_e32 v99, exec_lo, v99
	v_xor_b32_e32 v101, s5, v1
	v_xor_b32_e32 v1, s4, v1
	v_and_b32_e32 v99, v99, v1
	v_lshlrev_b32_e32 v1, 29, v39
	v_cmp_gt_i64_e64 s[4:5], 0, v[0:1]
	v_not_b32_e32 v1, v1
	v_ashrrev_i32_e32 v1, 31, v1
	v_and_b32_e32 v100, v100, v101
	v_xor_b32_e32 v101, s5, v1
	v_xor_b32_e32 v1, s4, v1
	v_and_b32_e32 v99, v99, v1
	v_lshlrev_b32_e32 v1, 28, v39
	v_cmp_gt_i64_e64 s[4:5], 0, v[0:1]
	v_not_b32_e32 v1, v1
	v_ashrrev_i32_e32 v1, 31, v1
	v_and_b32_e32 v100, v100, v101
	;; [unrolled: 8-line block ×5, first 2 shown]
	v_xor_b32_e32 v101, s5, v1
	v_xor_b32_e32 v1, s4, v1
	v_and_b32_e32 v99, v99, v1
	v_lshlrev_b32_e32 v1, 24, v39
	v_cmp_gt_i64_e64 s[4:5], 0, v[0:1]
	v_not_b32_e32 v0, v1
	v_ashrrev_i32_e32 v0, 31, v0
	v_xor_b32_e32 v1, s5, v0
	v_xor_b32_e32 v0, s4, v0
	; wave barrier
	ds_read_b32 v97, v98 offset:16
	v_and_b32_e32 v100, v100, v101
	v_and_b32_e32 v0, v99, v0
	;; [unrolled: 1-line block ×3, first 2 shown]
	v_mbcnt_lo_u32_b32 v39, v0, 0
	v_mbcnt_hi_u32_b32 v99, v1, v39
	v_cmp_eq_u32_e64 s[4:5], 0, v99
	v_cmp_ne_u64_e64 s[44:45], 0, v[0:1]
	s_and_b64 s[44:45], s[44:45], s[4:5]
	; wave barrier
	s_and_saveexec_b64 s[4:5], s[44:45]
	s_cbranch_execz .LBB251_69
; %bb.68:
	v_bcnt_u32_b32 v0, v0, 0
	v_bcnt_u32_b32 v0, v1, v0
	s_waitcnt lgkmcnt(0)
	v_add_u32_e32 v0, v97, v0
	ds_write_b32 v98, v0 offset:16
.LBB251_69:
	s_or_b64 exec, exec, s[4:5]
	v_lshrrev_b16_e32 v0, 8, v40
	v_cmp_ne_u16_e64 s[4:5], s54, v40
	v_cndmask_b32_e64 v0, v38, v0, s[4:5]
	v_and_b32_e32 v38, s53, v0
	v_and_b32_e32 v1, 1, v38
	v_add_co_u32_e64 v39, s[4:5], -1, v1
	v_addc_co_u32_e64 v101, s[4:5], 0, -1, s[4:5]
	v_cmp_ne_u32_e64 s[4:5], 0, v1
	v_lshlrev_b32_e32 v0, 2, v38
	v_xor_b32_e32 v1, s5, v101
	v_add_lshl_u32 v100, v0, v68, 2
	v_mov_b32_e32 v0, 0
	v_and_b32_e32 v101, exec_hi, v1
	v_lshlrev_b32_e32 v1, 30, v38
	v_xor_b32_e32 v39, s4, v39
	v_cmp_gt_i64_e64 s[4:5], 0, v[0:1]
	v_not_b32_e32 v1, v1
	v_ashrrev_i32_e32 v1, 31, v1
	v_and_b32_e32 v39, exec_lo, v39
	v_xor_b32_e32 v102, s5, v1
	v_xor_b32_e32 v1, s4, v1
	v_and_b32_e32 v39, v39, v1
	v_lshlrev_b32_e32 v1, 29, v38
	v_cmp_gt_i64_e64 s[4:5], 0, v[0:1]
	v_not_b32_e32 v1, v1
	v_ashrrev_i32_e32 v1, 31, v1
	v_and_b32_e32 v101, v101, v102
	v_xor_b32_e32 v102, s5, v1
	v_xor_b32_e32 v1, s4, v1
	v_and_b32_e32 v39, v39, v1
	v_lshlrev_b32_e32 v1, 28, v38
	v_cmp_gt_i64_e64 s[4:5], 0, v[0:1]
	v_not_b32_e32 v1, v1
	v_ashrrev_i32_e32 v1, 31, v1
	v_and_b32_e32 v101, v101, v102
	;; [unrolled: 8-line block ×5, first 2 shown]
	v_xor_b32_e32 v102, s5, v1
	v_xor_b32_e32 v1, s4, v1
	v_and_b32_e32 v39, v39, v1
	v_lshlrev_b32_e32 v1, 24, v38
	v_cmp_gt_i64_e64 s[4:5], 0, v[0:1]
	v_not_b32_e32 v0, v1
	v_ashrrev_i32_e32 v0, 31, v0
	v_xor_b32_e32 v1, s5, v0
	v_xor_b32_e32 v0, s4, v0
	; wave barrier
	ds_read_b32 v68, v100 offset:16
	v_and_b32_e32 v101, v101, v102
	v_and_b32_e32 v0, v39, v0
	;; [unrolled: 1-line block ×3, first 2 shown]
	v_mbcnt_lo_u32_b32 v38, v0, 0
	v_mbcnt_hi_u32_b32 v101, v1, v38
	v_cmp_eq_u32_e64 s[4:5], 0, v101
	v_cmp_ne_u64_e64 s[44:45], 0, v[0:1]
	s_and_b64 s[44:45], s[44:45], s[4:5]
	; wave barrier
	s_and_saveexec_b64 s[4:5], s[44:45]
	s_cbranch_execz .LBB251_71
; %bb.70:
	v_bcnt_u32_b32 v0, v0, 0
	v_bcnt_u32_b32 v0, v1, v0
	s_waitcnt lgkmcnt(0)
	v_add_u32_e32 v0, v68, v0
	ds_write_b32 v100, v0 offset:16
.LBB251_71:
	s_or_b64 exec, exec, s[4:5]
	; wave barrier
	s_waitcnt lgkmcnt(0)
	s_barrier
	ds_read2_b32 v[38:39], v64 offset0:4 offset1:5
	ds_read2_b32 v[0:1], v69 offset0:2 offset1:3
	s_waitcnt lgkmcnt(1)
	v_add_u32_e32 v102, v39, v38
	s_waitcnt lgkmcnt(0)
	v_add3_u32 v1, v102, v0, v1
	s_nop 1
	v_mov_b32_dpp v102, v1 row_shr:1 row_mask:0xf bank_mask:0xf
	v_cndmask_b32_e64 v102, v102, 0, s[22:23]
	v_add_u32_e32 v1, v102, v1
	s_nop 1
	v_mov_b32_dpp v102, v1 row_shr:2 row_mask:0xf bank_mask:0xf
	v_cndmask_b32_e64 v102, 0, v102, s[24:25]
	v_add_u32_e32 v1, v1, v102
	;; [unrolled: 4-line block ×4, first 2 shown]
	s_nop 1
	v_mov_b32_dpp v102, v1 row_bcast:15 row_mask:0xf bank_mask:0xf
	v_cndmask_b32_e64 v102, v102, 0, vcc
	v_add_u32_e32 v1, v1, v102
	s_nop 1
	v_mov_b32_dpp v102, v1 row_bcast:31 row_mask:0xf bank_mask:0xf
	v_cndmask_b32_e64 v102, 0, v102, s[34:35]
	v_add_u32_e32 v102, v1, v102
	s_and_saveexec_b64 s[4:5], s[16:17]
	s_cbranch_execz .LBB251_73
; %bb.72:
	ds_write_b32 v70, v102
.LBB251_73:
	s_or_b64 exec, exec, s[4:5]
	s_waitcnt lgkmcnt(0)
	s_barrier
	s_and_saveexec_b64 s[4:5], s[26:27]
	s_cbranch_execz .LBB251_75
; %bb.74:
	ds_read_b32 v1, v41
	s_waitcnt lgkmcnt(0)
	s_nop 0
	v_mov_b32_dpp v70, v1 row_shr:1 row_mask:0xf bank_mask:0xf
	v_cndmask_b32_e64 v70, v70, 0, s[20:21]
	v_add_u32_e32 v1, v70, v1
	s_nop 1
	v_mov_b32_dpp v70, v1 row_shr:2 row_mask:0xf bank_mask:0xf
	v_cndmask_b32_e64 v70, 0, v70, s[18:19]
	v_add_u32_e32 v1, v1, v70
	ds_write_b32 v41, v1
.LBB251_75:
	s_or_b64 exec, exec, s[4:5]
	v_mov_b32_e32 v1, 0
	v_mov_b32_e32 v41, 0
	s_waitcnt lgkmcnt(0)
	s_barrier
	s_and_saveexec_b64 s[4:5], s[36:37]
	s_cbranch_execz .LBB251_77
; %bb.76:
	ds_read_b32 v41, v80
.LBB251_77:
	s_or_b64 exec, exec, s[4:5]
	s_waitcnt lgkmcnt(0)
	v_add_u32_e32 v70, v41, v102
	ds_bpermute_b32 v70, v81, v70
	s_mov_b32 s16, 0x5040100
	s_waitcnt lgkmcnt(0)
	v_cndmask_b32_e64 v41, v70, v41, s[38:39]
	v_cndmask_b32_e64 v41, v41, 0, s[40:41]
	v_add_u32_e32 v38, v41, v38
	v_add_u32_e32 v39, v38, v39
	;; [unrolled: 1-line block ×3, first 2 shown]
	ds_write2_b32 v64, v41, v38 offset0:4 offset1:5
	ds_write2_b32 v69, v39, v0 offset0:2 offset1:3
	s_waitcnt lgkmcnt(0)
	s_barrier
	ds_read_b32 v0, v100 offset:16
	ds_read_b32 v38, v98 offset:16
	;; [unrolled: 1-line block ×4, first 2 shown]
	s_waitcnt lgkmcnt(3)
	v_add3_u32 v0, v101, v68, v0
	ds_read_b32 v68, v89 offset:16
	ds_read_b32 v69, v86 offset:16
	;; [unrolled: 1-line block ×4, first 2 shown]
	s_waitcnt lgkmcnt(0)
	s_barrier
	v_add3_u32 v69, v87, v85, v69
	v_add3_u32 v70, v84, v82, v70
	v_add_u32_e32 v78, v78, v79
	v_lshlrev_b32_e32 v79, 1, v78
	ds_write_b16 v79, v77
	v_lshlrev_b32_e32 v77, 1, v70
	v_add3_u32 v68, v90, v88, v68
	ds_write_b16 v77, v76
	v_lshlrev_b32_e32 v76, 1, v69
	v_add3_u32 v41, v93, v91, v41
	;; [unrolled: 3-line block ×4, first 2 shown]
	ds_write_b16 v74, v73
	v_lshlrev_b32_e32 v73, 1, v39
	ds_write_b16 v73, v72
	v_lshlrev_b32_e32 v72, 1, v38
	;; [unrolled: 2-line block ×4, first 2 shown]
	s_waitcnt lgkmcnt(0)
	s_barrier
	v_lshlrev_b32_e32 v72, 3, v41
	v_lshlrev_b32_e32 v73, 3, v39
	;; [unrolled: 1-line block ×3, first 2 shown]
	ds_read_b128 v[38:41], v40
	v_mov_b32_e32 v77, 0xffff8000
	v_lshlrev_b32_e32 v71, 3, v78
	v_lshlrev_b32_e32 v75, 3, v63
	;; [unrolled: 1-line block ×3, first 2 shown]
	s_waitcnt lgkmcnt(0)
	v_cmp_lt_i16_sdwa vcc, v38, v1 src0_sel:WORD_1 src1_sel:DWORD
	v_cndmask_b32_e32 v78, -1, v77, vcc
	v_cmp_gt_i16_e32 vcc, 0, v38
	v_lshlrev_b32_e32 v69, 3, v69
	v_lshlrev_b32_e32 v68, 3, v68
	;; [unrolled: 1-line block ×3, first 2 shown]
	v_cndmask_b32_e32 v79, -1, v77, vcc
	v_cmp_lt_i16_e32 vcc, -1, v39
	s_barrier
	ds_write_b64 v71, v[34:35]
	ds_write_b64 v70, v[36:37]
	ds_write_b64 v69, v[30:31]
	ds_write_b64 v68, v[32:33]
	ds_write_b64 v72, v[26:27]
	ds_write_b64 v73, v[28:29]
	ds_write_b64 v74, v[22:23]
	ds_write_b64 v0, v[24:25]
	s_waitcnt lgkmcnt(0)
	s_barrier
	ds_read2_b64 v[22:25], v75 offset1:1
	ds_read2_b64 v[26:29], v75 offset0:2 offset1:3
	ds_read2_b64 v[30:33], v75 offset0:4 offset1:5
	;; [unrolled: 1-line block ×3, first 2 shown]
	v_mov_b32_e32 v76, -1
	v_cndmask_b32_e64 v81, v77, -1, vcc
	v_cmp_lt_i16_sdwa vcc, v40, v1 src0_sel:WORD_1 src1_sel:DWORD
	v_cmp_gt_i16_sdwa s[4:5], v39, v76 src0_sel:WORD_1 src1_sel:DWORD
	v_cndmask_b32_e32 v0, -1, v77, vcc
	v_cmp_gt_i16_e32 vcc, 0, v40
	v_cndmask_b32_e64 v80, v77, -1, s[4:5]
	v_cndmask_b32_e32 v1, -1, v77, vcc
	v_cmp_gt_i16_sdwa s[4:5], v41, v76 src0_sel:WORD_1 src1_sel:DWORD
	v_cmp_lt_i16_e32 vcc, -1, v41
	v_cndmask_b32_e64 v68, v77, -1, s[4:5]
	v_cndmask_b32_e64 v69, v77, -1, vcc
	v_xor_b32_e32 v81, v81, v39
	v_xor_b32_sdwa v39, v80, v39 dst_sel:DWORD dst_unused:UNUSED_PAD src0_sel:DWORD src1_sel:WORD_1
	v_xor_b32_e32 v79, v79, v38
	v_xor_b32_sdwa v38, v78, v38 dst_sel:DWORD dst_unused:UNUSED_PAD src0_sel:DWORD src1_sel:WORD_1
	;; [unrolled: 2-line block ×4, first 2 shown]
	v_perm_b32 v39, v39, v81, s16
	v_perm_b32 v38, v38, v79, s16
	;; [unrolled: 1-line block ×4, first 2 shown]
	s_branch .LBB251_131
.LBB251_78:
	v_mov_b32_e32 v45, 0
	v_lshlrev_b64 v[2:3], 3, v[44:45]
	v_mov_b32_e32 v4, s52
	v_add_co_u32_e32 v2, vcc, s49, v2
	v_addc_co_u32_e32 v3, vcc, v4, v3, vcc
	global_load_dwordx2 v[2:3], v[2:3], off
	v_mov_b32_e32 v4, v45
	v_mov_b32_e32 v5, v45
	;; [unrolled: 1-line block ×14, first 2 shown]
	s_or_b64 exec, exec, s[4:5]
	s_and_saveexec_b64 s[4:5], s[2:3]
	s_cbranch_execz .LBB251_25
.LBB251_79:
	v_mul_lo_u32 v4, v36, s48
	v_mov_b32_e32 v5, 0
	v_lshlrev_b64 v[4:5], 3, v[4:5]
	v_mov_b32_e32 v36, s52
	v_add_co_u32_e32 v4, vcc, s49, v4
	v_addc_co_u32_e32 v5, vcc, v36, v5, vcc
	global_load_dwordx2 v[4:5], v[4:5], off
	s_or_b64 exec, exec, s[4:5]
	s_and_saveexec_b64 s[4:5], s[42:43]
	s_cbranch_execz .LBB251_26
.LBB251_80:
	v_mul_lo_u32 v6, v35, s48
	v_mov_b32_e32 v7, 0
	v_lshlrev_b64 v[6:7], 3, v[6:7]
	v_mov_b32_e32 v35, s52
	v_add_co_u32_e32 v6, vcc, s49, v6
	v_addc_co_u32_e32 v7, vcc, v35, v7, vcc
	global_load_dwordx2 v[6:7], v[6:7], off
	s_or_b64 exec, exec, s[4:5]
	s_and_saveexec_b64 s[4:5], s[6:7]
	s_cbranch_execz .LBB251_27
.LBB251_81:
	v_mul_lo_u32 v8, v33, s48
	v_mov_b32_e32 v9, 0
	v_lshlrev_b64 v[8:9], 3, v[8:9]
	v_mov_b32_e32 v33, s52
	v_add_co_u32_e32 v8, vcc, s49, v8
	v_addc_co_u32_e32 v9, vcc, v33, v9, vcc
	global_load_dwordx2 v[8:9], v[8:9], off
	s_or_b64 exec, exec, s[4:5]
	s_and_saveexec_b64 s[4:5], s[8:9]
	s_cbranch_execz .LBB251_28
.LBB251_82:
	v_mul_lo_u32 v10, v30, s48
	v_mov_b32_e32 v11, 0
	v_lshlrev_b64 v[10:11], 3, v[10:11]
	v_mov_b32_e32 v30, s52
	v_add_co_u32_e32 v10, vcc, s49, v10
	v_addc_co_u32_e32 v11, vcc, v30, v11, vcc
	global_load_dwordx2 v[10:11], v[10:11], off
	s_or_b64 exec, exec, s[4:5]
	s_and_saveexec_b64 s[4:5], s[10:11]
	s_cbranch_execz .LBB251_29
.LBB251_83:
	v_mul_lo_u32 v12, v28, s48
	v_mov_b32_e32 v13, 0
	v_lshlrev_b64 v[12:13], 3, v[12:13]
	v_mov_b32_e32 v28, s52
	v_add_co_u32_e32 v12, vcc, s49, v12
	v_addc_co_u32_e32 v13, vcc, v28, v13, vcc
	global_load_dwordx2 v[12:13], v[12:13], off
	s_or_b64 exec, exec, s[4:5]
	s_and_saveexec_b64 s[4:5], s[12:13]
	s_cbranch_execz .LBB251_30
.LBB251_84:
	v_mul_lo_u32 v14, v26, s48
	v_mov_b32_e32 v15, 0
	v_lshlrev_b64 v[14:15], 3, v[14:15]
	v_mov_b32_e32 v26, s52
	v_add_co_u32_e32 v14, vcc, s49, v14
	v_addc_co_u32_e32 v15, vcc, v26, v15, vcc
	global_load_dwordx2 v[14:15], v[14:15], off
	s_or_b64 exec, exec, s[4:5]
	s_xor_b64 s[4:5], s[34:35], -1
	s_and_saveexec_b64 s[16:17], s[14:15]
	s_cbranch_execnz .LBB251_31
	s_branch .LBB251_32
.LBB251_85:
                                        ; implicit-def: $vgpr36_vgpr37
                                        ; implicit-def: $vgpr32_vgpr33
                                        ; implicit-def: $vgpr28_vgpr29
                                        ; implicit-def: $vgpr24_vgpr25
                                        ; implicit-def: $vgpr40_vgpr41
	s_cbranch_execz .LBB251_131
; %bb.86:
	s_waitcnt lgkmcnt(3)
	v_mov_b32_e32 v22, 0
	s_waitcnt lgkmcnt(0)
	v_mov_b32_e32 v35, 0x7fff
	v_cmp_gt_i16_e32 vcc, 0, v19
	v_cmp_lt_i16_sdwa s[4:5], v19, v22 src0_sel:WORD_1 src1_sel:DWORD
	v_cndmask_b32_e64 v23, v35, 0, vcc
	v_cmp_gt_i16_e32 vcc, 0, v18
	v_cndmask_b32_e64 v25, v35, 0, s[4:5]
	v_cmp_lt_i16_sdwa s[4:5], v18, v22 src0_sel:WORD_1 src1_sel:DWORD
	v_cndmask_b32_e64 v24, v35, 0, vcc
	v_cndmask_b32_e64 v27, v35, 0, s[4:5]
	v_cmp_gt_i16_e32 vcc, 0, v21
	v_cmp_lt_i16_sdwa s[4:5], v21, v22 src0_sel:WORD_1 src1_sel:DWORD
	v_xor_b32_sdwa v25, v25, v19 dst_sel:DWORD dst_unused:UNUSED_PAD src0_sel:DWORD src1_sel:WORD_1
	v_xor_b32_e32 v19, v23, v19
	v_cndmask_b32_e64 v23, v35, 0, vcc
	v_cmp_gt_i16_e32 vcc, 0, v20
	v_cndmask_b32_e64 v28, v35, 0, s[4:5]
	v_cmp_lt_i16_sdwa s[4:5], v20, v22 src0_sel:WORD_1 src1_sel:DWORD
	v_mbcnt_hi_u32_b32 v26, -1, v67
	v_and_b32_e32 v34, 0x3c0, v46
	v_xor_b32_sdwa v27, v27, v18 dst_sel:DWORD dst_unused:UNUSED_PAD src0_sel:DWORD src1_sel:WORD_1
	v_xor_b32_e32 v18, v24, v18
	v_cndmask_b32_e64 v24, v35, 0, vcc
	v_cndmask_b32_e64 v29, v35, 0, s[4:5]
	v_add_u32_e32 v0, v26, v34
	v_xor_b32_sdwa v29, v29, v20 dst_sel:DWORD dst_unused:UNUSED_PAD src0_sel:DWORD src1_sel:WORD_1
	v_xor_b32_sdwa v28, v28, v21 dst_sel:DWORD dst_unused:UNUSED_PAD src0_sel:DWORD src1_sel:WORD_1
	v_xor_b32_e32 v20, v24, v20
	v_xor_b32_e32 v21, v23, v21
	s_mov_b32 s4, 0x5040100
	v_lshlrev_b32_e32 v1, 4, v0
	v_perm_b32 v21, v28, v21, s4
	v_perm_b32 v20, v29, v20, s4
	;; [unrolled: 1-line block ×4, first 2 shown]
	v_and_b32_e32 v36, 0x1e00, v63
	ds_write_b128 v1, v[18:21]
	v_or_b32_e32 v1, v26, v36
	v_lshlrev_b32_e32 v18, 1, v1
	v_lshlrev_b32_e32 v0, 6, v0
	; wave barrier
	ds_read_u16 v33, v18
	ds_read_u16 v32, v18 offset:128
	ds_read_u16 v31, v18 offset:256
	;; [unrolled: 1-line block ×7, first 2 shown]
	s_waitcnt lgkmcnt(0)
	s_barrier
	ds_write2_b64 v0, v[14:15], v[16:17] offset1:1
	ds_write2_b64 v0, v[10:11], v[12:13] offset0:2 offset1:3
	ds_write2_b64 v0, v[6:7], v[8:9] offset0:4 offset1:5
	;; [unrolled: 1-line block ×3, first 2 shown]
	v_lshlrev_b32_e32 v0, 3, v1
	; wave barrier
	ds_read2st64_b64 v[12:15], v0 offset1:1
	ds_read2st64_b64 v[8:11], v0 offset0:2 offset1:3
	ds_read2st64_b64 v[4:7], v0 offset0:4 offset1:5
	;; [unrolled: 1-line block ×3, first 2 shown]
	s_waitcnt lgkmcnt(0)
	s_barrier
	s_load_dword s16, s[50:51], 0xc
	s_getpc_b64 s[4:5]
	s_add_u32 s4, s4, _ZN7rocprim17ROCPRIM_400000_NS16block_radix_sortI12hip_bfloat16Lj256ELj8ElLj1ELj1ELj0ELNS0_26block_radix_rank_algorithmE1ELNS0_18block_padding_hintE2ELNS0_4arch9wavefront6targetE1EE19radix_bits_per_passE@rel32@lo+4
	s_addc_u32 s5, s5, _ZN7rocprim17ROCPRIM_400000_NS16block_radix_sortI12hip_bfloat16Lj256ELj8ElLj1ELj1ELj0ELNS0_26block_radix_rank_algorithmE1ELNS0_18block_padding_hintE2ELNS0_4arch9wavefront6targetE1EE19radix_bits_per_passE@rel32@hi+12
	s_load_dword s44, s[4:5], 0x0
	s_movk_i32 s17, 0x8000
	v_cmp_ne_u16_e32 vcc, s17, v33
	s_waitcnt lgkmcnt(0)
	s_lshr_b32 s4, s16, 16
	s_and_b32 s5, s16, 0xffff
	v_mad_u32_u24 v16, v66, s4, v65
	v_mad_u64_u32 v[16:17], s[4:5], v16, s5, v[46:47]
	s_min_u32 s4, s44, 16
	s_lshl_b32 s4, -1, s4
	v_lshrrev_b32_e32 v24, 6, v16
	s_not_b32 s16, s4
	v_cndmask_b32_e32 v16, v35, v33, vcc
	v_and_b32_sdwa v16, s16, v16 dst_sel:DWORD dst_unused:UNUSED_PAD src0_sel:DWORD src1_sel:WORD_0
	v_lshlrev_b32_e32 v17, 2, v16
	v_add_lshl_u32 v37, v24, v17, 2
	v_and_b32_e32 v17, 1, v16
	v_add_co_u32_e32 v18, vcc, -1, v17
	v_addc_co_u32_e64 v19, s[4:5], 0, -1, vcc
	v_cmp_ne_u32_e32 vcc, 0, v17
	v_lshlrev_b32_e32 v23, 30, v16
	v_xor_b32_e32 v17, vcc_hi, v19
	v_not_b32_e32 v19, v23
	v_xor_b32_e32 v18, vcc_lo, v18
	v_cmp_gt_i64_e32 vcc, 0, v[22:23]
	v_ashrrev_i32_e32 v19, 31, v19
	v_and_b32_e32 v18, exec_lo, v18
	v_xor_b32_e32 v20, vcc_hi, v19
	v_xor_b32_e32 v19, vcc_lo, v19
	v_lshlrev_b32_e32 v23, 29, v16
	v_and_b32_e32 v18, v18, v19
	v_not_b32_e32 v19, v23
	v_and_b32_e32 v17, exec_hi, v17
	v_cmp_gt_i64_e32 vcc, 0, v[22:23]
	v_ashrrev_i32_e32 v19, 31, v19
	v_and_b32_e32 v17, v17, v20
	v_xor_b32_e32 v20, vcc_hi, v19
	v_xor_b32_e32 v19, vcc_lo, v19
	v_lshlrev_b32_e32 v23, 28, v16
	v_and_b32_e32 v18, v18, v19
	v_not_b32_e32 v19, v23
	v_cmp_gt_i64_e32 vcc, 0, v[22:23]
	v_ashrrev_i32_e32 v19, 31, v19
	v_and_b32_e32 v17, v17, v20
	v_xor_b32_e32 v20, vcc_hi, v19
	v_xor_b32_e32 v19, vcc_lo, v19
	v_lshlrev_b32_e32 v23, 27, v16
	v_and_b32_e32 v18, v18, v19
	v_not_b32_e32 v19, v23
	;; [unrolled: 8-line block ×3, first 2 shown]
	v_cmp_gt_i64_e32 vcc, 0, v[22:23]
	v_ashrrev_i32_e32 v19, 31, v19
	v_and_b32_e32 v17, v17, v20
	v_xor_b32_e32 v20, vcc_hi, v19
	v_xor_b32_e32 v19, vcc_lo, v19
	v_lshlrev_b32_e32 v23, 25, v16
	v_and_b32_e32 v18, v18, v19
	v_cmp_gt_i64_e32 vcc, 0, v[22:23]
	v_not_b32_e32 v19, v23
	v_lshlrev_b32_e32 v23, 24, v16
	v_ashrrev_i32_e32 v19, 31, v19
	v_not_b32_e32 v16, v23
	v_and_b32_e32 v17, v17, v20
	v_xor_b32_e32 v20, vcc_hi, v19
	v_xor_b32_e32 v19, vcc_lo, v19
	v_cmp_gt_i64_e32 vcc, 0, v[22:23]
	v_ashrrev_i32_e32 v16, 31, v16
	v_and_b32_e32 v18, v18, v19
	v_xor_b32_e32 v19, vcc_hi, v16
	v_xor_b32_e32 v16, vcc_lo, v16
	v_and_b32_e32 v17, v17, v20
	v_and_b32_e32 v16, v18, v16
	;; [unrolled: 1-line block ×3, first 2 shown]
	v_mbcnt_lo_u32_b32 v18, v16, 0
	v_mbcnt_hi_u32_b32 v38, v17, v18
	v_cmp_eq_u32_e32 vcc, 0, v38
	v_cmp_ne_u64_e64 s[4:5], 0, v[16:17]
	s_and_b64 s[18:19], s[4:5], vcc
	ds_write2_b32 v64, v22, v22 offset0:4 offset1:5
	ds_write2_b32 v64, v22, v22 offset0:6 offset1:7
	s_waitcnt lgkmcnt(0)
	s_barrier
	s_waitcnt lgkmcnt(0)
	; wave barrier
	s_and_saveexec_b64 s[4:5], s[18:19]
	s_cbranch_execz .LBB251_88
; %bb.87:
	v_bcnt_u32_b32 v16, v16, 0
	v_bcnt_u32_b32 v16, v17, v16
	ds_write_b32 v37, v16 offset:16
.LBB251_88:
	s_or_b64 exec, exec, s[4:5]
	v_cmp_ne_u16_e32 vcc, s17, v32
	v_cndmask_b32_e32 v16, v35, v32, vcc
	v_and_b32_sdwa v16, s16, v16 dst_sel:DWORD dst_unused:UNUSED_PAD src0_sel:DWORD src1_sel:WORD_0
	v_lshlrev_b32_e32 v17, 2, v16
	v_add_lshl_u32 v40, v24, v17, 2
	v_and_b32_e32 v17, 1, v16
	v_add_co_u32_e32 v18, vcc, -1, v17
	v_addc_co_u32_e64 v19, s[4:5], 0, -1, vcc
	v_cmp_ne_u32_e32 vcc, 0, v17
	v_lshlrev_b32_e32 v23, 30, v16
	v_xor_b32_e32 v17, vcc_hi, v19
	v_not_b32_e32 v19, v23
	v_xor_b32_e32 v18, vcc_lo, v18
	v_cmp_gt_i64_e32 vcc, 0, v[22:23]
	v_ashrrev_i32_e32 v19, 31, v19
	v_and_b32_e32 v18, exec_lo, v18
	v_xor_b32_e32 v20, vcc_hi, v19
	v_xor_b32_e32 v19, vcc_lo, v19
	v_lshlrev_b32_e32 v23, 29, v16
	v_and_b32_e32 v18, v18, v19
	v_not_b32_e32 v19, v23
	v_and_b32_e32 v17, exec_hi, v17
	v_cmp_gt_i64_e32 vcc, 0, v[22:23]
	v_ashrrev_i32_e32 v19, 31, v19
	v_and_b32_e32 v17, v17, v20
	v_xor_b32_e32 v20, vcc_hi, v19
	v_xor_b32_e32 v19, vcc_lo, v19
	v_lshlrev_b32_e32 v23, 28, v16
	v_and_b32_e32 v18, v18, v19
	v_not_b32_e32 v19, v23
	v_cmp_gt_i64_e32 vcc, 0, v[22:23]
	v_ashrrev_i32_e32 v19, 31, v19
	v_and_b32_e32 v17, v17, v20
	v_xor_b32_e32 v20, vcc_hi, v19
	v_xor_b32_e32 v19, vcc_lo, v19
	v_lshlrev_b32_e32 v23, 27, v16
	v_and_b32_e32 v18, v18, v19
	v_not_b32_e32 v19, v23
	;; [unrolled: 8-line block ×3, first 2 shown]
	v_cmp_gt_i64_e32 vcc, 0, v[22:23]
	v_ashrrev_i32_e32 v19, 31, v19
	v_and_b32_e32 v17, v17, v20
	v_xor_b32_e32 v20, vcc_hi, v19
	v_xor_b32_e32 v19, vcc_lo, v19
	v_lshlrev_b32_e32 v23, 25, v16
	v_and_b32_e32 v18, v18, v19
	v_cmp_gt_i64_e32 vcc, 0, v[22:23]
	v_not_b32_e32 v19, v23
	v_lshlrev_b32_e32 v23, 24, v16
	v_ashrrev_i32_e32 v19, 31, v19
	v_not_b32_e32 v16, v23
	v_and_b32_e32 v17, v17, v20
	v_xor_b32_e32 v20, vcc_hi, v19
	v_xor_b32_e32 v19, vcc_lo, v19
	v_cmp_gt_i64_e32 vcc, 0, v[22:23]
	v_ashrrev_i32_e32 v16, 31, v16
	v_and_b32_e32 v18, v18, v19
	v_xor_b32_e32 v19, vcc_hi, v16
	v_xor_b32_e32 v16, vcc_lo, v16
	; wave barrier
	ds_read_b32 v39, v40 offset:16
	v_and_b32_e32 v17, v17, v20
	v_and_b32_e32 v16, v18, v16
	;; [unrolled: 1-line block ×3, first 2 shown]
	v_mbcnt_lo_u32_b32 v18, v16, 0
	v_mbcnt_hi_u32_b32 v41, v17, v18
	v_cmp_eq_u32_e32 vcc, 0, v41
	v_cmp_ne_u64_e64 s[4:5], 0, v[16:17]
	s_and_b64 s[18:19], s[4:5], vcc
	; wave barrier
	s_and_saveexec_b64 s[4:5], s[18:19]
	s_cbranch_execz .LBB251_90
; %bb.89:
	v_bcnt_u32_b32 v16, v16, 0
	v_bcnt_u32_b32 v16, v17, v16
	s_waitcnt lgkmcnt(0)
	v_add_u32_e32 v16, v39, v16
	ds_write_b32 v40, v16 offset:16
.LBB251_90:
	s_or_b64 exec, exec, s[4:5]
	v_mov_b32_e32 v20, 0x7fff
	v_cmp_ne_u16_e32 vcc, s17, v31
	v_cndmask_b32_e32 v16, v20, v31, vcc
	v_and_b32_sdwa v18, s16, v16 dst_sel:DWORD dst_unused:UNUSED_PAD src0_sel:DWORD src1_sel:WORD_0
	v_and_b32_e32 v17, 1, v18
	v_add_co_u32_e32 v19, vcc, -1, v17
	v_addc_co_u32_e64 v21, s[4:5], 0, -1, vcc
	v_cmp_ne_u32_e32 vcc, 0, v17
	v_lshlrev_b32_e32 v16, 2, v18
	v_xor_b32_e32 v17, vcc_hi, v21
	v_add_lshl_u32 v66, v24, v16, 2
	v_mov_b32_e32 v16, 0
	v_and_b32_e32 v21, exec_hi, v17
	v_lshlrev_b32_e32 v17, 30, v18
	v_xor_b32_e32 v19, vcc_lo, v19
	v_cmp_gt_i64_e32 vcc, 0, v[16:17]
	v_not_b32_e32 v17, v17
	v_ashrrev_i32_e32 v17, 31, v17
	v_and_b32_e32 v19, exec_lo, v19
	v_xor_b32_e32 v22, vcc_hi, v17
	v_xor_b32_e32 v17, vcc_lo, v17
	v_and_b32_e32 v19, v19, v17
	v_lshlrev_b32_e32 v17, 29, v18
	v_cmp_gt_i64_e32 vcc, 0, v[16:17]
	v_not_b32_e32 v17, v17
	v_ashrrev_i32_e32 v17, 31, v17
	v_and_b32_e32 v21, v21, v22
	v_xor_b32_e32 v22, vcc_hi, v17
	v_xor_b32_e32 v17, vcc_lo, v17
	v_and_b32_e32 v19, v19, v17
	v_lshlrev_b32_e32 v17, 28, v18
	v_cmp_gt_i64_e32 vcc, 0, v[16:17]
	v_not_b32_e32 v17, v17
	v_ashrrev_i32_e32 v17, 31, v17
	v_and_b32_e32 v21, v21, v22
	;; [unrolled: 8-line block ×5, first 2 shown]
	v_xor_b32_e32 v22, vcc_hi, v17
	v_xor_b32_e32 v17, vcc_lo, v17
	v_and_b32_e32 v21, v21, v22
	v_and_b32_e32 v22, v19, v17
	v_lshlrev_b32_e32 v17, 24, v18
	v_cmp_gt_i64_e32 vcc, 0, v[16:17]
	v_not_b32_e32 v17, v17
	v_ashrrev_i32_e32 v17, 31, v17
	v_xor_b32_e32 v18, vcc_hi, v17
	v_xor_b32_e32 v17, vcc_lo, v17
	; wave barrier
	ds_read_b32 v65, v66 offset:16
	v_and_b32_e32 v19, v21, v18
	v_and_b32_e32 v18, v22, v17
	v_mbcnt_lo_u32_b32 v17, v18, 0
	v_mbcnt_hi_u32_b32 v67, v19, v17
	v_cmp_eq_u32_e32 vcc, 0, v67
	v_cmp_ne_u64_e64 s[4:5], 0, v[18:19]
	s_and_b64 s[18:19], s[4:5], vcc
	; wave barrier
	s_and_saveexec_b64 s[4:5], s[18:19]
	s_cbranch_execz .LBB251_92
; %bb.91:
	v_bcnt_u32_b32 v17, v18, 0
	v_bcnt_u32_b32 v17, v19, v17
	s_waitcnt lgkmcnt(0)
	v_add_u32_e32 v17, v65, v17
	ds_write_b32 v66, v17 offset:16
.LBB251_92:
	s_or_b64 exec, exec, s[4:5]
	v_cmp_ne_u16_e32 vcc, s17, v30
	v_cndmask_b32_e32 v17, v20, v30, vcc
	v_and_b32_sdwa v18, s16, v17 dst_sel:DWORD dst_unused:UNUSED_PAD src0_sel:DWORD src1_sel:WORD_0
	v_lshlrev_b32_e32 v17, 2, v18
	v_add_lshl_u32 v69, v24, v17, 2
	v_and_b32_e32 v17, 1, v18
	v_add_co_u32_e32 v19, vcc, -1, v17
	v_addc_co_u32_e64 v20, s[4:5], 0, -1, vcc
	v_cmp_ne_u32_e32 vcc, 0, v17
	v_xor_b32_e32 v17, vcc_hi, v20
	v_and_b32_e32 v20, exec_hi, v17
	v_lshlrev_b32_e32 v17, 30, v18
	v_xor_b32_e32 v19, vcc_lo, v19
	v_cmp_gt_i64_e32 vcc, 0, v[16:17]
	v_not_b32_e32 v17, v17
	v_ashrrev_i32_e32 v17, 31, v17
	v_and_b32_e32 v19, exec_lo, v19
	v_xor_b32_e32 v21, vcc_hi, v17
	v_xor_b32_e32 v17, vcc_lo, v17
	v_and_b32_e32 v19, v19, v17
	v_lshlrev_b32_e32 v17, 29, v18
	v_cmp_gt_i64_e32 vcc, 0, v[16:17]
	v_not_b32_e32 v17, v17
	v_ashrrev_i32_e32 v17, 31, v17
	v_and_b32_e32 v20, v20, v21
	v_xor_b32_e32 v21, vcc_hi, v17
	v_xor_b32_e32 v17, vcc_lo, v17
	v_and_b32_e32 v19, v19, v17
	v_lshlrev_b32_e32 v17, 28, v18
	v_cmp_gt_i64_e32 vcc, 0, v[16:17]
	v_not_b32_e32 v17, v17
	v_ashrrev_i32_e32 v17, 31, v17
	v_and_b32_e32 v20, v20, v21
	;; [unrolled: 8-line block ×5, first 2 shown]
	v_xor_b32_e32 v21, vcc_hi, v17
	v_xor_b32_e32 v17, vcc_lo, v17
	v_and_b32_e32 v19, v19, v17
	v_lshlrev_b32_e32 v17, 24, v18
	v_cmp_gt_i64_e32 vcc, 0, v[16:17]
	v_not_b32_e32 v16, v17
	v_ashrrev_i32_e32 v16, 31, v16
	v_xor_b32_e32 v17, vcc_hi, v16
	v_xor_b32_e32 v16, vcc_lo, v16
	; wave barrier
	ds_read_b32 v68, v69 offset:16
	v_and_b32_e32 v20, v20, v21
	v_and_b32_e32 v16, v19, v16
	;; [unrolled: 1-line block ×3, first 2 shown]
	v_mbcnt_lo_u32_b32 v18, v16, 0
	v_mbcnt_hi_u32_b32 v70, v17, v18
	v_cmp_eq_u32_e32 vcc, 0, v70
	v_cmp_ne_u64_e64 s[4:5], 0, v[16:17]
	s_and_b64 s[18:19], s[4:5], vcc
	; wave barrier
	s_and_saveexec_b64 s[4:5], s[18:19]
	s_cbranch_execz .LBB251_94
; %bb.93:
	v_bcnt_u32_b32 v16, v16, 0
	v_bcnt_u32_b32 v16, v17, v16
	s_waitcnt lgkmcnt(0)
	v_add_u32_e32 v16, v68, v16
	ds_write_b32 v69, v16 offset:16
.LBB251_94:
	s_or_b64 exec, exec, s[4:5]
	v_mov_b32_e32 v20, 0x7fff
	v_cmp_ne_u16_e32 vcc, s17, v29
	v_cndmask_b32_e32 v16, v20, v29, vcc
	v_and_b32_sdwa v18, s16, v16 dst_sel:DWORD dst_unused:UNUSED_PAD src0_sel:DWORD src1_sel:WORD_0
	v_and_b32_e32 v17, 1, v18
	v_add_co_u32_e32 v19, vcc, -1, v17
	v_addc_co_u32_e64 v21, s[4:5], 0, -1, vcc
	v_cmp_ne_u32_e32 vcc, 0, v17
	v_lshlrev_b32_e32 v16, 2, v18
	v_xor_b32_e32 v17, vcc_hi, v21
	v_add_lshl_u32 v72, v24, v16, 2
	v_mov_b32_e32 v16, 0
	v_and_b32_e32 v21, exec_hi, v17
	v_lshlrev_b32_e32 v17, 30, v18
	v_xor_b32_e32 v19, vcc_lo, v19
	v_cmp_gt_i64_e32 vcc, 0, v[16:17]
	v_not_b32_e32 v17, v17
	v_ashrrev_i32_e32 v17, 31, v17
	v_and_b32_e32 v19, exec_lo, v19
	v_xor_b32_e32 v22, vcc_hi, v17
	v_xor_b32_e32 v17, vcc_lo, v17
	v_and_b32_e32 v19, v19, v17
	v_lshlrev_b32_e32 v17, 29, v18
	v_cmp_gt_i64_e32 vcc, 0, v[16:17]
	v_not_b32_e32 v17, v17
	v_ashrrev_i32_e32 v17, 31, v17
	v_and_b32_e32 v21, v21, v22
	v_xor_b32_e32 v22, vcc_hi, v17
	v_xor_b32_e32 v17, vcc_lo, v17
	v_and_b32_e32 v19, v19, v17
	v_lshlrev_b32_e32 v17, 28, v18
	v_cmp_gt_i64_e32 vcc, 0, v[16:17]
	v_not_b32_e32 v17, v17
	v_ashrrev_i32_e32 v17, 31, v17
	v_and_b32_e32 v21, v21, v22
	;; [unrolled: 8-line block ×5, first 2 shown]
	v_xor_b32_e32 v22, vcc_hi, v17
	v_xor_b32_e32 v17, vcc_lo, v17
	v_and_b32_e32 v21, v21, v22
	v_and_b32_e32 v22, v19, v17
	v_lshlrev_b32_e32 v17, 24, v18
	v_cmp_gt_i64_e32 vcc, 0, v[16:17]
	v_not_b32_e32 v17, v17
	v_ashrrev_i32_e32 v17, 31, v17
	v_xor_b32_e32 v18, vcc_hi, v17
	v_xor_b32_e32 v17, vcc_lo, v17
	; wave barrier
	ds_read_b32 v71, v72 offset:16
	v_and_b32_e32 v19, v21, v18
	v_and_b32_e32 v18, v22, v17
	v_mbcnt_lo_u32_b32 v17, v18, 0
	v_mbcnt_hi_u32_b32 v73, v19, v17
	v_cmp_eq_u32_e32 vcc, 0, v73
	v_cmp_ne_u64_e64 s[4:5], 0, v[18:19]
	s_and_b64 s[18:19], s[4:5], vcc
	; wave barrier
	s_and_saveexec_b64 s[4:5], s[18:19]
	s_cbranch_execz .LBB251_96
; %bb.95:
	v_bcnt_u32_b32 v17, v18, 0
	v_bcnt_u32_b32 v17, v19, v17
	s_waitcnt lgkmcnt(0)
	v_add_u32_e32 v17, v71, v17
	ds_write_b32 v72, v17 offset:16
.LBB251_96:
	s_or_b64 exec, exec, s[4:5]
	v_cmp_ne_u16_e32 vcc, s17, v28
	v_cndmask_b32_e32 v17, v20, v28, vcc
	v_and_b32_sdwa v18, s16, v17 dst_sel:DWORD dst_unused:UNUSED_PAD src0_sel:DWORD src1_sel:WORD_0
	v_lshlrev_b32_e32 v17, 2, v18
	v_add_lshl_u32 v75, v24, v17, 2
	v_and_b32_e32 v17, 1, v18
	v_add_co_u32_e32 v19, vcc, -1, v17
	v_addc_co_u32_e64 v20, s[4:5], 0, -1, vcc
	v_cmp_ne_u32_e32 vcc, 0, v17
	v_xor_b32_e32 v17, vcc_hi, v20
	v_and_b32_e32 v20, exec_hi, v17
	v_lshlrev_b32_e32 v17, 30, v18
	v_xor_b32_e32 v19, vcc_lo, v19
	v_cmp_gt_i64_e32 vcc, 0, v[16:17]
	v_not_b32_e32 v17, v17
	v_ashrrev_i32_e32 v17, 31, v17
	v_and_b32_e32 v19, exec_lo, v19
	v_xor_b32_e32 v21, vcc_hi, v17
	v_xor_b32_e32 v17, vcc_lo, v17
	v_and_b32_e32 v19, v19, v17
	v_lshlrev_b32_e32 v17, 29, v18
	v_cmp_gt_i64_e32 vcc, 0, v[16:17]
	v_not_b32_e32 v17, v17
	v_ashrrev_i32_e32 v17, 31, v17
	v_and_b32_e32 v20, v20, v21
	v_xor_b32_e32 v21, vcc_hi, v17
	v_xor_b32_e32 v17, vcc_lo, v17
	v_and_b32_e32 v19, v19, v17
	v_lshlrev_b32_e32 v17, 28, v18
	v_cmp_gt_i64_e32 vcc, 0, v[16:17]
	v_not_b32_e32 v17, v17
	v_ashrrev_i32_e32 v17, 31, v17
	v_and_b32_e32 v20, v20, v21
	;; [unrolled: 8-line block ×5, first 2 shown]
	v_xor_b32_e32 v21, vcc_hi, v17
	v_xor_b32_e32 v17, vcc_lo, v17
	v_and_b32_e32 v19, v19, v17
	v_lshlrev_b32_e32 v17, 24, v18
	v_cmp_gt_i64_e32 vcc, 0, v[16:17]
	v_not_b32_e32 v16, v17
	v_ashrrev_i32_e32 v16, 31, v16
	v_xor_b32_e32 v17, vcc_hi, v16
	v_xor_b32_e32 v16, vcc_lo, v16
	; wave barrier
	ds_read_b32 v74, v75 offset:16
	v_and_b32_e32 v20, v20, v21
	v_and_b32_e32 v16, v19, v16
	;; [unrolled: 1-line block ×3, first 2 shown]
	v_mbcnt_lo_u32_b32 v18, v16, 0
	v_mbcnt_hi_u32_b32 v76, v17, v18
	v_cmp_eq_u32_e32 vcc, 0, v76
	v_cmp_ne_u64_e64 s[4:5], 0, v[16:17]
	s_and_b64 s[18:19], s[4:5], vcc
	; wave barrier
	s_and_saveexec_b64 s[4:5], s[18:19]
	s_cbranch_execz .LBB251_98
; %bb.97:
	v_bcnt_u32_b32 v16, v16, 0
	v_bcnt_u32_b32 v16, v17, v16
	s_waitcnt lgkmcnt(0)
	v_add_u32_e32 v16, v74, v16
	ds_write_b32 v75, v16 offset:16
.LBB251_98:
	s_or_b64 exec, exec, s[4:5]
	v_mov_b32_e32 v20, 0x7fff
	v_cmp_ne_u16_e32 vcc, s17, v27
	v_cndmask_b32_e32 v16, v20, v27, vcc
	v_and_b32_sdwa v18, s16, v16 dst_sel:DWORD dst_unused:UNUSED_PAD src0_sel:DWORD src1_sel:WORD_0
	v_and_b32_e32 v17, 1, v18
	v_add_co_u32_e32 v19, vcc, -1, v17
	v_addc_co_u32_e64 v21, s[4:5], 0, -1, vcc
	v_cmp_ne_u32_e32 vcc, 0, v17
	v_lshlrev_b32_e32 v16, 2, v18
	v_xor_b32_e32 v17, vcc_hi, v21
	v_add_lshl_u32 v78, v24, v16, 2
	v_mov_b32_e32 v16, 0
	v_and_b32_e32 v21, exec_hi, v17
	v_lshlrev_b32_e32 v17, 30, v18
	v_xor_b32_e32 v19, vcc_lo, v19
	v_cmp_gt_i64_e32 vcc, 0, v[16:17]
	v_not_b32_e32 v17, v17
	v_ashrrev_i32_e32 v17, 31, v17
	v_and_b32_e32 v19, exec_lo, v19
	v_xor_b32_e32 v22, vcc_hi, v17
	v_xor_b32_e32 v17, vcc_lo, v17
	v_and_b32_e32 v19, v19, v17
	v_lshlrev_b32_e32 v17, 29, v18
	v_cmp_gt_i64_e32 vcc, 0, v[16:17]
	v_not_b32_e32 v17, v17
	v_ashrrev_i32_e32 v17, 31, v17
	v_and_b32_e32 v21, v21, v22
	v_xor_b32_e32 v22, vcc_hi, v17
	v_xor_b32_e32 v17, vcc_lo, v17
	v_and_b32_e32 v19, v19, v17
	v_lshlrev_b32_e32 v17, 28, v18
	v_cmp_gt_i64_e32 vcc, 0, v[16:17]
	v_not_b32_e32 v17, v17
	v_ashrrev_i32_e32 v17, 31, v17
	v_and_b32_e32 v21, v21, v22
	;; [unrolled: 8-line block ×5, first 2 shown]
	v_xor_b32_e32 v22, vcc_hi, v17
	v_xor_b32_e32 v17, vcc_lo, v17
	v_and_b32_e32 v21, v21, v22
	v_and_b32_e32 v22, v19, v17
	v_lshlrev_b32_e32 v17, 24, v18
	v_cmp_gt_i64_e32 vcc, 0, v[16:17]
	v_not_b32_e32 v17, v17
	v_ashrrev_i32_e32 v17, 31, v17
	v_xor_b32_e32 v18, vcc_hi, v17
	v_xor_b32_e32 v17, vcc_lo, v17
	; wave barrier
	ds_read_b32 v77, v78 offset:16
	v_and_b32_e32 v19, v21, v18
	v_and_b32_e32 v18, v22, v17
	v_mbcnt_lo_u32_b32 v17, v18, 0
	v_mbcnt_hi_u32_b32 v79, v19, v17
	v_cmp_eq_u32_e32 vcc, 0, v79
	v_cmp_ne_u64_e64 s[4:5], 0, v[18:19]
	s_and_b64 s[18:19], s[4:5], vcc
	; wave barrier
	s_and_saveexec_b64 s[4:5], s[18:19]
	s_cbranch_execz .LBB251_100
; %bb.99:
	v_bcnt_u32_b32 v17, v18, 0
	v_bcnt_u32_b32 v17, v19, v17
	s_waitcnt lgkmcnt(0)
	v_add_u32_e32 v17, v77, v17
	ds_write_b32 v78, v17 offset:16
.LBB251_100:
	s_or_b64 exec, exec, s[4:5]
	v_cmp_ne_u16_e32 vcc, s17, v25
	v_cndmask_b32_e32 v17, v20, v25, vcc
	v_and_b32_sdwa v18, s16, v17 dst_sel:DWORD dst_unused:UNUSED_PAD src0_sel:DWORD src1_sel:WORD_0
	v_lshlrev_b32_e32 v17, 2, v18
	v_add_lshl_u32 v81, v24, v17, 2
	v_and_b32_e32 v17, 1, v18
	v_add_co_u32_e32 v19, vcc, -1, v17
	v_addc_co_u32_e64 v20, s[4:5], 0, -1, vcc
	v_cmp_ne_u32_e32 vcc, 0, v17
	v_xor_b32_e32 v17, vcc_hi, v20
	v_and_b32_e32 v20, exec_hi, v17
	v_lshlrev_b32_e32 v17, 30, v18
	v_xor_b32_e32 v19, vcc_lo, v19
	v_cmp_gt_i64_e32 vcc, 0, v[16:17]
	v_not_b32_e32 v17, v17
	v_ashrrev_i32_e32 v17, 31, v17
	v_and_b32_e32 v19, exec_lo, v19
	v_xor_b32_e32 v21, vcc_hi, v17
	v_xor_b32_e32 v17, vcc_lo, v17
	v_and_b32_e32 v19, v19, v17
	v_lshlrev_b32_e32 v17, 29, v18
	v_cmp_gt_i64_e32 vcc, 0, v[16:17]
	v_not_b32_e32 v17, v17
	v_ashrrev_i32_e32 v17, 31, v17
	v_and_b32_e32 v20, v20, v21
	v_xor_b32_e32 v21, vcc_hi, v17
	v_xor_b32_e32 v17, vcc_lo, v17
	v_and_b32_e32 v19, v19, v17
	v_lshlrev_b32_e32 v17, 28, v18
	v_cmp_gt_i64_e32 vcc, 0, v[16:17]
	v_not_b32_e32 v17, v17
	v_ashrrev_i32_e32 v17, 31, v17
	v_and_b32_e32 v20, v20, v21
	;; [unrolled: 8-line block ×5, first 2 shown]
	v_xor_b32_e32 v21, vcc_hi, v17
	v_xor_b32_e32 v17, vcc_lo, v17
	v_and_b32_e32 v19, v19, v17
	v_lshlrev_b32_e32 v17, 24, v18
	v_cmp_gt_i64_e32 vcc, 0, v[16:17]
	v_not_b32_e32 v16, v17
	v_ashrrev_i32_e32 v16, 31, v16
	v_xor_b32_e32 v17, vcc_hi, v16
	v_xor_b32_e32 v16, vcc_lo, v16
	; wave barrier
	ds_read_b32 v80, v81 offset:16
	v_and_b32_e32 v20, v20, v21
	v_and_b32_e32 v16, v19, v16
	;; [unrolled: 1-line block ×3, first 2 shown]
	v_mbcnt_lo_u32_b32 v18, v16, 0
	v_mbcnt_hi_u32_b32 v82, v17, v18
	v_cmp_eq_u32_e32 vcc, 0, v82
	v_cmp_ne_u64_e64 s[4:5], 0, v[16:17]
	v_add_u32_e32 v22, 16, v64
	v_lshrrev_b32_e32 v23, 6, v46
	v_min_u32_e32 v34, 0xc0, v34
	s_and_b64 s[16:17], s[4:5], vcc
	; wave barrier
	s_and_saveexec_b64 s[4:5], s[16:17]
	s_cbranch_execz .LBB251_102
; %bb.101:
	v_bcnt_u32_b32 v16, v16, 0
	v_bcnt_u32_b32 v16, v17, v16
	s_waitcnt lgkmcnt(0)
	v_add_u32_e32 v16, v80, v16
	ds_write_b32 v81, v16 offset:16
.LBB251_102:
	s_or_b64 exec, exec, s[4:5]
	; wave barrier
	s_waitcnt lgkmcnt(0)
	s_barrier
	ds_read2_b32 v[18:19], v64 offset0:4 offset1:5
	ds_read2_b32 v[20:21], v22 offset0:2 offset1:3
	v_and_b32_e32 v17, 16, v26
	v_cmp_eq_u32_e32 vcc, 0, v17
	v_or_b32_e32 v17, 63, v34
	v_cmp_eq_u32_e64 s[16:17], v17, v46
	s_waitcnt lgkmcnt(1)
	v_add_u32_e32 v17, v19, v18
	v_and_b32_e32 v16, 15, v26
	s_waitcnt lgkmcnt(0)
	v_add3_u32 v17, v17, v20, v21
	v_cmp_eq_u32_e64 s[22:23], 0, v16
	v_cmp_lt_u32_e64 s[24:25], 1, v16
	v_mov_b32_dpp v21, v17 row_shr:1 row_mask:0xf bank_mask:0xf
	v_cndmask_b32_e64 v21, v21, 0, s[22:23]
	v_add_u32_e32 v17, v21, v17
	v_cmp_lt_u32_e64 s[28:29], 3, v16
	v_cmp_lt_u32_e64 s[30:31], 7, v16
	v_mov_b32_dpp v21, v17 row_shr:2 row_mask:0xf bank_mask:0xf
	v_cndmask_b32_e64 v21, 0, v21, s[24:25]
	v_add_u32_e32 v17, v17, v21
	v_bfe_i32 v35, v26, 4, 1
	v_cmp_lt_u32_e64 s[34:35], 31, v26
	v_mov_b32_dpp v21, v17 row_shr:4 row_mask:0xf bank_mask:0xf
	v_cndmask_b32_e64 v21, 0, v21, s[28:29]
	v_add_u32_e32 v17, v17, v21
	v_lshlrev_b32_e32 v23, 2, v23
	s_nop 0
	v_mov_b32_dpp v21, v17 row_shr:8 row_mask:0xf bank_mask:0xf
	v_cndmask_b32_e64 v16, 0, v21, s[30:31]
	v_add_u32_e32 v16, v17, v16
	s_nop 1
	v_mov_b32_dpp v17, v16 row_bcast:15 row_mask:0xf bank_mask:0xf
	v_and_b32_e32 v17, v35, v17
	v_add_u32_e32 v16, v16, v17
	s_nop 1
	v_mov_b32_dpp v17, v16 row_bcast:31 row_mask:0xf bank_mask:0xf
	v_cndmask_b32_e64 v17, 0, v17, s[34:35]
	v_add_u32_e32 v17, v16, v17
	s_and_saveexec_b64 s[4:5], s[16:17]
	s_cbranch_execz .LBB251_104
; %bb.103:
	ds_write_b32 v23, v17
.LBB251_104:
	s_or_b64 exec, exec, s[4:5]
	v_and_b32_e32 v16, 3, v26
	v_cmp_gt_u32_e64 s[26:27], 4, v46
	v_lshlrev_b32_e32 v21, 2, v46
	v_cmp_eq_u32_e64 s[20:21], 0, v16
	v_cmp_lt_u32_e64 s[18:19], 1, v16
	s_waitcnt lgkmcnt(0)
	s_barrier
	s_and_saveexec_b64 s[4:5], s[26:27]
	s_cbranch_execz .LBB251_106
; %bb.105:
	ds_read_b32 v16, v21
	s_waitcnt lgkmcnt(0)
	s_nop 0
	v_mov_b32_dpp v34, v16 row_shr:1 row_mask:0xf bank_mask:0xf
	v_cndmask_b32_e64 v34, v34, 0, s[20:21]
	v_add_u32_e32 v16, v34, v16
	s_nop 1
	v_mov_b32_dpp v34, v16 row_shr:2 row_mask:0xf bank_mask:0xf
	v_cndmask_b32_e64 v34, 0, v34, s[18:19]
	v_add_u32_e32 v16, v16, v34
	ds_write_b32 v21, v16
.LBB251_106:
	s_or_b64 exec, exec, s[4:5]
	v_cmp_lt_u32_e64 s[36:37], 63, v46
	v_add_u32_e32 v34, -4, v23
	v_mov_b32_e32 v16, 0
	v_mov_b32_e32 v83, 0
	s_waitcnt lgkmcnt(0)
	s_barrier
	s_and_saveexec_b64 s[4:5], s[36:37]
	s_cbranch_execz .LBB251_108
; %bb.107:
	ds_read_b32 v83, v34
.LBB251_108:
	s_or_b64 exec, exec, s[4:5]
	v_add_u32_e32 v35, -1, v26
	v_and_b32_e32 v84, 64, v26
	v_cmp_lt_i32_e64 s[4:5], v35, v84
	v_cndmask_b32_e64 v35, v35, v26, s[4:5]
	v_lshlrev_b32_e32 v35, 2, v35
	s_waitcnt lgkmcnt(0)
	v_add_u32_e32 v17, v83, v17
	ds_bpermute_b32 v17, v35, v17
	v_cmp_eq_u32_e64 s[38:39], 0, v26
	v_cmp_eq_u32_e64 s[40:41], 0, v46
	v_and_or_b32 v36, v26, 63, v36
	v_lshlrev_b32_e32 v84, 1, v36
	s_waitcnt lgkmcnt(0)
	v_cndmask_b32_e64 v17, v17, v83, s[38:39]
	v_cndmask_b32_e64 v17, v17, 0, s[40:41]
	v_add_u32_e32 v18, v17, v18
	v_add_u32_e32 v19, v18, v19
	;; [unrolled: 1-line block ×3, first 2 shown]
	ds_write2_b32 v64, v17, v18 offset0:4 offset1:5
	ds_write2_b32 v22, v19, v20 offset0:2 offset1:3
	s_waitcnt lgkmcnt(0)
	s_barrier
	ds_read_b32 v17, v37 offset:16
	ds_read_b32 v18, v40 offset:16
	;; [unrolled: 1-line block ×8, first 2 shown]
	s_waitcnt lgkmcnt(7)
	v_add_u32_e32 v17, v17, v38
	s_waitcnt lgkmcnt(6)
	v_add3_u32 v18, v41, v39, v18
	s_waitcnt lgkmcnt(4)
	v_add3_u32 v38, v70, v68, v20
	v_lshlrev_b32_e32 v20, 1, v17
	v_add3_u32 v19, v67, v65, v19
	s_waitcnt lgkmcnt(0)
	s_barrier
	ds_write_b16 v20, v33
	v_lshlrev_b32_e32 v20, 1, v18
	ds_write_b16 v20, v32
	v_lshlrev_b32_e32 v20, 1, v19
	v_add3_u32 v39, v73, v71, v26
	ds_write_b16 v20, v31
	v_lshlrev_b32_e32 v20, 1, v38
	v_add3_u32 v37, v76, v74, v37
	;; [unrolled: 3-line block ×4, first 2 shown]
	ds_write_b16 v20, v28
	v_lshlrev_b32_e32 v20, 1, v40
	ds_write_b16 v20, v27
	v_lshlrev_b32_e32 v20, 1, v41
	v_lshlrev_b32_e32 v17, 3, v17
	s_min_u32 s4, s44, 8
	ds_write_b16 v20, v25
	s_waitcnt lgkmcnt(0)
	s_barrier
	ds_read_u16 v31, v84
	ds_read_u16 v30, v84 offset:128
	ds_read_u16 v29, v84 offset:256
	;; [unrolled: 1-line block ×7, first 2 shown]
	s_waitcnt lgkmcnt(0)
	s_barrier
	ds_write_b64 v17, v[12:13]
	v_lshlrev_b32_e32 v12, 3, v18
	s_lshl_b32 s4, -1, s4
	s_movk_i32 s51, 0x8000
	ds_write_b64 v12, v[14:15]
	v_lshlrev_b32_e32 v12, 3, v19
	s_not_b32 s50, s4
	v_lshrrev_b16_e32 v17, 8, v31
	v_mov_b32_e32 v18, 0x7f
	v_cmp_ne_u16_e64 s[4:5], s51, v31
	ds_write_b64 v12, v[8:9]
	v_lshlrev_b32_e32 v8, 3, v38
	v_cndmask_b32_e64 v17, v18, v17, s[4:5]
	ds_write_b64 v8, v[10:11]
	v_lshlrev_b32_e32 v8, 3, v39
	v_and_b32_sdwa v19, v17, s50 dst_sel:DWORD dst_unused:UNUSED_PAD src0_sel:WORD_0 src1_sel:DWORD
	ds_write_b64 v8, v[4:5]
	v_lshlrev_b32_e32 v4, 3, v37
	v_lshlrev_b32_e32 v17, 2, v19
	ds_write_b64 v4, v[6:7]
	v_lshlrev_b32_e32 v4, 3, v40
	v_add_lshl_u32 v32, v17, v24, 2
	v_and_b32_e32 v17, 1, v19
	v_lshlrev_b32_e32 v36, 3, v36
	ds_write_b64 v4, v[0:1]
	v_lshlrev_b32_e32 v0, 3, v41
	v_add_co_u32_e64 v33, s[4:5], -1, v17
	ds_write_b64 v0, v[2:3]
	s_waitcnt lgkmcnt(0)
	s_barrier
	ds_read2st64_b64 v[12:15], v36 offset1:1
	ds_read2st64_b64 v[8:11], v36 offset0:2 offset1:3
	ds_read2st64_b64 v[4:7], v36 offset0:4 offset1:5
	ds_read2st64_b64 v[0:3], v36 offset0:6 offset1:7
	v_addc_co_u32_e64 v36, s[4:5], 0, -1, s[4:5]
	v_cmp_ne_u32_e64 s[4:5], 0, v17
	v_xor_b32_e32 v17, s5, v36
	v_and_b32_e32 v36, exec_hi, v17
	v_lshlrev_b32_e32 v17, 30, v19
	v_xor_b32_e32 v33, s4, v33
	v_cmp_gt_i64_e64 s[4:5], 0, v[16:17]
	v_not_b32_e32 v17, v17
	v_ashrrev_i32_e32 v17, 31, v17
	v_and_b32_e32 v33, exec_lo, v33
	v_xor_b32_e32 v37, s5, v17
	v_xor_b32_e32 v17, s4, v17
	v_and_b32_e32 v33, v33, v17
	v_lshlrev_b32_e32 v17, 29, v19
	v_cmp_gt_i64_e64 s[4:5], 0, v[16:17]
	v_not_b32_e32 v17, v17
	v_ashrrev_i32_e32 v17, 31, v17
	v_and_b32_e32 v36, v36, v37
	v_xor_b32_e32 v37, s5, v17
	v_xor_b32_e32 v17, s4, v17
	v_and_b32_e32 v33, v33, v17
	v_lshlrev_b32_e32 v17, 28, v19
	v_cmp_gt_i64_e64 s[4:5], 0, v[16:17]
	v_not_b32_e32 v17, v17
	v_ashrrev_i32_e32 v17, 31, v17
	v_and_b32_e32 v36, v36, v37
	;; [unrolled: 8-line block ×5, first 2 shown]
	v_xor_b32_e32 v37, s5, v17
	v_xor_b32_e32 v17, s4, v17
	v_and_b32_e32 v33, v33, v17
	v_lshlrev_b32_e32 v17, 24, v19
	s_waitcnt lgkmcnt(0)
	s_barrier
	ds_write2_b32 v64, v16, v16 offset0:4 offset1:5
	ds_write2_b32 v22, v16, v16 offset0:2 offset1:3
	v_cmp_gt_i64_e64 s[4:5], 0, v[16:17]
	v_not_b32_e32 v16, v17
	v_ashrrev_i32_e32 v16, 31, v16
	v_xor_b32_e32 v17, s5, v16
	v_xor_b32_e32 v16, s4, v16
	v_and_b32_e32 v36, v36, v37
	v_and_b32_e32 v16, v33, v16
	;; [unrolled: 1-line block ×3, first 2 shown]
	v_mbcnt_lo_u32_b32 v19, v16, 0
	v_mbcnt_hi_u32_b32 v33, v17, v19
	v_cmp_eq_u32_e64 s[4:5], 0, v33
	v_cmp_ne_u64_e64 s[44:45], 0, v[16:17]
	s_and_b64 s[44:45], s[44:45], s[4:5]
	s_waitcnt lgkmcnt(0)
	s_barrier
	s_waitcnt lgkmcnt(0)
	; wave barrier
	s_and_saveexec_b64 s[4:5], s[44:45]
	s_cbranch_execz .LBB251_110
; %bb.109:
	v_bcnt_u32_b32 v16, v16, 0
	v_bcnt_u32_b32 v16, v17, v16
	ds_write_b32 v32, v16 offset:16
.LBB251_110:
	s_or_b64 exec, exec, s[4:5]
	v_lshrrev_b16_e32 v16, 8, v30
	v_cmp_ne_u16_e64 s[4:5], s51, v30
	v_cndmask_b32_e64 v16, v18, v16, s[4:5]
	v_and_b32_e32 v18, s50, v16
	v_and_b32_e32 v17, 1, v18
	v_add_co_u32_e64 v19, s[4:5], -1, v17
	v_addc_co_u32_e64 v38, s[4:5], 0, -1, s[4:5]
	v_cmp_ne_u32_e64 s[4:5], 0, v17
	v_lshlrev_b32_e32 v16, 2, v18
	v_xor_b32_e32 v17, s5, v38
	v_add_lshl_u32 v37, v16, v24, 2
	v_mov_b32_e32 v16, 0
	v_and_b32_e32 v38, exec_hi, v17
	v_lshlrev_b32_e32 v17, 30, v18
	v_xor_b32_e32 v19, s4, v19
	v_cmp_gt_i64_e64 s[4:5], 0, v[16:17]
	v_not_b32_e32 v17, v17
	v_ashrrev_i32_e32 v17, 31, v17
	v_and_b32_e32 v19, exec_lo, v19
	v_xor_b32_e32 v39, s5, v17
	v_xor_b32_e32 v17, s4, v17
	v_and_b32_e32 v19, v19, v17
	v_lshlrev_b32_e32 v17, 29, v18
	v_cmp_gt_i64_e64 s[4:5], 0, v[16:17]
	v_not_b32_e32 v17, v17
	v_ashrrev_i32_e32 v17, 31, v17
	v_and_b32_e32 v38, v38, v39
	v_xor_b32_e32 v39, s5, v17
	v_xor_b32_e32 v17, s4, v17
	v_and_b32_e32 v19, v19, v17
	v_lshlrev_b32_e32 v17, 28, v18
	v_cmp_gt_i64_e64 s[4:5], 0, v[16:17]
	v_not_b32_e32 v17, v17
	v_ashrrev_i32_e32 v17, 31, v17
	v_and_b32_e32 v38, v38, v39
	v_xor_b32_e32 v39, s5, v17
	v_xor_b32_e32 v17, s4, v17
	v_and_b32_e32 v19, v19, v17
	v_lshlrev_b32_e32 v17, 27, v18
	v_cmp_gt_i64_e64 s[4:5], 0, v[16:17]
	v_not_b32_e32 v17, v17
	v_ashrrev_i32_e32 v17, 31, v17
	v_and_b32_e32 v38, v38, v39
	v_xor_b32_e32 v39, s5, v17
	v_xor_b32_e32 v17, s4, v17
	v_and_b32_e32 v19, v19, v17
	v_lshlrev_b32_e32 v17, 26, v18
	v_cmp_gt_i64_e64 s[4:5], 0, v[16:17]
	v_not_b32_e32 v17, v17
	v_ashrrev_i32_e32 v17, 31, v17
	v_and_b32_e32 v38, v38, v39
	v_xor_b32_e32 v39, s5, v17
	v_xor_b32_e32 v17, s4, v17
	v_and_b32_e32 v19, v19, v17
	v_lshlrev_b32_e32 v17, 25, v18
	v_cmp_gt_i64_e64 s[4:5], 0, v[16:17]
	v_not_b32_e32 v17, v17
	v_ashrrev_i32_e32 v17, 31, v17
	v_and_b32_e32 v38, v38, v39
	v_xor_b32_e32 v39, s5, v17
	v_xor_b32_e32 v17, s4, v17
	v_and_b32_e32 v38, v38, v39
	v_and_b32_e32 v39, v19, v17
	v_lshlrev_b32_e32 v17, 24, v18
	v_cmp_gt_i64_e64 s[4:5], 0, v[16:17]
	v_not_b32_e32 v17, v17
	v_ashrrev_i32_e32 v17, 31, v17
	v_xor_b32_e32 v18, s5, v17
	v_xor_b32_e32 v17, s4, v17
	; wave barrier
	ds_read_b32 v36, v37 offset:16
	v_and_b32_e32 v19, v38, v18
	v_and_b32_e32 v18, v39, v17
	v_mbcnt_lo_u32_b32 v17, v18, 0
	v_mbcnt_hi_u32_b32 v38, v19, v17
	v_cmp_eq_u32_e64 s[4:5], 0, v38
	v_cmp_ne_u64_e64 s[44:45], 0, v[18:19]
	s_and_b64 s[44:45], s[44:45], s[4:5]
	; wave barrier
	s_and_saveexec_b64 s[4:5], s[44:45]
	s_cbranch_execz .LBB251_112
; %bb.111:
	v_bcnt_u32_b32 v17, v18, 0
	v_bcnt_u32_b32 v17, v19, v17
	s_waitcnt lgkmcnt(0)
	v_add_u32_e32 v17, v36, v17
	ds_write_b32 v37, v17 offset:16
.LBB251_112:
	s_or_b64 exec, exec, s[4:5]
	v_lshrrev_b16_e32 v17, 8, v29
	v_mov_b32_e32 v18, 0x7f
	v_cmp_ne_u16_e64 s[4:5], s51, v29
	v_cndmask_b32_e64 v17, v18, v17, s[4:5]
	v_and_b32_e32 v19, s50, v17
	v_lshlrev_b32_e32 v17, 2, v19
	v_add_lshl_u32 v40, v17, v24, 2
	v_and_b32_e32 v17, 1, v19
	v_add_co_u32_e64 v41, s[4:5], -1, v17
	v_addc_co_u32_e64 v46, s[4:5], 0, -1, s[4:5]
	v_cmp_ne_u32_e64 s[4:5], 0, v17
	v_xor_b32_e32 v17, s5, v46
	v_and_b32_e32 v46, exec_hi, v17
	v_lshlrev_b32_e32 v17, 30, v19
	v_xor_b32_e32 v41, s4, v41
	v_cmp_gt_i64_e64 s[4:5], 0, v[16:17]
	v_not_b32_e32 v17, v17
	v_ashrrev_i32_e32 v17, 31, v17
	v_and_b32_e32 v41, exec_lo, v41
	v_xor_b32_e32 v65, s5, v17
	v_xor_b32_e32 v17, s4, v17
	v_and_b32_e32 v41, v41, v17
	v_lshlrev_b32_e32 v17, 29, v19
	v_cmp_gt_i64_e64 s[4:5], 0, v[16:17]
	v_not_b32_e32 v17, v17
	v_ashrrev_i32_e32 v17, 31, v17
	v_and_b32_e32 v46, v46, v65
	v_xor_b32_e32 v65, s5, v17
	v_xor_b32_e32 v17, s4, v17
	v_and_b32_e32 v41, v41, v17
	v_lshlrev_b32_e32 v17, 28, v19
	v_cmp_gt_i64_e64 s[4:5], 0, v[16:17]
	v_not_b32_e32 v17, v17
	v_ashrrev_i32_e32 v17, 31, v17
	v_and_b32_e32 v46, v46, v65
	v_xor_b32_e32 v65, s5, v17
	v_xor_b32_e32 v17, s4, v17
	v_and_b32_e32 v41, v41, v17
	v_lshlrev_b32_e32 v17, 27, v19
	v_cmp_gt_i64_e64 s[4:5], 0, v[16:17]
	v_not_b32_e32 v17, v17
	v_ashrrev_i32_e32 v17, 31, v17
	v_and_b32_e32 v46, v46, v65
	v_xor_b32_e32 v65, s5, v17
	v_xor_b32_e32 v17, s4, v17
	v_and_b32_e32 v41, v41, v17
	v_lshlrev_b32_e32 v17, 26, v19
	v_cmp_gt_i64_e64 s[4:5], 0, v[16:17]
	v_not_b32_e32 v17, v17
	v_ashrrev_i32_e32 v17, 31, v17
	v_and_b32_e32 v46, v46, v65
	v_xor_b32_e32 v65, s5, v17
	v_xor_b32_e32 v17, s4, v17
	v_and_b32_e32 v41, v41, v17
	v_lshlrev_b32_e32 v17, 25, v19
	v_cmp_gt_i64_e64 s[4:5], 0, v[16:17]
	v_not_b32_e32 v17, v17
	v_ashrrev_i32_e32 v17, 31, v17
	v_and_b32_e32 v46, v46, v65
	v_xor_b32_e32 v65, s5, v17
	v_xor_b32_e32 v17, s4, v17
	v_and_b32_e32 v41, v41, v17
	v_lshlrev_b32_e32 v17, 24, v19
	v_cmp_gt_i64_e64 s[4:5], 0, v[16:17]
	v_not_b32_e32 v16, v17
	v_ashrrev_i32_e32 v16, 31, v16
	v_xor_b32_e32 v17, s5, v16
	v_xor_b32_e32 v16, s4, v16
	; wave barrier
	ds_read_b32 v39, v40 offset:16
	v_and_b32_e32 v46, v46, v65
	v_and_b32_e32 v16, v41, v16
	;; [unrolled: 1-line block ×3, first 2 shown]
	v_mbcnt_lo_u32_b32 v19, v16, 0
	v_mbcnt_hi_u32_b32 v41, v17, v19
	v_cmp_eq_u32_e64 s[4:5], 0, v41
	v_cmp_ne_u64_e64 s[44:45], 0, v[16:17]
	s_and_b64 s[44:45], s[44:45], s[4:5]
	; wave barrier
	s_and_saveexec_b64 s[4:5], s[44:45]
	s_cbranch_execz .LBB251_114
; %bb.113:
	v_bcnt_u32_b32 v16, v16, 0
	v_bcnt_u32_b32 v16, v17, v16
	s_waitcnt lgkmcnt(0)
	v_add_u32_e32 v16, v39, v16
	ds_write_b32 v40, v16 offset:16
.LBB251_114:
	s_or_b64 exec, exec, s[4:5]
	v_lshrrev_b16_e32 v16, 8, v28
	v_cmp_ne_u16_e64 s[4:5], s51, v28
	v_cndmask_b32_e64 v16, v18, v16, s[4:5]
	v_and_b32_e32 v18, s50, v16
	v_and_b32_e32 v17, 1, v18
	v_add_co_u32_e64 v19, s[4:5], -1, v17
	v_addc_co_u32_e64 v66, s[4:5], 0, -1, s[4:5]
	v_cmp_ne_u32_e64 s[4:5], 0, v17
	v_lshlrev_b32_e32 v16, 2, v18
	v_xor_b32_e32 v17, s5, v66
	v_add_lshl_u32 v65, v16, v24, 2
	v_mov_b32_e32 v16, 0
	v_and_b32_e32 v66, exec_hi, v17
	v_lshlrev_b32_e32 v17, 30, v18
	v_xor_b32_e32 v19, s4, v19
	v_cmp_gt_i64_e64 s[4:5], 0, v[16:17]
	v_not_b32_e32 v17, v17
	v_ashrrev_i32_e32 v17, 31, v17
	v_and_b32_e32 v19, exec_lo, v19
	v_xor_b32_e32 v67, s5, v17
	v_xor_b32_e32 v17, s4, v17
	v_and_b32_e32 v19, v19, v17
	v_lshlrev_b32_e32 v17, 29, v18
	v_cmp_gt_i64_e64 s[4:5], 0, v[16:17]
	v_not_b32_e32 v17, v17
	v_ashrrev_i32_e32 v17, 31, v17
	v_and_b32_e32 v66, v66, v67
	v_xor_b32_e32 v67, s5, v17
	v_xor_b32_e32 v17, s4, v17
	v_and_b32_e32 v19, v19, v17
	v_lshlrev_b32_e32 v17, 28, v18
	v_cmp_gt_i64_e64 s[4:5], 0, v[16:17]
	v_not_b32_e32 v17, v17
	v_ashrrev_i32_e32 v17, 31, v17
	v_and_b32_e32 v66, v66, v67
	v_xor_b32_e32 v67, s5, v17
	v_xor_b32_e32 v17, s4, v17
	v_and_b32_e32 v19, v19, v17
	v_lshlrev_b32_e32 v17, 27, v18
	v_cmp_gt_i64_e64 s[4:5], 0, v[16:17]
	v_not_b32_e32 v17, v17
	v_ashrrev_i32_e32 v17, 31, v17
	v_and_b32_e32 v66, v66, v67
	v_xor_b32_e32 v67, s5, v17
	v_xor_b32_e32 v17, s4, v17
	v_and_b32_e32 v19, v19, v17
	v_lshlrev_b32_e32 v17, 26, v18
	v_cmp_gt_i64_e64 s[4:5], 0, v[16:17]
	v_not_b32_e32 v17, v17
	v_ashrrev_i32_e32 v17, 31, v17
	v_and_b32_e32 v66, v66, v67
	v_xor_b32_e32 v67, s5, v17
	v_xor_b32_e32 v17, s4, v17
	v_and_b32_e32 v19, v19, v17
	v_lshlrev_b32_e32 v17, 25, v18
	v_cmp_gt_i64_e64 s[4:5], 0, v[16:17]
	v_not_b32_e32 v17, v17
	v_ashrrev_i32_e32 v17, 31, v17
	v_and_b32_e32 v66, v66, v67
	v_xor_b32_e32 v67, s5, v17
	v_xor_b32_e32 v17, s4, v17
	v_and_b32_e32 v66, v66, v67
	v_and_b32_e32 v67, v19, v17
	v_lshlrev_b32_e32 v17, 24, v18
	v_cmp_gt_i64_e64 s[4:5], 0, v[16:17]
	v_not_b32_e32 v17, v17
	v_ashrrev_i32_e32 v17, 31, v17
	v_xor_b32_e32 v18, s5, v17
	v_xor_b32_e32 v17, s4, v17
	; wave barrier
	ds_read_b32 v46, v65 offset:16
	v_and_b32_e32 v19, v66, v18
	v_and_b32_e32 v18, v67, v17
	v_mbcnt_lo_u32_b32 v17, v18, 0
	v_mbcnt_hi_u32_b32 v66, v19, v17
	v_cmp_eq_u32_e64 s[4:5], 0, v66
	v_cmp_ne_u64_e64 s[44:45], 0, v[18:19]
	s_and_b64 s[44:45], s[44:45], s[4:5]
	; wave barrier
	s_and_saveexec_b64 s[4:5], s[44:45]
	s_cbranch_execz .LBB251_116
; %bb.115:
	v_bcnt_u32_b32 v17, v18, 0
	v_bcnt_u32_b32 v17, v19, v17
	s_waitcnt lgkmcnt(0)
	v_add_u32_e32 v17, v46, v17
	ds_write_b32 v65, v17 offset:16
.LBB251_116:
	s_or_b64 exec, exec, s[4:5]
	v_lshrrev_b16_e32 v17, 8, v27
	v_mov_b32_e32 v18, 0x7f
	v_cmp_ne_u16_e64 s[4:5], s51, v27
	v_cndmask_b32_e64 v17, v18, v17, s[4:5]
	v_and_b32_e32 v19, s50, v17
	v_lshlrev_b32_e32 v17, 2, v19
	v_add_lshl_u32 v68, v17, v24, 2
	v_and_b32_e32 v17, 1, v19
	v_add_co_u32_e64 v69, s[4:5], -1, v17
	v_addc_co_u32_e64 v70, s[4:5], 0, -1, s[4:5]
	v_cmp_ne_u32_e64 s[4:5], 0, v17
	v_xor_b32_e32 v17, s5, v70
	v_and_b32_e32 v70, exec_hi, v17
	v_lshlrev_b32_e32 v17, 30, v19
	v_xor_b32_e32 v69, s4, v69
	v_cmp_gt_i64_e64 s[4:5], 0, v[16:17]
	v_not_b32_e32 v17, v17
	v_ashrrev_i32_e32 v17, 31, v17
	v_and_b32_e32 v69, exec_lo, v69
	v_xor_b32_e32 v71, s5, v17
	v_xor_b32_e32 v17, s4, v17
	v_and_b32_e32 v69, v69, v17
	v_lshlrev_b32_e32 v17, 29, v19
	v_cmp_gt_i64_e64 s[4:5], 0, v[16:17]
	v_not_b32_e32 v17, v17
	v_ashrrev_i32_e32 v17, 31, v17
	v_and_b32_e32 v70, v70, v71
	v_xor_b32_e32 v71, s5, v17
	v_xor_b32_e32 v17, s4, v17
	v_and_b32_e32 v69, v69, v17
	v_lshlrev_b32_e32 v17, 28, v19
	v_cmp_gt_i64_e64 s[4:5], 0, v[16:17]
	v_not_b32_e32 v17, v17
	v_ashrrev_i32_e32 v17, 31, v17
	v_and_b32_e32 v70, v70, v71
	;; [unrolled: 8-line block ×5, first 2 shown]
	v_xor_b32_e32 v71, s5, v17
	v_xor_b32_e32 v17, s4, v17
	v_and_b32_e32 v69, v69, v17
	v_lshlrev_b32_e32 v17, 24, v19
	v_cmp_gt_i64_e64 s[4:5], 0, v[16:17]
	v_not_b32_e32 v16, v17
	v_ashrrev_i32_e32 v16, 31, v16
	v_xor_b32_e32 v17, s5, v16
	v_xor_b32_e32 v16, s4, v16
	; wave barrier
	ds_read_b32 v67, v68 offset:16
	v_and_b32_e32 v70, v70, v71
	v_and_b32_e32 v16, v69, v16
	;; [unrolled: 1-line block ×3, first 2 shown]
	v_mbcnt_lo_u32_b32 v19, v16, 0
	v_mbcnt_hi_u32_b32 v69, v17, v19
	v_cmp_eq_u32_e64 s[4:5], 0, v69
	v_cmp_ne_u64_e64 s[44:45], 0, v[16:17]
	s_and_b64 s[44:45], s[44:45], s[4:5]
	; wave barrier
	s_and_saveexec_b64 s[4:5], s[44:45]
	s_cbranch_execz .LBB251_118
; %bb.117:
	v_bcnt_u32_b32 v16, v16, 0
	v_bcnt_u32_b32 v16, v17, v16
	s_waitcnt lgkmcnt(0)
	v_add_u32_e32 v16, v67, v16
	ds_write_b32 v68, v16 offset:16
.LBB251_118:
	s_or_b64 exec, exec, s[4:5]
	v_lshrrev_b16_e32 v16, 8, v26
	v_cmp_ne_u16_e64 s[4:5], s51, v26
	v_cndmask_b32_e64 v16, v18, v16, s[4:5]
	v_and_b32_e32 v18, s50, v16
	v_and_b32_e32 v17, 1, v18
	v_add_co_u32_e64 v19, s[4:5], -1, v17
	v_addc_co_u32_e64 v72, s[4:5], 0, -1, s[4:5]
	v_cmp_ne_u32_e64 s[4:5], 0, v17
	v_lshlrev_b32_e32 v16, 2, v18
	v_xor_b32_e32 v17, s5, v72
	v_add_lshl_u32 v71, v16, v24, 2
	v_mov_b32_e32 v16, 0
	v_and_b32_e32 v72, exec_hi, v17
	v_lshlrev_b32_e32 v17, 30, v18
	v_xor_b32_e32 v19, s4, v19
	v_cmp_gt_i64_e64 s[4:5], 0, v[16:17]
	v_not_b32_e32 v17, v17
	v_ashrrev_i32_e32 v17, 31, v17
	v_and_b32_e32 v19, exec_lo, v19
	v_xor_b32_e32 v73, s5, v17
	v_xor_b32_e32 v17, s4, v17
	v_and_b32_e32 v19, v19, v17
	v_lshlrev_b32_e32 v17, 29, v18
	v_cmp_gt_i64_e64 s[4:5], 0, v[16:17]
	v_not_b32_e32 v17, v17
	v_ashrrev_i32_e32 v17, 31, v17
	v_and_b32_e32 v72, v72, v73
	v_xor_b32_e32 v73, s5, v17
	v_xor_b32_e32 v17, s4, v17
	v_and_b32_e32 v19, v19, v17
	v_lshlrev_b32_e32 v17, 28, v18
	v_cmp_gt_i64_e64 s[4:5], 0, v[16:17]
	v_not_b32_e32 v17, v17
	v_ashrrev_i32_e32 v17, 31, v17
	v_and_b32_e32 v72, v72, v73
	;; [unrolled: 8-line block ×5, first 2 shown]
	v_xor_b32_e32 v73, s5, v17
	v_xor_b32_e32 v17, s4, v17
	v_and_b32_e32 v72, v72, v73
	v_and_b32_e32 v73, v19, v17
	v_lshlrev_b32_e32 v17, 24, v18
	v_cmp_gt_i64_e64 s[4:5], 0, v[16:17]
	v_not_b32_e32 v17, v17
	v_ashrrev_i32_e32 v17, 31, v17
	v_xor_b32_e32 v18, s5, v17
	v_xor_b32_e32 v17, s4, v17
	; wave barrier
	ds_read_b32 v70, v71 offset:16
	v_and_b32_e32 v19, v72, v18
	v_and_b32_e32 v18, v73, v17
	v_mbcnt_lo_u32_b32 v17, v18, 0
	v_mbcnt_hi_u32_b32 v72, v19, v17
	v_cmp_eq_u32_e64 s[4:5], 0, v72
	v_cmp_ne_u64_e64 s[44:45], 0, v[18:19]
	s_and_b64 s[44:45], s[44:45], s[4:5]
	; wave barrier
	s_and_saveexec_b64 s[4:5], s[44:45]
	s_cbranch_execz .LBB251_120
; %bb.119:
	v_bcnt_u32_b32 v17, v18, 0
	v_bcnt_u32_b32 v17, v19, v17
	s_waitcnt lgkmcnt(0)
	v_add_u32_e32 v17, v70, v17
	ds_write_b32 v71, v17 offset:16
.LBB251_120:
	s_or_b64 exec, exec, s[4:5]
	v_lshrrev_b16_e32 v17, 8, v25
	v_mov_b32_e32 v18, 0x7f
	v_cmp_ne_u16_e64 s[4:5], s51, v25
	v_cndmask_b32_e64 v17, v18, v17, s[4:5]
	v_and_b32_e32 v19, s50, v17
	v_lshlrev_b32_e32 v17, 2, v19
	v_add_lshl_u32 v74, v17, v24, 2
	v_and_b32_e32 v17, 1, v19
	v_add_co_u32_e64 v75, s[4:5], -1, v17
	v_addc_co_u32_e64 v76, s[4:5], 0, -1, s[4:5]
	v_cmp_ne_u32_e64 s[4:5], 0, v17
	v_xor_b32_e32 v17, s5, v76
	v_and_b32_e32 v76, exec_hi, v17
	v_lshlrev_b32_e32 v17, 30, v19
	v_xor_b32_e32 v75, s4, v75
	v_cmp_gt_i64_e64 s[4:5], 0, v[16:17]
	v_not_b32_e32 v17, v17
	v_ashrrev_i32_e32 v17, 31, v17
	v_and_b32_e32 v75, exec_lo, v75
	v_xor_b32_e32 v77, s5, v17
	v_xor_b32_e32 v17, s4, v17
	v_and_b32_e32 v75, v75, v17
	v_lshlrev_b32_e32 v17, 29, v19
	v_cmp_gt_i64_e64 s[4:5], 0, v[16:17]
	v_not_b32_e32 v17, v17
	v_ashrrev_i32_e32 v17, 31, v17
	v_and_b32_e32 v76, v76, v77
	v_xor_b32_e32 v77, s5, v17
	v_xor_b32_e32 v17, s4, v17
	v_and_b32_e32 v75, v75, v17
	v_lshlrev_b32_e32 v17, 28, v19
	v_cmp_gt_i64_e64 s[4:5], 0, v[16:17]
	v_not_b32_e32 v17, v17
	v_ashrrev_i32_e32 v17, 31, v17
	v_and_b32_e32 v76, v76, v77
	;; [unrolled: 8-line block ×5, first 2 shown]
	v_xor_b32_e32 v77, s5, v17
	v_xor_b32_e32 v17, s4, v17
	v_and_b32_e32 v75, v75, v17
	v_lshlrev_b32_e32 v17, 24, v19
	v_cmp_gt_i64_e64 s[4:5], 0, v[16:17]
	v_not_b32_e32 v16, v17
	v_ashrrev_i32_e32 v16, 31, v16
	v_xor_b32_e32 v17, s5, v16
	v_xor_b32_e32 v16, s4, v16
	; wave barrier
	ds_read_b32 v73, v74 offset:16
	v_and_b32_e32 v76, v76, v77
	v_and_b32_e32 v16, v75, v16
	;; [unrolled: 1-line block ×3, first 2 shown]
	v_mbcnt_lo_u32_b32 v19, v16, 0
	v_mbcnt_hi_u32_b32 v75, v17, v19
	v_cmp_eq_u32_e64 s[4:5], 0, v75
	v_cmp_ne_u64_e64 s[44:45], 0, v[16:17]
	s_and_b64 s[44:45], s[44:45], s[4:5]
	; wave barrier
	s_and_saveexec_b64 s[4:5], s[44:45]
	s_cbranch_execz .LBB251_122
; %bb.121:
	v_bcnt_u32_b32 v16, v16, 0
	v_bcnt_u32_b32 v16, v17, v16
	s_waitcnt lgkmcnt(0)
	v_add_u32_e32 v16, v73, v16
	ds_write_b32 v74, v16 offset:16
.LBB251_122:
	s_or_b64 exec, exec, s[4:5]
	v_lshrrev_b16_e32 v16, 8, v20
	v_cmp_ne_u16_e64 s[4:5], s51, v20
	v_cndmask_b32_e64 v16, v18, v16, s[4:5]
	v_and_b32_e32 v18, s50, v16
	v_and_b32_e32 v17, 1, v18
	v_add_co_u32_e64 v19, s[4:5], -1, v17
	v_addc_co_u32_e64 v77, s[4:5], 0, -1, s[4:5]
	v_cmp_ne_u32_e64 s[4:5], 0, v17
	v_lshlrev_b32_e32 v16, 2, v18
	v_xor_b32_e32 v17, s5, v77
	v_add_lshl_u32 v76, v16, v24, 2
	v_mov_b32_e32 v16, 0
	v_and_b32_e32 v77, exec_hi, v17
	v_lshlrev_b32_e32 v17, 30, v18
	v_xor_b32_e32 v19, s4, v19
	v_cmp_gt_i64_e64 s[4:5], 0, v[16:17]
	v_not_b32_e32 v17, v17
	v_ashrrev_i32_e32 v17, 31, v17
	v_and_b32_e32 v19, exec_lo, v19
	v_xor_b32_e32 v78, s5, v17
	v_xor_b32_e32 v17, s4, v17
	v_and_b32_e32 v19, v19, v17
	v_lshlrev_b32_e32 v17, 29, v18
	v_cmp_gt_i64_e64 s[4:5], 0, v[16:17]
	v_not_b32_e32 v17, v17
	v_ashrrev_i32_e32 v17, 31, v17
	v_and_b32_e32 v77, v77, v78
	v_xor_b32_e32 v78, s5, v17
	v_xor_b32_e32 v17, s4, v17
	v_and_b32_e32 v19, v19, v17
	v_lshlrev_b32_e32 v17, 28, v18
	v_cmp_gt_i64_e64 s[4:5], 0, v[16:17]
	v_not_b32_e32 v17, v17
	v_ashrrev_i32_e32 v17, 31, v17
	v_and_b32_e32 v77, v77, v78
	;; [unrolled: 8-line block ×5, first 2 shown]
	v_xor_b32_e32 v78, s5, v17
	v_xor_b32_e32 v17, s4, v17
	v_and_b32_e32 v19, v19, v17
	v_lshlrev_b32_e32 v17, 24, v18
	v_cmp_gt_i64_e64 s[4:5], 0, v[16:17]
	v_not_b32_e32 v16, v17
	v_ashrrev_i32_e32 v16, 31, v16
	v_xor_b32_e32 v17, s5, v16
	v_xor_b32_e32 v16, s4, v16
	; wave barrier
	ds_read_b32 v24, v76 offset:16
	v_and_b32_e32 v77, v77, v78
	v_and_b32_e32 v16, v19, v16
	;; [unrolled: 1-line block ×3, first 2 shown]
	v_mbcnt_lo_u32_b32 v18, v16, 0
	v_mbcnt_hi_u32_b32 v77, v17, v18
	v_cmp_eq_u32_e64 s[4:5], 0, v77
	v_cmp_ne_u64_e64 s[44:45], 0, v[16:17]
	s_and_b64 s[44:45], s[44:45], s[4:5]
	; wave barrier
	s_and_saveexec_b64 s[4:5], s[44:45]
	s_cbranch_execz .LBB251_124
; %bb.123:
	v_bcnt_u32_b32 v16, v16, 0
	v_bcnt_u32_b32 v16, v17, v16
	s_waitcnt lgkmcnt(0)
	v_add_u32_e32 v16, v24, v16
	ds_write_b32 v76, v16 offset:16
.LBB251_124:
	s_or_b64 exec, exec, s[4:5]
	; wave barrier
	s_waitcnt lgkmcnt(0)
	s_barrier
	ds_read2_b32 v[18:19], v64 offset0:4 offset1:5
	ds_read2_b32 v[16:17], v22 offset0:2 offset1:3
	s_waitcnt lgkmcnt(1)
	v_add_u32_e32 v78, v19, v18
	s_waitcnt lgkmcnt(0)
	v_add3_u32 v17, v78, v16, v17
	s_nop 1
	v_mov_b32_dpp v78, v17 row_shr:1 row_mask:0xf bank_mask:0xf
	v_cndmask_b32_e64 v78, v78, 0, s[22:23]
	v_add_u32_e32 v17, v78, v17
	s_nop 1
	v_mov_b32_dpp v78, v17 row_shr:2 row_mask:0xf bank_mask:0xf
	v_cndmask_b32_e64 v78, 0, v78, s[24:25]
	v_add_u32_e32 v17, v17, v78
	;; [unrolled: 4-line block ×4, first 2 shown]
	s_nop 1
	v_mov_b32_dpp v78, v17 row_bcast:15 row_mask:0xf bank_mask:0xf
	v_cndmask_b32_e64 v78, v78, 0, vcc
	v_add_u32_e32 v17, v17, v78
	s_nop 1
	v_mov_b32_dpp v78, v17 row_bcast:31 row_mask:0xf bank_mask:0xf
	v_cndmask_b32_e64 v78, 0, v78, s[34:35]
	v_add_u32_e32 v78, v17, v78
	s_and_saveexec_b64 s[4:5], s[16:17]
	s_cbranch_execz .LBB251_126
; %bb.125:
	ds_write_b32 v23, v78
.LBB251_126:
	s_or_b64 exec, exec, s[4:5]
	s_waitcnt lgkmcnt(0)
	s_barrier
	s_and_saveexec_b64 s[4:5], s[26:27]
	s_cbranch_execz .LBB251_128
; %bb.127:
	ds_read_b32 v17, v21
	s_waitcnt lgkmcnt(0)
	s_nop 0
	v_mov_b32_dpp v23, v17 row_shr:1 row_mask:0xf bank_mask:0xf
	v_cndmask_b32_e64 v23, v23, 0, s[20:21]
	v_add_u32_e32 v17, v23, v17
	s_nop 1
	v_mov_b32_dpp v23, v17 row_shr:2 row_mask:0xf bank_mask:0xf
	v_cndmask_b32_e64 v23, 0, v23, s[18:19]
	v_add_u32_e32 v17, v17, v23
	ds_write_b32 v21, v17
.LBB251_128:
	s_or_b64 exec, exec, s[4:5]
	v_mov_b32_e32 v17, 0
	v_mov_b32_e32 v21, 0
	s_waitcnt lgkmcnt(0)
	s_barrier
	s_and_saveexec_b64 s[4:5], s[36:37]
	s_cbranch_execz .LBB251_130
; %bb.129:
	ds_read_b32 v21, v34
.LBB251_130:
	s_or_b64 exec, exec, s[4:5]
	s_waitcnt lgkmcnt(0)
	v_add_u32_e32 v23, v21, v78
	ds_bpermute_b32 v23, v35, v23
	v_lshlrev_b32_e32 v34, 3, v63
	s_mov_b32 s16, 0x5040100
	s_waitcnt lgkmcnt(0)
	v_cndmask_b32_e64 v21, v23, v21, s[38:39]
	v_cndmask_b32_e64 v21, v21, 0, s[40:41]
	v_add_u32_e32 v18, v21, v18
	v_add_u32_e32 v19, v18, v19
	v_add_u32_e32 v16, v19, v16
	ds_write2_b32 v64, v21, v18 offset0:4 offset1:5
	ds_write2_b32 v22, v19, v16 offset0:2 offset1:3
	s_waitcnt lgkmcnt(0)
	s_barrier
	ds_read_b32 v16, v76 offset:16
	ds_read_b32 v18, v74 offset:16
	;; [unrolled: 1-line block ×4, first 2 shown]
	s_waitcnt lgkmcnt(3)
	v_add3_u32 v16, v77, v24, v16
	ds_read_b32 v22, v65 offset:16
	ds_read_b32 v23, v40 offset:16
	;; [unrolled: 1-line block ×4, first 2 shown]
	s_waitcnt lgkmcnt(0)
	s_barrier
	v_add3_u32 v23, v41, v39, v23
	v_add3_u32 v24, v38, v36, v24
	v_add_u32_e32 v32, v32, v33
	v_lshlrev_b32_e32 v33, 1, v32
	ds_write_b16 v33, v31
	v_lshlrev_b32_e32 v31, 1, v24
	v_add3_u32 v22, v66, v46, v22
	ds_write_b16 v31, v30
	v_lshlrev_b32_e32 v30, 1, v23
	v_add3_u32 v21, v69, v67, v21
	ds_write_b16 v30, v29
	v_lshlrev_b32_e32 v29, 1, v22
	v_add3_u32 v19, v72, v70, v19
	ds_write_b16 v29, v28
	v_lshlrev_b32_e32 v28, 1, v21
	v_add3_u32 v18, v75, v73, v18
	ds_write_b16 v28, v27
	v_lshlrev_b32_e32 v27, 1, v19
	ds_write_b16 v27, v26
	v_lshlrev_b32_e32 v26, 1, v18
	;; [unrolled: 2-line block ×4, first 2 shown]
	s_waitcnt lgkmcnt(0)
	s_barrier
	v_lshlrev_b32_e32 v26, 3, v21
	v_lshlrev_b32_e32 v27, 3, v19
	;; [unrolled: 1-line block ×3, first 2 shown]
	ds_read_b128 v[18:21], v20
	v_mov_b32_e32 v40, -1
	v_mov_b32_e32 v41, 0x7fff
	v_lshlrev_b32_e32 v25, 3, v32
	v_lshlrev_b32_e32 v24, 3, v24
	s_waitcnt lgkmcnt(0)
	v_cmp_gt_i16_sdwa vcc, v18, v40 src0_sel:WORD_1 src1_sel:DWORD
	v_cndmask_b32_e32 v29, 0, v41, vcc
	v_cmp_lt_i16_e32 vcc, -1, v18
	v_cndmask_b32_e32 v30, 0, v41, vcc
	v_cmp_lt_i16_sdwa s[4:5], v19, v17 src0_sel:WORD_1 src1_sel:DWORD
	v_cmp_gt_i16_e32 vcc, 0, v19
	v_cndmask_b32_e64 v31, v41, 0, s[4:5]
	v_cndmask_b32_e64 v32, v41, 0, vcc
	v_lshlrev_b32_e32 v23, 3, v23
	v_lshlrev_b32_e32 v22, 3, v22
	v_xor_b32_e32 v32, v32, v19
	v_xor_b32_sdwa v19, v31, v19 dst_sel:DWORD dst_unused:UNUSED_PAD src0_sel:DWORD src1_sel:WORD_1
	v_lshlrev_b32_e32 v16, 3, v16
	v_perm_b32 v39, v19, v32, s16
	v_xor_b32_e32 v19, v30, v18
	v_xor_b32_sdwa v18, v29, v18 dst_sel:DWORD dst_unused:UNUSED_PAD src0_sel:DWORD src1_sel:WORD_1
	s_barrier
	ds_write_b64 v25, v[12:13]
	ds_write_b64 v24, v[14:15]
	;; [unrolled: 1-line block ×8, first 2 shown]
	s_waitcnt lgkmcnt(0)
	s_barrier
	ds_read2_b64 v[22:25], v34 offset1:1
	ds_read2_b64 v[26:29], v34 offset0:2 offset1:3
	ds_read2_b64 v[30:33], v34 offset0:4 offset1:5
	;; [unrolled: 1-line block ×3, first 2 shown]
	v_cmp_gt_i16_sdwa vcc, v20, v40 src0_sel:WORD_1 src1_sel:DWORD
	v_cndmask_b32_e32 v0, 0, v41, vcc
	v_cmp_lt_i16_e32 vcc, -1, v20
	v_cndmask_b32_e32 v1, 0, v41, vcc
	v_cmp_lt_i16_sdwa s[4:5], v21, v17 src0_sel:WORD_1 src1_sel:DWORD
	v_cmp_gt_i16_e32 vcc, 0, v21
	v_cndmask_b32_e64 v2, v41, 0, s[4:5]
	v_cndmask_b32_e64 v3, v41, 0, vcc
	v_xor_b32_e32 v3, v3, v21
	v_xor_b32_sdwa v2, v2, v21 dst_sel:DWORD dst_unused:UNUSED_PAD src0_sel:DWORD src1_sel:WORD_1
	v_xor_b32_e32 v1, v1, v20
	v_xor_b32_sdwa v0, v0, v20 dst_sel:DWORD dst_unused:UNUSED_PAD src0_sel:DWORD src1_sel:WORD_1
	v_perm_b32 v38, v18, v19, s16
	v_perm_b32 v41, v2, v3, s16
	;; [unrolled: 1-line block ×3, first 2 shown]
.LBB251_131:
	s_waitcnt lgkmcnt(0)
	s_barrier
	ds_write_b128 v54, v[38:41]
	s_waitcnt lgkmcnt(0)
	s_barrier
	ds_read_u16 v8, v43 offset:512
	ds_read_u16 v7, v48 offset:1024
	;; [unrolled: 1-line block ×7, first 2 shown]
	v_mov_b32_e32 v43, 0
	v_lshlrev_b64 v[0:1], 1, v[42:43]
	v_mov_b32_e32 v9, s47
	v_add_co_u32_e32 v0, vcc, s33, v0
	v_addc_co_u32_e32 v1, vcc, v9, v1, vcc
	s_and_saveexec_b64 s[4:5], s[0:1]
	s_cbranch_execnz .LBB251_150
; %bb.132:
	s_or_b64 exec, exec, s[4:5]
	s_and_saveexec_b64 s[4:5], s[2:3]
	s_cbranch_execnz .LBB251_151
.LBB251_133:
	s_or_b64 exec, exec, s[4:5]
	s_and_saveexec_b64 s[4:5], s[42:43]
	s_cbranch_execnz .LBB251_152
.LBB251_134:
	s_or_b64 exec, exec, s[4:5]
	s_and_saveexec_b64 s[4:5], s[6:7]
	s_cbranch_execnz .LBB251_153
.LBB251_135:
	s_or_b64 exec, exec, s[4:5]
	s_and_saveexec_b64 s[4:5], s[8:9]
	s_cbranch_execnz .LBB251_154
.LBB251_136:
	s_or_b64 exec, exec, s[4:5]
	s_and_saveexec_b64 s[4:5], s[10:11]
	s_cbranch_execnz .LBB251_155
.LBB251_137:
	s_or_b64 exec, exec, s[4:5]
	s_and_saveexec_b64 s[4:5], s[12:13]
	s_cbranch_execnz .LBB251_156
.LBB251_138:
	s_or_b64 exec, exec, s[4:5]
	s_and_saveexec_b64 s[4:5], s[14:15]
	s_cbranch_execz .LBB251_140
.LBB251_139:
	s_mul_i32 s16, s46, 0x700
	s_mov_b32 s17, 0
	s_lshl_b64 s[16:17], s[16:17], 1
	s_waitcnt lgkmcnt(1)
	v_mov_b32_e32 v3, s17
	v_add_co_u32_e32 v0, vcc, s16, v0
	v_addc_co_u32_e32 v1, vcc, v1, v3, vcc
	s_waitcnt lgkmcnt(0)
	global_store_short v[0:1], v2, off
.LBB251_140:
	s_or_b64 exec, exec, s[4:5]
	s_waitcnt lgkmcnt(0)
	s_barrier
	ds_write2_b64 v62, v[22:23], v[24:25] offset1:1
	ds_write2_b64 v62, v[26:27], v[28:29] offset0:2 offset1:3
	ds_write2_b64 v62, v[30:31], v[32:33] offset0:4 offset1:5
	ds_write2_b64 v62, v[34:35], v[36:37] offset0:6 offset1:7
	s_waitcnt lgkmcnt(0)
	s_barrier
	ds_read_b64 v[14:15], v45 offset:2048
	ds_read_b64 v[12:13], v56 offset:4096
	;; [unrolled: 1-line block ×7, first 2 shown]
	v_mov_b32_e32 v45, 0
	v_lshlrev_b64 v[2:3], 3, v[44:45]
	v_mov_b32_e32 v16, s52
	v_add_co_u32_e32 v2, vcc, s49, v2
	v_addc_co_u32_e32 v3, vcc, v16, v3, vcc
	s_and_saveexec_b64 s[4:5], s[0:1]
	s_cbranch_execnz .LBB251_157
; %bb.141:
	s_or_b64 exec, exec, s[4:5]
	s_and_saveexec_b64 s[0:1], s[2:3]
	s_cbranch_execnz .LBB251_158
.LBB251_142:
	s_or_b64 exec, exec, s[0:1]
	s_and_saveexec_b64 s[0:1], s[42:43]
	s_cbranch_execnz .LBB251_159
.LBB251_143:
	s_or_b64 exec, exec, s[0:1]
	s_and_saveexec_b64 s[0:1], s[6:7]
	s_cbranch_execnz .LBB251_160
.LBB251_144:
	s_or_b64 exec, exec, s[0:1]
	s_and_saveexec_b64 s[0:1], s[8:9]
	s_cbranch_execnz .LBB251_161
.LBB251_145:
	s_or_b64 exec, exec, s[0:1]
	s_and_saveexec_b64 s[0:1], s[10:11]
	s_cbranch_execnz .LBB251_162
.LBB251_146:
	s_or_b64 exec, exec, s[0:1]
	s_and_saveexec_b64 s[0:1], s[12:13]
	s_cbranch_execnz .LBB251_163
.LBB251_147:
	s_or_b64 exec, exec, s[0:1]
	s_and_saveexec_b64 s[0:1], s[14:15]
	s_cbranch_execz .LBB251_149
.LBB251_148:
	s_mul_i32 s0, s48, 0x700
	s_mov_b32 s1, 0
	s_lshl_b64 s[0:1], s[0:1], 3
	s_waitcnt lgkmcnt(1)
	v_mov_b32_e32 v4, s1
	v_add_co_u32_e32 v2, vcc, s0, v2
	v_addc_co_u32_e32 v3, vcc, v3, v4, vcc
	s_waitcnt lgkmcnt(0)
	global_store_dwordx2 v[2:3], v[0:1], off
.LBB251_149:
	s_endpgm
.LBB251_150:
	ds_read_u16 v9, v47
	s_waitcnt lgkmcnt(0)
	global_store_short v[0:1], v9, off
	s_or_b64 exec, exec, s[4:5]
	s_and_saveexec_b64 s[4:5], s[2:3]
	s_cbranch_execz .LBB251_133
.LBB251_151:
	s_lshl_b32 s16, s46, 8
	s_mov_b32 s17, 0
	s_lshl_b64 s[16:17], s[16:17], 1
	v_mov_b32_e32 v9, s17
	v_add_co_u32_e32 v10, vcc, s16, v0
	v_addc_co_u32_e32 v11, vcc, v1, v9, vcc
	s_waitcnt lgkmcnt(6)
	global_store_short v[10:11], v8, off
	s_or_b64 exec, exec, s[4:5]
	s_and_saveexec_b64 s[4:5], s[42:43]
	s_cbranch_execz .LBB251_134
.LBB251_152:
	s_lshl_b32 s16, s46, 9
	s_mov_b32 s17, 0
	s_lshl_b64 s[16:17], s[16:17], 1
	v_mov_b32_e32 v9, s17
	s_waitcnt lgkmcnt(6)
	v_add_co_u32_e32 v8, vcc, s16, v0
	v_addc_co_u32_e32 v9, vcc, v1, v9, vcc
	s_waitcnt lgkmcnt(5)
	global_store_short v[8:9], v7, off
	s_or_b64 exec, exec, s[4:5]
	s_and_saveexec_b64 s[4:5], s[6:7]
	s_cbranch_execz .LBB251_135
.LBB251_153:
	s_mul_i32 s16, s46, 0x300
	s_mov_b32 s17, 0
	s_lshl_b64 s[16:17], s[16:17], 1
	s_waitcnt lgkmcnt(5)
	v_mov_b32_e32 v7, s17
	v_add_co_u32_e32 v8, vcc, s16, v0
	v_addc_co_u32_e32 v9, vcc, v1, v7, vcc
	s_waitcnt lgkmcnt(4)
	global_store_short v[8:9], v6, off
	s_or_b64 exec, exec, s[4:5]
	s_and_saveexec_b64 s[4:5], s[8:9]
	s_cbranch_execz .LBB251_136
.LBB251_154:
	s_lshl_b32 s16, s46, 10
	s_mov_b32 s17, 0
	s_lshl_b64 s[16:17], s[16:17], 1
	s_waitcnt lgkmcnt(5)
	v_mov_b32_e32 v7, s17
	s_waitcnt lgkmcnt(4)
	v_add_co_u32_e32 v6, vcc, s16, v0
	v_addc_co_u32_e32 v7, vcc, v1, v7, vcc
	s_waitcnt lgkmcnt(3)
	global_store_short v[6:7], v5, off
	s_or_b64 exec, exec, s[4:5]
	s_and_saveexec_b64 s[4:5], s[10:11]
	s_cbranch_execz .LBB251_137
.LBB251_155:
	s_mul_i32 s16, s46, 0x500
	s_mov_b32 s17, 0
	s_lshl_b64 s[16:17], s[16:17], 1
	s_waitcnt lgkmcnt(3)
	v_mov_b32_e32 v5, s17
	v_add_co_u32_e32 v6, vcc, s16, v0
	v_addc_co_u32_e32 v7, vcc, v1, v5, vcc
	s_waitcnt lgkmcnt(2)
	global_store_short v[6:7], v4, off
	s_or_b64 exec, exec, s[4:5]
	s_and_saveexec_b64 s[4:5], s[12:13]
	s_cbranch_execz .LBB251_138
.LBB251_156:
	s_mul_i32 s16, s46, 0x600
	s_mov_b32 s17, 0
	s_lshl_b64 s[16:17], s[16:17], 1
	s_waitcnt lgkmcnt(3)
	v_mov_b32_e32 v5, s17
	s_waitcnt lgkmcnt(2)
	v_add_co_u32_e32 v4, vcc, s16, v0
	v_addc_co_u32_e32 v5, vcc, v1, v5, vcc
	s_waitcnt lgkmcnt(1)
	global_store_short v[4:5], v3, off
	s_or_b64 exec, exec, s[4:5]
	s_and_saveexec_b64 s[4:5], s[14:15]
	s_cbranch_execnz .LBB251_139
	s_branch .LBB251_140
.LBB251_157:
	ds_read_b64 v[16:17], v55
	s_waitcnt lgkmcnt(0)
	global_store_dwordx2 v[2:3], v[16:17], off
	s_or_b64 exec, exec, s[4:5]
	s_and_saveexec_b64 s[0:1], s[2:3]
	s_cbranch_execz .LBB251_142
.LBB251_158:
	s_lshl_b32 s2, s48, 8
	s_mov_b32 s3, 0
	s_lshl_b64 s[2:3], s[2:3], 3
	v_mov_b32_e32 v17, s3
	v_add_co_u32_e32 v16, vcc, s2, v2
	v_addc_co_u32_e32 v17, vcc, v3, v17, vcc
	s_waitcnt lgkmcnt(6)
	global_store_dwordx2 v[16:17], v[14:15], off
	s_or_b64 exec, exec, s[0:1]
	s_and_saveexec_b64 s[0:1], s[42:43]
	s_cbranch_execz .LBB251_143
.LBB251_159:
	s_lshl_b32 s2, s48, 9
	s_mov_b32 s3, 0
	s_lshl_b64 s[2:3], s[2:3], 3
	s_waitcnt lgkmcnt(6)
	v_mov_b32_e32 v15, s3
	v_add_co_u32_e32 v14, vcc, s2, v2
	v_addc_co_u32_e32 v15, vcc, v3, v15, vcc
	s_waitcnt lgkmcnt(5)
	global_store_dwordx2 v[14:15], v[12:13], off
	s_or_b64 exec, exec, s[0:1]
	s_and_saveexec_b64 s[0:1], s[6:7]
	s_cbranch_execz .LBB251_144
.LBB251_160:
	s_mul_i32 s2, s48, 0x300
	s_mov_b32 s3, 0
	s_lshl_b64 s[2:3], s[2:3], 3
	s_waitcnt lgkmcnt(5)
	v_mov_b32_e32 v13, s3
	v_add_co_u32_e32 v12, vcc, s2, v2
	v_addc_co_u32_e32 v13, vcc, v3, v13, vcc
	s_waitcnt lgkmcnt(4)
	global_store_dwordx2 v[12:13], v[10:11], off
	s_or_b64 exec, exec, s[0:1]
	s_and_saveexec_b64 s[0:1], s[8:9]
	s_cbranch_execz .LBB251_145
.LBB251_161:
	s_lshl_b32 s2, s48, 10
	s_mov_b32 s3, 0
	s_lshl_b64 s[2:3], s[2:3], 3
	s_waitcnt lgkmcnt(4)
	v_mov_b32_e32 v11, s3
	v_add_co_u32_e32 v10, vcc, s2, v2
	v_addc_co_u32_e32 v11, vcc, v3, v11, vcc
	s_waitcnt lgkmcnt(3)
	global_store_dwordx2 v[10:11], v[8:9], off
	s_or_b64 exec, exec, s[0:1]
	s_and_saveexec_b64 s[0:1], s[10:11]
	s_cbranch_execz .LBB251_146
.LBB251_162:
	s_mul_i32 s2, s48, 0x500
	s_mov_b32 s3, 0
	s_lshl_b64 s[2:3], s[2:3], 3
	s_waitcnt lgkmcnt(3)
	v_mov_b32_e32 v9, s3
	v_add_co_u32_e32 v8, vcc, s2, v2
	v_addc_co_u32_e32 v9, vcc, v3, v9, vcc
	s_waitcnt lgkmcnt(2)
	global_store_dwordx2 v[8:9], v[6:7], off
	s_or_b64 exec, exec, s[0:1]
	s_and_saveexec_b64 s[0:1], s[12:13]
	s_cbranch_execz .LBB251_147
.LBB251_163:
	s_mul_i32 s2, s48, 0x600
	s_mov_b32 s3, 0
	s_lshl_b64 s[2:3], s[2:3], 3
	s_waitcnt lgkmcnt(2)
	v_mov_b32_e32 v7, s3
	v_add_co_u32_e32 v6, vcc, s2, v2
	v_addc_co_u32_e32 v7, vcc, v3, v7, vcc
	s_waitcnt lgkmcnt(1)
	global_store_dwordx2 v[6:7], v[4:5], off
	s_or_b64 exec, exec, s[0:1]
	s_and_saveexec_b64 s[0:1], s[14:15]
	s_cbranch_execnz .LBB251_148
	s_branch .LBB251_149
	.section	.rodata,"a",@progbits
	.p2align	6, 0x0
	.amdhsa_kernel _ZN2at6native18radixSortKVInPlaceILin1ELin1ELi256ELi8EN3c108BFloat16EljEEvNS_4cuda6detail10TensorInfoIT3_T5_EES8_S8_S8_NS6_IT4_S8_EES8_b
		.amdhsa_group_segment_fixed_size 16896
		.amdhsa_private_segment_fixed_size 0
		.amdhsa_kernarg_size 712
		.amdhsa_user_sgpr_count 6
		.amdhsa_user_sgpr_private_segment_buffer 1
		.amdhsa_user_sgpr_dispatch_ptr 0
		.amdhsa_user_sgpr_queue_ptr 0
		.amdhsa_user_sgpr_kernarg_segment_ptr 1
		.amdhsa_user_sgpr_dispatch_id 0
		.amdhsa_user_sgpr_flat_scratch_init 0
		.amdhsa_user_sgpr_kernarg_preload_length 0
		.amdhsa_user_sgpr_kernarg_preload_offset 0
		.amdhsa_user_sgpr_private_segment_size 0
		.amdhsa_uses_dynamic_stack 0
		.amdhsa_system_sgpr_private_segment_wavefront_offset 0
		.amdhsa_system_sgpr_workgroup_id_x 1
		.amdhsa_system_sgpr_workgroup_id_y 1
		.amdhsa_system_sgpr_workgroup_id_z 1
		.amdhsa_system_sgpr_workgroup_info 0
		.amdhsa_system_vgpr_workitem_id 2
		.amdhsa_next_free_vgpr 108
		.amdhsa_next_free_sgpr 55
		.amdhsa_accum_offset 108
		.amdhsa_reserve_vcc 1
		.amdhsa_reserve_flat_scratch 0
		.amdhsa_float_round_mode_32 0
		.amdhsa_float_round_mode_16_64 0
		.amdhsa_float_denorm_mode_32 3
		.amdhsa_float_denorm_mode_16_64 3
		.amdhsa_dx10_clamp 1
		.amdhsa_ieee_mode 1
		.amdhsa_fp16_overflow 0
		.amdhsa_tg_split 0
		.amdhsa_exception_fp_ieee_invalid_op 0
		.amdhsa_exception_fp_denorm_src 0
		.amdhsa_exception_fp_ieee_div_zero 0
		.amdhsa_exception_fp_ieee_overflow 0
		.amdhsa_exception_fp_ieee_underflow 0
		.amdhsa_exception_fp_ieee_inexact 0
		.amdhsa_exception_int_div_zero 0
	.end_amdhsa_kernel
	.section	.text._ZN2at6native18radixSortKVInPlaceILin1ELin1ELi256ELi8EN3c108BFloat16EljEEvNS_4cuda6detail10TensorInfoIT3_T5_EES8_S8_S8_NS6_IT4_S8_EES8_b,"axG",@progbits,_ZN2at6native18radixSortKVInPlaceILin1ELin1ELi256ELi8EN3c108BFloat16EljEEvNS_4cuda6detail10TensorInfoIT3_T5_EES8_S8_S8_NS6_IT4_S8_EES8_b,comdat
.Lfunc_end251:
	.size	_ZN2at6native18radixSortKVInPlaceILin1ELin1ELi256ELi8EN3c108BFloat16EljEEvNS_4cuda6detail10TensorInfoIT3_T5_EES8_S8_S8_NS6_IT4_S8_EES8_b, .Lfunc_end251-_ZN2at6native18radixSortKVInPlaceILin1ELin1ELi256ELi8EN3c108BFloat16EljEEvNS_4cuda6detail10TensorInfoIT3_T5_EES8_S8_S8_NS6_IT4_S8_EES8_b
                                        ; -- End function
	.section	.AMDGPU.csdata,"",@progbits
; Kernel info:
; codeLenInByte = 21604
; NumSgprs: 59
; NumVgprs: 108
; NumAgprs: 0
; TotalNumVgprs: 108
; ScratchSize: 0
; MemoryBound: 0
; FloatMode: 240
; IeeeMode: 1
; LDSByteSize: 16896 bytes/workgroup (compile time only)
; SGPRBlocks: 7
; VGPRBlocks: 13
; NumSGPRsForWavesPerEU: 59
; NumVGPRsForWavesPerEU: 108
; AccumOffset: 108
; Occupancy: 3
; WaveLimiterHint : 1
; COMPUTE_PGM_RSRC2:SCRATCH_EN: 0
; COMPUTE_PGM_RSRC2:USER_SGPR: 6
; COMPUTE_PGM_RSRC2:TRAP_HANDLER: 0
; COMPUTE_PGM_RSRC2:TGID_X_EN: 1
; COMPUTE_PGM_RSRC2:TGID_Y_EN: 1
; COMPUTE_PGM_RSRC2:TGID_Z_EN: 1
; COMPUTE_PGM_RSRC2:TIDIG_COMP_CNT: 2
; COMPUTE_PGM_RSRC3_GFX90A:ACCUM_OFFSET: 26
; COMPUTE_PGM_RSRC3_GFX90A:TG_SPLIT: 0
	.section	.text._ZN2at6native18radixSortKVInPlaceILin1ELin1ELi128ELi8EN3c108BFloat16EljEEvNS_4cuda6detail10TensorInfoIT3_T5_EES8_S8_S8_NS6_IT4_S8_EES8_b,"axG",@progbits,_ZN2at6native18radixSortKVInPlaceILin1ELin1ELi128ELi8EN3c108BFloat16EljEEvNS_4cuda6detail10TensorInfoIT3_T5_EES8_S8_S8_NS6_IT4_S8_EES8_b,comdat
	.protected	_ZN2at6native18radixSortKVInPlaceILin1ELin1ELi128ELi8EN3c108BFloat16EljEEvNS_4cuda6detail10TensorInfoIT3_T5_EES8_S8_S8_NS6_IT4_S8_EES8_b ; -- Begin function _ZN2at6native18radixSortKVInPlaceILin1ELin1ELi128ELi8EN3c108BFloat16EljEEvNS_4cuda6detail10TensorInfoIT3_T5_EES8_S8_S8_NS6_IT4_S8_EES8_b
	.globl	_ZN2at6native18radixSortKVInPlaceILin1ELin1ELi128ELi8EN3c108BFloat16EljEEvNS_4cuda6detail10TensorInfoIT3_T5_EES8_S8_S8_NS6_IT4_S8_EES8_b
	.p2align	8
	.type	_ZN2at6native18radixSortKVInPlaceILin1ELin1ELi128ELi8EN3c108BFloat16EljEEvNS_4cuda6detail10TensorInfoIT3_T5_EES8_S8_S8_NS6_IT4_S8_EES8_b,@function
_ZN2at6native18radixSortKVInPlaceILin1ELin1ELi128ELi8EN3c108BFloat16EljEEvNS_4cuda6detail10TensorInfoIT3_T5_EES8_S8_S8_NS6_IT4_S8_EES8_b: ; @_ZN2at6native18radixSortKVInPlaceILin1ELin1ELi128ELi8EN3c108BFloat16EljEEvNS_4cuda6detail10TensorInfoIT3_T5_EES8_S8_S8_NS6_IT4_S8_EES8_b
; %bb.0:
	s_load_dwordx2 s[0:1], s[4:5], 0x1c8
	s_load_dwordx4 s[44:47], s[4:5], 0xd8
	s_add_u32 s50, s4, 0x1c8
	s_addc_u32 s51, s5, 0
	s_waitcnt lgkmcnt(0)
	s_mul_i32 s1, s1, s8
	s_add_i32 s1, s1, s7
	s_mul_i32 s0, s1, s0
	s_add_i32 s20, s0, s6
	s_cmp_ge_u32 s20, s44
	s_cbranch_scc1 .LBB252_149
; %bb.1:
	s_load_dword s2, s[4:5], 0xd0
	s_mov_b32 s1, 0
	s_mov_b32 s0, s20
	s_waitcnt lgkmcnt(0)
	s_cmp_lt_i32 s2, 2
	s_cbranch_scc1 .LBB252_4
; %bb.2:
	s_add_i32 s0, s2, -1
	s_add_i32 s6, s2, 1
	s_lshl_b64 s[2:3], s[0:1], 2
	s_add_u32 s0, s2, s4
	s_addc_u32 s3, s3, s5
	s_add_u32 s2, s0, 8
	s_addc_u32 s3, s3, 0
	s_mov_b32 s0, s20
.LBB252_3:                              ; =>This Inner Loop Header: Depth=1
	s_load_dword s7, s[2:3], 0x0
	s_load_dword s9, s[2:3], 0x64
	s_mov_b32 s8, s0
	s_waitcnt lgkmcnt(0)
	v_cvt_f32_u32_e32 v1, s7
	s_sub_i32 s0, 0, s7
	v_rcp_iflag_f32_e32 v1, v1
	v_mul_f32_e32 v1, 0x4f7ffffe, v1
	v_cvt_u32_f32_e32 v1, v1
	v_readfirstlane_b32 s10, v1
	s_mul_i32 s0, s0, s10
	s_mul_hi_u32 s0, s10, s0
	s_add_i32 s10, s10, s0
	s_mul_hi_u32 s0, s8, s10
	s_mul_i32 s10, s0, s7
	s_sub_i32 s10, s8, s10
	s_add_i32 s11, s0, 1
	s_sub_i32 s12, s10, s7
	s_cmp_ge_u32 s10, s7
	s_cselect_b32 s0, s11, s0
	s_cselect_b32 s10, s12, s10
	s_add_i32 s11, s0, 1
	s_cmp_ge_u32 s10, s7
	s_cselect_b32 s0, s11, s0
	s_mul_i32 s7, s0, s7
	s_sub_i32 s7, s8, s7
	s_mul_i32 s7, s9, s7
	s_add_i32 s6, s6, -1
	s_add_i32 s1, s7, s1
	s_add_u32 s2, s2, -4
	s_addc_u32 s3, s3, -1
	s_cmp_gt_u32 s6, 2
	s_cbranch_scc1 .LBB252_3
.LBB252_4:
	s_load_dword s2, s[4:5], 0x1b8
	s_mov_b32 s17, 0
	s_waitcnt lgkmcnt(0)
	s_cmp_lt_i32 s2, 2
	s_cbranch_scc1 .LBB252_7
; %bb.5:
	s_add_i32 s16, s2, -1
	s_add_i32 s6, s2, 1
	s_lshl_b64 s[2:3], s[16:17], 2
	s_add_u32 s2, s2, s4
	s_addc_u32 s3, s3, s5
	s_add_u32 s2, s2, 0xf0
	s_addc_u32 s3, s3, 0
.LBB252_6:                              ; =>This Inner Loop Header: Depth=1
	s_load_dword s7, s[2:3], 0x0
	s_load_dword s9, s[2:3], 0x64
	s_mov_b32 s8, s20
	s_waitcnt lgkmcnt(0)
	v_cvt_f32_u32_e32 v1, s7
	s_sub_i32 s10, 0, s7
	v_rcp_iflag_f32_e32 v1, v1
	v_mul_f32_e32 v1, 0x4f7ffffe, v1
	v_cvt_u32_f32_e32 v1, v1
	v_readfirstlane_b32 s11, v1
	s_mul_i32 s10, s10, s11
	s_mul_hi_u32 s10, s11, s10
	s_add_i32 s11, s11, s10
	s_mul_hi_u32 s10, s20, s11
	s_mul_i32 s11, s10, s7
	s_sub_i32 s11, s20, s11
	s_add_i32 s12, s10, 1
	s_sub_i32 s13, s11, s7
	s_cmp_ge_u32 s11, s7
	s_cselect_b32 s10, s12, s10
	s_cselect_b32 s11, s13, s11
	s_add_i32 s12, s10, 1
	s_cmp_ge_u32 s11, s7
	s_cselect_b32 s20, s12, s10
	s_mul_i32 s7, s20, s7
	s_sub_i32 s7, s8, s7
	s_mul_i32 s7, s9, s7
	s_add_i32 s6, s6, -1
	s_add_i32 s17, s7, s17
	s_add_u32 s2, s2, -4
	s_addc_u32 s3, s3, -1
	s_cmp_gt_u32 s6, 2
	s_cbranch_scc1 .LBB252_6
.LBB252_7:
	s_load_dword s2, s[4:5], 0x6c
	s_load_dwordx2 s[48:49], s[4:5], 0x1c0
	s_mov_b32 s8, 0xffff
	v_and_b32_e32 v46, 0x3ff, v0
	v_mul_lo_u32 v42, v46, s46
	s_waitcnt lgkmcnt(0)
	s_mul_i32 s0, s2, s0
	s_load_dwordx2 s[2:3], s[4:5], 0x0
	s_add_i32 s0, s0, s1
	s_bitcmp1_b32 s49, 0
	s_cselect_b64 s[34:35], -1, 0
	s_and_b64 s[6:7], s[34:35], exec
	s_mov_b32 s1, 0
	s_cselect_b32 s16, s8, 0x7fff
	s_lshl_b64 s[0:1], s[0:1], 1
	s_waitcnt lgkmcnt(0)
	s_add_u32 s33, s2, s0
	s_addc_u32 s44, s3, s1
	v_cmp_gt_u32_e64 s[0:1], s45, v46
	v_mov_b32_e32 v1, s16
	s_and_saveexec_b64 s[2:3], s[0:1]
	s_cbranch_execz .LBB252_9
; %bb.8:
	v_mov_b32_e32 v43, 0
	v_lshlrev_b64 v[2:3], 1, v[42:43]
	v_mov_b32_e32 v1, s44
	v_add_co_u32_e32 v2, vcc, s33, v2
	v_addc_co_u32_e32 v3, vcc, v1, v3, vcc
	global_load_ushort v1, v[2:3], off
.LBB252_9:
	s_or_b64 exec, exec, s[2:3]
	v_add_u32_e32 v36, 0x80, v46
	v_cmp_gt_u32_e64 s[2:3], s45, v36
	v_mov_b32_e32 v2, s16
	s_and_saveexec_b64 s[6:7], s[2:3]
	s_cbranch_execz .LBB252_11
; %bb.10:
	v_mul_lo_u32 v2, v36, s46
	v_mov_b32_e32 v3, 0
	v_lshlrev_b64 v[2:3], 1, v[2:3]
	v_mov_b32_e32 v4, s44
	v_add_co_u32_e32 v2, vcc, s33, v2
	v_addc_co_u32_e32 v3, vcc, v4, v3, vcc
	global_load_ushort v2, v[2:3], off
.LBB252_11:
	s_or_b64 exec, exec, s[6:7]
	v_add_u32_e32 v35, 0x100, v46
	v_cmp_gt_u32_e64 s[40:41], s45, v35
	v_mov_b32_e32 v3, s16
	s_and_saveexec_b64 s[6:7], s[40:41]
	s_cbranch_execz .LBB252_13
; %bb.12:
	v_mul_lo_u32 v4, v35, s46
	v_mov_b32_e32 v5, 0
	v_lshlrev_b64 v[4:5], 1, v[4:5]
	v_mov_b32_e32 v3, s44
	v_add_co_u32_e32 v4, vcc, s33, v4
	v_addc_co_u32_e32 v5, vcc, v3, v5, vcc
	global_load_ushort v3, v[4:5], off
.LBB252_13:
	s_or_b64 exec, exec, s[6:7]
	v_add_u32_e32 v33, 0x180, v46
	v_cmp_gt_u32_e64 s[6:7], s45, v33
	v_mov_b32_e32 v4, s16
	s_and_saveexec_b64 s[8:9], s[6:7]
	s_cbranch_execz .LBB252_15
; %bb.14:
	v_mul_lo_u32 v4, v33, s46
	v_mov_b32_e32 v5, 0
	v_lshlrev_b64 v[4:5], 1, v[4:5]
	v_mov_b32_e32 v6, s44
	v_add_co_u32_e32 v4, vcc, s33, v4
	v_addc_co_u32_e32 v5, vcc, v6, v5, vcc
	global_load_ushort v4, v[4:5], off
.LBB252_15:
	s_or_b64 exec, exec, s[8:9]
	v_add_u32_e32 v30, 0x200, v46
	v_cmp_gt_u32_e64 s[8:9], s45, v30
	v_mov_b32_e32 v5, s16
	s_and_saveexec_b64 s[10:11], s[8:9]
	s_cbranch_execz .LBB252_17
; %bb.16:
	v_mul_lo_u32 v6, v30, s46
	v_mov_b32_e32 v7, 0
	v_lshlrev_b64 v[6:7], 1, v[6:7]
	v_mov_b32_e32 v5, s44
	v_add_co_u32_e32 v6, vcc, s33, v6
	v_addc_co_u32_e32 v7, vcc, v5, v7, vcc
	global_load_ushort v5, v[6:7], off
.LBB252_17:
	s_or_b64 exec, exec, s[10:11]
	v_add_u32_e32 v28, 0x280, v46
	v_cmp_gt_u32_e64 s[10:11], s45, v28
	v_mov_b32_e32 v6, s16
	s_and_saveexec_b64 s[12:13], s[10:11]
	s_cbranch_execz .LBB252_19
; %bb.18:
	v_mul_lo_u32 v6, v28, s46
	v_mov_b32_e32 v7, 0
	v_lshlrev_b64 v[6:7], 1, v[6:7]
	v_mov_b32_e32 v8, s44
	v_add_co_u32_e32 v6, vcc, s33, v6
	v_addc_co_u32_e32 v7, vcc, v8, v7, vcc
	global_load_ushort v6, v[6:7], off
.LBB252_19:
	s_or_b64 exec, exec, s[12:13]
	s_load_dwordx2 s[18:19], s[4:5], 0xe8
	v_add_u32_e32 v26, 0x300, v46
	v_cmp_gt_u32_e64 s[12:13], s45, v26
	v_mov_b32_e32 v7, s16
	s_and_saveexec_b64 s[14:15], s[12:13]
	s_cbranch_execz .LBB252_21
; %bb.20:
	v_mul_lo_u32 v8, v26, s46
	v_mov_b32_e32 v9, 0
	v_lshlrev_b64 v[8:9], 1, v[8:9]
	v_mov_b32_e32 v7, s44
	v_add_co_u32_e32 v8, vcc, s33, v8
	v_addc_co_u32_e32 v9, vcc, v7, v9, vcc
	global_load_ushort v7, v[8:9], off
.LBB252_21:
	s_or_b64 exec, exec, s[14:15]
	s_load_dword s21, s[4:5], 0x154
	v_add_u32_e32 v22, 0x380, v46
	v_cmp_gt_u32_e64 s[14:15], s45, v22
	v_mov_b32_e32 v8, s16
	s_and_saveexec_b64 s[4:5], s[14:15]
	s_cbranch_execz .LBB252_23
; %bb.22:
	v_mul_lo_u32 v8, v22, s46
	v_mov_b32_e32 v9, 0
	v_lshlrev_b64 v[8:9], 1, v[8:9]
	v_mov_b32_e32 v10, s44
	v_add_co_u32_e32 v8, vcc, s33, v8
	v_addc_co_u32_e32 v9, vcc, v10, v9, vcc
	global_load_ushort v8, v[8:9], off
.LBB252_23:
	s_or_b64 exec, exec, s[4:5]
	v_lshrrev_b32_e32 v34, 5, v46
	v_and_b32_e32 v9, 30, v34
	v_add_lshl_u32 v47, v9, v46, 1
	v_lshrrev_b32_e32 v32, 5, v36
	s_waitcnt vmcnt(0)
	ds_write_b16 v47, v1
	v_and_b32_e32 v1, 62, v32
	v_lshrrev_b32_e32 v31, 5, v35
	v_add_lshl_u32 v43, v1, v46, 1
	v_and_b32_e32 v1, 62, v31
	v_lshrrev_b32_e32 v29, 5, v33
	v_add_lshl_u32 v48, v1, v46, 1
	;; [unrolled: 3-line block ×5, first 2 shown]
	v_and_b32_e32 v1, 62, v23
	v_add_lshl_u32 v52, v1, v46, 1
	v_lshrrev_b32_e32 v1, 5, v22
	ds_write_b16 v43, v2 offset:256
	v_and_b32_e32 v2, 62, v1
	v_lshrrev_b32_e32 v24, 2, v46
	v_add_lshl_u32 v53, v2, v46, 1
	v_lshlrev_b32_e32 v63, 3, v46
	v_and_b32_e32 v2, 0xfe, v24
	s_waitcnt lgkmcnt(0)
	s_mul_i32 s4, s21, s20
	v_add_lshl_u32 v54, v2, v63, 1
	s_add_i32 s16, s4, s17
	s_mov_b32 s17, 0
	ds_write_b16 v48, v3 offset:512
	ds_write_b16 v49, v4 offset:768
	;; [unrolled: 1-line block ×6, first 2 shown]
	s_waitcnt lgkmcnt(0)
	s_barrier
	ds_read_b128 v[18:21], v54
	s_lshl_b64 s[4:5], s[16:17], 3
	s_add_u32 s45, s18, s4
	s_mov_b32 s16, s17
	s_addc_u32 s47, s19, s5
	s_mov_b32 s18, s17
	s_mov_b32 s19, s17
	;; [unrolled: 1-line block ×14, first 2 shown]
	v_pk_mov_b32 v[2:3], s[16:17], s[16:17] op_sel:[0,1]
	v_pk_mov_b32 v[4:5], s[18:19], s[18:19] op_sel:[0,1]
	v_pk_mov_b32 v[6:7], s[20:21], s[20:21] op_sel:[0,1]
	v_pk_mov_b32 v[8:9], s[22:23], s[22:23] op_sel:[0,1]
	v_pk_mov_b32 v[10:11], s[24:25], s[24:25] op_sel:[0,1]
	v_pk_mov_b32 v[12:13], s[26:27], s[26:27] op_sel:[0,1]
	v_pk_mov_b32 v[14:15], s[28:29], s[28:29] op_sel:[0,1]
	v_pk_mov_b32 v[16:17], s[30:31], s[30:31] op_sel:[0,1]
	v_pk_mov_b32 v[2:3], 0, 0
	v_mul_lo_u32 v44, v46, s48
	s_waitcnt lgkmcnt(0)
	s_barrier
	s_and_saveexec_b64 s[4:5], s[0:1]
	s_cbranch_execnz .LBB252_78
; %bb.24:
	s_or_b64 exec, exec, s[4:5]
	s_and_saveexec_b64 s[4:5], s[2:3]
	s_cbranch_execnz .LBB252_79
.LBB252_25:
	s_or_b64 exec, exec, s[4:5]
	s_and_saveexec_b64 s[4:5], s[40:41]
	s_cbranch_execnz .LBB252_80
.LBB252_26:
	s_or_b64 exec, exec, s[4:5]
	s_and_saveexec_b64 s[4:5], s[6:7]
	s_cbranch_execnz .LBB252_81
.LBB252_27:
	s_or_b64 exec, exec, s[4:5]
	s_and_saveexec_b64 s[4:5], s[8:9]
	s_cbranch_execnz .LBB252_82
.LBB252_28:
	s_or_b64 exec, exec, s[4:5]
	s_and_saveexec_b64 s[4:5], s[10:11]
	s_cbranch_execnz .LBB252_83
.LBB252_29:
	s_or_b64 exec, exec, s[4:5]
	s_and_saveexec_b64 s[4:5], s[12:13]
	s_cbranch_execnz .LBB252_84
.LBB252_30:
	s_or_b64 exec, exec, s[4:5]
	s_xor_b64 s[4:5], s[34:35], -1
	s_and_saveexec_b64 s[16:17], s[14:15]
	s_cbranch_execz .LBB252_32
.LBB252_31:
	v_mul_lo_u32 v16, v22, s48
	v_mov_b32_e32 v17, 0
	v_lshlrev_b64 v[16:17], 3, v[16:17]
	v_mov_b32_e32 v22, s47
	v_add_co_u32_e32 v16, vcc, s45, v16
	v_addc_co_u32_e32 v17, vcc, v22, v17, vcc
	global_load_dwordx2 v[16:17], v[16:17], off
.LBB252_32:
	s_or_b64 exec, exec, s[16:17]
	v_add_lshl_u32 v55, v34, v46, 3
	v_add_lshl_u32 v45, v32, v46, 3
	;; [unrolled: 1-line block ×9, first 2 shown]
	s_waitcnt vmcnt(0)
	ds_write_b64 v55, v[2:3]
	ds_write_b64 v45, v[4:5] offset:1024
	ds_write_b64 v56, v[6:7] offset:2048
	;; [unrolled: 1-line block ×7, first 2 shown]
	s_waitcnt lgkmcnt(0)
	s_barrier
	ds_read2_b64 v[14:17], v62 offset1:1
	ds_read2_b64 v[10:13], v62 offset0:2 offset1:3
	ds_read2_b64 v[6:9], v62 offset0:4 offset1:5
	;; [unrolled: 1-line block ×3, first 2 shown]
	s_and_b64 vcc, exec, s[4:5]
	v_bfe_u32 v65, v0, 10, 10
	v_bfe_u32 v66, v0, 20, 10
	v_mbcnt_lo_u32_b32 v67, -1, 0
	v_lshlrev_b32_e32 v64, 4, v46
	s_waitcnt lgkmcnt(0)
	s_barrier
	s_cbranch_vccz .LBB252_85
; %bb.33:
	s_movk_i32 s4, 0x8000
	v_pk_ashrrev_i16 v24, 15, v18 op_sel_hi:[0,1]
	v_or_b32_e32 v25, 0xffff8000, v24
	v_or_b32_sdwa v24, v24, s4 dst_sel:DWORD dst_unused:UNUSED_PAD src0_sel:WORD_1 src1_sel:DWORD
	v_pk_ashrrev_i16 v22, 15, v19 op_sel_hi:[0,1]
	v_xor_b32_sdwa v26, v24, v18 dst_sel:DWORD dst_unused:UNUSED_PAD src0_sel:DWORD src1_sel:WORD_1
	v_pk_ashrrev_i16 v24, 15, v21 op_sel_hi:[0,1]
	v_pk_ashrrev_i16 v28, 15, v20 op_sel_hi:[0,1]
	v_mbcnt_hi_u32_b32 v76, -1, v67
	v_and_b32_e32 v40, 0x3c0, v46
	v_or_b32_e32 v23, 0xffff8000, v22
	v_or_b32_sdwa v22, v22, s4 dst_sel:DWORD dst_unused:UNUSED_PAD src0_sel:WORD_1 src1_sel:DWORD
	v_xor_b32_e32 v27, v25, v18
	v_or_b32_e32 v25, 0xffff8000, v24
	v_or_b32_e32 v29, 0xffff8000, v28
	v_or_b32_sdwa v24, v24, s4 dst_sel:DWORD dst_unused:UNUSED_PAD src0_sel:WORD_1 src1_sel:DWORD
	v_or_b32_sdwa v28, v28, s4 dst_sel:DWORD dst_unused:UNUSED_PAD src0_sel:WORD_1 src1_sel:DWORD
	v_add_u32_e32 v0, v76, v40
	v_xor_b32_sdwa v22, v22, v19 dst_sel:DWORD dst_unused:UNUSED_PAD src0_sel:DWORD src1_sel:WORD_1
	v_xor_b32_e32 v23, v23, v19
	v_xor_b32_sdwa v28, v28, v20 dst_sel:DWORD dst_unused:UNUSED_PAD src0_sel:DWORD src1_sel:WORD_1
	v_xor_b32_sdwa v24, v24, v21 dst_sel:DWORD dst_unused:UNUSED_PAD src0_sel:DWORD src1_sel:WORD_1
	v_xor_b32_e32 v29, v29, v20
	v_xor_b32_e32 v25, v25, v21
	s_mov_b32 s4, 0x5040100
	v_lshlrev_b32_e32 v1, 4, v0
	v_perm_b32 v25, v24, v25, s4
	v_perm_b32 v24, v28, v29, s4
	;; [unrolled: 1-line block ×4, first 2 shown]
	v_and_b32_e32 v82, 0x1e00, v63
	ds_write_b128 v1, v[22:25]
	v_or_b32_e32 v1, v76, v82
	v_lshlrev_b32_e32 v22, 1, v1
	v_lshlrev_b32_e32 v0, 6, v0
	; wave barrier
	ds_read_u16 v79, v22
	ds_read_u16 v78, v22 offset:128
	ds_read_u16 v77, v22 offset:256
	;; [unrolled: 1-line block ×7, first 2 shown]
	s_waitcnt lgkmcnt(0)
	s_barrier
	ds_write2_b64 v0, v[14:15], v[16:17] offset1:1
	ds_write2_b64 v0, v[10:11], v[12:13] offset0:2 offset1:3
	ds_write2_b64 v0, v[6:7], v[8:9] offset0:4 offset1:5
	;; [unrolled: 1-line block ×3, first 2 shown]
	v_lshlrev_b32_e32 v0, 3, v1
	; wave barrier
	ds_read2st64_b64 v[34:37], v0 offset1:1
	ds_read2st64_b64 v[30:33], v0 offset0:2 offset1:3
	ds_read2st64_b64 v[26:29], v0 offset0:4 offset1:5
	;; [unrolled: 1-line block ×3, first 2 shown]
	s_waitcnt lgkmcnt(0)
	s_barrier
	s_load_dword s16, s[50:51], 0xc
	s_getpc_b64 s[4:5]
	s_add_u32 s4, s4, _ZN7rocprim17ROCPRIM_400000_NS16block_radix_sortI12hip_bfloat16Lj128ELj8ElLj1ELj1ELj0ELNS0_26block_radix_rank_algorithmE1ELNS0_18block_padding_hintE2ELNS0_4arch9wavefront6targetE1EE19radix_bits_per_passE@rel32@lo+4
	s_addc_u32 s5, s5, _ZN7rocprim17ROCPRIM_400000_NS16block_radix_sortI12hip_bfloat16Lj128ELj8ElLj1ELj1ELj0ELNS0_26block_radix_rank_algorithmE1ELNS0_18block_padding_hintE2ELNS0_4arch9wavefront6targetE1EE19radix_bits_per_passE@rel32@hi+12
	s_load_dword s42, s[4:5], 0x0
	s_movk_i32 s17, 0x7fff
	v_mov_b32_e32 v41, 0xffff8000
	s_waitcnt lgkmcnt(0)
	s_lshr_b32 s4, s16, 16
	s_and_b32 s5, s16, 0xffff
	v_mad_u32_u24 v1, v66, s4, v65
	v_mad_u64_u32 v[38:39], s[4:5], v1, s5, v[46:47]
	s_min_u32 s4, s42, 16
	s_lshl_b32 s4, -1, s4
	v_cmp_ne_u16_e32 vcc, s17, v79
	s_not_b32 s16, s4
	v_cndmask_b32_e32 v1, v41, v79, vcc
	v_lshrrev_b32_e32 v68, 6, v38
	v_and_b32_sdwa v38, s16, v1 dst_sel:DWORD dst_unused:UNUSED_PAD src0_sel:DWORD src1_sel:WORD_0
	v_lshlrev_b32_e32 v1, 1, v38
	v_add_lshl_u32 v83, v68, v1, 2
	v_and_b32_e32 v1, 1, v38
	v_add_co_u32_e32 v39, vcc, -1, v1
	v_addc_co_u32_e64 v69, s[4:5], 0, -1, vcc
	v_cmp_ne_u32_e32 vcc, 0, v1
	v_xor_b32_e32 v1, vcc_hi, v69
	v_mov_b32_e32 v0, 0
	v_and_b32_e32 v69, exec_hi, v1
	v_lshlrev_b32_e32 v1, 30, v38
	v_xor_b32_e32 v39, vcc_lo, v39
	v_cmp_gt_i64_e32 vcc, 0, v[0:1]
	v_not_b32_e32 v1, v1
	v_ashrrev_i32_e32 v1, 31, v1
	v_and_b32_e32 v39, exec_lo, v39
	v_xor_b32_e32 v70, vcc_hi, v1
	v_xor_b32_e32 v1, vcc_lo, v1
	v_and_b32_e32 v39, v39, v1
	v_lshlrev_b32_e32 v1, 29, v38
	v_cmp_gt_i64_e32 vcc, 0, v[0:1]
	v_not_b32_e32 v1, v1
	v_ashrrev_i32_e32 v1, 31, v1
	v_and_b32_e32 v69, v69, v70
	v_xor_b32_e32 v70, vcc_hi, v1
	v_xor_b32_e32 v1, vcc_lo, v1
	v_and_b32_e32 v39, v39, v1
	v_lshlrev_b32_e32 v1, 28, v38
	v_cmp_gt_i64_e32 vcc, 0, v[0:1]
	v_not_b32_e32 v1, v1
	v_ashrrev_i32_e32 v1, 31, v1
	v_and_b32_e32 v69, v69, v70
	;; [unrolled: 8-line block ×5, first 2 shown]
	v_xor_b32_e32 v70, vcc_hi, v1
	v_xor_b32_e32 v1, vcc_lo, v1
	v_and_b32_e32 v69, v69, v70
	v_and_b32_e32 v70, v39, v1
	v_lshlrev_b32_e32 v1, 24, v38
	v_cmp_gt_i64_e32 vcc, 0, v[0:1]
	v_not_b32_e32 v1, v1
	v_ashrrev_i32_e32 v1, 31, v1
	v_xor_b32_e32 v38, vcc_hi, v1
	v_xor_b32_e32 v1, vcc_lo, v1
	v_and_b32_e32 v39, v69, v38
	v_and_b32_e32 v38, v70, v1
	v_mbcnt_lo_u32_b32 v1, v38, 0
	v_mbcnt_hi_u32_b32 v84, v39, v1
	v_cmp_eq_u32_e32 vcc, 0, v84
	v_cmp_ne_u64_e64 s[4:5], 0, v[38:39]
	s_and_b64 s[18:19], s[4:5], vcc
	ds_write2_b32 v64, v0, v0 offset0:2 offset1:3
	ds_write2_b32 v64, v0, v0 offset0:4 offset1:5
	s_waitcnt lgkmcnt(0)
	s_barrier
	s_waitcnt lgkmcnt(0)
	; wave barrier
	s_and_saveexec_b64 s[4:5], s[18:19]
	s_cbranch_execz .LBB252_35
; %bb.34:
	v_bcnt_u32_b32 v1, v38, 0
	v_bcnt_u32_b32 v1, v39, v1
	ds_write_b32 v83, v1 offset:8
.LBB252_35:
	s_or_b64 exec, exec, s[4:5]
	v_cmp_ne_u16_e32 vcc, s17, v78
	v_cndmask_b32_e32 v1, v41, v78, vcc
	v_and_b32_sdwa v38, s16, v1 dst_sel:DWORD dst_unused:UNUSED_PAD src0_sel:DWORD src1_sel:WORD_0
	v_lshlrev_b32_e32 v1, 1, v38
	v_add_lshl_u32 v86, v68, v1, 2
	v_and_b32_e32 v1, 1, v38
	v_add_co_u32_e32 v39, vcc, -1, v1
	v_addc_co_u32_e64 v41, s[4:5], 0, -1, vcc
	v_cmp_ne_u32_e32 vcc, 0, v1
	v_xor_b32_e32 v1, vcc_hi, v41
	v_and_b32_e32 v41, exec_hi, v1
	v_lshlrev_b32_e32 v1, 30, v38
	v_xor_b32_e32 v39, vcc_lo, v39
	v_cmp_gt_i64_e32 vcc, 0, v[0:1]
	v_not_b32_e32 v1, v1
	v_ashrrev_i32_e32 v1, 31, v1
	v_and_b32_e32 v39, exec_lo, v39
	v_xor_b32_e32 v69, vcc_hi, v1
	v_xor_b32_e32 v1, vcc_lo, v1
	v_and_b32_e32 v39, v39, v1
	v_lshlrev_b32_e32 v1, 29, v38
	v_cmp_gt_i64_e32 vcc, 0, v[0:1]
	v_not_b32_e32 v1, v1
	v_ashrrev_i32_e32 v1, 31, v1
	v_and_b32_e32 v41, v41, v69
	v_xor_b32_e32 v69, vcc_hi, v1
	v_xor_b32_e32 v1, vcc_lo, v1
	v_and_b32_e32 v39, v39, v1
	v_lshlrev_b32_e32 v1, 28, v38
	v_cmp_gt_i64_e32 vcc, 0, v[0:1]
	v_not_b32_e32 v1, v1
	v_ashrrev_i32_e32 v1, 31, v1
	v_and_b32_e32 v41, v41, v69
	;; [unrolled: 8-line block ×5, first 2 shown]
	v_xor_b32_e32 v69, vcc_hi, v1
	v_xor_b32_e32 v1, vcc_lo, v1
	v_and_b32_e32 v39, v39, v1
	v_lshlrev_b32_e32 v1, 24, v38
	v_cmp_gt_i64_e32 vcc, 0, v[0:1]
	v_not_b32_e32 v0, v1
	v_ashrrev_i32_e32 v0, 31, v0
	v_xor_b32_e32 v1, vcc_hi, v0
	v_xor_b32_e32 v0, vcc_lo, v0
	; wave barrier
	ds_read_b32 v85, v86 offset:8
	v_and_b32_e32 v41, v41, v69
	v_and_b32_e32 v0, v39, v0
	;; [unrolled: 1-line block ×3, first 2 shown]
	v_mbcnt_lo_u32_b32 v38, v0, 0
	v_mbcnt_hi_u32_b32 v87, v1, v38
	v_cmp_eq_u32_e32 vcc, 0, v87
	v_cmp_ne_u64_e64 s[4:5], 0, v[0:1]
	s_and_b64 s[18:19], s[4:5], vcc
	; wave barrier
	s_and_saveexec_b64 s[4:5], s[18:19]
	s_cbranch_execz .LBB252_37
; %bb.36:
	v_bcnt_u32_b32 v0, v0, 0
	v_bcnt_u32_b32 v0, v1, v0
	s_waitcnt lgkmcnt(0)
	v_add_u32_e32 v0, v85, v0
	ds_write_b32 v86, v0 offset:8
.LBB252_37:
	s_or_b64 exec, exec, s[4:5]
	v_mov_b32_e32 v41, 0xffff8000
	v_cmp_ne_u16_e32 vcc, s17, v77
	v_cndmask_b32_e32 v0, v41, v77, vcc
	v_and_b32_sdwa v38, s16, v0 dst_sel:DWORD dst_unused:UNUSED_PAD src0_sel:DWORD src1_sel:WORD_0
	v_and_b32_e32 v1, 1, v38
	v_add_co_u32_e32 v39, vcc, -1, v1
	v_addc_co_u32_e64 v69, s[4:5], 0, -1, vcc
	v_cmp_ne_u32_e32 vcc, 0, v1
	v_lshlrev_b32_e32 v0, 1, v38
	v_xor_b32_e32 v1, vcc_hi, v69
	v_add_lshl_u32 v89, v68, v0, 2
	v_mov_b32_e32 v0, 0
	v_and_b32_e32 v69, exec_hi, v1
	v_lshlrev_b32_e32 v1, 30, v38
	v_xor_b32_e32 v39, vcc_lo, v39
	v_cmp_gt_i64_e32 vcc, 0, v[0:1]
	v_not_b32_e32 v1, v1
	v_ashrrev_i32_e32 v1, 31, v1
	v_and_b32_e32 v39, exec_lo, v39
	v_xor_b32_e32 v70, vcc_hi, v1
	v_xor_b32_e32 v1, vcc_lo, v1
	v_and_b32_e32 v39, v39, v1
	v_lshlrev_b32_e32 v1, 29, v38
	v_cmp_gt_i64_e32 vcc, 0, v[0:1]
	v_not_b32_e32 v1, v1
	v_ashrrev_i32_e32 v1, 31, v1
	v_and_b32_e32 v69, v69, v70
	v_xor_b32_e32 v70, vcc_hi, v1
	v_xor_b32_e32 v1, vcc_lo, v1
	v_and_b32_e32 v39, v39, v1
	v_lshlrev_b32_e32 v1, 28, v38
	v_cmp_gt_i64_e32 vcc, 0, v[0:1]
	v_not_b32_e32 v1, v1
	v_ashrrev_i32_e32 v1, 31, v1
	v_and_b32_e32 v69, v69, v70
	;; [unrolled: 8-line block ×5, first 2 shown]
	v_xor_b32_e32 v70, vcc_hi, v1
	v_xor_b32_e32 v1, vcc_lo, v1
	v_and_b32_e32 v69, v69, v70
	v_and_b32_e32 v70, v39, v1
	v_lshlrev_b32_e32 v1, 24, v38
	v_cmp_gt_i64_e32 vcc, 0, v[0:1]
	v_not_b32_e32 v1, v1
	v_ashrrev_i32_e32 v1, 31, v1
	v_xor_b32_e32 v38, vcc_hi, v1
	v_xor_b32_e32 v1, vcc_lo, v1
	; wave barrier
	ds_read_b32 v88, v89 offset:8
	v_and_b32_e32 v39, v69, v38
	v_and_b32_e32 v38, v70, v1
	v_mbcnt_lo_u32_b32 v1, v38, 0
	v_mbcnt_hi_u32_b32 v90, v39, v1
	v_cmp_eq_u32_e32 vcc, 0, v90
	v_cmp_ne_u64_e64 s[4:5], 0, v[38:39]
	s_and_b64 s[18:19], s[4:5], vcc
	; wave barrier
	s_and_saveexec_b64 s[4:5], s[18:19]
	s_cbranch_execz .LBB252_39
; %bb.38:
	v_bcnt_u32_b32 v1, v38, 0
	v_bcnt_u32_b32 v1, v39, v1
	s_waitcnt lgkmcnt(0)
	v_add_u32_e32 v1, v88, v1
	ds_write_b32 v89, v1 offset:8
.LBB252_39:
	s_or_b64 exec, exec, s[4:5]
	v_cmp_ne_u16_e32 vcc, s17, v75
	v_cndmask_b32_e32 v1, v41, v75, vcc
	v_and_b32_sdwa v38, s16, v1 dst_sel:DWORD dst_unused:UNUSED_PAD src0_sel:DWORD src1_sel:WORD_0
	v_lshlrev_b32_e32 v1, 1, v38
	v_add_lshl_u32 v92, v68, v1, 2
	v_and_b32_e32 v1, 1, v38
	v_add_co_u32_e32 v39, vcc, -1, v1
	v_addc_co_u32_e64 v41, s[4:5], 0, -1, vcc
	v_cmp_ne_u32_e32 vcc, 0, v1
	v_xor_b32_e32 v1, vcc_hi, v41
	v_and_b32_e32 v41, exec_hi, v1
	v_lshlrev_b32_e32 v1, 30, v38
	v_xor_b32_e32 v39, vcc_lo, v39
	v_cmp_gt_i64_e32 vcc, 0, v[0:1]
	v_not_b32_e32 v1, v1
	v_ashrrev_i32_e32 v1, 31, v1
	v_and_b32_e32 v39, exec_lo, v39
	v_xor_b32_e32 v69, vcc_hi, v1
	v_xor_b32_e32 v1, vcc_lo, v1
	v_and_b32_e32 v39, v39, v1
	v_lshlrev_b32_e32 v1, 29, v38
	v_cmp_gt_i64_e32 vcc, 0, v[0:1]
	v_not_b32_e32 v1, v1
	v_ashrrev_i32_e32 v1, 31, v1
	v_and_b32_e32 v41, v41, v69
	v_xor_b32_e32 v69, vcc_hi, v1
	v_xor_b32_e32 v1, vcc_lo, v1
	v_and_b32_e32 v39, v39, v1
	v_lshlrev_b32_e32 v1, 28, v38
	v_cmp_gt_i64_e32 vcc, 0, v[0:1]
	v_not_b32_e32 v1, v1
	v_ashrrev_i32_e32 v1, 31, v1
	v_and_b32_e32 v41, v41, v69
	;; [unrolled: 8-line block ×5, first 2 shown]
	v_xor_b32_e32 v69, vcc_hi, v1
	v_xor_b32_e32 v1, vcc_lo, v1
	v_and_b32_e32 v39, v39, v1
	v_lshlrev_b32_e32 v1, 24, v38
	v_cmp_gt_i64_e32 vcc, 0, v[0:1]
	v_not_b32_e32 v0, v1
	v_ashrrev_i32_e32 v0, 31, v0
	v_xor_b32_e32 v1, vcc_hi, v0
	v_xor_b32_e32 v0, vcc_lo, v0
	; wave barrier
	ds_read_b32 v91, v92 offset:8
	v_and_b32_e32 v41, v41, v69
	v_and_b32_e32 v0, v39, v0
	;; [unrolled: 1-line block ×3, first 2 shown]
	v_mbcnt_lo_u32_b32 v38, v0, 0
	v_mbcnt_hi_u32_b32 v93, v1, v38
	v_cmp_eq_u32_e32 vcc, 0, v93
	v_cmp_ne_u64_e64 s[4:5], 0, v[0:1]
	s_and_b64 s[18:19], s[4:5], vcc
	; wave barrier
	s_and_saveexec_b64 s[4:5], s[18:19]
	s_cbranch_execz .LBB252_41
; %bb.40:
	v_bcnt_u32_b32 v0, v0, 0
	v_bcnt_u32_b32 v0, v1, v0
	s_waitcnt lgkmcnt(0)
	v_add_u32_e32 v0, v91, v0
	ds_write_b32 v92, v0 offset:8
.LBB252_41:
	s_or_b64 exec, exec, s[4:5]
	v_mov_b32_e32 v41, 0xffff8000
	v_cmp_ne_u16_e32 vcc, s17, v74
	v_cndmask_b32_e32 v0, v41, v74, vcc
	v_and_b32_sdwa v38, s16, v0 dst_sel:DWORD dst_unused:UNUSED_PAD src0_sel:DWORD src1_sel:WORD_0
	v_and_b32_e32 v1, 1, v38
	v_add_co_u32_e32 v39, vcc, -1, v1
	v_addc_co_u32_e64 v69, s[4:5], 0, -1, vcc
	v_cmp_ne_u32_e32 vcc, 0, v1
	v_lshlrev_b32_e32 v0, 1, v38
	v_xor_b32_e32 v1, vcc_hi, v69
	v_add_lshl_u32 v95, v68, v0, 2
	v_mov_b32_e32 v0, 0
	v_and_b32_e32 v69, exec_hi, v1
	v_lshlrev_b32_e32 v1, 30, v38
	v_xor_b32_e32 v39, vcc_lo, v39
	v_cmp_gt_i64_e32 vcc, 0, v[0:1]
	v_not_b32_e32 v1, v1
	v_ashrrev_i32_e32 v1, 31, v1
	v_and_b32_e32 v39, exec_lo, v39
	v_xor_b32_e32 v70, vcc_hi, v1
	v_xor_b32_e32 v1, vcc_lo, v1
	v_and_b32_e32 v39, v39, v1
	v_lshlrev_b32_e32 v1, 29, v38
	v_cmp_gt_i64_e32 vcc, 0, v[0:1]
	v_not_b32_e32 v1, v1
	v_ashrrev_i32_e32 v1, 31, v1
	v_and_b32_e32 v69, v69, v70
	v_xor_b32_e32 v70, vcc_hi, v1
	v_xor_b32_e32 v1, vcc_lo, v1
	v_and_b32_e32 v39, v39, v1
	v_lshlrev_b32_e32 v1, 28, v38
	v_cmp_gt_i64_e32 vcc, 0, v[0:1]
	v_not_b32_e32 v1, v1
	v_ashrrev_i32_e32 v1, 31, v1
	v_and_b32_e32 v69, v69, v70
	;; [unrolled: 8-line block ×5, first 2 shown]
	v_xor_b32_e32 v70, vcc_hi, v1
	v_xor_b32_e32 v1, vcc_lo, v1
	v_and_b32_e32 v69, v69, v70
	v_and_b32_e32 v70, v39, v1
	v_lshlrev_b32_e32 v1, 24, v38
	v_cmp_gt_i64_e32 vcc, 0, v[0:1]
	v_not_b32_e32 v1, v1
	v_ashrrev_i32_e32 v1, 31, v1
	v_xor_b32_e32 v38, vcc_hi, v1
	v_xor_b32_e32 v1, vcc_lo, v1
	; wave barrier
	ds_read_b32 v94, v95 offset:8
	v_and_b32_e32 v39, v69, v38
	v_and_b32_e32 v38, v70, v1
	v_mbcnt_lo_u32_b32 v1, v38, 0
	v_mbcnt_hi_u32_b32 v96, v39, v1
	v_cmp_eq_u32_e32 vcc, 0, v96
	v_cmp_ne_u64_e64 s[4:5], 0, v[38:39]
	s_and_b64 s[18:19], s[4:5], vcc
	; wave barrier
	s_and_saveexec_b64 s[4:5], s[18:19]
	s_cbranch_execz .LBB252_43
; %bb.42:
	v_bcnt_u32_b32 v1, v38, 0
	v_bcnt_u32_b32 v1, v39, v1
	s_waitcnt lgkmcnt(0)
	v_add_u32_e32 v1, v94, v1
	ds_write_b32 v95, v1 offset:8
.LBB252_43:
	s_or_b64 exec, exec, s[4:5]
	v_cmp_ne_u16_e32 vcc, s17, v73
	v_cndmask_b32_e32 v1, v41, v73, vcc
	v_and_b32_sdwa v38, s16, v1 dst_sel:DWORD dst_unused:UNUSED_PAD src0_sel:DWORD src1_sel:WORD_0
	v_lshlrev_b32_e32 v1, 1, v38
	v_add_lshl_u32 v98, v68, v1, 2
	v_and_b32_e32 v1, 1, v38
	v_add_co_u32_e32 v39, vcc, -1, v1
	v_addc_co_u32_e64 v41, s[4:5], 0, -1, vcc
	v_cmp_ne_u32_e32 vcc, 0, v1
	v_xor_b32_e32 v1, vcc_hi, v41
	v_and_b32_e32 v41, exec_hi, v1
	v_lshlrev_b32_e32 v1, 30, v38
	v_xor_b32_e32 v39, vcc_lo, v39
	v_cmp_gt_i64_e32 vcc, 0, v[0:1]
	v_not_b32_e32 v1, v1
	v_ashrrev_i32_e32 v1, 31, v1
	v_and_b32_e32 v39, exec_lo, v39
	v_xor_b32_e32 v69, vcc_hi, v1
	v_xor_b32_e32 v1, vcc_lo, v1
	v_and_b32_e32 v39, v39, v1
	v_lshlrev_b32_e32 v1, 29, v38
	v_cmp_gt_i64_e32 vcc, 0, v[0:1]
	v_not_b32_e32 v1, v1
	v_ashrrev_i32_e32 v1, 31, v1
	v_and_b32_e32 v41, v41, v69
	v_xor_b32_e32 v69, vcc_hi, v1
	v_xor_b32_e32 v1, vcc_lo, v1
	v_and_b32_e32 v39, v39, v1
	v_lshlrev_b32_e32 v1, 28, v38
	v_cmp_gt_i64_e32 vcc, 0, v[0:1]
	v_not_b32_e32 v1, v1
	v_ashrrev_i32_e32 v1, 31, v1
	v_and_b32_e32 v41, v41, v69
	v_xor_b32_e32 v69, vcc_hi, v1
	v_xor_b32_e32 v1, vcc_lo, v1
	v_and_b32_e32 v39, v39, v1
	v_lshlrev_b32_e32 v1, 27, v38
	v_cmp_gt_i64_e32 vcc, 0, v[0:1]
	v_not_b32_e32 v1, v1
	v_ashrrev_i32_e32 v1, 31, v1
	v_and_b32_e32 v41, v41, v69
	v_xor_b32_e32 v69, vcc_hi, v1
	v_xor_b32_e32 v1, vcc_lo, v1
	v_and_b32_e32 v39, v39, v1
	v_lshlrev_b32_e32 v1, 26, v38
	v_cmp_gt_i64_e32 vcc, 0, v[0:1]
	v_not_b32_e32 v1, v1
	v_ashrrev_i32_e32 v1, 31, v1
	v_and_b32_e32 v41, v41, v69
	v_xor_b32_e32 v69, vcc_hi, v1
	v_xor_b32_e32 v1, vcc_lo, v1
	v_and_b32_e32 v39, v39, v1
	v_lshlrev_b32_e32 v1, 25, v38
	v_cmp_gt_i64_e32 vcc, 0, v[0:1]
	v_not_b32_e32 v1, v1
	v_ashrrev_i32_e32 v1, 31, v1
	v_and_b32_e32 v41, v41, v69
	v_xor_b32_e32 v69, vcc_hi, v1
	v_xor_b32_e32 v1, vcc_lo, v1
	v_and_b32_e32 v39, v39, v1
	v_lshlrev_b32_e32 v1, 24, v38
	v_cmp_gt_i64_e32 vcc, 0, v[0:1]
	v_not_b32_e32 v0, v1
	v_ashrrev_i32_e32 v0, 31, v0
	v_xor_b32_e32 v1, vcc_hi, v0
	v_xor_b32_e32 v0, vcc_lo, v0
	; wave barrier
	ds_read_b32 v97, v98 offset:8
	v_and_b32_e32 v41, v41, v69
	v_and_b32_e32 v0, v39, v0
	;; [unrolled: 1-line block ×3, first 2 shown]
	v_mbcnt_lo_u32_b32 v38, v0, 0
	v_mbcnt_hi_u32_b32 v99, v1, v38
	v_cmp_eq_u32_e32 vcc, 0, v99
	v_cmp_ne_u64_e64 s[4:5], 0, v[0:1]
	s_and_b64 s[18:19], s[4:5], vcc
	; wave barrier
	s_and_saveexec_b64 s[4:5], s[18:19]
	s_cbranch_execz .LBB252_45
; %bb.44:
	v_bcnt_u32_b32 v0, v0, 0
	v_bcnt_u32_b32 v0, v1, v0
	s_waitcnt lgkmcnt(0)
	v_add_u32_e32 v0, v97, v0
	ds_write_b32 v98, v0 offset:8
.LBB252_45:
	s_or_b64 exec, exec, s[4:5]
	v_mov_b32_e32 v41, 0xffff8000
	v_cmp_ne_u16_e32 vcc, s17, v72
	v_cndmask_b32_e32 v0, v41, v72, vcc
	v_and_b32_sdwa v38, s16, v0 dst_sel:DWORD dst_unused:UNUSED_PAD src0_sel:DWORD src1_sel:WORD_0
	v_and_b32_e32 v1, 1, v38
	v_add_co_u32_e32 v39, vcc, -1, v1
	v_addc_co_u32_e64 v69, s[4:5], 0, -1, vcc
	v_cmp_ne_u32_e32 vcc, 0, v1
	v_lshlrev_b32_e32 v0, 1, v38
	v_xor_b32_e32 v1, vcc_hi, v69
	v_add_lshl_u32 v101, v68, v0, 2
	v_mov_b32_e32 v0, 0
	v_and_b32_e32 v69, exec_hi, v1
	v_lshlrev_b32_e32 v1, 30, v38
	v_xor_b32_e32 v39, vcc_lo, v39
	v_cmp_gt_i64_e32 vcc, 0, v[0:1]
	v_not_b32_e32 v1, v1
	v_ashrrev_i32_e32 v1, 31, v1
	v_and_b32_e32 v39, exec_lo, v39
	v_xor_b32_e32 v70, vcc_hi, v1
	v_xor_b32_e32 v1, vcc_lo, v1
	v_and_b32_e32 v39, v39, v1
	v_lshlrev_b32_e32 v1, 29, v38
	v_cmp_gt_i64_e32 vcc, 0, v[0:1]
	v_not_b32_e32 v1, v1
	v_ashrrev_i32_e32 v1, 31, v1
	v_and_b32_e32 v69, v69, v70
	v_xor_b32_e32 v70, vcc_hi, v1
	v_xor_b32_e32 v1, vcc_lo, v1
	v_and_b32_e32 v39, v39, v1
	v_lshlrev_b32_e32 v1, 28, v38
	v_cmp_gt_i64_e32 vcc, 0, v[0:1]
	v_not_b32_e32 v1, v1
	v_ashrrev_i32_e32 v1, 31, v1
	v_and_b32_e32 v69, v69, v70
	;; [unrolled: 8-line block ×5, first 2 shown]
	v_xor_b32_e32 v70, vcc_hi, v1
	v_xor_b32_e32 v1, vcc_lo, v1
	v_and_b32_e32 v69, v69, v70
	v_and_b32_e32 v70, v39, v1
	v_lshlrev_b32_e32 v1, 24, v38
	v_cmp_gt_i64_e32 vcc, 0, v[0:1]
	v_not_b32_e32 v1, v1
	v_ashrrev_i32_e32 v1, 31, v1
	v_xor_b32_e32 v38, vcc_hi, v1
	v_xor_b32_e32 v1, vcc_lo, v1
	; wave barrier
	ds_read_b32 v100, v101 offset:8
	v_and_b32_e32 v39, v69, v38
	v_and_b32_e32 v38, v70, v1
	v_mbcnt_lo_u32_b32 v1, v38, 0
	v_mbcnt_hi_u32_b32 v102, v39, v1
	v_cmp_eq_u32_e32 vcc, 0, v102
	v_cmp_ne_u64_e64 s[4:5], 0, v[38:39]
	s_and_b64 s[18:19], s[4:5], vcc
	; wave barrier
	s_and_saveexec_b64 s[4:5], s[18:19]
	s_cbranch_execz .LBB252_47
; %bb.46:
	v_bcnt_u32_b32 v1, v38, 0
	v_bcnt_u32_b32 v1, v39, v1
	s_waitcnt lgkmcnt(0)
	v_add_u32_e32 v1, v100, v1
	ds_write_b32 v101, v1 offset:8
.LBB252_47:
	s_or_b64 exec, exec, s[4:5]
	v_cmp_ne_u16_e32 vcc, s17, v71
	v_cndmask_b32_e32 v1, v41, v71, vcc
	v_and_b32_sdwa v38, s16, v1 dst_sel:DWORD dst_unused:UNUSED_PAD src0_sel:DWORD src1_sel:WORD_0
	v_lshlrev_b32_e32 v1, 1, v38
	v_add_lshl_u32 v104, v68, v1, 2
	v_and_b32_e32 v1, 1, v38
	v_add_co_u32_e32 v39, vcc, -1, v1
	v_min_u32_e32 v80, 64, v40
	v_addc_co_u32_e64 v40, s[4:5], 0, -1, vcc
	v_cmp_ne_u32_e32 vcc, 0, v1
	v_xor_b32_e32 v1, vcc_hi, v40
	v_and_b32_e32 v40, exec_hi, v1
	v_lshlrev_b32_e32 v1, 30, v38
	v_xor_b32_e32 v39, vcc_lo, v39
	v_cmp_gt_i64_e32 vcc, 0, v[0:1]
	v_not_b32_e32 v1, v1
	v_ashrrev_i32_e32 v1, 31, v1
	v_and_b32_e32 v39, exec_lo, v39
	v_xor_b32_e32 v41, vcc_hi, v1
	v_xor_b32_e32 v1, vcc_lo, v1
	v_and_b32_e32 v39, v39, v1
	v_lshlrev_b32_e32 v1, 29, v38
	v_cmp_gt_i64_e32 vcc, 0, v[0:1]
	v_not_b32_e32 v1, v1
	v_ashrrev_i32_e32 v1, 31, v1
	v_and_b32_e32 v40, v40, v41
	v_xor_b32_e32 v41, vcc_hi, v1
	v_xor_b32_e32 v1, vcc_lo, v1
	v_and_b32_e32 v39, v39, v1
	v_lshlrev_b32_e32 v1, 28, v38
	v_cmp_gt_i64_e32 vcc, 0, v[0:1]
	v_not_b32_e32 v1, v1
	v_ashrrev_i32_e32 v1, 31, v1
	v_and_b32_e32 v40, v40, v41
	;; [unrolled: 8-line block ×5, first 2 shown]
	v_xor_b32_e32 v41, vcc_hi, v1
	v_xor_b32_e32 v1, vcc_lo, v1
	v_and_b32_e32 v39, v39, v1
	v_lshlrev_b32_e32 v1, 24, v38
	v_cmp_gt_i64_e32 vcc, 0, v[0:1]
	v_not_b32_e32 v0, v1
	v_ashrrev_i32_e32 v0, 31, v0
	v_xor_b32_e32 v1, vcc_hi, v0
	v_xor_b32_e32 v0, vcc_lo, v0
	; wave barrier
	ds_read_b32 v103, v104 offset:8
	v_and_b32_e32 v40, v40, v41
	v_and_b32_e32 v0, v39, v0
	;; [unrolled: 1-line block ×3, first 2 shown]
	v_mbcnt_lo_u32_b32 v38, v0, 0
	v_mbcnt_hi_u32_b32 v105, v1, v38
	v_cmp_eq_u32_e32 vcc, 0, v105
	v_cmp_ne_u64_e64 s[4:5], 0, v[0:1]
	v_or_b32_e32 v69, 8, v64
	v_lshrrev_b32_e32 v70, 6, v46
	s_and_b64 s[16:17], s[4:5], vcc
	; wave barrier
	s_and_saveexec_b64 s[4:5], s[16:17]
	s_cbranch_execz .LBB252_49
; %bb.48:
	v_bcnt_u32_b32 v0, v0, 0
	v_bcnt_u32_b32 v0, v1, v0
	s_waitcnt lgkmcnt(0)
	v_add_u32_e32 v0, v103, v0
	ds_write_b32 v104, v0 offset:8
.LBB252_49:
	s_or_b64 exec, exec, s[4:5]
	; wave barrier
	s_waitcnt lgkmcnt(0)
	s_barrier
	ds_read2_b32 v[38:39], v64 offset0:2 offset1:3
	ds_read2_b32 v[40:41], v69 offset0:2 offset1:3
	v_and_b32_e32 v1, 16, v76
	v_cmp_eq_u32_e32 vcc, 0, v1
	v_or_b32_e32 v1, 63, v80
	v_cmp_eq_u32_e64 s[16:17], v1, v46
	s_waitcnt lgkmcnt(1)
	v_add_u32_e32 v1, v39, v38
	v_and_b32_e32 v0, 15, v76
	s_waitcnt lgkmcnt(0)
	v_add3_u32 v1, v1, v40, v41
	v_cmp_eq_u32_e64 s[20:21], 0, v0
	v_cmp_lt_u32_e64 s[22:23], 1, v0
	v_mov_b32_dpp v41, v1 row_shr:1 row_mask:0xf bank_mask:0xf
	v_cndmask_b32_e64 v41, v41, 0, s[20:21]
	v_add_u32_e32 v1, v41, v1
	v_cmp_lt_u32_e64 s[26:27], 3, v0
	v_cmp_lt_u32_e64 s[28:29], 7, v0
	v_mov_b32_dpp v41, v1 row_shr:2 row_mask:0xf bank_mask:0xf
	v_cndmask_b32_e64 v41, 0, v41, s[22:23]
	v_add_u32_e32 v1, v1, v41
	v_bfe_i32 v81, v76, 4, 1
	v_cmp_lt_u32_e64 s[34:35], 31, v76
	v_mov_b32_dpp v41, v1 row_shr:4 row_mask:0xf bank_mask:0xf
	v_cndmask_b32_e64 v41, 0, v41, s[26:27]
	v_add_u32_e32 v1, v1, v41
	v_lshlrev_b32_e32 v70, 2, v70
	s_nop 0
	v_mov_b32_dpp v41, v1 row_shr:8 row_mask:0xf bank_mask:0xf
	v_cndmask_b32_e64 v0, 0, v41, s[28:29]
	v_add_u32_e32 v0, v1, v0
	s_nop 1
	v_mov_b32_dpp v1, v0 row_bcast:15 row_mask:0xf bank_mask:0xf
	v_and_b32_e32 v1, v81, v1
	v_add_u32_e32 v0, v0, v1
	s_nop 1
	v_mov_b32_dpp v1, v0 row_bcast:31 row_mask:0xf bank_mask:0xf
	v_cndmask_b32_e64 v1, 0, v1, s[34:35]
	v_add_u32_e32 v1, v0, v1
	s_and_saveexec_b64 s[4:5], s[16:17]
	s_cbranch_execz .LBB252_51
; %bb.50:
	ds_write_b32 v70, v1
.LBB252_51:
	s_or_b64 exec, exec, s[4:5]
	v_and_b32_e32 v0, 1, v76
	v_cmp_gt_u32_e64 s[24:25], 2, v46
	v_lshlrev_b32_e32 v41, 2, v46
	v_cmp_eq_u32_e64 s[18:19], 0, v0
	s_waitcnt lgkmcnt(0)
	s_barrier
	s_and_saveexec_b64 s[4:5], s[24:25]
	s_cbranch_execz .LBB252_53
; %bb.52:
	ds_read_b32 v0, v41
	s_waitcnt lgkmcnt(0)
	s_nop 0
	v_mov_b32_dpp v80, v0 row_shr:1 row_mask:0xf bank_mask:0xf
	v_cndmask_b32_e64 v80, v80, 0, s[18:19]
	v_add_u32_e32 v0, v80, v0
	ds_write_b32 v41, v0
.LBB252_53:
	s_or_b64 exec, exec, s[4:5]
	v_cmp_lt_u32_e64 s[30:31], 63, v46
	v_add_u32_e32 v80, -4, v70
	v_mov_b32_e32 v0, 0
	v_mov_b32_e32 v106, 0
	s_waitcnt lgkmcnt(0)
	s_barrier
	s_and_saveexec_b64 s[4:5], s[30:31]
	s_cbranch_execz .LBB252_55
; %bb.54:
	ds_read_b32 v106, v80
.LBB252_55:
	s_or_b64 exec, exec, s[4:5]
	v_add_u32_e32 v81, -1, v76
	v_and_b32_e32 v107, 64, v76
	v_cmp_lt_i32_e64 s[4:5], v81, v107
	v_cndmask_b32_e64 v81, v81, v76, s[4:5]
	v_lshlrev_b32_e32 v81, 2, v81
	s_waitcnt lgkmcnt(0)
	v_add_u32_e32 v1, v106, v1
	ds_bpermute_b32 v1, v81, v1
	v_cmp_eq_u32_e64 s[36:37], 0, v76
	v_cmp_eq_u32_e64 s[38:39], 0, v46
	v_and_or_b32 v82, v76, 63, v82
	v_lshlrev_b32_e32 v107, 1, v82
	s_waitcnt lgkmcnt(0)
	v_cndmask_b32_e64 v1, v1, v106, s[36:37]
	v_cndmask_b32_e64 v1, v1, 0, s[38:39]
	v_add_u32_e32 v38, v1, v38
	v_add_u32_e32 v39, v38, v39
	;; [unrolled: 1-line block ×3, first 2 shown]
	ds_write2_b32 v64, v1, v38 offset0:2 offset1:3
	ds_write2_b32 v69, v39, v40 offset0:2 offset1:3
	s_waitcnt lgkmcnt(0)
	s_barrier
	ds_read_b32 v1, v83 offset:8
	ds_read_b32 v38, v86 offset:8
	;; [unrolled: 1-line block ×8, first 2 shown]
	s_waitcnt lgkmcnt(7)
	v_add_u32_e32 v1, v1, v84
	s_waitcnt lgkmcnt(6)
	v_add3_u32 v38, v87, v85, v38
	s_waitcnt lgkmcnt(4)
	v_add3_u32 v84, v93, v91, v40
	v_lshlrev_b32_e32 v40, 1, v1
	v_add3_u32 v39, v90, v88, v39
	s_waitcnt lgkmcnt(0)
	s_barrier
	ds_write_b16 v40, v79
	v_lshlrev_b32_e32 v40, 1, v38
	ds_write_b16 v40, v78
	v_lshlrev_b32_e32 v40, 1, v39
	v_add3_u32 v85, v96, v94, v76
	ds_write_b16 v40, v77
	v_lshlrev_b32_e32 v40, 1, v84
	v_add3_u32 v83, v99, v97, v83
	;; [unrolled: 3-line block ×4, first 2 shown]
	ds_write_b16 v40, v73
	v_lshlrev_b32_e32 v40, 1, v86
	ds_write_b16 v40, v72
	v_lshlrev_b32_e32 v40, 1, v87
	v_lshlrev_b32_e32 v1, 3, v1
	ds_write_b16 v40, v71
	s_waitcnt lgkmcnt(0)
	s_barrier
	ds_read_u16 v77, v107
	ds_read_u16 v76, v107 offset:128
	ds_read_u16 v75, v107 offset:256
	;; [unrolled: 1-line block ×7, first 2 shown]
	s_waitcnt lgkmcnt(0)
	s_barrier
	ds_write_b64 v1, v[34:35]
	v_lshlrev_b32_e32 v1, 3, v38
	ds_write_b64 v1, v[36:37]
	v_lshlrev_b32_e32 v1, 3, v39
	ds_write_b64 v1, v[30:31]
	v_lshlrev_b32_e32 v1, 3, v84
	ds_write_b64 v1, v[32:33]
	v_lshlrev_b32_e32 v1, 3, v85
	ds_write_b64 v1, v[26:27]
	v_lshlrev_b32_e32 v1, 3, v83
	ds_write_b64 v1, v[28:29]
	v_lshlrev_b32_e32 v1, 3, v86
	s_min_u32 s4, s42, 8
	ds_write_b64 v1, v[22:23]
	v_lshlrev_b32_e32 v1, 3, v87
	s_lshl_b32 s4, -1, s4
	s_movk_i32 s52, 0x7fff
	ds_write_b64 v1, v[24:25]
	s_not_b32 s49, s4
	v_lshrrev_b16_e32 v1, 8, v77
	v_mov_b32_e32 v38, 0x80
	v_cmp_ne_u16_e64 s[4:5], s52, v77
	v_cndmask_b32_e64 v1, v38, v1, s[4:5]
	v_and_b32_sdwa v39, v1, s49 dst_sel:DWORD dst_unused:UNUSED_PAD src0_sel:WORD_0 src1_sel:DWORD
	v_lshlrev_b32_e32 v1, 1, v39
	v_add_lshl_u32 v78, v1, v68, 2
	v_and_b32_e32 v1, 1, v39
	v_lshlrev_b32_e32 v82, 3, v82
	v_add_co_u32_e64 v79, s[4:5], -1, v1
	s_waitcnt lgkmcnt(0)
	s_barrier
	ds_read2st64_b64 v[34:37], v82 offset1:1
	ds_read2st64_b64 v[30:33], v82 offset0:2 offset1:3
	ds_read2st64_b64 v[26:29], v82 offset0:4 offset1:5
	;; [unrolled: 1-line block ×3, first 2 shown]
	v_addc_co_u32_e64 v82, s[4:5], 0, -1, s[4:5]
	v_cmp_ne_u32_e64 s[4:5], 0, v1
	v_xor_b32_e32 v1, s5, v82
	v_and_b32_e32 v82, exec_hi, v1
	v_lshlrev_b32_e32 v1, 30, v39
	v_xor_b32_e32 v79, s4, v79
	v_cmp_gt_i64_e64 s[4:5], 0, v[0:1]
	v_not_b32_e32 v1, v1
	v_ashrrev_i32_e32 v1, 31, v1
	v_and_b32_e32 v79, exec_lo, v79
	v_xor_b32_e32 v83, s5, v1
	v_xor_b32_e32 v1, s4, v1
	v_and_b32_e32 v79, v79, v1
	v_lshlrev_b32_e32 v1, 29, v39
	v_cmp_gt_i64_e64 s[4:5], 0, v[0:1]
	v_not_b32_e32 v1, v1
	v_ashrrev_i32_e32 v1, 31, v1
	v_and_b32_e32 v82, v82, v83
	v_xor_b32_e32 v83, s5, v1
	v_xor_b32_e32 v1, s4, v1
	v_and_b32_e32 v79, v79, v1
	v_lshlrev_b32_e32 v1, 28, v39
	v_cmp_gt_i64_e64 s[4:5], 0, v[0:1]
	v_not_b32_e32 v1, v1
	v_ashrrev_i32_e32 v1, 31, v1
	v_and_b32_e32 v82, v82, v83
	;; [unrolled: 8-line block ×5, first 2 shown]
	v_xor_b32_e32 v83, s5, v1
	v_xor_b32_e32 v1, s4, v1
	v_and_b32_e32 v79, v79, v1
	v_lshlrev_b32_e32 v1, 24, v39
	s_waitcnt lgkmcnt(0)
	s_barrier
	ds_write2_b32 v64, v0, v0 offset0:2 offset1:3
	ds_write2_b32 v69, v0, v0 offset0:2 offset1:3
	v_cmp_gt_i64_e64 s[4:5], 0, v[0:1]
	v_not_b32_e32 v0, v1
	v_ashrrev_i32_e32 v0, 31, v0
	v_xor_b32_e32 v1, s5, v0
	v_xor_b32_e32 v0, s4, v0
	v_and_b32_e32 v82, v82, v83
	v_and_b32_e32 v0, v79, v0
	;; [unrolled: 1-line block ×3, first 2 shown]
	v_mbcnt_lo_u32_b32 v39, v0, 0
	v_mbcnt_hi_u32_b32 v79, v1, v39
	v_cmp_eq_u32_e64 s[4:5], 0, v79
	v_cmp_ne_u64_e64 s[42:43], 0, v[0:1]
	s_and_b64 s[42:43], s[42:43], s[4:5]
	s_waitcnt lgkmcnt(0)
	s_barrier
	s_waitcnt lgkmcnt(0)
	; wave barrier
	s_and_saveexec_b64 s[4:5], s[42:43]
	s_cbranch_execz .LBB252_57
; %bb.56:
	v_bcnt_u32_b32 v0, v0, 0
	v_bcnt_u32_b32 v0, v1, v0
	ds_write_b32 v78, v0 offset:8
.LBB252_57:
	s_or_b64 exec, exec, s[4:5]
	v_lshrrev_b16_e32 v0, 8, v76
	v_cmp_ne_u16_e64 s[4:5], s52, v76
	v_cndmask_b32_e64 v0, v38, v0, s[4:5]
	v_and_b32_e32 v38, s49, v0
	v_and_b32_e32 v1, 1, v38
	v_add_co_u32_e64 v39, s[4:5], -1, v1
	v_addc_co_u32_e64 v84, s[4:5], 0, -1, s[4:5]
	v_cmp_ne_u32_e64 s[4:5], 0, v1
	v_lshlrev_b32_e32 v0, 1, v38
	v_xor_b32_e32 v1, s5, v84
	v_add_lshl_u32 v83, v0, v68, 2
	v_mov_b32_e32 v0, 0
	v_and_b32_e32 v84, exec_hi, v1
	v_lshlrev_b32_e32 v1, 30, v38
	v_xor_b32_e32 v39, s4, v39
	v_cmp_gt_i64_e64 s[4:5], 0, v[0:1]
	v_not_b32_e32 v1, v1
	v_ashrrev_i32_e32 v1, 31, v1
	v_and_b32_e32 v39, exec_lo, v39
	v_xor_b32_e32 v85, s5, v1
	v_xor_b32_e32 v1, s4, v1
	v_and_b32_e32 v39, v39, v1
	v_lshlrev_b32_e32 v1, 29, v38
	v_cmp_gt_i64_e64 s[4:5], 0, v[0:1]
	v_not_b32_e32 v1, v1
	v_ashrrev_i32_e32 v1, 31, v1
	v_and_b32_e32 v84, v84, v85
	v_xor_b32_e32 v85, s5, v1
	v_xor_b32_e32 v1, s4, v1
	v_and_b32_e32 v39, v39, v1
	v_lshlrev_b32_e32 v1, 28, v38
	v_cmp_gt_i64_e64 s[4:5], 0, v[0:1]
	v_not_b32_e32 v1, v1
	v_ashrrev_i32_e32 v1, 31, v1
	v_and_b32_e32 v84, v84, v85
	;; [unrolled: 8-line block ×5, first 2 shown]
	v_xor_b32_e32 v85, s5, v1
	v_xor_b32_e32 v1, s4, v1
	v_and_b32_e32 v84, v84, v85
	v_and_b32_e32 v85, v39, v1
	v_lshlrev_b32_e32 v1, 24, v38
	v_cmp_gt_i64_e64 s[4:5], 0, v[0:1]
	v_not_b32_e32 v1, v1
	v_ashrrev_i32_e32 v1, 31, v1
	v_xor_b32_e32 v38, s5, v1
	v_xor_b32_e32 v1, s4, v1
	; wave barrier
	ds_read_b32 v82, v83 offset:8
	v_and_b32_e32 v39, v84, v38
	v_and_b32_e32 v38, v85, v1
	v_mbcnt_lo_u32_b32 v1, v38, 0
	v_mbcnt_hi_u32_b32 v84, v39, v1
	v_cmp_eq_u32_e64 s[4:5], 0, v84
	v_cmp_ne_u64_e64 s[42:43], 0, v[38:39]
	s_and_b64 s[42:43], s[42:43], s[4:5]
	; wave barrier
	s_and_saveexec_b64 s[4:5], s[42:43]
	s_cbranch_execz .LBB252_59
; %bb.58:
	v_bcnt_u32_b32 v1, v38, 0
	v_bcnt_u32_b32 v1, v39, v1
	s_waitcnt lgkmcnt(0)
	v_add_u32_e32 v1, v82, v1
	ds_write_b32 v83, v1 offset:8
.LBB252_59:
	s_or_b64 exec, exec, s[4:5]
	v_lshrrev_b16_e32 v1, 8, v75
	v_mov_b32_e32 v38, 0x80
	v_cmp_ne_u16_e64 s[4:5], s52, v75
	v_cndmask_b32_e64 v1, v38, v1, s[4:5]
	v_and_b32_e32 v39, s49, v1
	v_lshlrev_b32_e32 v1, 1, v39
	v_add_lshl_u32 v86, v1, v68, 2
	v_and_b32_e32 v1, 1, v39
	v_add_co_u32_e64 v87, s[4:5], -1, v1
	v_addc_co_u32_e64 v88, s[4:5], 0, -1, s[4:5]
	v_cmp_ne_u32_e64 s[4:5], 0, v1
	v_xor_b32_e32 v1, s5, v88
	v_and_b32_e32 v88, exec_hi, v1
	v_lshlrev_b32_e32 v1, 30, v39
	v_xor_b32_e32 v87, s4, v87
	v_cmp_gt_i64_e64 s[4:5], 0, v[0:1]
	v_not_b32_e32 v1, v1
	v_ashrrev_i32_e32 v1, 31, v1
	v_and_b32_e32 v87, exec_lo, v87
	v_xor_b32_e32 v89, s5, v1
	v_xor_b32_e32 v1, s4, v1
	v_and_b32_e32 v87, v87, v1
	v_lshlrev_b32_e32 v1, 29, v39
	v_cmp_gt_i64_e64 s[4:5], 0, v[0:1]
	v_not_b32_e32 v1, v1
	v_ashrrev_i32_e32 v1, 31, v1
	v_and_b32_e32 v88, v88, v89
	v_xor_b32_e32 v89, s5, v1
	v_xor_b32_e32 v1, s4, v1
	v_and_b32_e32 v87, v87, v1
	v_lshlrev_b32_e32 v1, 28, v39
	v_cmp_gt_i64_e64 s[4:5], 0, v[0:1]
	v_not_b32_e32 v1, v1
	v_ashrrev_i32_e32 v1, 31, v1
	v_and_b32_e32 v88, v88, v89
	;; [unrolled: 8-line block ×5, first 2 shown]
	v_xor_b32_e32 v89, s5, v1
	v_xor_b32_e32 v1, s4, v1
	v_and_b32_e32 v87, v87, v1
	v_lshlrev_b32_e32 v1, 24, v39
	v_cmp_gt_i64_e64 s[4:5], 0, v[0:1]
	v_not_b32_e32 v0, v1
	v_ashrrev_i32_e32 v0, 31, v0
	v_xor_b32_e32 v1, s5, v0
	v_xor_b32_e32 v0, s4, v0
	; wave barrier
	ds_read_b32 v85, v86 offset:8
	v_and_b32_e32 v88, v88, v89
	v_and_b32_e32 v0, v87, v0
	;; [unrolled: 1-line block ×3, first 2 shown]
	v_mbcnt_lo_u32_b32 v39, v0, 0
	v_mbcnt_hi_u32_b32 v87, v1, v39
	v_cmp_eq_u32_e64 s[4:5], 0, v87
	v_cmp_ne_u64_e64 s[42:43], 0, v[0:1]
	s_and_b64 s[42:43], s[42:43], s[4:5]
	; wave barrier
	s_and_saveexec_b64 s[4:5], s[42:43]
	s_cbranch_execz .LBB252_61
; %bb.60:
	v_bcnt_u32_b32 v0, v0, 0
	v_bcnt_u32_b32 v0, v1, v0
	s_waitcnt lgkmcnt(0)
	v_add_u32_e32 v0, v85, v0
	ds_write_b32 v86, v0 offset:8
.LBB252_61:
	s_or_b64 exec, exec, s[4:5]
	v_lshrrev_b16_e32 v0, 8, v74
	v_cmp_ne_u16_e64 s[4:5], s52, v74
	v_cndmask_b32_e64 v0, v38, v0, s[4:5]
	v_and_b32_e32 v38, s49, v0
	v_and_b32_e32 v1, 1, v38
	v_add_co_u32_e64 v39, s[4:5], -1, v1
	v_addc_co_u32_e64 v90, s[4:5], 0, -1, s[4:5]
	v_cmp_ne_u32_e64 s[4:5], 0, v1
	v_lshlrev_b32_e32 v0, 1, v38
	v_xor_b32_e32 v1, s5, v90
	v_add_lshl_u32 v89, v0, v68, 2
	v_mov_b32_e32 v0, 0
	v_and_b32_e32 v90, exec_hi, v1
	v_lshlrev_b32_e32 v1, 30, v38
	v_xor_b32_e32 v39, s4, v39
	v_cmp_gt_i64_e64 s[4:5], 0, v[0:1]
	v_not_b32_e32 v1, v1
	v_ashrrev_i32_e32 v1, 31, v1
	v_and_b32_e32 v39, exec_lo, v39
	v_xor_b32_e32 v91, s5, v1
	v_xor_b32_e32 v1, s4, v1
	v_and_b32_e32 v39, v39, v1
	v_lshlrev_b32_e32 v1, 29, v38
	v_cmp_gt_i64_e64 s[4:5], 0, v[0:1]
	v_not_b32_e32 v1, v1
	v_ashrrev_i32_e32 v1, 31, v1
	v_and_b32_e32 v90, v90, v91
	v_xor_b32_e32 v91, s5, v1
	v_xor_b32_e32 v1, s4, v1
	v_and_b32_e32 v39, v39, v1
	v_lshlrev_b32_e32 v1, 28, v38
	v_cmp_gt_i64_e64 s[4:5], 0, v[0:1]
	v_not_b32_e32 v1, v1
	v_ashrrev_i32_e32 v1, 31, v1
	v_and_b32_e32 v90, v90, v91
	;; [unrolled: 8-line block ×5, first 2 shown]
	v_xor_b32_e32 v91, s5, v1
	v_xor_b32_e32 v1, s4, v1
	v_and_b32_e32 v90, v90, v91
	v_and_b32_e32 v91, v39, v1
	v_lshlrev_b32_e32 v1, 24, v38
	v_cmp_gt_i64_e64 s[4:5], 0, v[0:1]
	v_not_b32_e32 v1, v1
	v_ashrrev_i32_e32 v1, 31, v1
	v_xor_b32_e32 v38, s5, v1
	v_xor_b32_e32 v1, s4, v1
	; wave barrier
	ds_read_b32 v88, v89 offset:8
	v_and_b32_e32 v39, v90, v38
	v_and_b32_e32 v38, v91, v1
	v_mbcnt_lo_u32_b32 v1, v38, 0
	v_mbcnt_hi_u32_b32 v90, v39, v1
	v_cmp_eq_u32_e64 s[4:5], 0, v90
	v_cmp_ne_u64_e64 s[42:43], 0, v[38:39]
	s_and_b64 s[42:43], s[42:43], s[4:5]
	; wave barrier
	s_and_saveexec_b64 s[4:5], s[42:43]
	s_cbranch_execz .LBB252_63
; %bb.62:
	v_bcnt_u32_b32 v1, v38, 0
	v_bcnt_u32_b32 v1, v39, v1
	s_waitcnt lgkmcnt(0)
	v_add_u32_e32 v1, v88, v1
	ds_write_b32 v89, v1 offset:8
.LBB252_63:
	s_or_b64 exec, exec, s[4:5]
	v_lshrrev_b16_e32 v1, 8, v73
	v_mov_b32_e32 v38, 0x80
	v_cmp_ne_u16_e64 s[4:5], s52, v73
	v_cndmask_b32_e64 v1, v38, v1, s[4:5]
	v_and_b32_e32 v39, s49, v1
	v_lshlrev_b32_e32 v1, 1, v39
	v_add_lshl_u32 v92, v1, v68, 2
	v_and_b32_e32 v1, 1, v39
	v_add_co_u32_e64 v93, s[4:5], -1, v1
	v_addc_co_u32_e64 v94, s[4:5], 0, -1, s[4:5]
	v_cmp_ne_u32_e64 s[4:5], 0, v1
	v_xor_b32_e32 v1, s5, v94
	v_and_b32_e32 v94, exec_hi, v1
	v_lshlrev_b32_e32 v1, 30, v39
	v_xor_b32_e32 v93, s4, v93
	v_cmp_gt_i64_e64 s[4:5], 0, v[0:1]
	v_not_b32_e32 v1, v1
	v_ashrrev_i32_e32 v1, 31, v1
	v_and_b32_e32 v93, exec_lo, v93
	v_xor_b32_e32 v95, s5, v1
	v_xor_b32_e32 v1, s4, v1
	v_and_b32_e32 v93, v93, v1
	v_lshlrev_b32_e32 v1, 29, v39
	v_cmp_gt_i64_e64 s[4:5], 0, v[0:1]
	v_not_b32_e32 v1, v1
	v_ashrrev_i32_e32 v1, 31, v1
	v_and_b32_e32 v94, v94, v95
	v_xor_b32_e32 v95, s5, v1
	v_xor_b32_e32 v1, s4, v1
	v_and_b32_e32 v93, v93, v1
	v_lshlrev_b32_e32 v1, 28, v39
	v_cmp_gt_i64_e64 s[4:5], 0, v[0:1]
	v_not_b32_e32 v1, v1
	v_ashrrev_i32_e32 v1, 31, v1
	v_and_b32_e32 v94, v94, v95
	;; [unrolled: 8-line block ×5, first 2 shown]
	v_xor_b32_e32 v95, s5, v1
	v_xor_b32_e32 v1, s4, v1
	v_and_b32_e32 v93, v93, v1
	v_lshlrev_b32_e32 v1, 24, v39
	v_cmp_gt_i64_e64 s[4:5], 0, v[0:1]
	v_not_b32_e32 v0, v1
	v_ashrrev_i32_e32 v0, 31, v0
	v_xor_b32_e32 v1, s5, v0
	v_xor_b32_e32 v0, s4, v0
	; wave barrier
	ds_read_b32 v91, v92 offset:8
	v_and_b32_e32 v94, v94, v95
	v_and_b32_e32 v0, v93, v0
	;; [unrolled: 1-line block ×3, first 2 shown]
	v_mbcnt_lo_u32_b32 v39, v0, 0
	v_mbcnt_hi_u32_b32 v93, v1, v39
	v_cmp_eq_u32_e64 s[4:5], 0, v93
	v_cmp_ne_u64_e64 s[42:43], 0, v[0:1]
	s_and_b64 s[42:43], s[42:43], s[4:5]
	; wave barrier
	s_and_saveexec_b64 s[4:5], s[42:43]
	s_cbranch_execz .LBB252_65
; %bb.64:
	v_bcnt_u32_b32 v0, v0, 0
	v_bcnt_u32_b32 v0, v1, v0
	s_waitcnt lgkmcnt(0)
	v_add_u32_e32 v0, v91, v0
	ds_write_b32 v92, v0 offset:8
.LBB252_65:
	s_or_b64 exec, exec, s[4:5]
	v_lshrrev_b16_e32 v0, 8, v72
	v_cmp_ne_u16_e64 s[4:5], s52, v72
	v_cndmask_b32_e64 v0, v38, v0, s[4:5]
	v_and_b32_e32 v38, s49, v0
	v_and_b32_e32 v1, 1, v38
	v_add_co_u32_e64 v39, s[4:5], -1, v1
	v_addc_co_u32_e64 v96, s[4:5], 0, -1, s[4:5]
	v_cmp_ne_u32_e64 s[4:5], 0, v1
	v_lshlrev_b32_e32 v0, 1, v38
	v_xor_b32_e32 v1, s5, v96
	v_add_lshl_u32 v95, v0, v68, 2
	v_mov_b32_e32 v0, 0
	v_and_b32_e32 v96, exec_hi, v1
	v_lshlrev_b32_e32 v1, 30, v38
	v_xor_b32_e32 v39, s4, v39
	v_cmp_gt_i64_e64 s[4:5], 0, v[0:1]
	v_not_b32_e32 v1, v1
	v_ashrrev_i32_e32 v1, 31, v1
	v_and_b32_e32 v39, exec_lo, v39
	v_xor_b32_e32 v97, s5, v1
	v_xor_b32_e32 v1, s4, v1
	v_and_b32_e32 v39, v39, v1
	v_lshlrev_b32_e32 v1, 29, v38
	v_cmp_gt_i64_e64 s[4:5], 0, v[0:1]
	v_not_b32_e32 v1, v1
	v_ashrrev_i32_e32 v1, 31, v1
	v_and_b32_e32 v96, v96, v97
	v_xor_b32_e32 v97, s5, v1
	v_xor_b32_e32 v1, s4, v1
	v_and_b32_e32 v39, v39, v1
	v_lshlrev_b32_e32 v1, 28, v38
	v_cmp_gt_i64_e64 s[4:5], 0, v[0:1]
	v_not_b32_e32 v1, v1
	v_ashrrev_i32_e32 v1, 31, v1
	v_and_b32_e32 v96, v96, v97
	;; [unrolled: 8-line block ×5, first 2 shown]
	v_xor_b32_e32 v97, s5, v1
	v_xor_b32_e32 v1, s4, v1
	v_and_b32_e32 v96, v96, v97
	v_and_b32_e32 v97, v39, v1
	v_lshlrev_b32_e32 v1, 24, v38
	v_cmp_gt_i64_e64 s[4:5], 0, v[0:1]
	v_not_b32_e32 v1, v1
	v_ashrrev_i32_e32 v1, 31, v1
	v_xor_b32_e32 v38, s5, v1
	v_xor_b32_e32 v1, s4, v1
	; wave barrier
	ds_read_b32 v94, v95 offset:8
	v_and_b32_e32 v39, v96, v38
	v_and_b32_e32 v38, v97, v1
	v_mbcnt_lo_u32_b32 v1, v38, 0
	v_mbcnt_hi_u32_b32 v96, v39, v1
	v_cmp_eq_u32_e64 s[4:5], 0, v96
	v_cmp_ne_u64_e64 s[42:43], 0, v[38:39]
	s_and_b64 s[42:43], s[42:43], s[4:5]
	; wave barrier
	s_and_saveexec_b64 s[4:5], s[42:43]
	s_cbranch_execz .LBB252_67
; %bb.66:
	v_bcnt_u32_b32 v1, v38, 0
	v_bcnt_u32_b32 v1, v39, v1
	s_waitcnt lgkmcnt(0)
	v_add_u32_e32 v1, v94, v1
	ds_write_b32 v95, v1 offset:8
.LBB252_67:
	s_or_b64 exec, exec, s[4:5]
	v_lshrrev_b16_e32 v1, 8, v71
	v_mov_b32_e32 v38, 0x80
	v_cmp_ne_u16_e64 s[4:5], s52, v71
	v_cndmask_b32_e64 v1, v38, v1, s[4:5]
	v_and_b32_e32 v39, s49, v1
	v_lshlrev_b32_e32 v1, 1, v39
	v_add_lshl_u32 v98, v1, v68, 2
	v_and_b32_e32 v1, 1, v39
	v_add_co_u32_e64 v99, s[4:5], -1, v1
	v_addc_co_u32_e64 v100, s[4:5], 0, -1, s[4:5]
	v_cmp_ne_u32_e64 s[4:5], 0, v1
	v_xor_b32_e32 v1, s5, v100
	v_and_b32_e32 v100, exec_hi, v1
	v_lshlrev_b32_e32 v1, 30, v39
	v_xor_b32_e32 v99, s4, v99
	v_cmp_gt_i64_e64 s[4:5], 0, v[0:1]
	v_not_b32_e32 v1, v1
	v_ashrrev_i32_e32 v1, 31, v1
	v_and_b32_e32 v99, exec_lo, v99
	v_xor_b32_e32 v101, s5, v1
	v_xor_b32_e32 v1, s4, v1
	v_and_b32_e32 v99, v99, v1
	v_lshlrev_b32_e32 v1, 29, v39
	v_cmp_gt_i64_e64 s[4:5], 0, v[0:1]
	v_not_b32_e32 v1, v1
	v_ashrrev_i32_e32 v1, 31, v1
	v_and_b32_e32 v100, v100, v101
	v_xor_b32_e32 v101, s5, v1
	v_xor_b32_e32 v1, s4, v1
	v_and_b32_e32 v99, v99, v1
	v_lshlrev_b32_e32 v1, 28, v39
	v_cmp_gt_i64_e64 s[4:5], 0, v[0:1]
	v_not_b32_e32 v1, v1
	v_ashrrev_i32_e32 v1, 31, v1
	v_and_b32_e32 v100, v100, v101
	;; [unrolled: 8-line block ×5, first 2 shown]
	v_xor_b32_e32 v101, s5, v1
	v_xor_b32_e32 v1, s4, v1
	v_and_b32_e32 v99, v99, v1
	v_lshlrev_b32_e32 v1, 24, v39
	v_cmp_gt_i64_e64 s[4:5], 0, v[0:1]
	v_not_b32_e32 v0, v1
	v_ashrrev_i32_e32 v0, 31, v0
	v_xor_b32_e32 v1, s5, v0
	v_xor_b32_e32 v0, s4, v0
	; wave barrier
	ds_read_b32 v97, v98 offset:8
	v_and_b32_e32 v100, v100, v101
	v_and_b32_e32 v0, v99, v0
	;; [unrolled: 1-line block ×3, first 2 shown]
	v_mbcnt_lo_u32_b32 v39, v0, 0
	v_mbcnt_hi_u32_b32 v99, v1, v39
	v_cmp_eq_u32_e64 s[4:5], 0, v99
	v_cmp_ne_u64_e64 s[42:43], 0, v[0:1]
	s_and_b64 s[42:43], s[42:43], s[4:5]
	; wave barrier
	s_and_saveexec_b64 s[4:5], s[42:43]
	s_cbranch_execz .LBB252_69
; %bb.68:
	v_bcnt_u32_b32 v0, v0, 0
	v_bcnt_u32_b32 v0, v1, v0
	s_waitcnt lgkmcnt(0)
	v_add_u32_e32 v0, v97, v0
	ds_write_b32 v98, v0 offset:8
.LBB252_69:
	s_or_b64 exec, exec, s[4:5]
	v_lshrrev_b16_e32 v0, 8, v40
	v_cmp_ne_u16_e64 s[4:5], s52, v40
	v_cndmask_b32_e64 v0, v38, v0, s[4:5]
	v_and_b32_e32 v38, s49, v0
	v_and_b32_e32 v1, 1, v38
	v_add_co_u32_e64 v39, s[4:5], -1, v1
	v_addc_co_u32_e64 v101, s[4:5], 0, -1, s[4:5]
	v_cmp_ne_u32_e64 s[4:5], 0, v1
	v_lshlrev_b32_e32 v0, 1, v38
	v_xor_b32_e32 v1, s5, v101
	v_add_lshl_u32 v100, v0, v68, 2
	v_mov_b32_e32 v0, 0
	v_and_b32_e32 v101, exec_hi, v1
	v_lshlrev_b32_e32 v1, 30, v38
	v_xor_b32_e32 v39, s4, v39
	v_cmp_gt_i64_e64 s[4:5], 0, v[0:1]
	v_not_b32_e32 v1, v1
	v_ashrrev_i32_e32 v1, 31, v1
	v_and_b32_e32 v39, exec_lo, v39
	v_xor_b32_e32 v102, s5, v1
	v_xor_b32_e32 v1, s4, v1
	v_and_b32_e32 v39, v39, v1
	v_lshlrev_b32_e32 v1, 29, v38
	v_cmp_gt_i64_e64 s[4:5], 0, v[0:1]
	v_not_b32_e32 v1, v1
	v_ashrrev_i32_e32 v1, 31, v1
	v_and_b32_e32 v101, v101, v102
	v_xor_b32_e32 v102, s5, v1
	v_xor_b32_e32 v1, s4, v1
	v_and_b32_e32 v39, v39, v1
	v_lshlrev_b32_e32 v1, 28, v38
	v_cmp_gt_i64_e64 s[4:5], 0, v[0:1]
	v_not_b32_e32 v1, v1
	v_ashrrev_i32_e32 v1, 31, v1
	v_and_b32_e32 v101, v101, v102
	;; [unrolled: 8-line block ×5, first 2 shown]
	v_xor_b32_e32 v102, s5, v1
	v_xor_b32_e32 v1, s4, v1
	v_and_b32_e32 v39, v39, v1
	v_lshlrev_b32_e32 v1, 24, v38
	v_cmp_gt_i64_e64 s[4:5], 0, v[0:1]
	v_not_b32_e32 v0, v1
	v_ashrrev_i32_e32 v0, 31, v0
	v_xor_b32_e32 v1, s5, v0
	v_xor_b32_e32 v0, s4, v0
	; wave barrier
	ds_read_b32 v68, v100 offset:8
	v_and_b32_e32 v101, v101, v102
	v_and_b32_e32 v0, v39, v0
	v_and_b32_e32 v1, v101, v1
	v_mbcnt_lo_u32_b32 v38, v0, 0
	v_mbcnt_hi_u32_b32 v101, v1, v38
	v_cmp_eq_u32_e64 s[4:5], 0, v101
	v_cmp_ne_u64_e64 s[42:43], 0, v[0:1]
	s_and_b64 s[42:43], s[42:43], s[4:5]
	; wave barrier
	s_and_saveexec_b64 s[4:5], s[42:43]
	s_cbranch_execz .LBB252_71
; %bb.70:
	v_bcnt_u32_b32 v0, v0, 0
	v_bcnt_u32_b32 v0, v1, v0
	s_waitcnt lgkmcnt(0)
	v_add_u32_e32 v0, v68, v0
	ds_write_b32 v100, v0 offset:8
.LBB252_71:
	s_or_b64 exec, exec, s[4:5]
	; wave barrier
	s_waitcnt lgkmcnt(0)
	s_barrier
	ds_read2_b32 v[38:39], v64 offset0:2 offset1:3
	ds_read2_b32 v[0:1], v69 offset0:2 offset1:3
	s_waitcnt lgkmcnt(1)
	v_add_u32_e32 v102, v39, v38
	s_waitcnt lgkmcnt(0)
	v_add3_u32 v1, v102, v0, v1
	s_nop 1
	v_mov_b32_dpp v102, v1 row_shr:1 row_mask:0xf bank_mask:0xf
	v_cndmask_b32_e64 v102, v102, 0, s[20:21]
	v_add_u32_e32 v1, v102, v1
	s_nop 1
	v_mov_b32_dpp v102, v1 row_shr:2 row_mask:0xf bank_mask:0xf
	v_cndmask_b32_e64 v102, 0, v102, s[22:23]
	v_add_u32_e32 v1, v1, v102
	;; [unrolled: 4-line block ×4, first 2 shown]
	s_nop 1
	v_mov_b32_dpp v102, v1 row_bcast:15 row_mask:0xf bank_mask:0xf
	v_cndmask_b32_e64 v102, v102, 0, vcc
	v_add_u32_e32 v1, v1, v102
	s_nop 1
	v_mov_b32_dpp v102, v1 row_bcast:31 row_mask:0xf bank_mask:0xf
	v_cndmask_b32_e64 v102, 0, v102, s[34:35]
	v_add_u32_e32 v102, v1, v102
	s_and_saveexec_b64 s[4:5], s[16:17]
	s_cbranch_execz .LBB252_73
; %bb.72:
	ds_write_b32 v70, v102
.LBB252_73:
	s_or_b64 exec, exec, s[4:5]
	s_waitcnt lgkmcnt(0)
	s_barrier
	s_and_saveexec_b64 s[4:5], s[24:25]
	s_cbranch_execz .LBB252_75
; %bb.74:
	ds_read_b32 v1, v41
	s_waitcnt lgkmcnt(0)
	s_nop 0
	v_mov_b32_dpp v70, v1 row_shr:1 row_mask:0xf bank_mask:0xf
	v_cndmask_b32_e64 v70, v70, 0, s[18:19]
	v_add_u32_e32 v1, v70, v1
	ds_write_b32 v41, v1
.LBB252_75:
	s_or_b64 exec, exec, s[4:5]
	v_mov_b32_e32 v1, 0
	v_mov_b32_e32 v41, 0
	s_waitcnt lgkmcnt(0)
	s_barrier
	s_and_saveexec_b64 s[4:5], s[30:31]
	s_cbranch_execz .LBB252_77
; %bb.76:
	ds_read_b32 v41, v80
.LBB252_77:
	s_or_b64 exec, exec, s[4:5]
	s_waitcnt lgkmcnt(0)
	v_add_u32_e32 v70, v41, v102
	ds_bpermute_b32 v70, v81, v70
	s_mov_b32 s16, 0x5040100
	s_waitcnt lgkmcnt(0)
	v_cndmask_b32_e64 v41, v70, v41, s[36:37]
	v_cndmask_b32_e64 v41, v41, 0, s[38:39]
	v_add_u32_e32 v38, v41, v38
	v_add_u32_e32 v39, v38, v39
	;; [unrolled: 1-line block ×3, first 2 shown]
	ds_write2_b32 v64, v41, v38 offset0:2 offset1:3
	ds_write2_b32 v69, v39, v0 offset0:2 offset1:3
	s_waitcnt lgkmcnt(0)
	s_barrier
	ds_read_b32 v0, v100 offset:8
	ds_read_b32 v38, v98 offset:8
	;; [unrolled: 1-line block ×4, first 2 shown]
	s_waitcnt lgkmcnt(3)
	v_add3_u32 v0, v101, v68, v0
	ds_read_b32 v68, v89 offset:8
	ds_read_b32 v69, v86 offset:8
	;; [unrolled: 1-line block ×4, first 2 shown]
	s_waitcnt lgkmcnt(0)
	s_barrier
	v_add3_u32 v69, v87, v85, v69
	v_add3_u32 v70, v84, v82, v70
	v_add_u32_e32 v78, v78, v79
	v_lshlrev_b32_e32 v79, 1, v78
	ds_write_b16 v79, v77
	v_lshlrev_b32_e32 v77, 1, v70
	v_add3_u32 v68, v90, v88, v68
	ds_write_b16 v77, v76
	v_lshlrev_b32_e32 v76, 1, v69
	v_add3_u32 v41, v93, v91, v41
	;; [unrolled: 3-line block ×4, first 2 shown]
	ds_write_b16 v74, v73
	v_lshlrev_b32_e32 v73, 1, v39
	ds_write_b16 v73, v72
	v_lshlrev_b32_e32 v72, 1, v38
	;; [unrolled: 2-line block ×4, first 2 shown]
	s_waitcnt lgkmcnt(0)
	s_barrier
	v_lshlrev_b32_e32 v72, 3, v41
	v_lshlrev_b32_e32 v73, 3, v39
	;; [unrolled: 1-line block ×3, first 2 shown]
	ds_read_b128 v[38:41], v40
	v_mov_b32_e32 v77, 0xffff8000
	v_lshlrev_b32_e32 v71, 3, v78
	v_lshlrev_b32_e32 v75, 3, v63
	;; [unrolled: 1-line block ×3, first 2 shown]
	s_waitcnt lgkmcnt(0)
	v_cmp_lt_i16_sdwa vcc, v38, v1 src0_sel:WORD_1 src1_sel:DWORD
	v_cndmask_b32_e32 v78, -1, v77, vcc
	v_cmp_gt_i16_e32 vcc, 0, v38
	v_lshlrev_b32_e32 v69, 3, v69
	v_lshlrev_b32_e32 v68, 3, v68
	;; [unrolled: 1-line block ×3, first 2 shown]
	v_cndmask_b32_e32 v79, -1, v77, vcc
	v_cmp_lt_i16_e32 vcc, -1, v39
	s_barrier
	ds_write_b64 v71, v[34:35]
	ds_write_b64 v70, v[36:37]
	;; [unrolled: 1-line block ×8, first 2 shown]
	s_waitcnt lgkmcnt(0)
	s_barrier
	ds_read2_b64 v[22:25], v75 offset1:1
	ds_read2_b64 v[26:29], v75 offset0:2 offset1:3
	ds_read2_b64 v[30:33], v75 offset0:4 offset1:5
	;; [unrolled: 1-line block ×3, first 2 shown]
	v_mov_b32_e32 v76, -1
	v_cndmask_b32_e64 v81, v77, -1, vcc
	v_cmp_lt_i16_sdwa vcc, v40, v1 src0_sel:WORD_1 src1_sel:DWORD
	v_cmp_gt_i16_sdwa s[4:5], v39, v76 src0_sel:WORD_1 src1_sel:DWORD
	v_cndmask_b32_e32 v0, -1, v77, vcc
	v_cmp_gt_i16_e32 vcc, 0, v40
	v_cndmask_b32_e64 v80, v77, -1, s[4:5]
	v_cndmask_b32_e32 v1, -1, v77, vcc
	v_cmp_gt_i16_sdwa s[4:5], v41, v76 src0_sel:WORD_1 src1_sel:DWORD
	v_cmp_lt_i16_e32 vcc, -1, v41
	v_cndmask_b32_e64 v68, v77, -1, s[4:5]
	v_cndmask_b32_e64 v69, v77, -1, vcc
	v_xor_b32_e32 v81, v81, v39
	v_xor_b32_sdwa v39, v80, v39 dst_sel:DWORD dst_unused:UNUSED_PAD src0_sel:DWORD src1_sel:WORD_1
	v_xor_b32_e32 v79, v79, v38
	v_xor_b32_sdwa v38, v78, v38 dst_sel:DWORD dst_unused:UNUSED_PAD src0_sel:DWORD src1_sel:WORD_1
	;; [unrolled: 2-line block ×4, first 2 shown]
	v_perm_b32 v39, v39, v81, s16
	v_perm_b32 v38, v38, v79, s16
	;; [unrolled: 1-line block ×4, first 2 shown]
	s_branch .LBB252_131
.LBB252_78:
	v_mov_b32_e32 v45, 0
	v_lshlrev_b64 v[2:3], 3, v[44:45]
	v_mov_b32_e32 v4, s47
	v_add_co_u32_e32 v2, vcc, s45, v2
	v_addc_co_u32_e32 v3, vcc, v4, v3, vcc
	global_load_dwordx2 v[2:3], v[2:3], off
	v_mov_b32_e32 v4, v45
	v_mov_b32_e32 v5, v45
	;; [unrolled: 1-line block ×14, first 2 shown]
	s_or_b64 exec, exec, s[4:5]
	s_and_saveexec_b64 s[4:5], s[2:3]
	s_cbranch_execz .LBB252_25
.LBB252_79:
	v_mul_lo_u32 v4, v36, s48
	v_mov_b32_e32 v5, 0
	v_lshlrev_b64 v[4:5], 3, v[4:5]
	v_mov_b32_e32 v36, s47
	v_add_co_u32_e32 v4, vcc, s45, v4
	v_addc_co_u32_e32 v5, vcc, v36, v5, vcc
	global_load_dwordx2 v[4:5], v[4:5], off
	s_or_b64 exec, exec, s[4:5]
	s_and_saveexec_b64 s[4:5], s[40:41]
	s_cbranch_execz .LBB252_26
.LBB252_80:
	v_mul_lo_u32 v6, v35, s48
	v_mov_b32_e32 v7, 0
	v_lshlrev_b64 v[6:7], 3, v[6:7]
	v_mov_b32_e32 v35, s47
	v_add_co_u32_e32 v6, vcc, s45, v6
	v_addc_co_u32_e32 v7, vcc, v35, v7, vcc
	global_load_dwordx2 v[6:7], v[6:7], off
	s_or_b64 exec, exec, s[4:5]
	s_and_saveexec_b64 s[4:5], s[6:7]
	s_cbranch_execz .LBB252_27
.LBB252_81:
	v_mul_lo_u32 v8, v33, s48
	v_mov_b32_e32 v9, 0
	v_lshlrev_b64 v[8:9], 3, v[8:9]
	v_mov_b32_e32 v33, s47
	v_add_co_u32_e32 v8, vcc, s45, v8
	v_addc_co_u32_e32 v9, vcc, v33, v9, vcc
	global_load_dwordx2 v[8:9], v[8:9], off
	s_or_b64 exec, exec, s[4:5]
	s_and_saveexec_b64 s[4:5], s[8:9]
	s_cbranch_execz .LBB252_28
.LBB252_82:
	v_mul_lo_u32 v10, v30, s48
	v_mov_b32_e32 v11, 0
	v_lshlrev_b64 v[10:11], 3, v[10:11]
	v_mov_b32_e32 v30, s47
	v_add_co_u32_e32 v10, vcc, s45, v10
	v_addc_co_u32_e32 v11, vcc, v30, v11, vcc
	global_load_dwordx2 v[10:11], v[10:11], off
	s_or_b64 exec, exec, s[4:5]
	s_and_saveexec_b64 s[4:5], s[10:11]
	s_cbranch_execz .LBB252_29
.LBB252_83:
	v_mul_lo_u32 v12, v28, s48
	v_mov_b32_e32 v13, 0
	v_lshlrev_b64 v[12:13], 3, v[12:13]
	v_mov_b32_e32 v28, s47
	v_add_co_u32_e32 v12, vcc, s45, v12
	v_addc_co_u32_e32 v13, vcc, v28, v13, vcc
	global_load_dwordx2 v[12:13], v[12:13], off
	s_or_b64 exec, exec, s[4:5]
	s_and_saveexec_b64 s[4:5], s[12:13]
	s_cbranch_execz .LBB252_30
.LBB252_84:
	v_mul_lo_u32 v14, v26, s48
	v_mov_b32_e32 v15, 0
	v_lshlrev_b64 v[14:15], 3, v[14:15]
	v_mov_b32_e32 v26, s47
	v_add_co_u32_e32 v14, vcc, s45, v14
	v_addc_co_u32_e32 v15, vcc, v26, v15, vcc
	global_load_dwordx2 v[14:15], v[14:15], off
	s_or_b64 exec, exec, s[4:5]
	s_xor_b64 s[4:5], s[34:35], -1
	s_and_saveexec_b64 s[16:17], s[14:15]
	s_cbranch_execnz .LBB252_31
	s_branch .LBB252_32
.LBB252_85:
                                        ; implicit-def: $vgpr36_vgpr37
                                        ; implicit-def: $vgpr32_vgpr33
                                        ; implicit-def: $vgpr28_vgpr29
                                        ; implicit-def: $vgpr24_vgpr25
                                        ; implicit-def: $vgpr40_vgpr41
	s_cbranch_execz .LBB252_131
; %bb.86:
	s_waitcnt lgkmcnt(3)
	v_mov_b32_e32 v22, 0
	s_waitcnt lgkmcnt(0)
	v_mov_b32_e32 v35, 0x7fff
	v_cmp_gt_i16_e32 vcc, 0, v19
	v_cmp_lt_i16_sdwa s[4:5], v19, v22 src0_sel:WORD_1 src1_sel:DWORD
	v_cndmask_b32_e64 v23, v35, 0, vcc
	v_cmp_gt_i16_e32 vcc, 0, v18
	v_cndmask_b32_e64 v25, v35, 0, s[4:5]
	v_cmp_lt_i16_sdwa s[4:5], v18, v22 src0_sel:WORD_1 src1_sel:DWORD
	v_cndmask_b32_e64 v24, v35, 0, vcc
	v_cndmask_b32_e64 v27, v35, 0, s[4:5]
	v_cmp_gt_i16_e32 vcc, 0, v21
	v_cmp_lt_i16_sdwa s[4:5], v21, v22 src0_sel:WORD_1 src1_sel:DWORD
	v_xor_b32_sdwa v25, v25, v19 dst_sel:DWORD dst_unused:UNUSED_PAD src0_sel:DWORD src1_sel:WORD_1
	v_xor_b32_e32 v19, v23, v19
	v_cndmask_b32_e64 v23, v35, 0, vcc
	v_cmp_gt_i16_e32 vcc, 0, v20
	v_cndmask_b32_e64 v28, v35, 0, s[4:5]
	v_cmp_lt_i16_sdwa s[4:5], v20, v22 src0_sel:WORD_1 src1_sel:DWORD
	v_mbcnt_hi_u32_b32 v26, -1, v67
	v_and_b32_e32 v34, 0x3c0, v46
	v_xor_b32_sdwa v27, v27, v18 dst_sel:DWORD dst_unused:UNUSED_PAD src0_sel:DWORD src1_sel:WORD_1
	v_xor_b32_e32 v18, v24, v18
	v_cndmask_b32_e64 v24, v35, 0, vcc
	v_cndmask_b32_e64 v29, v35, 0, s[4:5]
	v_add_u32_e32 v0, v26, v34
	v_xor_b32_sdwa v29, v29, v20 dst_sel:DWORD dst_unused:UNUSED_PAD src0_sel:DWORD src1_sel:WORD_1
	v_xor_b32_sdwa v28, v28, v21 dst_sel:DWORD dst_unused:UNUSED_PAD src0_sel:DWORD src1_sel:WORD_1
	v_xor_b32_e32 v20, v24, v20
	v_xor_b32_e32 v21, v23, v21
	s_mov_b32 s4, 0x5040100
	v_lshlrev_b32_e32 v1, 4, v0
	v_perm_b32 v21, v28, v21, s4
	v_perm_b32 v20, v29, v20, s4
	;; [unrolled: 1-line block ×4, first 2 shown]
	v_and_b32_e32 v36, 0x1e00, v63
	ds_write_b128 v1, v[18:21]
	v_or_b32_e32 v1, v26, v36
	v_lshlrev_b32_e32 v18, 1, v1
	v_lshlrev_b32_e32 v0, 6, v0
	; wave barrier
	ds_read_u16 v33, v18
	ds_read_u16 v32, v18 offset:128
	ds_read_u16 v31, v18 offset:256
	;; [unrolled: 1-line block ×7, first 2 shown]
	s_waitcnt lgkmcnt(0)
	s_barrier
	ds_write2_b64 v0, v[14:15], v[16:17] offset1:1
	ds_write2_b64 v0, v[10:11], v[12:13] offset0:2 offset1:3
	ds_write2_b64 v0, v[6:7], v[8:9] offset0:4 offset1:5
	;; [unrolled: 1-line block ×3, first 2 shown]
	v_lshlrev_b32_e32 v0, 3, v1
	; wave barrier
	ds_read2st64_b64 v[12:15], v0 offset1:1
	ds_read2st64_b64 v[8:11], v0 offset0:2 offset1:3
	ds_read2st64_b64 v[4:7], v0 offset0:4 offset1:5
	;; [unrolled: 1-line block ×3, first 2 shown]
	s_waitcnt lgkmcnt(0)
	s_barrier
	s_load_dword s16, s[50:51], 0xc
	s_getpc_b64 s[4:5]
	s_add_u32 s4, s4, _ZN7rocprim17ROCPRIM_400000_NS16block_radix_sortI12hip_bfloat16Lj128ELj8ElLj1ELj1ELj0ELNS0_26block_radix_rank_algorithmE1ELNS0_18block_padding_hintE2ELNS0_4arch9wavefront6targetE1EE19radix_bits_per_passE@rel32@lo+4
	s_addc_u32 s5, s5, _ZN7rocprim17ROCPRIM_400000_NS16block_radix_sortI12hip_bfloat16Lj128ELj8ElLj1ELj1ELj0ELNS0_26block_radix_rank_algorithmE1ELNS0_18block_padding_hintE2ELNS0_4arch9wavefront6targetE1EE19radix_bits_per_passE@rel32@hi+12
	s_load_dword s42, s[4:5], 0x0
	s_movk_i32 s17, 0x8000
	v_cmp_ne_u16_e32 vcc, s17, v33
	s_waitcnt lgkmcnt(0)
	s_lshr_b32 s4, s16, 16
	s_and_b32 s5, s16, 0xffff
	v_mad_u32_u24 v16, v66, s4, v65
	v_mad_u64_u32 v[16:17], s[4:5], v16, s5, v[46:47]
	s_min_u32 s4, s42, 16
	s_lshl_b32 s4, -1, s4
	v_lshrrev_b32_e32 v24, 6, v16
	s_not_b32 s16, s4
	v_cndmask_b32_e32 v16, v35, v33, vcc
	v_and_b32_sdwa v16, s16, v16 dst_sel:DWORD dst_unused:UNUSED_PAD src0_sel:DWORD src1_sel:WORD_0
	v_lshlrev_b32_e32 v17, 1, v16
	v_add_lshl_u32 v37, v24, v17, 2
	v_and_b32_e32 v17, 1, v16
	v_add_co_u32_e32 v18, vcc, -1, v17
	v_addc_co_u32_e64 v19, s[4:5], 0, -1, vcc
	v_cmp_ne_u32_e32 vcc, 0, v17
	v_lshlrev_b32_e32 v23, 30, v16
	v_xor_b32_e32 v17, vcc_hi, v19
	v_not_b32_e32 v19, v23
	v_xor_b32_e32 v18, vcc_lo, v18
	v_cmp_gt_i64_e32 vcc, 0, v[22:23]
	v_ashrrev_i32_e32 v19, 31, v19
	v_and_b32_e32 v18, exec_lo, v18
	v_xor_b32_e32 v20, vcc_hi, v19
	v_xor_b32_e32 v19, vcc_lo, v19
	v_lshlrev_b32_e32 v23, 29, v16
	v_and_b32_e32 v18, v18, v19
	v_not_b32_e32 v19, v23
	v_and_b32_e32 v17, exec_hi, v17
	v_cmp_gt_i64_e32 vcc, 0, v[22:23]
	v_ashrrev_i32_e32 v19, 31, v19
	v_and_b32_e32 v17, v17, v20
	v_xor_b32_e32 v20, vcc_hi, v19
	v_xor_b32_e32 v19, vcc_lo, v19
	v_lshlrev_b32_e32 v23, 28, v16
	v_and_b32_e32 v18, v18, v19
	v_not_b32_e32 v19, v23
	v_cmp_gt_i64_e32 vcc, 0, v[22:23]
	v_ashrrev_i32_e32 v19, 31, v19
	v_and_b32_e32 v17, v17, v20
	v_xor_b32_e32 v20, vcc_hi, v19
	v_xor_b32_e32 v19, vcc_lo, v19
	v_lshlrev_b32_e32 v23, 27, v16
	v_and_b32_e32 v18, v18, v19
	v_not_b32_e32 v19, v23
	;; [unrolled: 8-line block ×3, first 2 shown]
	v_cmp_gt_i64_e32 vcc, 0, v[22:23]
	v_ashrrev_i32_e32 v19, 31, v19
	v_and_b32_e32 v17, v17, v20
	v_xor_b32_e32 v20, vcc_hi, v19
	v_xor_b32_e32 v19, vcc_lo, v19
	v_lshlrev_b32_e32 v23, 25, v16
	v_and_b32_e32 v18, v18, v19
	v_cmp_gt_i64_e32 vcc, 0, v[22:23]
	v_not_b32_e32 v19, v23
	v_lshlrev_b32_e32 v23, 24, v16
	v_ashrrev_i32_e32 v19, 31, v19
	v_not_b32_e32 v16, v23
	v_and_b32_e32 v17, v17, v20
	v_xor_b32_e32 v20, vcc_hi, v19
	v_xor_b32_e32 v19, vcc_lo, v19
	v_cmp_gt_i64_e32 vcc, 0, v[22:23]
	v_ashrrev_i32_e32 v16, 31, v16
	v_and_b32_e32 v18, v18, v19
	v_xor_b32_e32 v19, vcc_hi, v16
	v_xor_b32_e32 v16, vcc_lo, v16
	v_and_b32_e32 v17, v17, v20
	v_and_b32_e32 v16, v18, v16
	v_and_b32_e32 v17, v17, v19
	v_mbcnt_lo_u32_b32 v18, v16, 0
	v_mbcnt_hi_u32_b32 v38, v17, v18
	v_cmp_eq_u32_e32 vcc, 0, v38
	v_cmp_ne_u64_e64 s[4:5], 0, v[16:17]
	s_and_b64 s[18:19], s[4:5], vcc
	ds_write2_b32 v64, v22, v22 offset0:2 offset1:3
	ds_write2_b32 v64, v22, v22 offset0:4 offset1:5
	s_waitcnt lgkmcnt(0)
	s_barrier
	s_waitcnt lgkmcnt(0)
	; wave barrier
	s_and_saveexec_b64 s[4:5], s[18:19]
	s_cbranch_execz .LBB252_88
; %bb.87:
	v_bcnt_u32_b32 v16, v16, 0
	v_bcnt_u32_b32 v16, v17, v16
	ds_write_b32 v37, v16 offset:8
.LBB252_88:
	s_or_b64 exec, exec, s[4:5]
	v_cmp_ne_u16_e32 vcc, s17, v32
	v_cndmask_b32_e32 v16, v35, v32, vcc
	v_and_b32_sdwa v16, s16, v16 dst_sel:DWORD dst_unused:UNUSED_PAD src0_sel:DWORD src1_sel:WORD_0
	v_lshlrev_b32_e32 v17, 1, v16
	v_add_lshl_u32 v40, v24, v17, 2
	v_and_b32_e32 v17, 1, v16
	v_add_co_u32_e32 v18, vcc, -1, v17
	v_addc_co_u32_e64 v19, s[4:5], 0, -1, vcc
	v_cmp_ne_u32_e32 vcc, 0, v17
	v_lshlrev_b32_e32 v23, 30, v16
	v_xor_b32_e32 v17, vcc_hi, v19
	v_not_b32_e32 v19, v23
	v_xor_b32_e32 v18, vcc_lo, v18
	v_cmp_gt_i64_e32 vcc, 0, v[22:23]
	v_ashrrev_i32_e32 v19, 31, v19
	v_and_b32_e32 v18, exec_lo, v18
	v_xor_b32_e32 v20, vcc_hi, v19
	v_xor_b32_e32 v19, vcc_lo, v19
	v_lshlrev_b32_e32 v23, 29, v16
	v_and_b32_e32 v18, v18, v19
	v_not_b32_e32 v19, v23
	v_and_b32_e32 v17, exec_hi, v17
	v_cmp_gt_i64_e32 vcc, 0, v[22:23]
	v_ashrrev_i32_e32 v19, 31, v19
	v_and_b32_e32 v17, v17, v20
	v_xor_b32_e32 v20, vcc_hi, v19
	v_xor_b32_e32 v19, vcc_lo, v19
	v_lshlrev_b32_e32 v23, 28, v16
	v_and_b32_e32 v18, v18, v19
	v_not_b32_e32 v19, v23
	v_cmp_gt_i64_e32 vcc, 0, v[22:23]
	v_ashrrev_i32_e32 v19, 31, v19
	v_and_b32_e32 v17, v17, v20
	v_xor_b32_e32 v20, vcc_hi, v19
	v_xor_b32_e32 v19, vcc_lo, v19
	v_lshlrev_b32_e32 v23, 27, v16
	v_and_b32_e32 v18, v18, v19
	v_not_b32_e32 v19, v23
	;; [unrolled: 8-line block ×3, first 2 shown]
	v_cmp_gt_i64_e32 vcc, 0, v[22:23]
	v_ashrrev_i32_e32 v19, 31, v19
	v_and_b32_e32 v17, v17, v20
	v_xor_b32_e32 v20, vcc_hi, v19
	v_xor_b32_e32 v19, vcc_lo, v19
	v_lshlrev_b32_e32 v23, 25, v16
	v_and_b32_e32 v18, v18, v19
	v_cmp_gt_i64_e32 vcc, 0, v[22:23]
	v_not_b32_e32 v19, v23
	v_lshlrev_b32_e32 v23, 24, v16
	v_ashrrev_i32_e32 v19, 31, v19
	v_not_b32_e32 v16, v23
	v_and_b32_e32 v17, v17, v20
	v_xor_b32_e32 v20, vcc_hi, v19
	v_xor_b32_e32 v19, vcc_lo, v19
	v_cmp_gt_i64_e32 vcc, 0, v[22:23]
	v_ashrrev_i32_e32 v16, 31, v16
	v_and_b32_e32 v18, v18, v19
	v_xor_b32_e32 v19, vcc_hi, v16
	v_xor_b32_e32 v16, vcc_lo, v16
	; wave barrier
	ds_read_b32 v39, v40 offset:8
	v_and_b32_e32 v17, v17, v20
	v_and_b32_e32 v16, v18, v16
	;; [unrolled: 1-line block ×3, first 2 shown]
	v_mbcnt_lo_u32_b32 v18, v16, 0
	v_mbcnt_hi_u32_b32 v41, v17, v18
	v_cmp_eq_u32_e32 vcc, 0, v41
	v_cmp_ne_u64_e64 s[4:5], 0, v[16:17]
	s_and_b64 s[18:19], s[4:5], vcc
	; wave barrier
	s_and_saveexec_b64 s[4:5], s[18:19]
	s_cbranch_execz .LBB252_90
; %bb.89:
	v_bcnt_u32_b32 v16, v16, 0
	v_bcnt_u32_b32 v16, v17, v16
	s_waitcnt lgkmcnt(0)
	v_add_u32_e32 v16, v39, v16
	ds_write_b32 v40, v16 offset:8
.LBB252_90:
	s_or_b64 exec, exec, s[4:5]
	v_mov_b32_e32 v20, 0x7fff
	v_cmp_ne_u16_e32 vcc, s17, v31
	v_cndmask_b32_e32 v16, v20, v31, vcc
	v_and_b32_sdwa v18, s16, v16 dst_sel:DWORD dst_unused:UNUSED_PAD src0_sel:DWORD src1_sel:WORD_0
	v_and_b32_e32 v17, 1, v18
	v_add_co_u32_e32 v19, vcc, -1, v17
	v_addc_co_u32_e64 v21, s[4:5], 0, -1, vcc
	v_cmp_ne_u32_e32 vcc, 0, v17
	v_lshlrev_b32_e32 v16, 1, v18
	v_xor_b32_e32 v17, vcc_hi, v21
	v_add_lshl_u32 v66, v24, v16, 2
	v_mov_b32_e32 v16, 0
	v_and_b32_e32 v21, exec_hi, v17
	v_lshlrev_b32_e32 v17, 30, v18
	v_xor_b32_e32 v19, vcc_lo, v19
	v_cmp_gt_i64_e32 vcc, 0, v[16:17]
	v_not_b32_e32 v17, v17
	v_ashrrev_i32_e32 v17, 31, v17
	v_and_b32_e32 v19, exec_lo, v19
	v_xor_b32_e32 v22, vcc_hi, v17
	v_xor_b32_e32 v17, vcc_lo, v17
	v_and_b32_e32 v19, v19, v17
	v_lshlrev_b32_e32 v17, 29, v18
	v_cmp_gt_i64_e32 vcc, 0, v[16:17]
	v_not_b32_e32 v17, v17
	v_ashrrev_i32_e32 v17, 31, v17
	v_and_b32_e32 v21, v21, v22
	v_xor_b32_e32 v22, vcc_hi, v17
	v_xor_b32_e32 v17, vcc_lo, v17
	v_and_b32_e32 v19, v19, v17
	v_lshlrev_b32_e32 v17, 28, v18
	v_cmp_gt_i64_e32 vcc, 0, v[16:17]
	v_not_b32_e32 v17, v17
	v_ashrrev_i32_e32 v17, 31, v17
	v_and_b32_e32 v21, v21, v22
	;; [unrolled: 8-line block ×5, first 2 shown]
	v_xor_b32_e32 v22, vcc_hi, v17
	v_xor_b32_e32 v17, vcc_lo, v17
	v_and_b32_e32 v21, v21, v22
	v_and_b32_e32 v22, v19, v17
	v_lshlrev_b32_e32 v17, 24, v18
	v_cmp_gt_i64_e32 vcc, 0, v[16:17]
	v_not_b32_e32 v17, v17
	v_ashrrev_i32_e32 v17, 31, v17
	v_xor_b32_e32 v18, vcc_hi, v17
	v_xor_b32_e32 v17, vcc_lo, v17
	; wave barrier
	ds_read_b32 v65, v66 offset:8
	v_and_b32_e32 v19, v21, v18
	v_and_b32_e32 v18, v22, v17
	v_mbcnt_lo_u32_b32 v17, v18, 0
	v_mbcnt_hi_u32_b32 v67, v19, v17
	v_cmp_eq_u32_e32 vcc, 0, v67
	v_cmp_ne_u64_e64 s[4:5], 0, v[18:19]
	s_and_b64 s[18:19], s[4:5], vcc
	; wave barrier
	s_and_saveexec_b64 s[4:5], s[18:19]
	s_cbranch_execz .LBB252_92
; %bb.91:
	v_bcnt_u32_b32 v17, v18, 0
	v_bcnt_u32_b32 v17, v19, v17
	s_waitcnt lgkmcnt(0)
	v_add_u32_e32 v17, v65, v17
	ds_write_b32 v66, v17 offset:8
.LBB252_92:
	s_or_b64 exec, exec, s[4:5]
	v_cmp_ne_u16_e32 vcc, s17, v30
	v_cndmask_b32_e32 v17, v20, v30, vcc
	v_and_b32_sdwa v18, s16, v17 dst_sel:DWORD dst_unused:UNUSED_PAD src0_sel:DWORD src1_sel:WORD_0
	v_lshlrev_b32_e32 v17, 1, v18
	v_add_lshl_u32 v69, v24, v17, 2
	v_and_b32_e32 v17, 1, v18
	v_add_co_u32_e32 v19, vcc, -1, v17
	v_addc_co_u32_e64 v20, s[4:5], 0, -1, vcc
	v_cmp_ne_u32_e32 vcc, 0, v17
	v_xor_b32_e32 v17, vcc_hi, v20
	v_and_b32_e32 v20, exec_hi, v17
	v_lshlrev_b32_e32 v17, 30, v18
	v_xor_b32_e32 v19, vcc_lo, v19
	v_cmp_gt_i64_e32 vcc, 0, v[16:17]
	v_not_b32_e32 v17, v17
	v_ashrrev_i32_e32 v17, 31, v17
	v_and_b32_e32 v19, exec_lo, v19
	v_xor_b32_e32 v21, vcc_hi, v17
	v_xor_b32_e32 v17, vcc_lo, v17
	v_and_b32_e32 v19, v19, v17
	v_lshlrev_b32_e32 v17, 29, v18
	v_cmp_gt_i64_e32 vcc, 0, v[16:17]
	v_not_b32_e32 v17, v17
	v_ashrrev_i32_e32 v17, 31, v17
	v_and_b32_e32 v20, v20, v21
	v_xor_b32_e32 v21, vcc_hi, v17
	v_xor_b32_e32 v17, vcc_lo, v17
	v_and_b32_e32 v19, v19, v17
	v_lshlrev_b32_e32 v17, 28, v18
	v_cmp_gt_i64_e32 vcc, 0, v[16:17]
	v_not_b32_e32 v17, v17
	v_ashrrev_i32_e32 v17, 31, v17
	v_and_b32_e32 v20, v20, v21
	;; [unrolled: 8-line block ×5, first 2 shown]
	v_xor_b32_e32 v21, vcc_hi, v17
	v_xor_b32_e32 v17, vcc_lo, v17
	v_and_b32_e32 v19, v19, v17
	v_lshlrev_b32_e32 v17, 24, v18
	v_cmp_gt_i64_e32 vcc, 0, v[16:17]
	v_not_b32_e32 v16, v17
	v_ashrrev_i32_e32 v16, 31, v16
	v_xor_b32_e32 v17, vcc_hi, v16
	v_xor_b32_e32 v16, vcc_lo, v16
	; wave barrier
	ds_read_b32 v68, v69 offset:8
	v_and_b32_e32 v20, v20, v21
	v_and_b32_e32 v16, v19, v16
	;; [unrolled: 1-line block ×3, first 2 shown]
	v_mbcnt_lo_u32_b32 v18, v16, 0
	v_mbcnt_hi_u32_b32 v70, v17, v18
	v_cmp_eq_u32_e32 vcc, 0, v70
	v_cmp_ne_u64_e64 s[4:5], 0, v[16:17]
	s_and_b64 s[18:19], s[4:5], vcc
	; wave barrier
	s_and_saveexec_b64 s[4:5], s[18:19]
	s_cbranch_execz .LBB252_94
; %bb.93:
	v_bcnt_u32_b32 v16, v16, 0
	v_bcnt_u32_b32 v16, v17, v16
	s_waitcnt lgkmcnt(0)
	v_add_u32_e32 v16, v68, v16
	ds_write_b32 v69, v16 offset:8
.LBB252_94:
	s_or_b64 exec, exec, s[4:5]
	v_mov_b32_e32 v20, 0x7fff
	v_cmp_ne_u16_e32 vcc, s17, v29
	v_cndmask_b32_e32 v16, v20, v29, vcc
	v_and_b32_sdwa v18, s16, v16 dst_sel:DWORD dst_unused:UNUSED_PAD src0_sel:DWORD src1_sel:WORD_0
	v_and_b32_e32 v17, 1, v18
	v_add_co_u32_e32 v19, vcc, -1, v17
	v_addc_co_u32_e64 v21, s[4:5], 0, -1, vcc
	v_cmp_ne_u32_e32 vcc, 0, v17
	v_lshlrev_b32_e32 v16, 1, v18
	v_xor_b32_e32 v17, vcc_hi, v21
	v_add_lshl_u32 v72, v24, v16, 2
	v_mov_b32_e32 v16, 0
	v_and_b32_e32 v21, exec_hi, v17
	v_lshlrev_b32_e32 v17, 30, v18
	v_xor_b32_e32 v19, vcc_lo, v19
	v_cmp_gt_i64_e32 vcc, 0, v[16:17]
	v_not_b32_e32 v17, v17
	v_ashrrev_i32_e32 v17, 31, v17
	v_and_b32_e32 v19, exec_lo, v19
	v_xor_b32_e32 v22, vcc_hi, v17
	v_xor_b32_e32 v17, vcc_lo, v17
	v_and_b32_e32 v19, v19, v17
	v_lshlrev_b32_e32 v17, 29, v18
	v_cmp_gt_i64_e32 vcc, 0, v[16:17]
	v_not_b32_e32 v17, v17
	v_ashrrev_i32_e32 v17, 31, v17
	v_and_b32_e32 v21, v21, v22
	v_xor_b32_e32 v22, vcc_hi, v17
	v_xor_b32_e32 v17, vcc_lo, v17
	v_and_b32_e32 v19, v19, v17
	v_lshlrev_b32_e32 v17, 28, v18
	v_cmp_gt_i64_e32 vcc, 0, v[16:17]
	v_not_b32_e32 v17, v17
	v_ashrrev_i32_e32 v17, 31, v17
	v_and_b32_e32 v21, v21, v22
	v_xor_b32_e32 v22, vcc_hi, v17
	v_xor_b32_e32 v17, vcc_lo, v17
	v_and_b32_e32 v19, v19, v17
	v_lshlrev_b32_e32 v17, 27, v18
	v_cmp_gt_i64_e32 vcc, 0, v[16:17]
	v_not_b32_e32 v17, v17
	v_ashrrev_i32_e32 v17, 31, v17
	v_and_b32_e32 v21, v21, v22
	v_xor_b32_e32 v22, vcc_hi, v17
	v_xor_b32_e32 v17, vcc_lo, v17
	v_and_b32_e32 v19, v19, v17
	v_lshlrev_b32_e32 v17, 26, v18
	v_cmp_gt_i64_e32 vcc, 0, v[16:17]
	v_not_b32_e32 v17, v17
	v_ashrrev_i32_e32 v17, 31, v17
	v_and_b32_e32 v21, v21, v22
	v_xor_b32_e32 v22, vcc_hi, v17
	v_xor_b32_e32 v17, vcc_lo, v17
	v_and_b32_e32 v19, v19, v17
	v_lshlrev_b32_e32 v17, 25, v18
	v_cmp_gt_i64_e32 vcc, 0, v[16:17]
	v_not_b32_e32 v17, v17
	v_ashrrev_i32_e32 v17, 31, v17
	v_and_b32_e32 v21, v21, v22
	v_xor_b32_e32 v22, vcc_hi, v17
	v_xor_b32_e32 v17, vcc_lo, v17
	v_and_b32_e32 v21, v21, v22
	v_and_b32_e32 v22, v19, v17
	v_lshlrev_b32_e32 v17, 24, v18
	v_cmp_gt_i64_e32 vcc, 0, v[16:17]
	v_not_b32_e32 v17, v17
	v_ashrrev_i32_e32 v17, 31, v17
	v_xor_b32_e32 v18, vcc_hi, v17
	v_xor_b32_e32 v17, vcc_lo, v17
	; wave barrier
	ds_read_b32 v71, v72 offset:8
	v_and_b32_e32 v19, v21, v18
	v_and_b32_e32 v18, v22, v17
	v_mbcnt_lo_u32_b32 v17, v18, 0
	v_mbcnt_hi_u32_b32 v73, v19, v17
	v_cmp_eq_u32_e32 vcc, 0, v73
	v_cmp_ne_u64_e64 s[4:5], 0, v[18:19]
	s_and_b64 s[18:19], s[4:5], vcc
	; wave barrier
	s_and_saveexec_b64 s[4:5], s[18:19]
	s_cbranch_execz .LBB252_96
; %bb.95:
	v_bcnt_u32_b32 v17, v18, 0
	v_bcnt_u32_b32 v17, v19, v17
	s_waitcnt lgkmcnt(0)
	v_add_u32_e32 v17, v71, v17
	ds_write_b32 v72, v17 offset:8
.LBB252_96:
	s_or_b64 exec, exec, s[4:5]
	v_cmp_ne_u16_e32 vcc, s17, v28
	v_cndmask_b32_e32 v17, v20, v28, vcc
	v_and_b32_sdwa v18, s16, v17 dst_sel:DWORD dst_unused:UNUSED_PAD src0_sel:DWORD src1_sel:WORD_0
	v_lshlrev_b32_e32 v17, 1, v18
	v_add_lshl_u32 v75, v24, v17, 2
	v_and_b32_e32 v17, 1, v18
	v_add_co_u32_e32 v19, vcc, -1, v17
	v_addc_co_u32_e64 v20, s[4:5], 0, -1, vcc
	v_cmp_ne_u32_e32 vcc, 0, v17
	v_xor_b32_e32 v17, vcc_hi, v20
	v_and_b32_e32 v20, exec_hi, v17
	v_lshlrev_b32_e32 v17, 30, v18
	v_xor_b32_e32 v19, vcc_lo, v19
	v_cmp_gt_i64_e32 vcc, 0, v[16:17]
	v_not_b32_e32 v17, v17
	v_ashrrev_i32_e32 v17, 31, v17
	v_and_b32_e32 v19, exec_lo, v19
	v_xor_b32_e32 v21, vcc_hi, v17
	v_xor_b32_e32 v17, vcc_lo, v17
	v_and_b32_e32 v19, v19, v17
	v_lshlrev_b32_e32 v17, 29, v18
	v_cmp_gt_i64_e32 vcc, 0, v[16:17]
	v_not_b32_e32 v17, v17
	v_ashrrev_i32_e32 v17, 31, v17
	v_and_b32_e32 v20, v20, v21
	v_xor_b32_e32 v21, vcc_hi, v17
	v_xor_b32_e32 v17, vcc_lo, v17
	v_and_b32_e32 v19, v19, v17
	v_lshlrev_b32_e32 v17, 28, v18
	v_cmp_gt_i64_e32 vcc, 0, v[16:17]
	v_not_b32_e32 v17, v17
	v_ashrrev_i32_e32 v17, 31, v17
	v_and_b32_e32 v20, v20, v21
	;; [unrolled: 8-line block ×5, first 2 shown]
	v_xor_b32_e32 v21, vcc_hi, v17
	v_xor_b32_e32 v17, vcc_lo, v17
	v_and_b32_e32 v19, v19, v17
	v_lshlrev_b32_e32 v17, 24, v18
	v_cmp_gt_i64_e32 vcc, 0, v[16:17]
	v_not_b32_e32 v16, v17
	v_ashrrev_i32_e32 v16, 31, v16
	v_xor_b32_e32 v17, vcc_hi, v16
	v_xor_b32_e32 v16, vcc_lo, v16
	; wave barrier
	ds_read_b32 v74, v75 offset:8
	v_and_b32_e32 v20, v20, v21
	v_and_b32_e32 v16, v19, v16
	;; [unrolled: 1-line block ×3, first 2 shown]
	v_mbcnt_lo_u32_b32 v18, v16, 0
	v_mbcnt_hi_u32_b32 v76, v17, v18
	v_cmp_eq_u32_e32 vcc, 0, v76
	v_cmp_ne_u64_e64 s[4:5], 0, v[16:17]
	s_and_b64 s[18:19], s[4:5], vcc
	; wave barrier
	s_and_saveexec_b64 s[4:5], s[18:19]
	s_cbranch_execz .LBB252_98
; %bb.97:
	v_bcnt_u32_b32 v16, v16, 0
	v_bcnt_u32_b32 v16, v17, v16
	s_waitcnt lgkmcnt(0)
	v_add_u32_e32 v16, v74, v16
	ds_write_b32 v75, v16 offset:8
.LBB252_98:
	s_or_b64 exec, exec, s[4:5]
	v_mov_b32_e32 v20, 0x7fff
	v_cmp_ne_u16_e32 vcc, s17, v27
	v_cndmask_b32_e32 v16, v20, v27, vcc
	v_and_b32_sdwa v18, s16, v16 dst_sel:DWORD dst_unused:UNUSED_PAD src0_sel:DWORD src1_sel:WORD_0
	v_and_b32_e32 v17, 1, v18
	v_add_co_u32_e32 v19, vcc, -1, v17
	v_addc_co_u32_e64 v21, s[4:5], 0, -1, vcc
	v_cmp_ne_u32_e32 vcc, 0, v17
	v_lshlrev_b32_e32 v16, 1, v18
	v_xor_b32_e32 v17, vcc_hi, v21
	v_add_lshl_u32 v78, v24, v16, 2
	v_mov_b32_e32 v16, 0
	v_and_b32_e32 v21, exec_hi, v17
	v_lshlrev_b32_e32 v17, 30, v18
	v_xor_b32_e32 v19, vcc_lo, v19
	v_cmp_gt_i64_e32 vcc, 0, v[16:17]
	v_not_b32_e32 v17, v17
	v_ashrrev_i32_e32 v17, 31, v17
	v_and_b32_e32 v19, exec_lo, v19
	v_xor_b32_e32 v22, vcc_hi, v17
	v_xor_b32_e32 v17, vcc_lo, v17
	v_and_b32_e32 v19, v19, v17
	v_lshlrev_b32_e32 v17, 29, v18
	v_cmp_gt_i64_e32 vcc, 0, v[16:17]
	v_not_b32_e32 v17, v17
	v_ashrrev_i32_e32 v17, 31, v17
	v_and_b32_e32 v21, v21, v22
	v_xor_b32_e32 v22, vcc_hi, v17
	v_xor_b32_e32 v17, vcc_lo, v17
	v_and_b32_e32 v19, v19, v17
	v_lshlrev_b32_e32 v17, 28, v18
	v_cmp_gt_i64_e32 vcc, 0, v[16:17]
	v_not_b32_e32 v17, v17
	v_ashrrev_i32_e32 v17, 31, v17
	v_and_b32_e32 v21, v21, v22
	;; [unrolled: 8-line block ×5, first 2 shown]
	v_xor_b32_e32 v22, vcc_hi, v17
	v_xor_b32_e32 v17, vcc_lo, v17
	v_and_b32_e32 v21, v21, v22
	v_and_b32_e32 v22, v19, v17
	v_lshlrev_b32_e32 v17, 24, v18
	v_cmp_gt_i64_e32 vcc, 0, v[16:17]
	v_not_b32_e32 v17, v17
	v_ashrrev_i32_e32 v17, 31, v17
	v_xor_b32_e32 v18, vcc_hi, v17
	v_xor_b32_e32 v17, vcc_lo, v17
	; wave barrier
	ds_read_b32 v77, v78 offset:8
	v_and_b32_e32 v19, v21, v18
	v_and_b32_e32 v18, v22, v17
	v_mbcnt_lo_u32_b32 v17, v18, 0
	v_mbcnt_hi_u32_b32 v79, v19, v17
	v_cmp_eq_u32_e32 vcc, 0, v79
	v_cmp_ne_u64_e64 s[4:5], 0, v[18:19]
	s_and_b64 s[18:19], s[4:5], vcc
	; wave barrier
	s_and_saveexec_b64 s[4:5], s[18:19]
	s_cbranch_execz .LBB252_100
; %bb.99:
	v_bcnt_u32_b32 v17, v18, 0
	v_bcnt_u32_b32 v17, v19, v17
	s_waitcnt lgkmcnt(0)
	v_add_u32_e32 v17, v77, v17
	ds_write_b32 v78, v17 offset:8
.LBB252_100:
	s_or_b64 exec, exec, s[4:5]
	v_cmp_ne_u16_e32 vcc, s17, v25
	v_cndmask_b32_e32 v17, v20, v25, vcc
	v_and_b32_sdwa v18, s16, v17 dst_sel:DWORD dst_unused:UNUSED_PAD src0_sel:DWORD src1_sel:WORD_0
	v_lshlrev_b32_e32 v17, 1, v18
	v_add_lshl_u32 v81, v24, v17, 2
	v_and_b32_e32 v17, 1, v18
	v_add_co_u32_e32 v19, vcc, -1, v17
	v_addc_co_u32_e64 v20, s[4:5], 0, -1, vcc
	v_cmp_ne_u32_e32 vcc, 0, v17
	v_xor_b32_e32 v17, vcc_hi, v20
	v_and_b32_e32 v20, exec_hi, v17
	v_lshlrev_b32_e32 v17, 30, v18
	v_xor_b32_e32 v19, vcc_lo, v19
	v_cmp_gt_i64_e32 vcc, 0, v[16:17]
	v_not_b32_e32 v17, v17
	v_ashrrev_i32_e32 v17, 31, v17
	v_and_b32_e32 v19, exec_lo, v19
	v_xor_b32_e32 v21, vcc_hi, v17
	v_xor_b32_e32 v17, vcc_lo, v17
	v_and_b32_e32 v19, v19, v17
	v_lshlrev_b32_e32 v17, 29, v18
	v_cmp_gt_i64_e32 vcc, 0, v[16:17]
	v_not_b32_e32 v17, v17
	v_ashrrev_i32_e32 v17, 31, v17
	v_and_b32_e32 v20, v20, v21
	v_xor_b32_e32 v21, vcc_hi, v17
	v_xor_b32_e32 v17, vcc_lo, v17
	v_and_b32_e32 v19, v19, v17
	v_lshlrev_b32_e32 v17, 28, v18
	v_cmp_gt_i64_e32 vcc, 0, v[16:17]
	v_not_b32_e32 v17, v17
	v_ashrrev_i32_e32 v17, 31, v17
	v_and_b32_e32 v20, v20, v21
	;; [unrolled: 8-line block ×5, first 2 shown]
	v_xor_b32_e32 v21, vcc_hi, v17
	v_xor_b32_e32 v17, vcc_lo, v17
	v_and_b32_e32 v19, v19, v17
	v_lshlrev_b32_e32 v17, 24, v18
	v_cmp_gt_i64_e32 vcc, 0, v[16:17]
	v_not_b32_e32 v16, v17
	v_ashrrev_i32_e32 v16, 31, v16
	v_xor_b32_e32 v17, vcc_hi, v16
	v_xor_b32_e32 v16, vcc_lo, v16
	; wave barrier
	ds_read_b32 v80, v81 offset:8
	v_and_b32_e32 v20, v20, v21
	v_and_b32_e32 v16, v19, v16
	;; [unrolled: 1-line block ×3, first 2 shown]
	v_mbcnt_lo_u32_b32 v18, v16, 0
	v_mbcnt_hi_u32_b32 v82, v17, v18
	v_cmp_eq_u32_e32 vcc, 0, v82
	v_cmp_ne_u64_e64 s[4:5], 0, v[16:17]
	v_or_b32_e32 v22, 8, v64
	v_lshrrev_b32_e32 v23, 6, v46
	v_min_u32_e32 v34, 64, v34
	s_and_b64 s[16:17], s[4:5], vcc
	; wave barrier
	s_and_saveexec_b64 s[4:5], s[16:17]
	s_cbranch_execz .LBB252_102
; %bb.101:
	v_bcnt_u32_b32 v16, v16, 0
	v_bcnt_u32_b32 v16, v17, v16
	s_waitcnt lgkmcnt(0)
	v_add_u32_e32 v16, v80, v16
	ds_write_b32 v81, v16 offset:8
.LBB252_102:
	s_or_b64 exec, exec, s[4:5]
	; wave barrier
	s_waitcnt lgkmcnt(0)
	s_barrier
	ds_read2_b32 v[18:19], v64 offset0:2 offset1:3
	ds_read2_b32 v[20:21], v22 offset0:2 offset1:3
	v_and_b32_e32 v17, 16, v26
	v_cmp_eq_u32_e32 vcc, 0, v17
	v_or_b32_e32 v17, 63, v34
	v_cmp_eq_u32_e64 s[16:17], v17, v46
	s_waitcnt lgkmcnt(1)
	v_add_u32_e32 v17, v19, v18
	v_and_b32_e32 v16, 15, v26
	s_waitcnt lgkmcnt(0)
	v_add3_u32 v17, v17, v20, v21
	v_cmp_eq_u32_e64 s[20:21], 0, v16
	v_cmp_lt_u32_e64 s[22:23], 1, v16
	v_mov_b32_dpp v21, v17 row_shr:1 row_mask:0xf bank_mask:0xf
	v_cndmask_b32_e64 v21, v21, 0, s[20:21]
	v_add_u32_e32 v17, v21, v17
	v_cmp_lt_u32_e64 s[26:27], 3, v16
	v_cmp_lt_u32_e64 s[28:29], 7, v16
	v_mov_b32_dpp v21, v17 row_shr:2 row_mask:0xf bank_mask:0xf
	v_cndmask_b32_e64 v21, 0, v21, s[22:23]
	v_add_u32_e32 v17, v17, v21
	v_bfe_i32 v35, v26, 4, 1
	v_cmp_lt_u32_e64 s[34:35], 31, v26
	v_mov_b32_dpp v21, v17 row_shr:4 row_mask:0xf bank_mask:0xf
	v_cndmask_b32_e64 v21, 0, v21, s[26:27]
	v_add_u32_e32 v17, v17, v21
	v_lshlrev_b32_e32 v23, 2, v23
	s_nop 0
	v_mov_b32_dpp v21, v17 row_shr:8 row_mask:0xf bank_mask:0xf
	v_cndmask_b32_e64 v16, 0, v21, s[28:29]
	v_add_u32_e32 v16, v17, v16
	s_nop 1
	v_mov_b32_dpp v17, v16 row_bcast:15 row_mask:0xf bank_mask:0xf
	v_and_b32_e32 v17, v35, v17
	v_add_u32_e32 v16, v16, v17
	s_nop 1
	v_mov_b32_dpp v17, v16 row_bcast:31 row_mask:0xf bank_mask:0xf
	v_cndmask_b32_e64 v17, 0, v17, s[34:35]
	v_add_u32_e32 v17, v16, v17
	s_and_saveexec_b64 s[4:5], s[16:17]
	s_cbranch_execz .LBB252_104
; %bb.103:
	ds_write_b32 v23, v17
.LBB252_104:
	s_or_b64 exec, exec, s[4:5]
	v_and_b32_e32 v16, 1, v26
	v_cmp_gt_u32_e64 s[24:25], 2, v46
	v_lshlrev_b32_e32 v21, 2, v46
	v_cmp_eq_u32_e64 s[18:19], 0, v16
	s_waitcnt lgkmcnt(0)
	s_barrier
	s_and_saveexec_b64 s[4:5], s[24:25]
	s_cbranch_execz .LBB252_106
; %bb.105:
	ds_read_b32 v16, v21
	s_waitcnt lgkmcnt(0)
	s_nop 0
	v_mov_b32_dpp v34, v16 row_shr:1 row_mask:0xf bank_mask:0xf
	v_cndmask_b32_e64 v34, v34, 0, s[18:19]
	v_add_u32_e32 v16, v34, v16
	ds_write_b32 v21, v16
.LBB252_106:
	s_or_b64 exec, exec, s[4:5]
	v_cmp_lt_u32_e64 s[30:31], 63, v46
	v_add_u32_e32 v34, -4, v23
	v_mov_b32_e32 v16, 0
	v_mov_b32_e32 v83, 0
	s_waitcnt lgkmcnt(0)
	s_barrier
	s_and_saveexec_b64 s[4:5], s[30:31]
	s_cbranch_execz .LBB252_108
; %bb.107:
	ds_read_b32 v83, v34
.LBB252_108:
	s_or_b64 exec, exec, s[4:5]
	v_add_u32_e32 v35, -1, v26
	v_and_b32_e32 v84, 64, v26
	v_cmp_lt_i32_e64 s[4:5], v35, v84
	v_cndmask_b32_e64 v35, v35, v26, s[4:5]
	v_lshlrev_b32_e32 v35, 2, v35
	s_waitcnt lgkmcnt(0)
	v_add_u32_e32 v17, v83, v17
	ds_bpermute_b32 v17, v35, v17
	v_cmp_eq_u32_e64 s[36:37], 0, v26
	v_cmp_eq_u32_e64 s[38:39], 0, v46
	v_and_or_b32 v36, v26, 63, v36
	v_lshlrev_b32_e32 v84, 1, v36
	s_waitcnt lgkmcnt(0)
	v_cndmask_b32_e64 v17, v17, v83, s[36:37]
	v_cndmask_b32_e64 v17, v17, 0, s[38:39]
	v_add_u32_e32 v18, v17, v18
	v_add_u32_e32 v19, v18, v19
	;; [unrolled: 1-line block ×3, first 2 shown]
	ds_write2_b32 v64, v17, v18 offset0:2 offset1:3
	ds_write2_b32 v22, v19, v20 offset0:2 offset1:3
	s_waitcnt lgkmcnt(0)
	s_barrier
	ds_read_b32 v17, v37 offset:8
	ds_read_b32 v18, v40 offset:8
	;; [unrolled: 1-line block ×8, first 2 shown]
	s_waitcnt lgkmcnt(7)
	v_add_u32_e32 v17, v17, v38
	s_waitcnt lgkmcnt(6)
	v_add3_u32 v18, v41, v39, v18
	s_waitcnt lgkmcnt(4)
	v_add3_u32 v38, v70, v68, v20
	v_lshlrev_b32_e32 v20, 1, v17
	v_add3_u32 v19, v67, v65, v19
	s_waitcnt lgkmcnt(0)
	s_barrier
	ds_write_b16 v20, v33
	v_lshlrev_b32_e32 v20, 1, v18
	ds_write_b16 v20, v32
	v_lshlrev_b32_e32 v20, 1, v19
	v_add3_u32 v39, v73, v71, v26
	ds_write_b16 v20, v31
	v_lshlrev_b32_e32 v20, 1, v38
	v_add3_u32 v37, v76, v74, v37
	;; [unrolled: 3-line block ×4, first 2 shown]
	ds_write_b16 v20, v28
	v_lshlrev_b32_e32 v20, 1, v40
	ds_write_b16 v20, v27
	v_lshlrev_b32_e32 v20, 1, v41
	v_lshlrev_b32_e32 v17, 3, v17
	s_min_u32 s4, s42, 8
	ds_write_b16 v20, v25
	s_waitcnt lgkmcnt(0)
	s_barrier
	ds_read_u16 v31, v84
	ds_read_u16 v30, v84 offset:128
	ds_read_u16 v29, v84 offset:256
	ds_read_u16 v28, v84 offset:384
	ds_read_u16 v27, v84 offset:512
	ds_read_u16 v26, v84 offset:640
	ds_read_u16 v25, v84 offset:768
	ds_read_u16 v20, v84 offset:896
	s_waitcnt lgkmcnt(0)
	s_barrier
	ds_write_b64 v17, v[12:13]
	v_lshlrev_b32_e32 v12, 3, v18
	s_lshl_b32 s4, -1, s4
	s_movk_i32 s50, 0x8000
	ds_write_b64 v12, v[14:15]
	v_lshlrev_b32_e32 v12, 3, v19
	s_not_b32 s49, s4
	v_lshrrev_b16_e32 v17, 8, v31
	v_mov_b32_e32 v18, 0x7f
	v_cmp_ne_u16_e64 s[4:5], s50, v31
	ds_write_b64 v12, v[8:9]
	v_lshlrev_b32_e32 v8, 3, v38
	v_cndmask_b32_e64 v17, v18, v17, s[4:5]
	ds_write_b64 v8, v[10:11]
	v_lshlrev_b32_e32 v8, 3, v39
	v_and_b32_sdwa v19, v17, s49 dst_sel:DWORD dst_unused:UNUSED_PAD src0_sel:WORD_0 src1_sel:DWORD
	ds_write_b64 v8, v[4:5]
	v_lshlrev_b32_e32 v4, 3, v37
	v_lshlrev_b32_e32 v17, 1, v19
	ds_write_b64 v4, v[6:7]
	v_lshlrev_b32_e32 v4, 3, v40
	v_add_lshl_u32 v32, v17, v24, 2
	v_and_b32_e32 v17, 1, v19
	v_lshlrev_b32_e32 v36, 3, v36
	ds_write_b64 v4, v[0:1]
	v_lshlrev_b32_e32 v0, 3, v41
	v_add_co_u32_e64 v33, s[4:5], -1, v17
	ds_write_b64 v0, v[2:3]
	s_waitcnt lgkmcnt(0)
	s_barrier
	ds_read2st64_b64 v[12:15], v36 offset1:1
	ds_read2st64_b64 v[8:11], v36 offset0:2 offset1:3
	ds_read2st64_b64 v[4:7], v36 offset0:4 offset1:5
	;; [unrolled: 1-line block ×3, first 2 shown]
	v_addc_co_u32_e64 v36, s[4:5], 0, -1, s[4:5]
	v_cmp_ne_u32_e64 s[4:5], 0, v17
	v_xor_b32_e32 v17, s5, v36
	v_and_b32_e32 v36, exec_hi, v17
	v_lshlrev_b32_e32 v17, 30, v19
	v_xor_b32_e32 v33, s4, v33
	v_cmp_gt_i64_e64 s[4:5], 0, v[16:17]
	v_not_b32_e32 v17, v17
	v_ashrrev_i32_e32 v17, 31, v17
	v_and_b32_e32 v33, exec_lo, v33
	v_xor_b32_e32 v37, s5, v17
	v_xor_b32_e32 v17, s4, v17
	v_and_b32_e32 v33, v33, v17
	v_lshlrev_b32_e32 v17, 29, v19
	v_cmp_gt_i64_e64 s[4:5], 0, v[16:17]
	v_not_b32_e32 v17, v17
	v_ashrrev_i32_e32 v17, 31, v17
	v_and_b32_e32 v36, v36, v37
	v_xor_b32_e32 v37, s5, v17
	v_xor_b32_e32 v17, s4, v17
	v_and_b32_e32 v33, v33, v17
	v_lshlrev_b32_e32 v17, 28, v19
	v_cmp_gt_i64_e64 s[4:5], 0, v[16:17]
	v_not_b32_e32 v17, v17
	v_ashrrev_i32_e32 v17, 31, v17
	v_and_b32_e32 v36, v36, v37
	;; [unrolled: 8-line block ×5, first 2 shown]
	v_xor_b32_e32 v37, s5, v17
	v_xor_b32_e32 v17, s4, v17
	v_and_b32_e32 v33, v33, v17
	v_lshlrev_b32_e32 v17, 24, v19
	s_waitcnt lgkmcnt(0)
	s_barrier
	ds_write2_b32 v64, v16, v16 offset0:2 offset1:3
	ds_write2_b32 v22, v16, v16 offset0:2 offset1:3
	v_cmp_gt_i64_e64 s[4:5], 0, v[16:17]
	v_not_b32_e32 v16, v17
	v_ashrrev_i32_e32 v16, 31, v16
	v_xor_b32_e32 v17, s5, v16
	v_xor_b32_e32 v16, s4, v16
	v_and_b32_e32 v36, v36, v37
	v_and_b32_e32 v16, v33, v16
	;; [unrolled: 1-line block ×3, first 2 shown]
	v_mbcnt_lo_u32_b32 v19, v16, 0
	v_mbcnt_hi_u32_b32 v33, v17, v19
	v_cmp_eq_u32_e64 s[4:5], 0, v33
	v_cmp_ne_u64_e64 s[42:43], 0, v[16:17]
	s_and_b64 s[42:43], s[42:43], s[4:5]
	s_waitcnt lgkmcnt(0)
	s_barrier
	s_waitcnt lgkmcnt(0)
	; wave barrier
	s_and_saveexec_b64 s[4:5], s[42:43]
	s_cbranch_execz .LBB252_110
; %bb.109:
	v_bcnt_u32_b32 v16, v16, 0
	v_bcnt_u32_b32 v16, v17, v16
	ds_write_b32 v32, v16 offset:8
.LBB252_110:
	s_or_b64 exec, exec, s[4:5]
	v_lshrrev_b16_e32 v16, 8, v30
	v_cmp_ne_u16_e64 s[4:5], s50, v30
	v_cndmask_b32_e64 v16, v18, v16, s[4:5]
	v_and_b32_e32 v18, s49, v16
	v_and_b32_e32 v17, 1, v18
	v_add_co_u32_e64 v19, s[4:5], -1, v17
	v_addc_co_u32_e64 v38, s[4:5], 0, -1, s[4:5]
	v_cmp_ne_u32_e64 s[4:5], 0, v17
	v_lshlrev_b32_e32 v16, 1, v18
	v_xor_b32_e32 v17, s5, v38
	v_add_lshl_u32 v37, v16, v24, 2
	v_mov_b32_e32 v16, 0
	v_and_b32_e32 v38, exec_hi, v17
	v_lshlrev_b32_e32 v17, 30, v18
	v_xor_b32_e32 v19, s4, v19
	v_cmp_gt_i64_e64 s[4:5], 0, v[16:17]
	v_not_b32_e32 v17, v17
	v_ashrrev_i32_e32 v17, 31, v17
	v_and_b32_e32 v19, exec_lo, v19
	v_xor_b32_e32 v39, s5, v17
	v_xor_b32_e32 v17, s4, v17
	v_and_b32_e32 v19, v19, v17
	v_lshlrev_b32_e32 v17, 29, v18
	v_cmp_gt_i64_e64 s[4:5], 0, v[16:17]
	v_not_b32_e32 v17, v17
	v_ashrrev_i32_e32 v17, 31, v17
	v_and_b32_e32 v38, v38, v39
	v_xor_b32_e32 v39, s5, v17
	v_xor_b32_e32 v17, s4, v17
	v_and_b32_e32 v19, v19, v17
	v_lshlrev_b32_e32 v17, 28, v18
	v_cmp_gt_i64_e64 s[4:5], 0, v[16:17]
	v_not_b32_e32 v17, v17
	v_ashrrev_i32_e32 v17, 31, v17
	v_and_b32_e32 v38, v38, v39
	;; [unrolled: 8-line block ×5, first 2 shown]
	v_xor_b32_e32 v39, s5, v17
	v_xor_b32_e32 v17, s4, v17
	v_and_b32_e32 v38, v38, v39
	v_and_b32_e32 v39, v19, v17
	v_lshlrev_b32_e32 v17, 24, v18
	v_cmp_gt_i64_e64 s[4:5], 0, v[16:17]
	v_not_b32_e32 v17, v17
	v_ashrrev_i32_e32 v17, 31, v17
	v_xor_b32_e32 v18, s5, v17
	v_xor_b32_e32 v17, s4, v17
	; wave barrier
	ds_read_b32 v36, v37 offset:8
	v_and_b32_e32 v19, v38, v18
	v_and_b32_e32 v18, v39, v17
	v_mbcnt_lo_u32_b32 v17, v18, 0
	v_mbcnt_hi_u32_b32 v38, v19, v17
	v_cmp_eq_u32_e64 s[4:5], 0, v38
	v_cmp_ne_u64_e64 s[42:43], 0, v[18:19]
	s_and_b64 s[42:43], s[42:43], s[4:5]
	; wave barrier
	s_and_saveexec_b64 s[4:5], s[42:43]
	s_cbranch_execz .LBB252_112
; %bb.111:
	v_bcnt_u32_b32 v17, v18, 0
	v_bcnt_u32_b32 v17, v19, v17
	s_waitcnt lgkmcnt(0)
	v_add_u32_e32 v17, v36, v17
	ds_write_b32 v37, v17 offset:8
.LBB252_112:
	s_or_b64 exec, exec, s[4:5]
	v_lshrrev_b16_e32 v17, 8, v29
	v_mov_b32_e32 v18, 0x7f
	v_cmp_ne_u16_e64 s[4:5], s50, v29
	v_cndmask_b32_e64 v17, v18, v17, s[4:5]
	v_and_b32_e32 v19, s49, v17
	v_lshlrev_b32_e32 v17, 1, v19
	v_add_lshl_u32 v40, v17, v24, 2
	v_and_b32_e32 v17, 1, v19
	v_add_co_u32_e64 v41, s[4:5], -1, v17
	v_addc_co_u32_e64 v46, s[4:5], 0, -1, s[4:5]
	v_cmp_ne_u32_e64 s[4:5], 0, v17
	v_xor_b32_e32 v17, s5, v46
	v_and_b32_e32 v46, exec_hi, v17
	v_lshlrev_b32_e32 v17, 30, v19
	v_xor_b32_e32 v41, s4, v41
	v_cmp_gt_i64_e64 s[4:5], 0, v[16:17]
	v_not_b32_e32 v17, v17
	v_ashrrev_i32_e32 v17, 31, v17
	v_and_b32_e32 v41, exec_lo, v41
	v_xor_b32_e32 v65, s5, v17
	v_xor_b32_e32 v17, s4, v17
	v_and_b32_e32 v41, v41, v17
	v_lshlrev_b32_e32 v17, 29, v19
	v_cmp_gt_i64_e64 s[4:5], 0, v[16:17]
	v_not_b32_e32 v17, v17
	v_ashrrev_i32_e32 v17, 31, v17
	v_and_b32_e32 v46, v46, v65
	v_xor_b32_e32 v65, s5, v17
	v_xor_b32_e32 v17, s4, v17
	v_and_b32_e32 v41, v41, v17
	v_lshlrev_b32_e32 v17, 28, v19
	v_cmp_gt_i64_e64 s[4:5], 0, v[16:17]
	v_not_b32_e32 v17, v17
	v_ashrrev_i32_e32 v17, 31, v17
	v_and_b32_e32 v46, v46, v65
	;; [unrolled: 8-line block ×5, first 2 shown]
	v_xor_b32_e32 v65, s5, v17
	v_xor_b32_e32 v17, s4, v17
	v_and_b32_e32 v41, v41, v17
	v_lshlrev_b32_e32 v17, 24, v19
	v_cmp_gt_i64_e64 s[4:5], 0, v[16:17]
	v_not_b32_e32 v16, v17
	v_ashrrev_i32_e32 v16, 31, v16
	v_xor_b32_e32 v17, s5, v16
	v_xor_b32_e32 v16, s4, v16
	; wave barrier
	ds_read_b32 v39, v40 offset:8
	v_and_b32_e32 v46, v46, v65
	v_and_b32_e32 v16, v41, v16
	;; [unrolled: 1-line block ×3, first 2 shown]
	v_mbcnt_lo_u32_b32 v19, v16, 0
	v_mbcnt_hi_u32_b32 v41, v17, v19
	v_cmp_eq_u32_e64 s[4:5], 0, v41
	v_cmp_ne_u64_e64 s[42:43], 0, v[16:17]
	s_and_b64 s[42:43], s[42:43], s[4:5]
	; wave barrier
	s_and_saveexec_b64 s[4:5], s[42:43]
	s_cbranch_execz .LBB252_114
; %bb.113:
	v_bcnt_u32_b32 v16, v16, 0
	v_bcnt_u32_b32 v16, v17, v16
	s_waitcnt lgkmcnt(0)
	v_add_u32_e32 v16, v39, v16
	ds_write_b32 v40, v16 offset:8
.LBB252_114:
	s_or_b64 exec, exec, s[4:5]
	v_lshrrev_b16_e32 v16, 8, v28
	v_cmp_ne_u16_e64 s[4:5], s50, v28
	v_cndmask_b32_e64 v16, v18, v16, s[4:5]
	v_and_b32_e32 v18, s49, v16
	v_and_b32_e32 v17, 1, v18
	v_add_co_u32_e64 v19, s[4:5], -1, v17
	v_addc_co_u32_e64 v66, s[4:5], 0, -1, s[4:5]
	v_cmp_ne_u32_e64 s[4:5], 0, v17
	v_lshlrev_b32_e32 v16, 1, v18
	v_xor_b32_e32 v17, s5, v66
	v_add_lshl_u32 v65, v16, v24, 2
	v_mov_b32_e32 v16, 0
	v_and_b32_e32 v66, exec_hi, v17
	v_lshlrev_b32_e32 v17, 30, v18
	v_xor_b32_e32 v19, s4, v19
	v_cmp_gt_i64_e64 s[4:5], 0, v[16:17]
	v_not_b32_e32 v17, v17
	v_ashrrev_i32_e32 v17, 31, v17
	v_and_b32_e32 v19, exec_lo, v19
	v_xor_b32_e32 v67, s5, v17
	v_xor_b32_e32 v17, s4, v17
	v_and_b32_e32 v19, v19, v17
	v_lshlrev_b32_e32 v17, 29, v18
	v_cmp_gt_i64_e64 s[4:5], 0, v[16:17]
	v_not_b32_e32 v17, v17
	v_ashrrev_i32_e32 v17, 31, v17
	v_and_b32_e32 v66, v66, v67
	v_xor_b32_e32 v67, s5, v17
	v_xor_b32_e32 v17, s4, v17
	v_and_b32_e32 v19, v19, v17
	v_lshlrev_b32_e32 v17, 28, v18
	v_cmp_gt_i64_e64 s[4:5], 0, v[16:17]
	v_not_b32_e32 v17, v17
	v_ashrrev_i32_e32 v17, 31, v17
	v_and_b32_e32 v66, v66, v67
	v_xor_b32_e32 v67, s5, v17
	v_xor_b32_e32 v17, s4, v17
	v_and_b32_e32 v19, v19, v17
	v_lshlrev_b32_e32 v17, 27, v18
	v_cmp_gt_i64_e64 s[4:5], 0, v[16:17]
	v_not_b32_e32 v17, v17
	v_ashrrev_i32_e32 v17, 31, v17
	v_and_b32_e32 v66, v66, v67
	v_xor_b32_e32 v67, s5, v17
	v_xor_b32_e32 v17, s4, v17
	v_and_b32_e32 v19, v19, v17
	v_lshlrev_b32_e32 v17, 26, v18
	v_cmp_gt_i64_e64 s[4:5], 0, v[16:17]
	v_not_b32_e32 v17, v17
	v_ashrrev_i32_e32 v17, 31, v17
	v_and_b32_e32 v66, v66, v67
	v_xor_b32_e32 v67, s5, v17
	v_xor_b32_e32 v17, s4, v17
	v_and_b32_e32 v19, v19, v17
	v_lshlrev_b32_e32 v17, 25, v18
	v_cmp_gt_i64_e64 s[4:5], 0, v[16:17]
	v_not_b32_e32 v17, v17
	v_ashrrev_i32_e32 v17, 31, v17
	v_and_b32_e32 v66, v66, v67
	v_xor_b32_e32 v67, s5, v17
	v_xor_b32_e32 v17, s4, v17
	v_and_b32_e32 v66, v66, v67
	v_and_b32_e32 v67, v19, v17
	v_lshlrev_b32_e32 v17, 24, v18
	v_cmp_gt_i64_e64 s[4:5], 0, v[16:17]
	v_not_b32_e32 v17, v17
	v_ashrrev_i32_e32 v17, 31, v17
	v_xor_b32_e32 v18, s5, v17
	v_xor_b32_e32 v17, s4, v17
	; wave barrier
	ds_read_b32 v46, v65 offset:8
	v_and_b32_e32 v19, v66, v18
	v_and_b32_e32 v18, v67, v17
	v_mbcnt_lo_u32_b32 v17, v18, 0
	v_mbcnt_hi_u32_b32 v66, v19, v17
	v_cmp_eq_u32_e64 s[4:5], 0, v66
	v_cmp_ne_u64_e64 s[42:43], 0, v[18:19]
	s_and_b64 s[42:43], s[42:43], s[4:5]
	; wave barrier
	s_and_saveexec_b64 s[4:5], s[42:43]
	s_cbranch_execz .LBB252_116
; %bb.115:
	v_bcnt_u32_b32 v17, v18, 0
	v_bcnt_u32_b32 v17, v19, v17
	s_waitcnt lgkmcnt(0)
	v_add_u32_e32 v17, v46, v17
	ds_write_b32 v65, v17 offset:8
.LBB252_116:
	s_or_b64 exec, exec, s[4:5]
	v_lshrrev_b16_e32 v17, 8, v27
	v_mov_b32_e32 v18, 0x7f
	v_cmp_ne_u16_e64 s[4:5], s50, v27
	v_cndmask_b32_e64 v17, v18, v17, s[4:5]
	v_and_b32_e32 v19, s49, v17
	v_lshlrev_b32_e32 v17, 1, v19
	v_add_lshl_u32 v68, v17, v24, 2
	v_and_b32_e32 v17, 1, v19
	v_add_co_u32_e64 v69, s[4:5], -1, v17
	v_addc_co_u32_e64 v70, s[4:5], 0, -1, s[4:5]
	v_cmp_ne_u32_e64 s[4:5], 0, v17
	v_xor_b32_e32 v17, s5, v70
	v_and_b32_e32 v70, exec_hi, v17
	v_lshlrev_b32_e32 v17, 30, v19
	v_xor_b32_e32 v69, s4, v69
	v_cmp_gt_i64_e64 s[4:5], 0, v[16:17]
	v_not_b32_e32 v17, v17
	v_ashrrev_i32_e32 v17, 31, v17
	v_and_b32_e32 v69, exec_lo, v69
	v_xor_b32_e32 v71, s5, v17
	v_xor_b32_e32 v17, s4, v17
	v_and_b32_e32 v69, v69, v17
	v_lshlrev_b32_e32 v17, 29, v19
	v_cmp_gt_i64_e64 s[4:5], 0, v[16:17]
	v_not_b32_e32 v17, v17
	v_ashrrev_i32_e32 v17, 31, v17
	v_and_b32_e32 v70, v70, v71
	v_xor_b32_e32 v71, s5, v17
	v_xor_b32_e32 v17, s4, v17
	v_and_b32_e32 v69, v69, v17
	v_lshlrev_b32_e32 v17, 28, v19
	v_cmp_gt_i64_e64 s[4:5], 0, v[16:17]
	v_not_b32_e32 v17, v17
	v_ashrrev_i32_e32 v17, 31, v17
	v_and_b32_e32 v70, v70, v71
	;; [unrolled: 8-line block ×5, first 2 shown]
	v_xor_b32_e32 v71, s5, v17
	v_xor_b32_e32 v17, s4, v17
	v_and_b32_e32 v69, v69, v17
	v_lshlrev_b32_e32 v17, 24, v19
	v_cmp_gt_i64_e64 s[4:5], 0, v[16:17]
	v_not_b32_e32 v16, v17
	v_ashrrev_i32_e32 v16, 31, v16
	v_xor_b32_e32 v17, s5, v16
	v_xor_b32_e32 v16, s4, v16
	; wave barrier
	ds_read_b32 v67, v68 offset:8
	v_and_b32_e32 v70, v70, v71
	v_and_b32_e32 v16, v69, v16
	;; [unrolled: 1-line block ×3, first 2 shown]
	v_mbcnt_lo_u32_b32 v19, v16, 0
	v_mbcnt_hi_u32_b32 v69, v17, v19
	v_cmp_eq_u32_e64 s[4:5], 0, v69
	v_cmp_ne_u64_e64 s[42:43], 0, v[16:17]
	s_and_b64 s[42:43], s[42:43], s[4:5]
	; wave barrier
	s_and_saveexec_b64 s[4:5], s[42:43]
	s_cbranch_execz .LBB252_118
; %bb.117:
	v_bcnt_u32_b32 v16, v16, 0
	v_bcnt_u32_b32 v16, v17, v16
	s_waitcnt lgkmcnt(0)
	v_add_u32_e32 v16, v67, v16
	ds_write_b32 v68, v16 offset:8
.LBB252_118:
	s_or_b64 exec, exec, s[4:5]
	v_lshrrev_b16_e32 v16, 8, v26
	v_cmp_ne_u16_e64 s[4:5], s50, v26
	v_cndmask_b32_e64 v16, v18, v16, s[4:5]
	v_and_b32_e32 v18, s49, v16
	v_and_b32_e32 v17, 1, v18
	v_add_co_u32_e64 v19, s[4:5], -1, v17
	v_addc_co_u32_e64 v72, s[4:5], 0, -1, s[4:5]
	v_cmp_ne_u32_e64 s[4:5], 0, v17
	v_lshlrev_b32_e32 v16, 1, v18
	v_xor_b32_e32 v17, s5, v72
	v_add_lshl_u32 v71, v16, v24, 2
	v_mov_b32_e32 v16, 0
	v_and_b32_e32 v72, exec_hi, v17
	v_lshlrev_b32_e32 v17, 30, v18
	v_xor_b32_e32 v19, s4, v19
	v_cmp_gt_i64_e64 s[4:5], 0, v[16:17]
	v_not_b32_e32 v17, v17
	v_ashrrev_i32_e32 v17, 31, v17
	v_and_b32_e32 v19, exec_lo, v19
	v_xor_b32_e32 v73, s5, v17
	v_xor_b32_e32 v17, s4, v17
	v_and_b32_e32 v19, v19, v17
	v_lshlrev_b32_e32 v17, 29, v18
	v_cmp_gt_i64_e64 s[4:5], 0, v[16:17]
	v_not_b32_e32 v17, v17
	v_ashrrev_i32_e32 v17, 31, v17
	v_and_b32_e32 v72, v72, v73
	v_xor_b32_e32 v73, s5, v17
	v_xor_b32_e32 v17, s4, v17
	v_and_b32_e32 v19, v19, v17
	v_lshlrev_b32_e32 v17, 28, v18
	v_cmp_gt_i64_e64 s[4:5], 0, v[16:17]
	v_not_b32_e32 v17, v17
	v_ashrrev_i32_e32 v17, 31, v17
	v_and_b32_e32 v72, v72, v73
	;; [unrolled: 8-line block ×5, first 2 shown]
	v_xor_b32_e32 v73, s5, v17
	v_xor_b32_e32 v17, s4, v17
	v_and_b32_e32 v72, v72, v73
	v_and_b32_e32 v73, v19, v17
	v_lshlrev_b32_e32 v17, 24, v18
	v_cmp_gt_i64_e64 s[4:5], 0, v[16:17]
	v_not_b32_e32 v17, v17
	v_ashrrev_i32_e32 v17, 31, v17
	v_xor_b32_e32 v18, s5, v17
	v_xor_b32_e32 v17, s4, v17
	; wave barrier
	ds_read_b32 v70, v71 offset:8
	v_and_b32_e32 v19, v72, v18
	v_and_b32_e32 v18, v73, v17
	v_mbcnt_lo_u32_b32 v17, v18, 0
	v_mbcnt_hi_u32_b32 v72, v19, v17
	v_cmp_eq_u32_e64 s[4:5], 0, v72
	v_cmp_ne_u64_e64 s[42:43], 0, v[18:19]
	s_and_b64 s[42:43], s[42:43], s[4:5]
	; wave barrier
	s_and_saveexec_b64 s[4:5], s[42:43]
	s_cbranch_execz .LBB252_120
; %bb.119:
	v_bcnt_u32_b32 v17, v18, 0
	v_bcnt_u32_b32 v17, v19, v17
	s_waitcnt lgkmcnt(0)
	v_add_u32_e32 v17, v70, v17
	ds_write_b32 v71, v17 offset:8
.LBB252_120:
	s_or_b64 exec, exec, s[4:5]
	v_lshrrev_b16_e32 v17, 8, v25
	v_mov_b32_e32 v18, 0x7f
	v_cmp_ne_u16_e64 s[4:5], s50, v25
	v_cndmask_b32_e64 v17, v18, v17, s[4:5]
	v_and_b32_e32 v19, s49, v17
	v_lshlrev_b32_e32 v17, 1, v19
	v_add_lshl_u32 v74, v17, v24, 2
	v_and_b32_e32 v17, 1, v19
	v_add_co_u32_e64 v75, s[4:5], -1, v17
	v_addc_co_u32_e64 v76, s[4:5], 0, -1, s[4:5]
	v_cmp_ne_u32_e64 s[4:5], 0, v17
	v_xor_b32_e32 v17, s5, v76
	v_and_b32_e32 v76, exec_hi, v17
	v_lshlrev_b32_e32 v17, 30, v19
	v_xor_b32_e32 v75, s4, v75
	v_cmp_gt_i64_e64 s[4:5], 0, v[16:17]
	v_not_b32_e32 v17, v17
	v_ashrrev_i32_e32 v17, 31, v17
	v_and_b32_e32 v75, exec_lo, v75
	v_xor_b32_e32 v77, s5, v17
	v_xor_b32_e32 v17, s4, v17
	v_and_b32_e32 v75, v75, v17
	v_lshlrev_b32_e32 v17, 29, v19
	v_cmp_gt_i64_e64 s[4:5], 0, v[16:17]
	v_not_b32_e32 v17, v17
	v_ashrrev_i32_e32 v17, 31, v17
	v_and_b32_e32 v76, v76, v77
	v_xor_b32_e32 v77, s5, v17
	v_xor_b32_e32 v17, s4, v17
	v_and_b32_e32 v75, v75, v17
	v_lshlrev_b32_e32 v17, 28, v19
	v_cmp_gt_i64_e64 s[4:5], 0, v[16:17]
	v_not_b32_e32 v17, v17
	v_ashrrev_i32_e32 v17, 31, v17
	v_and_b32_e32 v76, v76, v77
	;; [unrolled: 8-line block ×5, first 2 shown]
	v_xor_b32_e32 v77, s5, v17
	v_xor_b32_e32 v17, s4, v17
	v_and_b32_e32 v75, v75, v17
	v_lshlrev_b32_e32 v17, 24, v19
	v_cmp_gt_i64_e64 s[4:5], 0, v[16:17]
	v_not_b32_e32 v16, v17
	v_ashrrev_i32_e32 v16, 31, v16
	v_xor_b32_e32 v17, s5, v16
	v_xor_b32_e32 v16, s4, v16
	; wave barrier
	ds_read_b32 v73, v74 offset:8
	v_and_b32_e32 v76, v76, v77
	v_and_b32_e32 v16, v75, v16
	;; [unrolled: 1-line block ×3, first 2 shown]
	v_mbcnt_lo_u32_b32 v19, v16, 0
	v_mbcnt_hi_u32_b32 v75, v17, v19
	v_cmp_eq_u32_e64 s[4:5], 0, v75
	v_cmp_ne_u64_e64 s[42:43], 0, v[16:17]
	s_and_b64 s[42:43], s[42:43], s[4:5]
	; wave barrier
	s_and_saveexec_b64 s[4:5], s[42:43]
	s_cbranch_execz .LBB252_122
; %bb.121:
	v_bcnt_u32_b32 v16, v16, 0
	v_bcnt_u32_b32 v16, v17, v16
	s_waitcnt lgkmcnt(0)
	v_add_u32_e32 v16, v73, v16
	ds_write_b32 v74, v16 offset:8
.LBB252_122:
	s_or_b64 exec, exec, s[4:5]
	v_lshrrev_b16_e32 v16, 8, v20
	v_cmp_ne_u16_e64 s[4:5], s50, v20
	v_cndmask_b32_e64 v16, v18, v16, s[4:5]
	v_and_b32_e32 v18, s49, v16
	v_and_b32_e32 v17, 1, v18
	v_add_co_u32_e64 v19, s[4:5], -1, v17
	v_addc_co_u32_e64 v77, s[4:5], 0, -1, s[4:5]
	v_cmp_ne_u32_e64 s[4:5], 0, v17
	v_lshlrev_b32_e32 v16, 1, v18
	v_xor_b32_e32 v17, s5, v77
	v_add_lshl_u32 v76, v16, v24, 2
	v_mov_b32_e32 v16, 0
	v_and_b32_e32 v77, exec_hi, v17
	v_lshlrev_b32_e32 v17, 30, v18
	v_xor_b32_e32 v19, s4, v19
	v_cmp_gt_i64_e64 s[4:5], 0, v[16:17]
	v_not_b32_e32 v17, v17
	v_ashrrev_i32_e32 v17, 31, v17
	v_and_b32_e32 v19, exec_lo, v19
	v_xor_b32_e32 v78, s5, v17
	v_xor_b32_e32 v17, s4, v17
	v_and_b32_e32 v19, v19, v17
	v_lshlrev_b32_e32 v17, 29, v18
	v_cmp_gt_i64_e64 s[4:5], 0, v[16:17]
	v_not_b32_e32 v17, v17
	v_ashrrev_i32_e32 v17, 31, v17
	v_and_b32_e32 v77, v77, v78
	v_xor_b32_e32 v78, s5, v17
	v_xor_b32_e32 v17, s4, v17
	v_and_b32_e32 v19, v19, v17
	v_lshlrev_b32_e32 v17, 28, v18
	v_cmp_gt_i64_e64 s[4:5], 0, v[16:17]
	v_not_b32_e32 v17, v17
	v_ashrrev_i32_e32 v17, 31, v17
	v_and_b32_e32 v77, v77, v78
	;; [unrolled: 8-line block ×5, first 2 shown]
	v_xor_b32_e32 v78, s5, v17
	v_xor_b32_e32 v17, s4, v17
	v_and_b32_e32 v19, v19, v17
	v_lshlrev_b32_e32 v17, 24, v18
	v_cmp_gt_i64_e64 s[4:5], 0, v[16:17]
	v_not_b32_e32 v16, v17
	v_ashrrev_i32_e32 v16, 31, v16
	v_xor_b32_e32 v17, s5, v16
	v_xor_b32_e32 v16, s4, v16
	; wave barrier
	ds_read_b32 v24, v76 offset:8
	v_and_b32_e32 v77, v77, v78
	v_and_b32_e32 v16, v19, v16
	;; [unrolled: 1-line block ×3, first 2 shown]
	v_mbcnt_lo_u32_b32 v18, v16, 0
	v_mbcnt_hi_u32_b32 v77, v17, v18
	v_cmp_eq_u32_e64 s[4:5], 0, v77
	v_cmp_ne_u64_e64 s[42:43], 0, v[16:17]
	s_and_b64 s[42:43], s[42:43], s[4:5]
	; wave barrier
	s_and_saveexec_b64 s[4:5], s[42:43]
	s_cbranch_execz .LBB252_124
; %bb.123:
	v_bcnt_u32_b32 v16, v16, 0
	v_bcnt_u32_b32 v16, v17, v16
	s_waitcnt lgkmcnt(0)
	v_add_u32_e32 v16, v24, v16
	ds_write_b32 v76, v16 offset:8
.LBB252_124:
	s_or_b64 exec, exec, s[4:5]
	; wave barrier
	s_waitcnt lgkmcnt(0)
	s_barrier
	ds_read2_b32 v[18:19], v64 offset0:2 offset1:3
	ds_read2_b32 v[16:17], v22 offset0:2 offset1:3
	s_waitcnt lgkmcnt(1)
	v_add_u32_e32 v78, v19, v18
	s_waitcnt lgkmcnt(0)
	v_add3_u32 v17, v78, v16, v17
	s_nop 1
	v_mov_b32_dpp v78, v17 row_shr:1 row_mask:0xf bank_mask:0xf
	v_cndmask_b32_e64 v78, v78, 0, s[20:21]
	v_add_u32_e32 v17, v78, v17
	s_nop 1
	v_mov_b32_dpp v78, v17 row_shr:2 row_mask:0xf bank_mask:0xf
	v_cndmask_b32_e64 v78, 0, v78, s[22:23]
	v_add_u32_e32 v17, v17, v78
	;; [unrolled: 4-line block ×4, first 2 shown]
	s_nop 1
	v_mov_b32_dpp v78, v17 row_bcast:15 row_mask:0xf bank_mask:0xf
	v_cndmask_b32_e64 v78, v78, 0, vcc
	v_add_u32_e32 v17, v17, v78
	s_nop 1
	v_mov_b32_dpp v78, v17 row_bcast:31 row_mask:0xf bank_mask:0xf
	v_cndmask_b32_e64 v78, 0, v78, s[34:35]
	v_add_u32_e32 v78, v17, v78
	s_and_saveexec_b64 s[4:5], s[16:17]
	s_cbranch_execz .LBB252_126
; %bb.125:
	ds_write_b32 v23, v78
.LBB252_126:
	s_or_b64 exec, exec, s[4:5]
	s_waitcnt lgkmcnt(0)
	s_barrier
	s_and_saveexec_b64 s[4:5], s[24:25]
	s_cbranch_execz .LBB252_128
; %bb.127:
	ds_read_b32 v17, v21
	s_waitcnt lgkmcnt(0)
	s_nop 0
	v_mov_b32_dpp v23, v17 row_shr:1 row_mask:0xf bank_mask:0xf
	v_cndmask_b32_e64 v23, v23, 0, s[18:19]
	v_add_u32_e32 v17, v23, v17
	ds_write_b32 v21, v17
.LBB252_128:
	s_or_b64 exec, exec, s[4:5]
	v_mov_b32_e32 v17, 0
	v_mov_b32_e32 v21, 0
	s_waitcnt lgkmcnt(0)
	s_barrier
	s_and_saveexec_b64 s[4:5], s[30:31]
	s_cbranch_execz .LBB252_130
; %bb.129:
	ds_read_b32 v21, v34
.LBB252_130:
	s_or_b64 exec, exec, s[4:5]
	s_waitcnt lgkmcnt(0)
	v_add_u32_e32 v23, v21, v78
	ds_bpermute_b32 v23, v35, v23
	v_lshlrev_b32_e32 v34, 3, v63
	s_mov_b32 s16, 0x5040100
	s_waitcnt lgkmcnt(0)
	v_cndmask_b32_e64 v21, v23, v21, s[36:37]
	v_cndmask_b32_e64 v21, v21, 0, s[38:39]
	v_add_u32_e32 v18, v21, v18
	v_add_u32_e32 v19, v18, v19
	;; [unrolled: 1-line block ×3, first 2 shown]
	ds_write2_b32 v64, v21, v18 offset0:2 offset1:3
	ds_write2_b32 v22, v19, v16 offset0:2 offset1:3
	s_waitcnt lgkmcnt(0)
	s_barrier
	ds_read_b32 v16, v76 offset:8
	ds_read_b32 v18, v74 offset:8
	ds_read_b32 v19, v71 offset:8
	ds_read_b32 v21, v68 offset:8
	s_waitcnt lgkmcnt(3)
	v_add3_u32 v16, v77, v24, v16
	ds_read_b32 v22, v65 offset:8
	ds_read_b32 v23, v40 offset:8
	;; [unrolled: 1-line block ×4, first 2 shown]
	s_waitcnt lgkmcnt(0)
	s_barrier
	v_add3_u32 v23, v41, v39, v23
	v_add3_u32 v24, v38, v36, v24
	v_add_u32_e32 v32, v32, v33
	v_lshlrev_b32_e32 v33, 1, v32
	ds_write_b16 v33, v31
	v_lshlrev_b32_e32 v31, 1, v24
	v_add3_u32 v22, v66, v46, v22
	ds_write_b16 v31, v30
	v_lshlrev_b32_e32 v30, 1, v23
	v_add3_u32 v21, v69, v67, v21
	;; [unrolled: 3-line block ×4, first 2 shown]
	ds_write_b16 v28, v27
	v_lshlrev_b32_e32 v27, 1, v19
	ds_write_b16 v27, v26
	v_lshlrev_b32_e32 v26, 1, v18
	;; [unrolled: 2-line block ×4, first 2 shown]
	s_waitcnt lgkmcnt(0)
	s_barrier
	v_lshlrev_b32_e32 v26, 3, v21
	v_lshlrev_b32_e32 v27, 3, v19
	;; [unrolled: 1-line block ×3, first 2 shown]
	ds_read_b128 v[18:21], v20
	v_mov_b32_e32 v40, -1
	v_mov_b32_e32 v41, 0x7fff
	v_lshlrev_b32_e32 v25, 3, v32
	v_lshlrev_b32_e32 v24, 3, v24
	s_waitcnt lgkmcnt(0)
	v_cmp_gt_i16_sdwa vcc, v18, v40 src0_sel:WORD_1 src1_sel:DWORD
	v_cndmask_b32_e32 v29, 0, v41, vcc
	v_cmp_lt_i16_e32 vcc, -1, v18
	v_cndmask_b32_e32 v30, 0, v41, vcc
	v_cmp_lt_i16_sdwa s[4:5], v19, v17 src0_sel:WORD_1 src1_sel:DWORD
	v_cmp_gt_i16_e32 vcc, 0, v19
	v_cndmask_b32_e64 v31, v41, 0, s[4:5]
	v_cndmask_b32_e64 v32, v41, 0, vcc
	v_lshlrev_b32_e32 v23, 3, v23
	v_lshlrev_b32_e32 v22, 3, v22
	v_xor_b32_e32 v32, v32, v19
	v_xor_b32_sdwa v19, v31, v19 dst_sel:DWORD dst_unused:UNUSED_PAD src0_sel:DWORD src1_sel:WORD_1
	v_lshlrev_b32_e32 v16, 3, v16
	v_perm_b32 v39, v19, v32, s16
	v_xor_b32_e32 v19, v30, v18
	v_xor_b32_sdwa v18, v29, v18 dst_sel:DWORD dst_unused:UNUSED_PAD src0_sel:DWORD src1_sel:WORD_1
	s_barrier
	ds_write_b64 v25, v[12:13]
	ds_write_b64 v24, v[14:15]
	;; [unrolled: 1-line block ×8, first 2 shown]
	s_waitcnt lgkmcnt(0)
	s_barrier
	ds_read2_b64 v[22:25], v34 offset1:1
	ds_read2_b64 v[26:29], v34 offset0:2 offset1:3
	ds_read2_b64 v[30:33], v34 offset0:4 offset1:5
	;; [unrolled: 1-line block ×3, first 2 shown]
	v_cmp_gt_i16_sdwa vcc, v20, v40 src0_sel:WORD_1 src1_sel:DWORD
	v_cndmask_b32_e32 v0, 0, v41, vcc
	v_cmp_lt_i16_e32 vcc, -1, v20
	v_cndmask_b32_e32 v1, 0, v41, vcc
	v_cmp_lt_i16_sdwa s[4:5], v21, v17 src0_sel:WORD_1 src1_sel:DWORD
	v_cmp_gt_i16_e32 vcc, 0, v21
	v_cndmask_b32_e64 v2, v41, 0, s[4:5]
	v_cndmask_b32_e64 v3, v41, 0, vcc
	v_xor_b32_e32 v3, v3, v21
	v_xor_b32_sdwa v2, v2, v21 dst_sel:DWORD dst_unused:UNUSED_PAD src0_sel:DWORD src1_sel:WORD_1
	v_xor_b32_e32 v1, v1, v20
	v_xor_b32_sdwa v0, v0, v20 dst_sel:DWORD dst_unused:UNUSED_PAD src0_sel:DWORD src1_sel:WORD_1
	v_perm_b32 v38, v18, v19, s16
	v_perm_b32 v41, v2, v3, s16
	;; [unrolled: 1-line block ×3, first 2 shown]
.LBB252_131:
	s_waitcnt lgkmcnt(0)
	s_barrier
	ds_write_b128 v54, v[38:41]
	s_waitcnt lgkmcnt(0)
	s_barrier
	ds_read_u16 v8, v43 offset:256
	ds_read_u16 v7, v48 offset:512
	;; [unrolled: 1-line block ×7, first 2 shown]
	v_mov_b32_e32 v43, 0
	v_lshlrev_b64 v[0:1], 1, v[42:43]
	v_mov_b32_e32 v9, s44
	v_add_co_u32_e32 v0, vcc, s33, v0
	v_addc_co_u32_e32 v1, vcc, v9, v1, vcc
	s_and_saveexec_b64 s[4:5], s[0:1]
	s_cbranch_execnz .LBB252_150
; %bb.132:
	s_or_b64 exec, exec, s[4:5]
	s_and_saveexec_b64 s[4:5], s[2:3]
	s_cbranch_execnz .LBB252_151
.LBB252_133:
	s_or_b64 exec, exec, s[4:5]
	s_and_saveexec_b64 s[4:5], s[40:41]
	s_cbranch_execnz .LBB252_152
.LBB252_134:
	s_or_b64 exec, exec, s[4:5]
	s_and_saveexec_b64 s[4:5], s[6:7]
	s_cbranch_execnz .LBB252_153
.LBB252_135:
	s_or_b64 exec, exec, s[4:5]
	s_and_saveexec_b64 s[4:5], s[8:9]
	s_cbranch_execnz .LBB252_154
.LBB252_136:
	s_or_b64 exec, exec, s[4:5]
	s_and_saveexec_b64 s[4:5], s[10:11]
	s_cbranch_execnz .LBB252_155
.LBB252_137:
	s_or_b64 exec, exec, s[4:5]
	s_and_saveexec_b64 s[4:5], s[12:13]
	s_cbranch_execnz .LBB252_156
.LBB252_138:
	s_or_b64 exec, exec, s[4:5]
	s_and_saveexec_b64 s[4:5], s[14:15]
	s_cbranch_execz .LBB252_140
.LBB252_139:
	s_mul_i32 s16, s46, 0x380
	s_mov_b32 s17, 0
	s_lshl_b64 s[16:17], s[16:17], 1
	s_waitcnt lgkmcnt(1)
	v_mov_b32_e32 v3, s17
	v_add_co_u32_e32 v0, vcc, s16, v0
	v_addc_co_u32_e32 v1, vcc, v1, v3, vcc
	s_waitcnt lgkmcnt(0)
	global_store_short v[0:1], v2, off
.LBB252_140:
	s_or_b64 exec, exec, s[4:5]
	s_waitcnt lgkmcnt(0)
	s_barrier
	ds_write2_b64 v62, v[22:23], v[24:25] offset1:1
	ds_write2_b64 v62, v[26:27], v[28:29] offset0:2 offset1:3
	ds_write2_b64 v62, v[30:31], v[32:33] offset0:4 offset1:5
	ds_write2_b64 v62, v[34:35], v[36:37] offset0:6 offset1:7
	s_waitcnt lgkmcnt(0)
	s_barrier
	ds_read_b64 v[14:15], v45 offset:1024
	ds_read_b64 v[12:13], v56 offset:2048
	;; [unrolled: 1-line block ×7, first 2 shown]
	v_mov_b32_e32 v45, 0
	v_lshlrev_b64 v[2:3], 3, v[44:45]
	v_mov_b32_e32 v16, s47
	v_add_co_u32_e32 v2, vcc, s45, v2
	v_addc_co_u32_e32 v3, vcc, v16, v3, vcc
	s_and_saveexec_b64 s[4:5], s[0:1]
	s_cbranch_execnz .LBB252_157
; %bb.141:
	s_or_b64 exec, exec, s[4:5]
	s_and_saveexec_b64 s[0:1], s[2:3]
	s_cbranch_execnz .LBB252_158
.LBB252_142:
	s_or_b64 exec, exec, s[0:1]
	s_and_saveexec_b64 s[0:1], s[40:41]
	s_cbranch_execnz .LBB252_159
.LBB252_143:
	s_or_b64 exec, exec, s[0:1]
	s_and_saveexec_b64 s[0:1], s[6:7]
	s_cbranch_execnz .LBB252_160
.LBB252_144:
	s_or_b64 exec, exec, s[0:1]
	s_and_saveexec_b64 s[0:1], s[8:9]
	s_cbranch_execnz .LBB252_161
.LBB252_145:
	s_or_b64 exec, exec, s[0:1]
	s_and_saveexec_b64 s[0:1], s[10:11]
	s_cbranch_execnz .LBB252_162
.LBB252_146:
	s_or_b64 exec, exec, s[0:1]
	s_and_saveexec_b64 s[0:1], s[12:13]
	s_cbranch_execnz .LBB252_163
.LBB252_147:
	s_or_b64 exec, exec, s[0:1]
	s_and_saveexec_b64 s[0:1], s[14:15]
	s_cbranch_execz .LBB252_149
.LBB252_148:
	s_mul_i32 s0, s48, 0x380
	s_mov_b32 s1, 0
	s_lshl_b64 s[0:1], s[0:1], 3
	s_waitcnt lgkmcnt(1)
	v_mov_b32_e32 v4, s1
	v_add_co_u32_e32 v2, vcc, s0, v2
	v_addc_co_u32_e32 v3, vcc, v3, v4, vcc
	s_waitcnt lgkmcnt(0)
	global_store_dwordx2 v[2:3], v[0:1], off
.LBB252_149:
	s_endpgm
.LBB252_150:
	ds_read_u16 v9, v47
	s_waitcnt lgkmcnt(0)
	global_store_short v[0:1], v9, off
	s_or_b64 exec, exec, s[4:5]
	s_and_saveexec_b64 s[4:5], s[2:3]
	s_cbranch_execz .LBB252_133
.LBB252_151:
	s_lshl_b32 s16, s46, 7
	s_mov_b32 s17, 0
	s_lshl_b64 s[16:17], s[16:17], 1
	v_mov_b32_e32 v9, s17
	v_add_co_u32_e32 v10, vcc, s16, v0
	v_addc_co_u32_e32 v11, vcc, v1, v9, vcc
	s_waitcnt lgkmcnt(6)
	global_store_short v[10:11], v8, off
	s_or_b64 exec, exec, s[4:5]
	s_and_saveexec_b64 s[4:5], s[40:41]
	s_cbranch_execz .LBB252_134
.LBB252_152:
	s_lshl_b32 s16, s46, 8
	s_mov_b32 s17, 0
	s_lshl_b64 s[16:17], s[16:17], 1
	v_mov_b32_e32 v9, s17
	s_waitcnt lgkmcnt(6)
	v_add_co_u32_e32 v8, vcc, s16, v0
	v_addc_co_u32_e32 v9, vcc, v1, v9, vcc
	s_waitcnt lgkmcnt(5)
	global_store_short v[8:9], v7, off
	s_or_b64 exec, exec, s[4:5]
	s_and_saveexec_b64 s[4:5], s[6:7]
	s_cbranch_execz .LBB252_135
.LBB252_153:
	s_mul_i32 s16, s46, 0x180
	s_mov_b32 s17, 0
	s_lshl_b64 s[16:17], s[16:17], 1
	s_waitcnt lgkmcnt(5)
	v_mov_b32_e32 v7, s17
	v_add_co_u32_e32 v8, vcc, s16, v0
	v_addc_co_u32_e32 v9, vcc, v1, v7, vcc
	s_waitcnt lgkmcnt(4)
	global_store_short v[8:9], v6, off
	s_or_b64 exec, exec, s[4:5]
	s_and_saveexec_b64 s[4:5], s[8:9]
	s_cbranch_execz .LBB252_136
.LBB252_154:
	s_lshl_b32 s16, s46, 9
	s_mov_b32 s17, 0
	s_lshl_b64 s[16:17], s[16:17], 1
	s_waitcnt lgkmcnt(5)
	v_mov_b32_e32 v7, s17
	s_waitcnt lgkmcnt(4)
	v_add_co_u32_e32 v6, vcc, s16, v0
	v_addc_co_u32_e32 v7, vcc, v1, v7, vcc
	s_waitcnt lgkmcnt(3)
	global_store_short v[6:7], v5, off
	s_or_b64 exec, exec, s[4:5]
	s_and_saveexec_b64 s[4:5], s[10:11]
	s_cbranch_execz .LBB252_137
.LBB252_155:
	s_mul_i32 s16, s46, 0x280
	s_mov_b32 s17, 0
	s_lshl_b64 s[16:17], s[16:17], 1
	s_waitcnt lgkmcnt(3)
	v_mov_b32_e32 v5, s17
	v_add_co_u32_e32 v6, vcc, s16, v0
	v_addc_co_u32_e32 v7, vcc, v1, v5, vcc
	s_waitcnt lgkmcnt(2)
	global_store_short v[6:7], v4, off
	s_or_b64 exec, exec, s[4:5]
	s_and_saveexec_b64 s[4:5], s[12:13]
	s_cbranch_execz .LBB252_138
.LBB252_156:
	s_mul_i32 s16, s46, 0x300
	s_mov_b32 s17, 0
	s_lshl_b64 s[16:17], s[16:17], 1
	s_waitcnt lgkmcnt(3)
	v_mov_b32_e32 v5, s17
	s_waitcnt lgkmcnt(2)
	v_add_co_u32_e32 v4, vcc, s16, v0
	v_addc_co_u32_e32 v5, vcc, v1, v5, vcc
	s_waitcnt lgkmcnt(1)
	global_store_short v[4:5], v3, off
	s_or_b64 exec, exec, s[4:5]
	s_and_saveexec_b64 s[4:5], s[14:15]
	s_cbranch_execnz .LBB252_139
	s_branch .LBB252_140
.LBB252_157:
	ds_read_b64 v[16:17], v55
	s_waitcnt lgkmcnt(0)
	global_store_dwordx2 v[2:3], v[16:17], off
	s_or_b64 exec, exec, s[4:5]
	s_and_saveexec_b64 s[0:1], s[2:3]
	s_cbranch_execz .LBB252_142
.LBB252_158:
	s_lshl_b32 s2, s48, 7
	s_mov_b32 s3, 0
	s_lshl_b64 s[2:3], s[2:3], 3
	v_mov_b32_e32 v17, s3
	v_add_co_u32_e32 v16, vcc, s2, v2
	v_addc_co_u32_e32 v17, vcc, v3, v17, vcc
	s_waitcnt lgkmcnt(6)
	global_store_dwordx2 v[16:17], v[14:15], off
	s_or_b64 exec, exec, s[0:1]
	s_and_saveexec_b64 s[0:1], s[40:41]
	s_cbranch_execz .LBB252_143
.LBB252_159:
	s_lshl_b32 s2, s48, 8
	s_mov_b32 s3, 0
	s_lshl_b64 s[2:3], s[2:3], 3
	s_waitcnt lgkmcnt(6)
	v_mov_b32_e32 v15, s3
	v_add_co_u32_e32 v14, vcc, s2, v2
	v_addc_co_u32_e32 v15, vcc, v3, v15, vcc
	s_waitcnt lgkmcnt(5)
	global_store_dwordx2 v[14:15], v[12:13], off
	s_or_b64 exec, exec, s[0:1]
	s_and_saveexec_b64 s[0:1], s[6:7]
	s_cbranch_execz .LBB252_144
.LBB252_160:
	s_mul_i32 s2, s48, 0x180
	s_mov_b32 s3, 0
	s_lshl_b64 s[2:3], s[2:3], 3
	s_waitcnt lgkmcnt(5)
	v_mov_b32_e32 v13, s3
	v_add_co_u32_e32 v12, vcc, s2, v2
	v_addc_co_u32_e32 v13, vcc, v3, v13, vcc
	s_waitcnt lgkmcnt(4)
	global_store_dwordx2 v[12:13], v[10:11], off
	s_or_b64 exec, exec, s[0:1]
	s_and_saveexec_b64 s[0:1], s[8:9]
	s_cbranch_execz .LBB252_145
.LBB252_161:
	s_lshl_b32 s2, s48, 9
	s_mov_b32 s3, 0
	s_lshl_b64 s[2:3], s[2:3], 3
	s_waitcnt lgkmcnt(4)
	v_mov_b32_e32 v11, s3
	v_add_co_u32_e32 v10, vcc, s2, v2
	v_addc_co_u32_e32 v11, vcc, v3, v11, vcc
	s_waitcnt lgkmcnt(3)
	global_store_dwordx2 v[10:11], v[8:9], off
	s_or_b64 exec, exec, s[0:1]
	s_and_saveexec_b64 s[0:1], s[10:11]
	s_cbranch_execz .LBB252_146
.LBB252_162:
	s_mul_i32 s2, s48, 0x280
	s_mov_b32 s3, 0
	s_lshl_b64 s[2:3], s[2:3], 3
	s_waitcnt lgkmcnt(3)
	v_mov_b32_e32 v9, s3
	v_add_co_u32_e32 v8, vcc, s2, v2
	v_addc_co_u32_e32 v9, vcc, v3, v9, vcc
	s_waitcnt lgkmcnt(2)
	global_store_dwordx2 v[8:9], v[6:7], off
	s_or_b64 exec, exec, s[0:1]
	s_and_saveexec_b64 s[0:1], s[12:13]
	s_cbranch_execz .LBB252_147
.LBB252_163:
	s_mul_i32 s2, s48, 0x300
	s_mov_b32 s3, 0
	s_lshl_b64 s[2:3], s[2:3], 3
	s_waitcnt lgkmcnt(2)
	v_mov_b32_e32 v7, s3
	v_add_co_u32_e32 v6, vcc, s2, v2
	v_addc_co_u32_e32 v7, vcc, v3, v7, vcc
	s_waitcnt lgkmcnt(1)
	global_store_dwordx2 v[6:7], v[4:5], off
	s_or_b64 exec, exec, s[0:1]
	s_and_saveexec_b64 s[0:1], s[14:15]
	s_cbranch_execnz .LBB252_148
	s_branch .LBB252_149
	.section	.rodata,"a",@progbits
	.p2align	6, 0x0
	.amdhsa_kernel _ZN2at6native18radixSortKVInPlaceILin1ELin1ELi128ELi8EN3c108BFloat16EljEEvNS_4cuda6detail10TensorInfoIT3_T5_EES8_S8_S8_NS6_IT4_S8_EES8_b
		.amdhsa_group_segment_fixed_size 8448
		.amdhsa_private_segment_fixed_size 0
		.amdhsa_kernarg_size 712
		.amdhsa_user_sgpr_count 6
		.amdhsa_user_sgpr_private_segment_buffer 1
		.amdhsa_user_sgpr_dispatch_ptr 0
		.amdhsa_user_sgpr_queue_ptr 0
		.amdhsa_user_sgpr_kernarg_segment_ptr 1
		.amdhsa_user_sgpr_dispatch_id 0
		.amdhsa_user_sgpr_flat_scratch_init 0
		.amdhsa_user_sgpr_kernarg_preload_length 0
		.amdhsa_user_sgpr_kernarg_preload_offset 0
		.amdhsa_user_sgpr_private_segment_size 0
		.amdhsa_uses_dynamic_stack 0
		.amdhsa_system_sgpr_private_segment_wavefront_offset 0
		.amdhsa_system_sgpr_workgroup_id_x 1
		.amdhsa_system_sgpr_workgroup_id_y 1
		.amdhsa_system_sgpr_workgroup_id_z 1
		.amdhsa_system_sgpr_workgroup_info 0
		.amdhsa_system_vgpr_workitem_id 2
		.amdhsa_next_free_vgpr 108
		.amdhsa_next_free_sgpr 53
		.amdhsa_accum_offset 108
		.amdhsa_reserve_vcc 1
		.amdhsa_reserve_flat_scratch 0
		.amdhsa_float_round_mode_32 0
		.amdhsa_float_round_mode_16_64 0
		.amdhsa_float_denorm_mode_32 3
		.amdhsa_float_denorm_mode_16_64 3
		.amdhsa_dx10_clamp 1
		.amdhsa_ieee_mode 1
		.amdhsa_fp16_overflow 0
		.amdhsa_tg_split 0
		.amdhsa_exception_fp_ieee_invalid_op 0
		.amdhsa_exception_fp_denorm_src 0
		.amdhsa_exception_fp_ieee_div_zero 0
		.amdhsa_exception_fp_ieee_overflow 0
		.amdhsa_exception_fp_ieee_underflow 0
		.amdhsa_exception_fp_ieee_inexact 0
		.amdhsa_exception_int_div_zero 0
	.end_amdhsa_kernel
	.section	.text._ZN2at6native18radixSortKVInPlaceILin1ELin1ELi128ELi8EN3c108BFloat16EljEEvNS_4cuda6detail10TensorInfoIT3_T5_EES8_S8_S8_NS6_IT4_S8_EES8_b,"axG",@progbits,_ZN2at6native18radixSortKVInPlaceILin1ELin1ELi128ELi8EN3c108BFloat16EljEEvNS_4cuda6detail10TensorInfoIT3_T5_EES8_S8_S8_NS6_IT4_S8_EES8_b,comdat
.Lfunc_end252:
	.size	_ZN2at6native18radixSortKVInPlaceILin1ELin1ELi128ELi8EN3c108BFloat16EljEEvNS_4cuda6detail10TensorInfoIT3_T5_EES8_S8_S8_NS6_IT4_S8_EES8_b, .Lfunc_end252-_ZN2at6native18radixSortKVInPlaceILin1ELin1ELi128ELi8EN3c108BFloat16EljEEvNS_4cuda6detail10TensorInfoIT3_T5_EES8_S8_S8_NS6_IT4_S8_EES8_b
                                        ; -- End function
	.section	.AMDGPU.csdata,"",@progbits
; Kernel info:
; codeLenInByte = 21472
; NumSgprs: 57
; NumVgprs: 108
; NumAgprs: 0
; TotalNumVgprs: 108
; ScratchSize: 0
; MemoryBound: 0
; FloatMode: 240
; IeeeMode: 1
; LDSByteSize: 8448 bytes/workgroup (compile time only)
; SGPRBlocks: 7
; VGPRBlocks: 13
; NumSGPRsForWavesPerEU: 57
; NumVGPRsForWavesPerEU: 108
; AccumOffset: 108
; Occupancy: 4
; WaveLimiterHint : 1
; COMPUTE_PGM_RSRC2:SCRATCH_EN: 0
; COMPUTE_PGM_RSRC2:USER_SGPR: 6
; COMPUTE_PGM_RSRC2:TRAP_HANDLER: 0
; COMPUTE_PGM_RSRC2:TGID_X_EN: 1
; COMPUTE_PGM_RSRC2:TGID_Y_EN: 1
; COMPUTE_PGM_RSRC2:TGID_Z_EN: 1
; COMPUTE_PGM_RSRC2:TIDIG_COMP_CNT: 2
; COMPUTE_PGM_RSRC3_GFX90A:ACCUM_OFFSET: 26
; COMPUTE_PGM_RSRC3_GFX90A:TG_SPLIT: 0
	.section	.text._ZN2at6native18radixSortKVInPlaceILin1ELin1ELi32ELi4EN3c108BFloat16EljEEvNS_4cuda6detail10TensorInfoIT3_T5_EES8_S8_S8_NS6_IT4_S8_EES8_b,"axG",@progbits,_ZN2at6native18radixSortKVInPlaceILin1ELin1ELi32ELi4EN3c108BFloat16EljEEvNS_4cuda6detail10TensorInfoIT3_T5_EES8_S8_S8_NS6_IT4_S8_EES8_b,comdat
	.protected	_ZN2at6native18radixSortKVInPlaceILin1ELin1ELi32ELi4EN3c108BFloat16EljEEvNS_4cuda6detail10TensorInfoIT3_T5_EES8_S8_S8_NS6_IT4_S8_EES8_b ; -- Begin function _ZN2at6native18radixSortKVInPlaceILin1ELin1ELi32ELi4EN3c108BFloat16EljEEvNS_4cuda6detail10TensorInfoIT3_T5_EES8_S8_S8_NS6_IT4_S8_EES8_b
	.globl	_ZN2at6native18radixSortKVInPlaceILin1ELin1ELi32ELi4EN3c108BFloat16EljEEvNS_4cuda6detail10TensorInfoIT3_T5_EES8_S8_S8_NS6_IT4_S8_EES8_b
	.p2align	8
	.type	_ZN2at6native18radixSortKVInPlaceILin1ELin1ELi32ELi4EN3c108BFloat16EljEEvNS_4cuda6detail10TensorInfoIT3_T5_EES8_S8_S8_NS6_IT4_S8_EES8_b,@function
_ZN2at6native18radixSortKVInPlaceILin1ELin1ELi32ELi4EN3c108BFloat16EljEEvNS_4cuda6detail10TensorInfoIT3_T5_EES8_S8_S8_NS6_IT4_S8_EES8_b: ; @_ZN2at6native18radixSortKVInPlaceILin1ELin1ELi32ELi4EN3c108BFloat16EljEEvNS_4cuda6detail10TensorInfoIT3_T5_EES8_S8_S8_NS6_IT4_S8_EES8_b
; %bb.0:
	s_load_dwordx2 s[0:1], s[4:5], 0x1c8
	s_load_dwordx4 s[28:31], s[4:5], 0xd8
	s_waitcnt lgkmcnt(0)
	s_mul_i32 s1, s1, s8
	s_add_i32 s1, s1, s7
	s_mul_i32 s0, s1, s0
	s_add_i32 s14, s0, s6
	s_cmp_ge_u32 s14, s28
	s_cbranch_scc1 .LBB253_63
; %bb.1:
	s_load_dword s2, s[4:5], 0xd0
	s_mov_b32 s1, 0
	s_mov_b32 s0, s14
	s_waitcnt lgkmcnt(0)
	s_cmp_lt_i32 s2, 2
	s_cbranch_scc1 .LBB253_4
; %bb.2:
	s_add_i32 s0, s2, -1
	s_add_i32 s6, s2, 1
	s_lshl_b64 s[2:3], s[0:1], 2
	s_add_u32 s0, s2, s4
	s_addc_u32 s3, s3, s5
	s_add_u32 s2, s0, 8
	s_addc_u32 s3, s3, 0
	s_mov_b32 s0, s14
.LBB253_3:                              ; =>This Inner Loop Header: Depth=1
	s_load_dword s7, s[2:3], 0x0
	s_load_dword s9, s[2:3], 0x64
	s_mov_b32 s8, s0
	s_waitcnt lgkmcnt(0)
	v_cvt_f32_u32_e32 v1, s7
	s_sub_i32 s0, 0, s7
	v_rcp_iflag_f32_e32 v1, v1
	v_mul_f32_e32 v1, 0x4f7ffffe, v1
	v_cvt_u32_f32_e32 v1, v1
	v_readfirstlane_b32 s10, v1
	s_mul_i32 s0, s0, s10
	s_mul_hi_u32 s0, s10, s0
	s_add_i32 s10, s10, s0
	s_mul_hi_u32 s0, s8, s10
	s_mul_i32 s10, s0, s7
	s_sub_i32 s10, s8, s10
	s_add_i32 s11, s0, 1
	s_sub_i32 s12, s10, s7
	s_cmp_ge_u32 s10, s7
	s_cselect_b32 s0, s11, s0
	s_cselect_b32 s10, s12, s10
	s_add_i32 s11, s0, 1
	s_cmp_ge_u32 s10, s7
	s_cselect_b32 s0, s11, s0
	s_mul_i32 s7, s0, s7
	s_sub_i32 s7, s8, s7
	s_mul_i32 s7, s9, s7
	s_add_i32 s6, s6, -1
	s_add_i32 s1, s7, s1
	s_add_u32 s2, s2, -4
	s_addc_u32 s3, s3, -1
	s_cmp_gt_u32 s6, 2
	s_cbranch_scc1 .LBB253_3
.LBB253_4:
	s_load_dword s2, s[4:5], 0x1b8
	s_mov_b32 s11, 0
	s_waitcnt lgkmcnt(0)
	s_cmp_lt_i32 s2, 2
	s_cbranch_scc1 .LBB253_7
; %bb.5:
	s_add_i32 s10, s2, -1
	s_add_i32 s6, s2, 1
	s_lshl_b64 s[2:3], s[10:11], 2
	s_add_u32 s2, s2, s4
	s_addc_u32 s3, s3, s5
	s_add_u32 s2, s2, 0xf0
	s_addc_u32 s3, s3, 0
.LBB253_6:                              ; =>This Inner Loop Header: Depth=1
	s_load_dword s7, s[2:3], 0x0
	s_load_dword s9, s[2:3], 0x64
	s_mov_b32 s8, s14
	s_waitcnt lgkmcnt(0)
	v_cvt_f32_u32_e32 v1, s7
	s_sub_i32 s10, 0, s7
	v_rcp_iflag_f32_e32 v1, v1
	v_mul_f32_e32 v1, 0x4f7ffffe, v1
	v_cvt_u32_f32_e32 v1, v1
	v_readfirstlane_b32 s12, v1
	s_mul_i32 s10, s10, s12
	s_mul_hi_u32 s10, s12, s10
	s_add_i32 s12, s12, s10
	s_mul_hi_u32 s10, s14, s12
	s_mul_i32 s12, s10, s7
	s_sub_i32 s12, s14, s12
	s_add_i32 s13, s10, 1
	s_sub_i32 s14, s12, s7
	s_cmp_ge_u32 s12, s7
	s_cselect_b32 s10, s13, s10
	s_cselect_b32 s12, s14, s12
	s_add_i32 s13, s10, 1
	s_cmp_ge_u32 s12, s7
	s_cselect_b32 s14, s13, s10
	s_mul_i32 s7, s14, s7
	s_sub_i32 s7, s8, s7
	s_mul_i32 s7, s9, s7
	s_add_i32 s6, s6, -1
	s_add_i32 s11, s7, s11
	s_add_u32 s2, s2, -4
	s_addc_u32 s3, s3, -1
	s_cmp_gt_u32 s6, 2
	s_cbranch_scc1 .LBB253_6
.LBB253_7:
	s_load_dword s2, s[4:5], 0x6c
	s_load_dwordx2 s[26:27], s[4:5], 0x1c0
	s_mov_b32 s10, 0xffff
	v_mul_lo_u32 v18, v0, s30
	s_waitcnt lgkmcnt(0)
	s_mul_i32 s0, s2, s0
	s_load_dwordx2 s[2:3], s[4:5], 0x0
	s_add_i32 s0, s0, s1
	s_bitcmp1_b32 s27, 0
	s_cselect_b64 s[8:9], -1, 0
	s_and_b64 s[6:7], s[8:9], exec
	s_mov_b32 s1, 0
	s_cselect_b32 s10, s10, 0x7fff
	s_lshl_b64 s[0:1], s[0:1], 1
	s_waitcnt lgkmcnt(0)
	s_add_u32 s27, s2, s0
	s_addc_u32 s31, s3, s1
	v_cmp_gt_u32_e64 s[0:1], s29, v0
	v_mov_b32_e32 v2, s10
	s_and_saveexec_b64 s[2:3], s[0:1]
	s_cbranch_execz .LBB253_9
; %bb.8:
	v_mov_b32_e32 v19, 0
	v_lshlrev_b64 v[2:3], 1, v[18:19]
	v_mov_b32_e32 v1, s31
	v_add_co_u32_e32 v2, vcc, s27, v2
	v_addc_co_u32_e32 v3, vcc, v1, v3, vcc
	global_load_ushort v2, v[2:3], off
.LBB253_9:
	s_or_b64 exec, exec, s[2:3]
	v_or_b32_e32 v1, 32, v0
	v_cmp_gt_u32_e64 s[2:3], s29, v1
	v_mov_b32_e32 v3, s10
	s_and_saveexec_b64 s[6:7], s[2:3]
	s_cbranch_execz .LBB253_11
; %bb.10:
	v_mul_lo_u32 v4, v1, s30
	v_mov_b32_e32 v5, 0
	v_lshlrev_b64 v[4:5], 1, v[4:5]
	v_mov_b32_e32 v3, s31
	v_add_co_u32_e32 v4, vcc, s27, v4
	v_addc_co_u32_e32 v5, vcc, v3, v5, vcc
	global_load_ushort v3, v[4:5], off
.LBB253_11:
	s_or_b64 exec, exec, s[6:7]
	s_load_dwordx2 s[12:13], s[4:5], 0xe8
	v_or_b32_e32 v14, 64, v0
	v_cmp_gt_u32_e64 s[24:25], s29, v14
	v_mov_b32_e32 v4, s10
	s_and_saveexec_b64 s[6:7], s[24:25]
	s_cbranch_execz .LBB253_13
; %bb.12:
	v_mul_lo_u32 v4, v14, s30
	v_mov_b32_e32 v5, 0
	v_lshlrev_b64 v[4:5], 1, v[4:5]
	v_mov_b32_e32 v6, s31
	v_add_co_u32_e32 v4, vcc, s27, v4
	v_addc_co_u32_e32 v5, vcc, v6, v5, vcc
	global_load_ushort v4, v[4:5], off
.LBB253_13:
	s_or_b64 exec, exec, s[6:7]
	s_load_dword s15, s[4:5], 0x154
	v_or_b32_e32 v11, 0x60, v0
	v_cmp_gt_u32_e64 s[6:7], s29, v11
	v_mov_b32_e32 v5, s10
	s_and_saveexec_b64 s[4:5], s[6:7]
	s_cbranch_execz .LBB253_15
; %bb.14:
	v_mul_lo_u32 v6, v11, s30
	v_mov_b32_e32 v7, 0
	v_lshlrev_b64 v[6:7], 1, v[6:7]
	v_mov_b32_e32 v5, s31
	v_add_co_u32_e32 v6, vcc, s27, v6
	v_addc_co_u32_e32 v7, vcc, v5, v7, vcc
	global_load_ushort v5, v[6:7], off
.LBB253_15:
	s_or_b64 exec, exec, s[4:5]
	v_lshlrev_b32_e32 v34, 1, v0
	v_lshrrev_b32_e32 v13, 5, v14
	s_waitcnt vmcnt(0)
	ds_write_b16 v34, v2
	ds_write_b16 v34, v3 offset:64
	v_and_b32_e32 v2, 2, v13
	v_lshrrev_b32_e32 v12, 5, v11
	v_add_lshl_u32 v19, v2, v0, 1
	v_and_b32_e32 v2, 2, v12
	v_lshlrev_b32_e32 v10, 2, v0
	v_lshrrev_b32_e32 v15, 3, v0
	v_add_lshl_u32 v35, v2, v0, 1
	v_and_or_b32 v2, v15, 2, v10
	v_lshlrev_b32_e32 v36, 1, v2
	s_waitcnt lgkmcnt(0)
	s_mul_i32 s4, s15, s14
	ds_write_b16 v19, v4 offset:128
	ds_write_b16 v35, v5 offset:192
	s_waitcnt lgkmcnt(0)
	; wave barrier
	s_waitcnt lgkmcnt(0)
	ds_read_b64 v[22:23], v36
	s_add_i32 s16, s4, s11
	s_mov_b32 s17, 0
	s_lshl_b64 s[4:5], s[16:17], 3
	s_mov_b32 s16, s17
	s_add_u32 s33, s12, s4
	s_mov_b32 s18, s17
	s_mov_b32 s19, s17
	;; [unrolled: 1-line block ×6, first 2 shown]
	v_pk_mov_b32 v[2:3], s[16:17], s[16:17] op_sel:[0,1]
	s_addc_u32 s38, s13, s5
	v_pk_mov_b32 v[4:5], s[18:19], s[18:19] op_sel:[0,1]
	v_pk_mov_b32 v[6:7], s[20:21], s[20:21] op_sel:[0,1]
	;; [unrolled: 1-line block ×3, first 2 shown]
	v_pk_mov_b32 v[2:3], 0, 0
	v_mul_lo_u32 v20, v0, s26
	s_waitcnt lgkmcnt(0)
	; wave barrier
	s_waitcnt lgkmcnt(0)
	s_and_saveexec_b64 s[4:5], s[0:1]
	s_cbranch_execnz .LBB253_36
; %bb.16:
	s_or_b64 exec, exec, s[4:5]
	s_and_saveexec_b64 s[4:5], s[2:3]
	s_cbranch_execnz .LBB253_37
.LBB253_17:
	s_or_b64 exec, exec, s[4:5]
	s_and_saveexec_b64 s[4:5], s[24:25]
	s_cbranch_execz .LBB253_19
.LBB253_18:
	v_mul_lo_u32 v6, v14, s26
	v_mov_b32_e32 v7, 0
	v_lshlrev_b64 v[6:7], 3, v[6:7]
	v_mov_b32_e32 v14, s38
	v_add_co_u32_e32 v6, vcc, s33, v6
	v_addc_co_u32_e32 v7, vcc, v14, v7, vcc
	global_load_dwordx2 v[6:7], v[6:7], off
.LBB253_19:
	s_or_b64 exec, exec, s[4:5]
	s_xor_b64 s[4:5], s[8:9], -1
	v_lshrrev_b32_e32 v14, 5, v1
	s_and_saveexec_b64 s[8:9], s[6:7]
	s_cbranch_execz .LBB253_21
; %bb.20:
	v_mul_lo_u32 v8, v11, s26
	v_mov_b32_e32 v9, 0
	v_lshlrev_b64 v[8:9], 3, v[8:9]
	v_mov_b32_e32 v11, s38
	v_add_co_u32_e32 v8, vcc, s33, v8
	v_addc_co_u32_e32 v9, vcc, v11, v9, vcc
	global_load_dwordx2 v[8:9], v[8:9], off
.LBB253_21:
	s_or_b64 exec, exec, s[8:9]
	v_mbcnt_lo_u32_b32 v11, -1, 0
	v_mbcnt_hi_u32_b32 v11, -1, v11
	v_lshlrev_b32_e32 v37, 3, v0
	v_add_lshl_u32 v21, v14, v0, 3
	v_add_lshl_u32 v38, v13, v0, 3
	;; [unrolled: 1-line block ×4, first 2 shown]
	s_getpc_b64 s[8:9]
	s_add_u32 s8, s8, _ZN7rocprim17ROCPRIM_400000_NS16block_radix_sortI12hip_bfloat16Lj32ELj4ElLj1ELj1ELj0ELNS0_26block_radix_rank_algorithmE1ELNS0_18block_padding_hintE2ELNS0_4arch9wavefront6targetE1EE19radix_bits_per_passE@rel32@lo+4
	s_addc_u32 s9, s9, _ZN7rocprim17ROCPRIM_400000_NS16block_radix_sortI12hip_bfloat16Lj32ELj4ElLj1ELj1ELj0ELNS0_26block_radix_rank_algorithmE1ELNS0_18block_padding_hintE2ELNS0_4arch9wavefront6targetE1EE19radix_bits_per_passE@rel32@hi+12
	v_and_b32_e32 v12, 15, v11
	s_waitcnt vmcnt(0)
	ds_write_b64 v37, v[2:3]
	ds_write_b64 v21, v[4:5] offset:256
	ds_write_b64 v38, v[6:7] offset:512
	;; [unrolled: 1-line block ×3, first 2 shown]
	s_waitcnt lgkmcnt(0)
	; wave barrier
	s_waitcnt lgkmcnt(0)
	ds_read2_b64 v[2:5], v40 offset1:1
	ds_read2_b64 v[6:9], v40 offset0:2 offset1:3
	s_load_dword s39, s[8:9], 0x0
	v_cmp_eq_u32_e64 s[10:11], 0, v12
	v_cmp_lt_u32_e64 s[12:13], 1, v12
	v_cmp_lt_u32_e64 s[14:15], 3, v12
	;; [unrolled: 1-line block ×3, first 2 shown]
	v_and_b32_e32 v12, 16, v11
	v_cmp_eq_u32_e64 s[18:19], 0, v12
	v_add_u32_e32 v12, -1, v11
	v_and_b32_e32 v13, 0x60, v11
	v_cmp_lt_i32_e32 vcc, v12, v13
	s_movk_i32 s8, 0x100
	v_cndmask_b32_e32 v12, v12, v11, vcc
	v_cmp_gt_u32_e64 s[8:9], s8, v0
	v_lshlrev_b32_e32 v43, 5, v0
	s_mov_b32 s40, 0
	v_cmp_eq_u32_e64 s[20:21], 31, v0
	v_lshlrev_b32_e32 v44, 2, v12
	v_cmp_eq_u32_e64 s[22:23], 0, v11
	v_lshlrev_b32_e32 v42, 1, v10
	v_lshlrev_b32_e32 v41, 3, v10
	s_and_b64 vcc, exec, s[4:5]
	v_add_u32_e64 v45, 7, 2
	s_waitcnt lgkmcnt(0)
	; wave barrier
	s_waitcnt lgkmcnt(0)
	s_cbranch_vccz .LBB253_38
; %bb.22:
	v_mov_b32_e32 v46, 0xffff8000
	v_cmp_lt_i16_e32 vcc, -1, v22
	v_cndmask_b32_e32 v10, -1, v46, vcc
	v_xor_b32_e32 v32, v10, v22
	v_mov_b32_e32 v10, -1
	v_cmp_gt_i16_sdwa vcc, v22, v10 src0_sel:WORD_1 src1_sel:DWORD
	v_cndmask_b32_e32 v11, -1, v46, vcc
	v_cmp_lt_i16_e32 vcc, -1, v23
	v_xor_b32_sdwa v57, v11, v22 dst_sel:DWORD dst_unused:UNUSED_PAD src0_sel:DWORD src1_sel:WORD_1
	v_cndmask_b32_e32 v11, -1, v46, vcc
	v_cmp_gt_i16_sdwa vcc, v23, v10 src0_sel:WORD_1 src1_sel:DWORD
	v_cndmask_b32_e32 v10, -1, v46, vcc
	v_xor_b32_e32 v33, v11, v23
	v_xor_b32_sdwa v58, v10, v23 dst_sel:DWORD dst_unused:UNUSED_PAD src0_sel:DWORD src1_sel:WORD_1
	v_and_b32_e32 v47, 14, v45
	v_mov_b32_e32 v48, 0
	s_movk_i32 s41, 0x7fff
	s_movk_i32 s42, 0xe0
	v_pk_mov_b32 v[10:11], v[2:3], v[2:3] op_sel:[0,1]
	v_pk_mov_b32 v[12:13], v[4:5], v[4:5] op_sel:[0,1]
	v_pk_mov_b32 v[14:15], v[6:7], v[6:7] op_sel:[0,1]
	v_pk_mov_b32 v[16:17], v[8:9], v[8:9] op_sel:[0,1]
	s_branch .LBB253_24
.LBB253_23:                             ;   in Loop: Header=BB253_24 Depth=1
	v_lshlrev_b32_e32 v10, 1, v53
	s_waitcnt lgkmcnt(0)
	; wave barrier
	ds_write_b16 v10, v52
	v_lshlrev_b32_e32 v10, 1, v54
	ds_write_b16 v10, v51
	v_lshlrev_b32_e32 v10, 1, v55
	;; [unrolled: 2-line block ×4, first 2 shown]
	s_waitcnt lgkmcnt(0)
	; wave barrier
	s_waitcnt lgkmcnt(0)
	ds_read_b64 v[32:33], v42
	s_waitcnt lgkmcnt(0)
	; wave barrier
	s_waitcnt lgkmcnt(0)
	ds_write_b64 v10, v[30:31]
	v_lshlrev_b32_e32 v10, 3, v54
	ds_write_b64 v10, v[28:29]
	v_lshlrev_b32_e32 v10, 3, v55
	;; [unrolled: 2-line block ×3, first 2 shown]
	ds_write_b64 v10, v[24:25]
	s_waitcnt lgkmcnt(0)
	; wave barrier
	s_waitcnt lgkmcnt(0)
	ds_read2_b64 v[10:13], v41 offset1:1
	ds_read2_b64 v[14:17], v41 offset0:2 offset1:3
	s_add_i32 s40, s40, 4
	v_lshrrev_b32_e32 v57, 16, v32
	v_lshrrev_b32_e32 v58, 16, v33
	s_waitcnt lgkmcnt(0)
	; wave barrier
	s_waitcnt lgkmcnt(0)
	s_cbranch_execz .LBB253_35
.LBB253_24:                             ; =>This Loop Header: Depth=1
                                        ;     Child Loop BB253_27 Depth 2
	v_pk_mov_b32 v[24:25], v[16:17], v[16:17] op_sel:[0,1]
	v_pk_mov_b32 v[26:27], v[14:15], v[14:15] op_sel:[0,1]
	;; [unrolled: 1-line block ×4, first 2 shown]
	v_mov_b32_e32 v52, v32
	v_mov_b32_e32 v51, v57
	;; [unrolled: 1-line block ×4, first 2 shown]
	s_and_saveexec_b64 s[4:5], s[8:9]
	s_cbranch_execz .LBB253_31
; %bb.25:                               ;   in Loop: Header=BB253_24 Depth=1
	s_mov_b32 s43, 0
	s_mov_b64 s[28:29], 0
	v_pk_mov_b32 v[10:11], v[0:1], v[0:1] op_sel:[0,1]
	s_branch .LBB253_27
.LBB253_26:                             ;   in Loop: Header=BB253_27 Depth=2
	s_or_b64 exec, exec, s[36:37]
	s_add_i32 s43, s43, 2
	v_cmp_eq_u32_e32 vcc, s43, v47
	v_add_u32_e32 v11, 64, v11
	s_or_b64 s[28:29], vcc, s[28:29]
	v_add_u32_e32 v10, 64, v10
	s_andn2_b64 exec, exec, s[28:29]
	s_cbranch_execz .LBB253_31
.LBB253_27:                             ;   Parent Loop BB253_24 Depth=1
                                        ; =>  This Inner Loop Header: Depth=2
	s_or_b32 s34, s43, 1
	v_cmp_le_u32_e64 s[34:35], s34, 7
	v_cmp_le_u32_e64 s[44:45], s43, 7
	s_and_saveexec_b64 s[36:37], s[44:45]
	s_cbranch_execz .LBB253_29
; %bb.28:                               ;   in Loop: Header=BB253_27 Depth=2
	v_lshlrev_b32_e32 v12, 2, v10
	ds_write_b32 v12, v48
.LBB253_29:                             ;   in Loop: Header=BB253_27 Depth=2
	s_or_b64 exec, exec, s[36:37]
	s_and_saveexec_b64 s[36:37], s[34:35]
	s_cbranch_execz .LBB253_26
; %bb.30:                               ;   in Loop: Header=BB253_27 Depth=2
	v_lshlrev_b32_e32 v12, 2, v11
	ds_write_b32 v12, v48
	s_branch .LBB253_26
.LBB253_31:                             ;   in Loop: Header=BB253_24 Depth=1
	s_or_b64 exec, exec, s[4:5]
	s_sub_i32 s4, 16, s40
	s_min_u32 s4, s39, s4
	v_cmp_ne_u16_e32 vcc, s41, v52
	s_lshl_b32 s4, -1, s4
	v_cndmask_b32_e32 v10, v46, v52, vcc
	s_not_b32 s4, s4
	v_lshrrev_b32_sdwa v10, s40, v10 dst_sel:DWORD dst_unused:UNUSED_PAD src0_sel:DWORD src1_sel:WORD_0
	v_and_b32_e32 v10, s4, v10
	v_lshrrev_b32_e32 v11, 3, v10
	v_lshlrev_b32_e32 v10, 5, v10
	v_and_or_b32 v10, v10, s42, v0
	v_lshlrev_b32_e32 v10, 1, v10
	v_add_lshl_u32 v33, v10, v11, 1
	ds_read_u16 v32, v33
	v_cmp_ne_u16_e32 vcc, s41, v51
	s_waitcnt lgkmcnt(0)
	v_add_u16_e32 v10, 1, v32
	ds_write_b16 v33, v10
	v_cndmask_b32_e32 v10, v46, v51, vcc
	v_lshrrev_b32_sdwa v10, s40, v10 dst_sel:DWORD dst_unused:UNUSED_PAD src0_sel:DWORD src1_sel:WORD_0
	v_and_b32_e32 v10, s4, v10
	v_lshrrev_b32_e32 v11, 3, v10
	v_lshlrev_b32_e32 v10, 5, v10
	v_and_or_b32 v10, v10, s42, v0
	v_lshlrev_b32_e32 v10, 1, v10
	v_add_lshl_u32 v53, v10, v11, 1
	ds_read_u16 v54, v53
	v_cmp_ne_u16_e32 vcc, s41, v50
	s_waitcnt lgkmcnt(0)
	v_add_u16_e32 v10, 1, v54
	ds_write_b16 v53, v10
	v_cndmask_b32_e32 v10, v46, v50, vcc
	;; [unrolled: 13-line block ×3, first 2 shown]
	v_lshrrev_b32_sdwa v10, s40, v10 dst_sel:DWORD dst_unused:UNUSED_PAD src0_sel:DWORD src1_sel:WORD_0
	v_and_b32_e32 v10, s4, v10
	v_lshrrev_b32_e32 v11, 3, v10
	v_lshlrev_b32_e32 v10, 5, v10
	v_and_or_b32 v10, v10, s42, v0
	v_lshlrev_b32_e32 v10, 1, v10
	v_add_lshl_u32 v58, v10, v11, 1
	ds_read_u16 v57, v58
	s_waitcnt lgkmcnt(0)
	v_add_u16_e32 v10, 1, v57
	ds_write_b16 v58, v10
	s_waitcnt lgkmcnt(0)
	; wave barrier
	s_waitcnt lgkmcnt(0)
	ds_read2_b32 v[16:17], v43 offset1:1
	ds_read2_b32 v[14:15], v43 offset0:2 offset1:3
	ds_read2_b32 v[10:11], v43 offset0:4 offset1:5
	ds_read2_b32 v[12:13], v43 offset0:6 offset1:7
	s_waitcnt lgkmcnt(3)
	v_add_u32_e32 v59, v17, v16
	s_waitcnt lgkmcnt(2)
	v_add3_u32 v59, v59, v14, v15
	s_waitcnt lgkmcnt(1)
	v_add3_u32 v59, v59, v10, v11
	;; [unrolled: 2-line block ×3, first 2 shown]
	s_nop 1
	v_mov_b32_dpp v59, v13 row_shr:1 row_mask:0xf bank_mask:0xf
	v_cndmask_b32_e64 v59, v59, 0, s[10:11]
	v_add_u32_e32 v13, v59, v13
	s_nop 1
	v_mov_b32_dpp v59, v13 row_shr:2 row_mask:0xf bank_mask:0xf
	v_cndmask_b32_e64 v59, 0, v59, s[12:13]
	v_add_u32_e32 v13, v13, v59
	s_nop 1
	v_mov_b32_dpp v59, v13 row_shr:4 row_mask:0xf bank_mask:0xf
	v_cndmask_b32_e64 v59, 0, v59, s[14:15]
	v_add_u32_e32 v13, v13, v59
	s_nop 1
	v_mov_b32_dpp v59, v13 row_shr:8 row_mask:0xf bank_mask:0xf
	v_cndmask_b32_e64 v59, 0, v59, s[16:17]
	v_add_u32_e32 v13, v13, v59
	s_nop 1
	v_mov_b32_dpp v59, v13 row_bcast:15 row_mask:0xf bank_mask:0xf
	v_cndmask_b32_e64 v59, v59, 0, s[18:19]
	v_add_u32_e32 v13, v13, v59
	s_and_saveexec_b64 s[4:5], s[20:21]
	s_cbranch_execz .LBB253_33
; %bb.32:                               ;   in Loop: Header=BB253_24 Depth=1
	ds_write_b32 v48, v13 offset:1024
.LBB253_33:                             ;   in Loop: Header=BB253_24 Depth=1
	s_or_b64 exec, exec, s[4:5]
	ds_bpermute_b32 v13, v44, v13
	s_waitcnt lgkmcnt(0)
	; wave barrier
	s_waitcnt lgkmcnt(0)
	ds_read_b32 v59, v48 offset:1024
	s_cmp_gt_u32 s40, 11
	v_cndmask_b32_e64 v13, v13, 0, s[22:23]
	s_waitcnt lgkmcnt(0)
	v_lshl_add_u32 v13, v59, 16, v13
	v_add_u32_e32 v16, v13, v16
	v_add_u32_e32 v17, v16, v17
	ds_write2_b32 v43, v13, v16 offset1:1
	v_add_u32_e32 v13, v17, v14
	v_add_u32_e32 v14, v13, v15
	;; [unrolled: 1-line block ×5, first 2 shown]
	ds_write2_b32 v43, v17, v13 offset0:2 offset1:3
	ds_write2_b32 v43, v14, v10 offset0:4 offset1:5
	ds_write2_b32 v43, v11, v12 offset0:6 offset1:7
	s_waitcnt lgkmcnt(0)
	; wave barrier
	s_waitcnt lgkmcnt(0)
	ds_read_u16 v10, v33
	ds_read_u16 v11, v53
	;; [unrolled: 1-line block ×4, first 2 shown]
	s_waitcnt lgkmcnt(3)
	v_add_u32_sdwa v53, v10, v32 dst_sel:DWORD dst_unused:UNUSED_PAD src0_sel:DWORD src1_sel:WORD_0
	s_waitcnt lgkmcnt(2)
	v_add_u32_sdwa v54, v11, v54 dst_sel:DWORD dst_unused:UNUSED_PAD src0_sel:DWORD src1_sel:WORD_0
	s_waitcnt lgkmcnt(1)
	v_add_u32_sdwa v55, v12, v55 dst_sel:DWORD dst_unused:UNUSED_PAD src0_sel:DWORD src1_sel:WORD_0
	s_waitcnt lgkmcnt(0)
	v_add_u32_sdwa v56, v13, v57 dst_sel:DWORD dst_unused:UNUSED_PAD src0_sel:DWORD src1_sel:WORD_0
	s_cbranch_scc0 .LBB253_23
; %bb.34:
                                        ; implicit-def: $vgpr16_vgpr17
                                        ; implicit-def: $vgpr12_vgpr13
                                        ; implicit-def: $sgpr40
                                        ; implicit-def: $vgpr32
                                        ; implicit-def: $vgpr57
                                        ; implicit-def: $vgpr58
.LBB253_35:
	v_lshlrev_b32_e32 v10, 1, v53
	s_waitcnt lgkmcnt(0)
	; wave barrier
	ds_write_b16 v10, v52
	v_lshlrev_b32_e32 v10, 1, v54
	ds_write_b16 v10, v51
	v_lshlrev_b32_e32 v10, 1, v55
	;; [unrolled: 2-line block ×3, first 2 shown]
	ds_write_b16 v10, v49
	s_waitcnt lgkmcnt(0)
	; wave barrier
	s_waitcnt lgkmcnt(0)
	ds_read_b64 v[32:33], v42
	v_lshlrev_b32_e32 v10, 3, v53
	v_lshlrev_b32_e32 v11, 3, v54
	;; [unrolled: 1-line block ×4, first 2 shown]
	s_waitcnt lgkmcnt(0)
	; wave barrier
	s_waitcnt lgkmcnt(0)
	ds_write_b64 v10, v[30:31]
	ds_write_b64 v11, v[28:29]
	;; [unrolled: 1-line block ×4, first 2 shown]
	v_mov_b32_e32 v25, 0xffff8000
	v_cmp_gt_i16_e32 vcc, 0, v32
	v_mov_b32_e32 v27, 0
	s_waitcnt lgkmcnt(0)
	; wave barrier
	s_waitcnt lgkmcnt(0)
	ds_read2_b64 v[10:13], v41 offset1:1
	ds_read2_b64 v[14:17], v41 offset0:2 offset1:3
	v_mov_b32_e32 v24, -1
	v_cndmask_b32_e32 v26, -1, v25, vcc
	v_cmp_lt_i16_sdwa vcc, v32, v27 src0_sel:WORD_1 src1_sel:DWORD
	v_cndmask_b32_e32 v27, -1, v25, vcc
	v_cmp_lt_i16_e32 vcc, -1, v33
	v_cmp_gt_i16_sdwa s[4:5], v33, v24 src0_sel:WORD_1 src1_sel:DWORD
	v_cndmask_b32_e64 v28, v25, -1, vcc
	v_cndmask_b32_e64 v24, v25, -1, s[4:5]
	v_xor_b32_sdwa v24, v24, v33 dst_sel:DWORD dst_unused:UNUSED_PAD src0_sel:DWORD src1_sel:WORD_1
	v_xor_b32_e32 v25, v28, v33
	s_mov_b32 s4, 0x5040100
	v_perm_b32 v25, v24, v25, s4
	v_xor_b32_sdwa v24, v27, v32 dst_sel:DWORD dst_unused:UNUSED_PAD src0_sel:DWORD src1_sel:WORD_1
	v_xor_b32_e32 v26, v26, v32
	v_perm_b32 v24, v24, v26, s4
	s_branch .LBB253_53
.LBB253_36:
	v_mov_b32_e32 v21, 0
	v_lshlrev_b64 v[2:3], 3, v[20:21]
	v_mov_b32_e32 v4, s38
	v_add_co_u32_e32 v2, vcc, s33, v2
	v_addc_co_u32_e32 v3, vcc, v4, v3, vcc
	global_load_dwordx2 v[2:3], v[2:3], off
	v_mov_b32_e32 v4, v21
	v_mov_b32_e32 v5, v21
	;; [unrolled: 1-line block ×6, first 2 shown]
	s_or_b64 exec, exec, s[4:5]
	s_and_saveexec_b64 s[4:5], s[2:3]
	s_cbranch_execz .LBB253_17
.LBB253_37:
	v_mul_lo_u32 v4, v1, s26
	v_mov_b32_e32 v5, 0
	v_lshlrev_b64 v[4:5], 3, v[4:5]
	v_mov_b32_e32 v16, s38
	v_add_co_u32_e32 v4, vcc, s33, v4
	v_addc_co_u32_e32 v5, vcc, v16, v5, vcc
	global_load_dwordx2 v[4:5], v[4:5], off
	s_or_b64 exec, exec, s[4:5]
	s_and_saveexec_b64 s[4:5], s[24:25]
	s_cbranch_execnz .LBB253_18
	s_branch .LBB253_19
.LBB253_38:
                                        ; implicit-def: $vgpr16_vgpr17
                                        ; implicit-def: $vgpr12_vgpr13
                                        ; implicit-def: $vgpr24_vgpr25
	s_cbranch_execz .LBB253_53
; %bb.39:
	v_mov_b32_e32 v26, 0x7fff
	v_cmp_gt_i16_e32 vcc, 0, v22
	v_mov_b32_e32 v27, 0
	s_waitcnt lgkmcnt(1)
	v_cndmask_b32_e64 v10, v26, 0, vcc
	v_cmp_lt_i16_sdwa s[4:5], v22, v27 src0_sel:WORD_1 src1_sel:DWORD
	v_xor_b32_e32 v24, v10, v22
	v_cndmask_b32_e64 v10, v26, 0, s[4:5]
	v_cmp_gt_i16_e32 vcc, 0, v23
	v_cmp_lt_i16_sdwa s[4:5], v23, v27 src0_sel:WORD_1 src1_sel:DWORD
	v_xor_b32_sdwa v46, v10, v22 dst_sel:DWORD dst_unused:UNUSED_PAD src0_sel:DWORD src1_sel:WORD_1
	v_cndmask_b32_e64 v10, v26, 0, vcc
	v_cndmask_b32_e64 v11, v26, 0, s[4:5]
	s_mov_b32 s4, 0x5040100
	v_perm_b32 v10, v11, v10, s4
	s_mov_b32 s40, 0
	v_xor_b32_e32 v25, v10, v23
	v_and_b32_e32 v22, 14, v45
	s_movk_i32 s41, 0x8000
	s_movk_i32 s42, 0xe0
	s_branch .LBB253_41
.LBB253_40:                             ;   in Loop: Header=BB253_41 Depth=1
	v_lshlrev_b32_e32 v2, 1, v30
	s_waitcnt lgkmcnt(0)
	; wave barrier
	ds_write_b16 v2, v28
	v_lshlrev_b32_e32 v2, 1, v31
	ds_write_b16 v2, v23
	v_lshlrev_b32_e32 v2, 1, v32
	;; [unrolled: 2-line block ×4, first 2 shown]
	s_waitcnt lgkmcnt(0)
	; wave barrier
	s_waitcnt lgkmcnt(0)
	ds_read_b64 v[24:25], v42
	s_waitcnt lgkmcnt(0)
	; wave barrier
	s_waitcnt lgkmcnt(0)
	ds_write_b64 v2, v[16:17]
	v_lshlrev_b32_e32 v2, 3, v31
	ds_write_b64 v2, v[14:15]
	v_lshlrev_b32_e32 v2, 3, v32
	;; [unrolled: 2-line block ×3, first 2 shown]
	ds_write_b64 v2, v[10:11]
	s_waitcnt lgkmcnt(0)
	; wave barrier
	s_waitcnt lgkmcnt(0)
	ds_read2_b64 v[2:5], v41 offset1:1
	ds_read2_b64 v[6:9], v41 offset0:2 offset1:3
	s_add_i32 s40, s40, 4
	v_lshrrev_b32_e32 v46, 16, v24
	s_waitcnt lgkmcnt(0)
	; wave barrier
	s_waitcnt lgkmcnt(0)
	s_cbranch_execz .LBB253_52
.LBB253_41:                             ; =>This Loop Header: Depth=1
                                        ;     Child Loop BB253_44 Depth 2
	v_pk_mov_b32 v[10:11], v[8:9], v[8:9] op_sel:[0,1]
	v_pk_mov_b32 v[12:13], v[6:7], v[6:7] op_sel:[0,1]
	s_waitcnt lgkmcnt(0)
	v_pk_mov_b32 v[14:15], v[4:5], v[4:5] op_sel:[0,1]
	v_pk_mov_b32 v[16:17], v[2:3], v[2:3] op_sel:[0,1]
	v_mov_b32_e32 v28, v24
	v_mov_b32_e32 v23, v46
	s_and_saveexec_b64 s[4:5], s[8:9]
	s_cbranch_execz .LBB253_48
; %bb.42:                               ;   in Loop: Header=BB253_41 Depth=1
	s_mov_b32 s43, 0
	s_mov_b64 s[28:29], 0
	v_pk_mov_b32 v[2:3], v[0:1], v[0:1] op_sel:[0,1]
	s_branch .LBB253_44
.LBB253_43:                             ;   in Loop: Header=BB253_44 Depth=2
	s_or_b64 exec, exec, s[36:37]
	s_add_i32 s43, s43, 2
	v_cmp_eq_u32_e32 vcc, s43, v22
	v_add_u32_e32 v3, 64, v3
	s_or_b64 s[28:29], vcc, s[28:29]
	v_add_u32_e32 v2, 64, v2
	s_andn2_b64 exec, exec, s[28:29]
	s_cbranch_execz .LBB253_48
.LBB253_44:                             ;   Parent Loop BB253_41 Depth=1
                                        ; =>  This Inner Loop Header: Depth=2
	s_or_b32 s34, s43, 1
	v_cmp_le_u32_e64 s[34:35], s34, 7
	v_cmp_le_u32_e64 s[44:45], s43, 7
	s_and_saveexec_b64 s[36:37], s[44:45]
	s_cbranch_execz .LBB253_46
; %bb.45:                               ;   in Loop: Header=BB253_44 Depth=2
	v_lshlrev_b32_e32 v4, 2, v2
	ds_write_b32 v4, v27
.LBB253_46:                             ;   in Loop: Header=BB253_44 Depth=2
	s_or_b64 exec, exec, s[36:37]
	s_and_saveexec_b64 s[36:37], s[34:35]
	s_cbranch_execz .LBB253_43
; %bb.47:                               ;   in Loop: Header=BB253_44 Depth=2
	v_lshlrev_b32_e32 v4, 2, v3
	ds_write_b32 v4, v27
	s_branch .LBB253_43
.LBB253_48:                             ;   in Loop: Header=BB253_41 Depth=1
	s_or_b64 exec, exec, s[4:5]
	s_sub_i32 s4, 16, s40
	s_min_u32 s4, s39, s4
	v_cmp_ne_u16_e32 vcc, s41, v28
	s_lshl_b32 s4, -1, s4
	v_cndmask_b32_e32 v2, v26, v28, vcc
	s_not_b32 s4, s4
	v_lshrrev_b32_sdwa v2, s40, v2 dst_sel:DWORD dst_unused:UNUSED_PAD src0_sel:DWORD src1_sel:WORD_0
	v_and_b32_e32 v2, s4, v2
	v_lshrrev_b32_e32 v3, 3, v2
	v_lshlrev_b32_e32 v2, 5, v2
	v_and_or_b32 v2, v2, s42, v0
	v_lshlrev_b32_e32 v2, 1, v2
	v_add_lshl_u32 v30, v2, v3, 1
	ds_read_u16 v24, v30
	v_cmp_ne_u16_e32 vcc, s41, v23
	v_lshrrev_b32_e32 v29, 16, v25
	s_waitcnt lgkmcnt(0)
	v_add_u16_e32 v2, 1, v24
	ds_write_b16 v30, v2
	v_cndmask_b32_e32 v2, v26, v23, vcc
	v_lshrrev_b32_sdwa v2, s40, v2 dst_sel:DWORD dst_unused:UNUSED_PAD src0_sel:DWORD src1_sel:WORD_0
	v_and_b32_e32 v2, s4, v2
	v_lshrrev_b32_e32 v3, 3, v2
	v_lshlrev_b32_e32 v2, 5, v2
	v_and_or_b32 v2, v2, s42, v0
	v_lshlrev_b32_e32 v2, 1, v2
	v_add_lshl_u32 v32, v2, v3, 1
	ds_read_u16 v31, v32
	v_cmp_ne_u16_e32 vcc, s41, v25
	s_waitcnt lgkmcnt(0)
	v_add_u16_e32 v2, 1, v31
	ds_write_b16 v32, v2
	v_cndmask_b32_e32 v2, v26, v25, vcc
	v_lshrrev_b32_sdwa v2, s40, v2 dst_sel:DWORD dst_unused:UNUSED_PAD src0_sel:DWORD src1_sel:WORD_0
	v_and_b32_e32 v2, s4, v2
	v_lshrrev_b32_e32 v3, 3, v2
	v_lshlrev_b32_e32 v2, 5, v2
	v_and_or_b32 v2, v2, s42, v0
	v_lshlrev_b32_e32 v2, 1, v2
	v_add_lshl_u32 v45, v2, v3, 1
	ds_read_u16 v33, v45
	v_cmp_ne_u16_e32 vcc, s41, v29
	s_waitcnt lgkmcnt(0)
	v_add_u16_e32 v2, 1, v33
	ds_write_b16 v45, v2
	v_cndmask_b32_e32 v2, v26, v29, vcc
	v_lshrrev_b32_sdwa v2, s40, v2 dst_sel:DWORD dst_unused:UNUSED_PAD src0_sel:DWORD src1_sel:WORD_0
	v_and_b32_e32 v2, s4, v2
	v_lshrrev_b32_e32 v3, 3, v2
	v_lshlrev_b32_e32 v2, 5, v2
	v_and_or_b32 v2, v2, s42, v0
	v_lshlrev_b32_e32 v2, 1, v2
	v_add_lshl_u32 v47, v2, v3, 1
	ds_read_u16 v46, v47
	s_waitcnt lgkmcnt(0)
	v_add_u16_e32 v2, 1, v46
	ds_write_b16 v47, v2
	s_waitcnt lgkmcnt(0)
	; wave barrier
	s_waitcnt lgkmcnt(0)
	ds_read2_b32 v[8:9], v43 offset1:1
	ds_read2_b32 v[6:7], v43 offset0:2 offset1:3
	ds_read2_b32 v[2:3], v43 offset0:4 offset1:5
	;; [unrolled: 1-line block ×3, first 2 shown]
	s_waitcnt lgkmcnt(3)
	v_add_u32_e32 v48, v9, v8
	s_waitcnt lgkmcnt(2)
	v_add3_u32 v48, v48, v6, v7
	s_waitcnt lgkmcnt(1)
	v_add3_u32 v48, v48, v2, v3
	;; [unrolled: 2-line block ×3, first 2 shown]
	s_nop 1
	v_mov_b32_dpp v48, v5 row_shr:1 row_mask:0xf bank_mask:0xf
	v_cndmask_b32_e64 v48, v48, 0, s[10:11]
	v_add_u32_e32 v5, v48, v5
	s_nop 1
	v_mov_b32_dpp v48, v5 row_shr:2 row_mask:0xf bank_mask:0xf
	v_cndmask_b32_e64 v48, 0, v48, s[12:13]
	v_add_u32_e32 v5, v5, v48
	;; [unrolled: 4-line block ×4, first 2 shown]
	s_nop 1
	v_mov_b32_dpp v48, v5 row_bcast:15 row_mask:0xf bank_mask:0xf
	v_cndmask_b32_e64 v48, v48, 0, s[18:19]
	v_add_u32_e32 v5, v5, v48
	s_and_saveexec_b64 s[4:5], s[20:21]
	s_cbranch_execz .LBB253_50
; %bb.49:                               ;   in Loop: Header=BB253_41 Depth=1
	ds_write_b32 v27, v5 offset:1024
.LBB253_50:                             ;   in Loop: Header=BB253_41 Depth=1
	s_or_b64 exec, exec, s[4:5]
	ds_bpermute_b32 v5, v44, v5
	s_waitcnt lgkmcnt(0)
	; wave barrier
	s_waitcnt lgkmcnt(0)
	ds_read_b32 v48, v27 offset:1024
	s_cmp_gt_u32 s40, 11
	v_cndmask_b32_e64 v5, v5, 0, s[22:23]
	s_waitcnt lgkmcnt(0)
	v_lshl_add_u32 v5, v48, 16, v5
	v_add_u32_e32 v8, v5, v8
	v_add_u32_e32 v9, v8, v9
	ds_write2_b32 v43, v5, v8 offset1:1
	v_add_u32_e32 v5, v9, v6
	v_add_u32_e32 v6, v5, v7
	;; [unrolled: 1-line block ×5, first 2 shown]
	ds_write2_b32 v43, v9, v5 offset0:2 offset1:3
	ds_write2_b32 v43, v6, v2 offset0:4 offset1:5
	;; [unrolled: 1-line block ×3, first 2 shown]
	s_waitcnt lgkmcnt(0)
	; wave barrier
	s_waitcnt lgkmcnt(0)
	ds_read_u16 v2, v30
	ds_read_u16 v3, v32
	;; [unrolled: 1-line block ×4, first 2 shown]
	v_mov_b32_e32 v45, v25
	s_waitcnt lgkmcnt(3)
	v_add_u32_sdwa v30, v2, v24 dst_sel:DWORD dst_unused:UNUSED_PAD src0_sel:DWORD src1_sel:WORD_0
	s_waitcnt lgkmcnt(2)
	v_add_u32_sdwa v31, v3, v31 dst_sel:DWORD dst_unused:UNUSED_PAD src0_sel:DWORD src1_sel:WORD_0
	;; [unrolled: 2-line block ×4, first 2 shown]
	s_cbranch_scc0 .LBB253_40
; %bb.51:
                                        ; implicit-def: $vgpr8_vgpr9
                                        ; implicit-def: $vgpr4_vgpr5
                                        ; implicit-def: $vgpr25
                                        ; implicit-def: $sgpr40
                                        ; implicit-def: $vgpr46
.LBB253_52:
	v_lshlrev_b32_e32 v0, 1, v30
	s_waitcnt lgkmcnt(0)
	; wave barrier
	ds_write_b16 v0, v28
	v_lshlrev_b32_e32 v0, 1, v31
	ds_write_b16 v0, v23
	v_lshlrev_b32_e32 v0, 1, v32
	;; [unrolled: 2-line block ×3, first 2 shown]
	ds_write_b16 v0, v29
	s_waitcnt lgkmcnt(0)
	; wave barrier
	s_waitcnt lgkmcnt(0)
	ds_read_b64 v[0:1], v42
	v_lshlrev_b32_e32 v2, 3, v30
	v_lshlrev_b32_e32 v3, 3, v31
	;; [unrolled: 1-line block ×4, first 2 shown]
	s_waitcnt lgkmcnt(0)
	; wave barrier
	s_waitcnt lgkmcnt(0)
	ds_write_b64 v2, v[16:17]
	ds_write_b64 v3, v[14:15]
	;; [unrolled: 1-line block ×4, first 2 shown]
	v_mov_b32_e32 v3, 0x7fff
	v_cmp_lt_i16_e32 vcc, -1, v0
	v_mov_b32_e32 v5, -1
	s_waitcnt lgkmcnt(0)
	; wave barrier
	s_waitcnt lgkmcnt(0)
	ds_read2_b64 v[10:13], v41 offset1:1
	ds_read2_b64 v[14:17], v41 offset0:2 offset1:3
	v_mov_b32_e32 v2, 0
	v_cndmask_b32_e32 v4, 0, v3, vcc
	v_cmp_gt_i16_sdwa vcc, v0, v5 src0_sel:WORD_1 src1_sel:DWORD
	v_cndmask_b32_e32 v5, 0, v3, vcc
	v_cmp_gt_i16_e32 vcc, 0, v1
	v_cmp_lt_i16_sdwa s[4:5], v1, v2 src0_sel:WORD_1 src1_sel:DWORD
	v_cndmask_b32_e64 v6, v3, 0, vcc
	v_cndmask_b32_e64 v2, v3, 0, s[4:5]
	v_xor_b32_sdwa v2, v2, v1 dst_sel:DWORD dst_unused:UNUSED_PAD src0_sel:DWORD src1_sel:WORD_1
	v_xor_b32_e32 v1, v6, v1
	s_mov_b32 s4, 0x5040100
	v_perm_b32 v25, v2, v1, s4
	v_xor_b32_sdwa v1, v5, v0 dst_sel:DWORD dst_unused:UNUSED_PAD src0_sel:DWORD src1_sel:WORD_1
	v_xor_b32_e32 v0, v4, v0
	v_perm_b32 v24, v1, v0, s4
.LBB253_53:
	s_waitcnt lgkmcnt(0)
	; wave barrier
	s_waitcnt lgkmcnt(0)
	ds_write_b64 v36, v[24:25]
	s_waitcnt lgkmcnt(0)
	; wave barrier
	s_waitcnt lgkmcnt(0)
	ds_read_u16 v4, v34 offset:64
	ds_read_u16 v3, v19 offset:128
	;; [unrolled: 1-line block ×3, first 2 shown]
	v_mov_b32_e32 v19, 0
	v_lshlrev_b64 v[0:1], 1, v[18:19]
	v_mov_b32_e32 v5, s31
	v_add_co_u32_e32 v0, vcc, s27, v0
	v_addc_co_u32_e32 v1, vcc, v5, v1, vcc
	s_and_saveexec_b64 s[4:5], s[0:1]
	s_cbranch_execnz .LBB253_64
; %bb.54:
	s_or_b64 exec, exec, s[4:5]
	s_and_saveexec_b64 s[4:5], s[2:3]
	s_cbranch_execnz .LBB253_65
.LBB253_55:
	s_or_b64 exec, exec, s[4:5]
	s_and_saveexec_b64 s[4:5], s[24:25]
	s_cbranch_execnz .LBB253_66
.LBB253_56:
	s_or_b64 exec, exec, s[4:5]
	s_and_saveexec_b64 s[4:5], s[6:7]
	s_cbranch_execz .LBB253_58
.LBB253_57:
	s_mul_i32 s8, s30, 0x60
	s_mov_b32 s9, 0
	s_lshl_b64 s[8:9], s[8:9], 1
	s_waitcnt lgkmcnt(1)
	v_mov_b32_e32 v3, s9
	v_add_co_u32_e32 v0, vcc, s8, v0
	v_addc_co_u32_e32 v1, vcc, v1, v3, vcc
	s_waitcnt lgkmcnt(0)
	global_store_short v[0:1], v2, off
.LBB253_58:
	s_or_b64 exec, exec, s[4:5]
	s_waitcnt lgkmcnt(0)
	; wave barrier
	s_waitcnt lgkmcnt(0)
	ds_write2_b64 v40, v[10:11], v[12:13] offset1:1
	ds_write2_b64 v40, v[14:15], v[16:17] offset0:2 offset1:3
	s_waitcnt lgkmcnt(0)
	; wave barrier
	s_waitcnt lgkmcnt(0)
	ds_read_b64 v[6:7], v21 offset:256
	ds_read_b64 v[4:5], v38 offset:512
	;; [unrolled: 1-line block ×3, first 2 shown]
	v_mov_b32_e32 v21, 0
	v_lshlrev_b64 v[2:3], 3, v[20:21]
	v_mov_b32_e32 v8, s38
	v_add_co_u32_e32 v2, vcc, s33, v2
	v_addc_co_u32_e32 v3, vcc, v8, v3, vcc
	s_and_saveexec_b64 s[4:5], s[0:1]
	s_cbranch_execnz .LBB253_67
; %bb.59:
	s_or_b64 exec, exec, s[4:5]
	s_and_saveexec_b64 s[0:1], s[2:3]
	s_cbranch_execnz .LBB253_68
.LBB253_60:
	s_or_b64 exec, exec, s[0:1]
	s_and_saveexec_b64 s[0:1], s[24:25]
	s_cbranch_execnz .LBB253_69
.LBB253_61:
	s_or_b64 exec, exec, s[0:1]
	s_and_saveexec_b64 s[0:1], s[6:7]
	s_cbranch_execz .LBB253_63
.LBB253_62:
	s_mul_i32 s0, s26, 0x60
	s_mov_b32 s1, 0
	s_lshl_b64 s[0:1], s[0:1], 3
	s_waitcnt lgkmcnt(1)
	v_mov_b32_e32 v4, s1
	v_add_co_u32_e32 v2, vcc, s0, v2
	v_addc_co_u32_e32 v3, vcc, v3, v4, vcc
	s_waitcnt lgkmcnt(0)
	global_store_dwordx2 v[2:3], v[0:1], off
.LBB253_63:
	s_endpgm
.LBB253_64:
	ds_read_u16 v5, v34
	s_waitcnt lgkmcnt(0)
	global_store_short v[0:1], v5, off
	s_or_b64 exec, exec, s[4:5]
	s_and_saveexec_b64 s[4:5], s[2:3]
	s_cbranch_execz .LBB253_55
.LBB253_65:
	s_lshl_b32 s8, s30, 5
	s_mov_b32 s9, 0
	s_lshl_b64 s[8:9], s[8:9], 1
	v_mov_b32_e32 v5, s9
	v_add_co_u32_e32 v6, vcc, s8, v0
	v_addc_co_u32_e32 v7, vcc, v1, v5, vcc
	s_waitcnt lgkmcnt(2)
	global_store_short v[6:7], v4, off
	s_or_b64 exec, exec, s[4:5]
	s_and_saveexec_b64 s[4:5], s[24:25]
	s_cbranch_execz .LBB253_56
.LBB253_66:
	s_lshl_b32 s8, s30, 6
	s_mov_b32 s9, 0
	s_lshl_b64 s[8:9], s[8:9], 1
	v_mov_b32_e32 v5, s9
	s_waitcnt lgkmcnt(2)
	v_add_co_u32_e32 v4, vcc, s8, v0
	v_addc_co_u32_e32 v5, vcc, v1, v5, vcc
	s_waitcnt lgkmcnt(1)
	global_store_short v[4:5], v3, off
	s_or_b64 exec, exec, s[4:5]
	s_and_saveexec_b64 s[4:5], s[6:7]
	s_cbranch_execnz .LBB253_57
	s_branch .LBB253_58
.LBB253_67:
	ds_read_b64 v[8:9], v37
	s_waitcnt lgkmcnt(0)
	global_store_dwordx2 v[2:3], v[8:9], off
	s_or_b64 exec, exec, s[4:5]
	s_and_saveexec_b64 s[0:1], s[2:3]
	s_cbranch_execz .LBB253_60
.LBB253_68:
	s_lshl_b32 s2, s26, 5
	s_mov_b32 s3, 0
	s_lshl_b64 s[2:3], s[2:3], 3
	v_mov_b32_e32 v9, s3
	v_add_co_u32_e32 v8, vcc, s2, v2
	v_addc_co_u32_e32 v9, vcc, v3, v9, vcc
	s_waitcnt lgkmcnt(2)
	global_store_dwordx2 v[8:9], v[6:7], off
	s_or_b64 exec, exec, s[0:1]
	s_and_saveexec_b64 s[0:1], s[24:25]
	s_cbranch_execz .LBB253_61
.LBB253_69:
	s_lshl_b32 s2, s26, 6
	s_mov_b32 s3, 0
	s_lshl_b64 s[2:3], s[2:3], 3
	s_waitcnt lgkmcnt(2)
	v_mov_b32_e32 v7, s3
	v_add_co_u32_e32 v6, vcc, s2, v2
	v_addc_co_u32_e32 v7, vcc, v3, v7, vcc
	s_waitcnt lgkmcnt(1)
	global_store_dwordx2 v[6:7], v[4:5], off
	s_or_b64 exec, exec, s[0:1]
	s_and_saveexec_b64 s[0:1], s[6:7]
	s_cbranch_execnz .LBB253_62
	s_branch .LBB253_63
	.section	.rodata,"a",@progbits
	.p2align	6, 0x0
	.amdhsa_kernel _ZN2at6native18radixSortKVInPlaceILin1ELin1ELi32ELi4EN3c108BFloat16EljEEvNS_4cuda6detail10TensorInfoIT3_T5_EES8_S8_S8_NS6_IT4_S8_EES8_b
		.amdhsa_group_segment_fixed_size 1056
		.amdhsa_private_segment_fixed_size 0
		.amdhsa_kernarg_size 712
		.amdhsa_user_sgpr_count 6
		.amdhsa_user_sgpr_private_segment_buffer 1
		.amdhsa_user_sgpr_dispatch_ptr 0
		.amdhsa_user_sgpr_queue_ptr 0
		.amdhsa_user_sgpr_kernarg_segment_ptr 1
		.amdhsa_user_sgpr_dispatch_id 0
		.amdhsa_user_sgpr_flat_scratch_init 0
		.amdhsa_user_sgpr_kernarg_preload_length 0
		.amdhsa_user_sgpr_kernarg_preload_offset 0
		.amdhsa_user_sgpr_private_segment_size 0
		.amdhsa_uses_dynamic_stack 0
		.amdhsa_system_sgpr_private_segment_wavefront_offset 0
		.amdhsa_system_sgpr_workgroup_id_x 1
		.amdhsa_system_sgpr_workgroup_id_y 1
		.amdhsa_system_sgpr_workgroup_id_z 1
		.amdhsa_system_sgpr_workgroup_info 0
		.amdhsa_system_vgpr_workitem_id 0
		.amdhsa_next_free_vgpr 60
		.amdhsa_next_free_sgpr 46
		.amdhsa_accum_offset 60
		.amdhsa_reserve_vcc 1
		.amdhsa_reserve_flat_scratch 0
		.amdhsa_float_round_mode_32 0
		.amdhsa_float_round_mode_16_64 0
		.amdhsa_float_denorm_mode_32 3
		.amdhsa_float_denorm_mode_16_64 3
		.amdhsa_dx10_clamp 1
		.amdhsa_ieee_mode 1
		.amdhsa_fp16_overflow 0
		.amdhsa_tg_split 0
		.amdhsa_exception_fp_ieee_invalid_op 0
		.amdhsa_exception_fp_denorm_src 0
		.amdhsa_exception_fp_ieee_div_zero 0
		.amdhsa_exception_fp_ieee_overflow 0
		.amdhsa_exception_fp_ieee_underflow 0
		.amdhsa_exception_fp_ieee_inexact 0
		.amdhsa_exception_int_div_zero 0
	.end_amdhsa_kernel
	.section	.text._ZN2at6native18radixSortKVInPlaceILin1ELin1ELi32ELi4EN3c108BFloat16EljEEvNS_4cuda6detail10TensorInfoIT3_T5_EES8_S8_S8_NS6_IT4_S8_EES8_b,"axG",@progbits,_ZN2at6native18radixSortKVInPlaceILin1ELin1ELi32ELi4EN3c108BFloat16EljEEvNS_4cuda6detail10TensorInfoIT3_T5_EES8_S8_S8_NS6_IT4_S8_EES8_b,comdat
.Lfunc_end253:
	.size	_ZN2at6native18radixSortKVInPlaceILin1ELin1ELi32ELi4EN3c108BFloat16EljEEvNS_4cuda6detail10TensorInfoIT3_T5_EES8_S8_S8_NS6_IT4_S8_EES8_b, .Lfunc_end253-_ZN2at6native18radixSortKVInPlaceILin1ELin1ELi32ELi4EN3c108BFloat16EljEEvNS_4cuda6detail10TensorInfoIT3_T5_EES8_S8_S8_NS6_IT4_S8_EES8_b
                                        ; -- End function
	.section	.AMDGPU.csdata,"",@progbits
; Kernel info:
; codeLenInByte = 5128
; NumSgprs: 50
; NumVgprs: 60
; NumAgprs: 0
; TotalNumVgprs: 60
; ScratchSize: 0
; MemoryBound: 0
; FloatMode: 240
; IeeeMode: 1
; LDSByteSize: 1056 bytes/workgroup (compile time only)
; SGPRBlocks: 6
; VGPRBlocks: 7
; NumSGPRsForWavesPerEU: 50
; NumVGPRsForWavesPerEU: 60
; AccumOffset: 60
; Occupancy: 8
; WaveLimiterHint : 1
; COMPUTE_PGM_RSRC2:SCRATCH_EN: 0
; COMPUTE_PGM_RSRC2:USER_SGPR: 6
; COMPUTE_PGM_RSRC2:TRAP_HANDLER: 0
; COMPUTE_PGM_RSRC2:TGID_X_EN: 1
; COMPUTE_PGM_RSRC2:TGID_Y_EN: 1
; COMPUTE_PGM_RSRC2:TGID_Z_EN: 1
; COMPUTE_PGM_RSRC2:TIDIG_COMP_CNT: 0
; COMPUTE_PGM_RSRC3_GFX90A:ACCUM_OFFSET: 14
; COMPUTE_PGM_RSRC3_GFX90A:TG_SPLIT: 0
	.section	.text._ZN2at6native18radixSortKVInPlaceILin1ELin1ELi16ELi2EN3c108BFloat16EljEEvNS_4cuda6detail10TensorInfoIT3_T5_EES8_S8_S8_NS6_IT4_S8_EES8_b,"axG",@progbits,_ZN2at6native18radixSortKVInPlaceILin1ELin1ELi16ELi2EN3c108BFloat16EljEEvNS_4cuda6detail10TensorInfoIT3_T5_EES8_S8_S8_NS6_IT4_S8_EES8_b,comdat
	.protected	_ZN2at6native18radixSortKVInPlaceILin1ELin1ELi16ELi2EN3c108BFloat16EljEEvNS_4cuda6detail10TensorInfoIT3_T5_EES8_S8_S8_NS6_IT4_S8_EES8_b ; -- Begin function _ZN2at6native18radixSortKVInPlaceILin1ELin1ELi16ELi2EN3c108BFloat16EljEEvNS_4cuda6detail10TensorInfoIT3_T5_EES8_S8_S8_NS6_IT4_S8_EES8_b
	.globl	_ZN2at6native18radixSortKVInPlaceILin1ELin1ELi16ELi2EN3c108BFloat16EljEEvNS_4cuda6detail10TensorInfoIT3_T5_EES8_S8_S8_NS6_IT4_S8_EES8_b
	.p2align	8
	.type	_ZN2at6native18radixSortKVInPlaceILin1ELin1ELi16ELi2EN3c108BFloat16EljEEvNS_4cuda6detail10TensorInfoIT3_T5_EES8_S8_S8_NS6_IT4_S8_EES8_b,@function
_ZN2at6native18radixSortKVInPlaceILin1ELin1ELi16ELi2EN3c108BFloat16EljEEvNS_4cuda6detail10TensorInfoIT3_T5_EES8_S8_S8_NS6_IT4_S8_EES8_b: ; @_ZN2at6native18radixSortKVInPlaceILin1ELin1ELi16ELi2EN3c108BFloat16EljEEvNS_4cuda6detail10TensorInfoIT3_T5_EES8_S8_S8_NS6_IT4_S8_EES8_b
; %bb.0:
	s_load_dwordx2 s[0:1], s[4:5], 0x1c8
	s_load_dwordx4 s[16:19], s[4:5], 0xd8
	s_waitcnt lgkmcnt(0)
	s_mul_i32 s1, s1, s8
	s_add_i32 s1, s1, s7
	s_mul_i32 s0, s1, s0
	s_add_i32 s12, s0, s6
	s_cmp_ge_u32 s12, s16
	s_cbranch_scc1 .LBB254_53
; %bb.1:
	s_load_dword s2, s[4:5], 0xd0
	s_mov_b32 s1, 0
	s_mov_b32 s0, s12
	s_waitcnt lgkmcnt(0)
	s_cmp_lt_i32 s2, 2
	s_cbranch_scc1 .LBB254_4
; %bb.2:
	s_add_i32 s0, s2, -1
	s_add_i32 s6, s2, 1
	s_lshl_b64 s[2:3], s[0:1], 2
	s_add_u32 s0, s2, s4
	s_addc_u32 s3, s3, s5
	s_add_u32 s2, s0, 8
	s_addc_u32 s3, s3, 0
	s_mov_b32 s0, s12
.LBB254_3:                              ; =>This Inner Loop Header: Depth=1
	s_load_dword s7, s[2:3], 0x0
	s_load_dword s9, s[2:3], 0x64
	s_mov_b32 s8, s0
	s_waitcnt lgkmcnt(0)
	v_cvt_f32_u32_e32 v1, s7
	s_sub_i32 s0, 0, s7
	v_rcp_iflag_f32_e32 v1, v1
	v_mul_f32_e32 v1, 0x4f7ffffe, v1
	v_cvt_u32_f32_e32 v1, v1
	v_readfirstlane_b32 s10, v1
	s_mul_i32 s0, s0, s10
	s_mul_hi_u32 s0, s10, s0
	s_add_i32 s10, s10, s0
	s_mul_hi_u32 s0, s8, s10
	s_mul_i32 s10, s0, s7
	s_sub_i32 s10, s8, s10
	s_add_i32 s11, s0, 1
	s_sub_i32 s13, s10, s7
	s_cmp_ge_u32 s10, s7
	s_cselect_b32 s0, s11, s0
	s_cselect_b32 s10, s13, s10
	s_add_i32 s11, s0, 1
	s_cmp_ge_u32 s10, s7
	s_cselect_b32 s0, s11, s0
	s_mul_i32 s7, s0, s7
	s_sub_i32 s7, s8, s7
	s_mul_i32 s7, s9, s7
	s_add_i32 s6, s6, -1
	s_add_i32 s1, s7, s1
	s_add_u32 s2, s2, -4
	s_addc_u32 s3, s3, -1
	s_cmp_gt_u32 s6, 2
	s_cbranch_scc1 .LBB254_3
.LBB254_4:
	s_load_dword s2, s[4:5], 0x1b8
	s_mov_b32 s7, 0
	s_waitcnt lgkmcnt(0)
	s_cmp_lt_i32 s2, 2
	s_cbranch_scc1 .LBB254_7
; %bb.5:
	s_add_i32 s6, s2, -1
	s_add_i32 s8, s2, 1
	s_lshl_b64 s[2:3], s[6:7], 2
	s_add_u32 s2, s2, s4
	s_addc_u32 s3, s3, s5
	s_add_u32 s2, s2, 0xf0
	s_addc_u32 s3, s3, 0
.LBB254_6:                              ; =>This Inner Loop Header: Depth=1
	s_load_dword s6, s[2:3], 0x0
	s_load_dword s10, s[2:3], 0x64
	s_mov_b32 s9, s12
	s_waitcnt lgkmcnt(0)
	v_cvt_f32_u32_e32 v1, s6
	s_sub_i32 s11, 0, s6
	v_rcp_iflag_f32_e32 v1, v1
	v_mul_f32_e32 v1, 0x4f7ffffe, v1
	v_cvt_u32_f32_e32 v1, v1
	v_readfirstlane_b32 s12, v1
	s_mul_i32 s11, s11, s12
	s_mul_hi_u32 s11, s12, s11
	s_add_i32 s12, s12, s11
	s_mul_hi_u32 s11, s9, s12
	s_mul_i32 s12, s11, s6
	s_sub_i32 s12, s9, s12
	s_add_i32 s13, s11, 1
	s_sub_i32 s14, s12, s6
	s_cmp_ge_u32 s12, s6
	s_cselect_b32 s11, s13, s11
	s_cselect_b32 s12, s14, s12
	s_add_i32 s13, s11, 1
	s_cmp_ge_u32 s12, s6
	s_cselect_b32 s12, s13, s11
	s_mul_i32 s6, s12, s6
	s_sub_i32 s6, s9, s6
	s_mul_i32 s6, s10, s6
	s_add_i32 s8, s8, -1
	s_add_i32 s7, s6, s7
	s_add_u32 s2, s2, -4
	s_addc_u32 s3, s3, -1
	s_cmp_gt_u32 s8, 2
	s_cbranch_scc1 .LBB254_6
.LBB254_7:
	s_load_dword s2, s[4:5], 0x6c
	s_load_dwordx2 s[20:21], s[4:5], 0x1c0
	v_mul_lo_u32 v10, v0, s18
	s_waitcnt lgkmcnt(0)
	s_mul_i32 s0, s2, s0
	s_add_i32 s0, s0, s1
	s_bitcmp1_b32 s21, 0
	s_load_dwordx2 s[2:3], s[4:5], 0x0
	s_load_dwordx2 s[10:11], s[4:5], 0xe8
	s_cselect_b64 s[8:9], -1, 0
	s_mov_b32 s1, 0xffff
	s_and_b64 s[14:15], s[8:9], exec
	s_cselect_b32 s6, s1, 0x7fff
	s_mov_b32 s1, 0
	s_lshl_b64 s[0:1], s[0:1], 1
	s_waitcnt lgkmcnt(0)
	s_add_u32 s19, s2, s0
	s_addc_u32 s21, s3, s1
	v_cmp_gt_u32_e64 s[0:1], s17, v0
	v_mov_b32_e32 v2, s6
	s_and_saveexec_b64 s[2:3], s[0:1]
	s_cbranch_execz .LBB254_9
; %bb.8:
	v_mov_b32_e32 v11, 0
	v_lshlrev_b64 v[2:3], 1, v[10:11]
	v_mov_b32_e32 v1, s21
	v_add_co_u32_e32 v2, vcc, s19, v2
	v_addc_co_u32_e32 v3, vcc, v1, v3, vcc
	global_load_ushort v2, v[2:3], off
.LBB254_9:
	s_or_b64 exec, exec, s[2:3]
	s_load_dword s13, s[4:5], 0x154
	v_or_b32_e32 v1, 16, v0
	v_cmp_gt_u32_e64 s[2:3], s17, v1
	v_mov_b32_e32 v3, s6
	s_and_saveexec_b64 s[4:5], s[2:3]
	s_cbranch_execz .LBB254_11
; %bb.10:
	v_mul_lo_u32 v4, v1, s18
	v_mov_b32_e32 v5, 0
	v_lshlrev_b64 v[4:5], 1, v[4:5]
	v_mov_b32_e32 v3, s21
	v_add_co_u32_e32 v4, vcc, s19, v4
	v_addc_co_u32_e32 v5, vcc, v3, v5, vcc
	global_load_ushort v3, v[4:5], off
.LBB254_11:
	s_or_b64 exec, exec, s[4:5]
	s_waitcnt lgkmcnt(0)
	s_mul_i32 s4, s13, s12
	v_lshlrev_b32_e32 v22, 1, v0
	v_lshlrev_b32_e32 v11, 2, v0
	s_add_i32 s4, s4, s7
	s_mov_b32 s5, 0
	s_waitcnt vmcnt(0)
	ds_write_b16 v22, v2
	ds_write_b16 v22, v3 offset:32
	s_waitcnt lgkmcnt(0)
	; wave barrier
	s_waitcnt lgkmcnt(0)
	ds_read_u16 v28, v11
	ds_read_u16 v27, v11 offset:2
	s_lshl_b64 s[6:7], s[4:5], 3
	s_add_u32 s30, s10, s6
	s_mov_b32 s4, s5
	s_addc_u32 s31, s11, s7
	s_mov_b32 s6, s5
	s_mov_b32 s7, s5
	v_pk_mov_b32 v[2:3], s[4:5], s[4:5] op_sel:[0,1]
	v_pk_mov_b32 v[4:5], s[6:7], s[6:7] op_sel:[0,1]
	v_pk_mov_b32 v[2:3], 0, 0
	v_mul_lo_u32 v12, v0, s20
	s_waitcnt lgkmcnt(0)
	; wave barrier
	s_waitcnt lgkmcnt(0)
	s_and_saveexec_b64 s[4:5], s[0:1]
	s_cbranch_execz .LBB254_13
; %bb.12:
	v_mov_b32_e32 v13, 0
	v_lshlrev_b64 v[2:3], 3, v[12:13]
	v_mov_b32_e32 v4, s31
	v_add_co_u32_e32 v2, vcc, s30, v2
	v_addc_co_u32_e32 v3, vcc, v4, v3, vcc
	global_load_dwordx2 v[2:3], v[2:3], off
	v_mov_b32_e32 v4, v13
	v_mov_b32_e32 v5, v13
.LBB254_13:
	s_or_b64 exec, exec, s[4:5]
	s_xor_b64 s[22:23], s[8:9], -1
	s_and_saveexec_b64 s[4:5], s[2:3]
	s_cbranch_execz .LBB254_15
; %bb.14:
	v_mul_lo_u32 v4, v1, s20
	v_mov_b32_e32 v5, 0
	v_lshlrev_b64 v[4:5], 3, v[4:5]
	v_mov_b32_e32 v6, s31
	v_add_co_u32_e32 v4, vcc, s30, v4
	v_addc_co_u32_e32 v5, vcc, v6, v5, vcc
	global_load_dwordx2 v[4:5], v[4:5], off
.LBB254_15:
	s_or_b64 exec, exec, s[4:5]
	v_mbcnt_lo_u32_b32 v6, -1, 0
	v_lshlrev_b32_e32 v23, 3, v0
	v_lshlrev_b32_e32 v13, 3, v22
	s_getpc_b64 s[4:5]
	s_add_u32 s4, s4, _ZN7rocprim17ROCPRIM_400000_NS16block_radix_sortI12hip_bfloat16Lj16ELj2ElLj1ELj1ELj0ELNS0_26block_radix_rank_algorithmE1ELNS0_18block_padding_hintE2ELNS0_4arch9wavefront6targetE1EE19radix_bits_per_passE@rel32@lo+4
	s_addc_u32 s5, s5, _ZN7rocprim17ROCPRIM_400000_NS16block_radix_sortI12hip_bfloat16Lj16ELj2ElLj1ELj1ELj0ELNS0_26block_radix_rank_algorithmE1ELNS0_18block_padding_hintE2ELNS0_4arch9wavefront6targetE1EE19radix_bits_per_passE@rel32@hi+12
	v_mbcnt_hi_u32_b32 v6, -1, v6
	s_waitcnt vmcnt(0)
	ds_write2_b64 v23, v[2:3], v[4:5] offset1:16
	s_waitcnt lgkmcnt(0)
	; wave barrier
	s_waitcnt lgkmcnt(0)
	ds_read2_b64 v[2:5], v13 offset1:1
	s_load_dword s33, s[4:5], 0x0
	v_and_b32_e32 v7, 15, v6
	v_cmp_eq_u32_e64 s[6:7], 0, v7
	v_cmp_lt_u32_e64 s[8:9], 1, v7
	v_cmp_lt_u32_e64 s[10:11], 3, v7
	;; [unrolled: 1-line block ×3, first 2 shown]
	v_add_u32_e32 v7, -1, v6
	v_and_b32_e32 v8, 0x70, v6
	v_cmp_lt_i32_e32 vcc, v7, v8
	s_movk_i32 s4, 0x80
	v_cndmask_b32_e32 v7, v7, v6, vcc
	v_cmp_gt_u32_e64 s[4:5], s4, v0
	v_lshlrev_b32_e32 v24, 5, v0
	s_mov_b32 s34, 0
	v_cmp_eq_u32_e64 s[14:15], 15, v0
	s_movk_i32 s35, 0x70
	v_lshlrev_b32_e32 v26, 2, v7
	v_cmp_eq_u32_e64 s[16:17], 0, v6
	v_lshlrev_b32_e32 v25, 1, v22
	s_and_b64 vcc, exec, s[22:23]
	v_add_u32_e64 v29, 7, 2
	s_waitcnt lgkmcnt(0)
	; wave barrier
	s_waitcnt lgkmcnt(0)
	s_cbranch_vccz .LBB254_30
; %bb.16:
	v_mov_b32_e32 v30, 0xffff8000
	v_cmp_lt_i16_e32 vcc, -1, v28
	v_cndmask_b32_e32 v6, -1, v30, vcc
	v_cmp_lt_i16_e32 vcc, -1, v27
	v_xor_b32_e32 v20, v6, v28
	v_cndmask_b32_e32 v6, -1, v30, vcc
	v_xor_b32_e32 v21, v6, v27
	v_and_b32_e32 v31, 14, v29
	v_mov_b32_e32 v32, 0
	s_movk_i32 s36, 0x7fff
	v_pk_mov_b32 v[6:7], v[2:3], v[2:3] op_sel:[0,1]
	v_pk_mov_b32 v[8:9], v[4:5], v[4:5] op_sel:[0,1]
	s_branch .LBB254_18
.LBB254_17:                             ;   in Loop: Header=BB254_18 Depth=1
	v_lshlrev_b32_e32 v6, 1, v18
	s_waitcnt lgkmcnt(0)
	; wave barrier
	ds_write_b16 v6, v34
	v_lshlrev_b32_e32 v6, 1, v19
	ds_write_b16 v6, v33
	v_lshlrev_b32_e32 v6, 3, v18
	s_waitcnt lgkmcnt(0)
	; wave barrier
	s_waitcnt lgkmcnt(0)
	ds_read_u16 v20, v25
	ds_read_u16 v21, v25 offset:2
	s_waitcnt lgkmcnt(0)
	; wave barrier
	s_waitcnt lgkmcnt(0)
	ds_write_b64 v6, v[16:17]
	v_lshlrev_b32_e32 v6, 3, v19
	ds_write_b64 v6, v[14:15]
	s_waitcnt lgkmcnt(0)
	; wave barrier
	s_waitcnt lgkmcnt(0)
	ds_read2_b64 v[6:9], v13 offset1:1
	s_add_i32 s34, s34, 4
	s_waitcnt lgkmcnt(0)
	; wave barrier
	s_waitcnt lgkmcnt(0)
	s_cbranch_execz .LBB254_29
.LBB254_18:                             ; =>This Loop Header: Depth=1
                                        ;     Child Loop BB254_21 Depth 2
	v_pk_mov_b32 v[14:15], v[8:9], v[8:9] op_sel:[0,1]
	v_pk_mov_b32 v[16:17], v[6:7], v[6:7] op_sel:[0,1]
	v_mov_b32_e32 v34, v20
	v_mov_b32_e32 v33, v21
	s_and_saveexec_b64 s[22:23], s[4:5]
	s_cbranch_execz .LBB254_25
; %bb.19:                               ;   in Loop: Header=BB254_18 Depth=1
	s_mov_b32 s37, 0
	s_mov_b64 s[24:25], 0
	v_pk_mov_b32 v[6:7], v[0:1], v[0:1] op_sel:[0,1]
	s_branch .LBB254_21
.LBB254_20:                             ;   in Loop: Header=BB254_21 Depth=2
	s_or_b64 exec, exec, s[28:29]
	s_add_i32 s37, s37, 2
	v_cmp_eq_u32_e32 vcc, s37, v31
	v_add_u32_e32 v7, 32, v7
	s_or_b64 s[24:25], vcc, s[24:25]
	v_add_u32_e32 v6, 32, v6
	s_andn2_b64 exec, exec, s[24:25]
	s_cbranch_execz .LBB254_25
.LBB254_21:                             ;   Parent Loop BB254_18 Depth=1
                                        ; =>  This Inner Loop Header: Depth=2
	s_or_b32 s26, s37, 1
	v_cmp_le_u32_e64 s[26:27], s26, 7
	v_cmp_le_u32_e64 s[38:39], s37, 7
	s_and_saveexec_b64 s[28:29], s[38:39]
	s_cbranch_execz .LBB254_23
; %bb.22:                               ;   in Loop: Header=BB254_21 Depth=2
	v_lshlrev_b32_e32 v8, 2, v6
	ds_write_b32 v8, v32
.LBB254_23:                             ;   in Loop: Header=BB254_21 Depth=2
	s_or_b64 exec, exec, s[28:29]
	s_and_saveexec_b64 s[28:29], s[26:27]
	s_cbranch_execz .LBB254_20
; %bb.24:                               ;   in Loop: Header=BB254_21 Depth=2
	v_lshlrev_b32_e32 v8, 2, v7
	ds_write_b32 v8, v32
	s_branch .LBB254_20
.LBB254_25:                             ;   in Loop: Header=BB254_18 Depth=1
	s_or_b64 exec, exec, s[22:23]
	s_sub_i32 s22, 16, s34
	s_min_u32 s22, s33, s22
	v_cmp_ne_u16_e32 vcc, s36, v34
	s_lshl_b32 s22, -1, s22
	v_cndmask_b32_e32 v6, v30, v34, vcc
	s_not_b32 s22, s22
	v_lshrrev_b32_sdwa v6, s34, v6 dst_sel:DWORD dst_unused:UNUSED_PAD src0_sel:DWORD src1_sel:WORD_0
	v_and_b32_e32 v6, s22, v6
	v_lshrrev_b32_e32 v7, 3, v6
	v_lshlrev_b32_e32 v6, 4, v6
	v_and_or_b32 v6, v6, s35, v0
	v_lshlrev_b32_e32 v6, 1, v6
	v_add_lshl_u32 v36, v6, v7, 1
	ds_read_u16 v35, v36
	v_cmp_ne_u16_e32 vcc, s36, v33
	s_waitcnt lgkmcnt(0)
	v_add_u16_e32 v6, 1, v35
	ds_write_b16 v36, v6
	v_cndmask_b32_e32 v6, v30, v33, vcc
	v_lshrrev_b32_sdwa v6, s34, v6 dst_sel:DWORD dst_unused:UNUSED_PAD src0_sel:DWORD src1_sel:WORD_0
	v_and_b32_e32 v6, s22, v6
	v_lshrrev_b32_e32 v7, 3, v6
	v_lshlrev_b32_e32 v6, 4, v6
	v_and_or_b32 v6, v6, s35, v0
	v_lshlrev_b32_e32 v6, 1, v6
	v_add_lshl_u32 v38, v6, v7, 1
	ds_read_u16 v37, v38
	s_waitcnt lgkmcnt(0)
	v_add_u16_e32 v6, 1, v37
	ds_write_b16 v38, v6
	s_waitcnt lgkmcnt(0)
	; wave barrier
	s_waitcnt lgkmcnt(0)
	ds_read2_b32 v[20:21], v24 offset1:1
	ds_read2_b32 v[18:19], v24 offset0:2 offset1:3
	ds_read2_b32 v[6:7], v24 offset0:4 offset1:5
	;; [unrolled: 1-line block ×3, first 2 shown]
	s_waitcnt lgkmcnt(3)
	v_add_u32_e32 v39, v21, v20
	s_waitcnt lgkmcnt(2)
	v_add3_u32 v39, v39, v18, v19
	s_waitcnt lgkmcnt(1)
	v_add3_u32 v39, v39, v6, v7
	;; [unrolled: 2-line block ×3, first 2 shown]
	s_nop 1
	v_mov_b32_dpp v39, v9 row_shr:1 row_mask:0xf bank_mask:0xf
	v_cndmask_b32_e64 v39, v39, 0, s[6:7]
	v_add_u32_e32 v9, v39, v9
	s_nop 1
	v_mov_b32_dpp v39, v9 row_shr:2 row_mask:0xf bank_mask:0xf
	v_cndmask_b32_e64 v39, 0, v39, s[8:9]
	v_add_u32_e32 v9, v9, v39
	;; [unrolled: 4-line block ×4, first 2 shown]
	s_and_saveexec_b64 s[22:23], s[14:15]
	s_cbranch_execz .LBB254_27
; %bb.26:                               ;   in Loop: Header=BB254_18 Depth=1
	ds_write_b32 v32, v9 offset:512
.LBB254_27:                             ;   in Loop: Header=BB254_18 Depth=1
	s_or_b64 exec, exec, s[22:23]
	ds_bpermute_b32 v9, v26, v9
	s_waitcnt lgkmcnt(0)
	; wave barrier
	s_waitcnt lgkmcnt(0)
	ds_read_b32 v39, v32 offset:512
	s_cmp_gt_u32 s34, 11
	v_cndmask_b32_e64 v9, v9, 0, s[16:17]
	s_waitcnt lgkmcnt(0)
	v_lshl_add_u32 v9, v39, 16, v9
	v_add_u32_e32 v20, v9, v20
	v_add_u32_e32 v21, v20, v21
	ds_write2_b32 v24, v9, v20 offset1:1
	v_add_u32_e32 v9, v21, v18
	v_add_u32_e32 v18, v9, v19
	;; [unrolled: 1-line block ×5, first 2 shown]
	ds_write2_b32 v24, v21, v9 offset0:2 offset1:3
	ds_write2_b32 v24, v18, v6 offset0:4 offset1:5
	;; [unrolled: 1-line block ×3, first 2 shown]
	s_waitcnt lgkmcnt(0)
	; wave barrier
	s_waitcnt lgkmcnt(0)
	ds_read_u16 v6, v36
	ds_read_u16 v7, v38
	s_waitcnt lgkmcnt(1)
	v_add_u32_sdwa v18, v6, v35 dst_sel:DWORD dst_unused:UNUSED_PAD src0_sel:DWORD src1_sel:WORD_0
	s_waitcnt lgkmcnt(0)
	v_add_u32_sdwa v19, v7, v37 dst_sel:DWORD dst_unused:UNUSED_PAD src0_sel:DWORD src1_sel:WORD_0
	s_cbranch_scc0 .LBB254_17
; %bb.28:
                                        ; implicit-def: $vgpr8_vgpr9
                                        ; implicit-def: $sgpr34
                                        ; implicit-def: $vgpr20
                                        ; implicit-def: $vgpr21
.LBB254_29:
	v_lshlrev_b32_e32 v6, 1, v18
	s_waitcnt lgkmcnt(0)
	; wave barrier
	ds_write_b16 v6, v34
	v_lshlrev_b32_e32 v6, 1, v19
	ds_write_b16 v6, v33
	s_waitcnt lgkmcnt(0)
	; wave barrier
	s_waitcnt lgkmcnt(0)
	v_lshlrev_b32_e32 v6, 3, v18
	ds_read_b32 v18, v25
	v_lshlrev_b32_e32 v7, 3, v19
	s_waitcnt lgkmcnt(0)
	; wave barrier
	s_waitcnt lgkmcnt(0)
	ds_write_b64 v6, v[16:17]
	ds_write_b64 v7, v[14:15]
	s_waitcnt lgkmcnt(0)
	; wave barrier
	s_waitcnt lgkmcnt(0)
	ds_read2_b64 v[6:9], v13 offset1:1
	v_mov_b32_e32 v14, -1
	v_mov_b32_e32 v15, 0xffff8000
	v_cmp_lt_i16_e32 vcc, -1, v18
	v_cmp_gt_i16_sdwa s[22:23], v18, v14 src0_sel:WORD_1 src1_sel:DWORD
	v_cndmask_b32_e64 v16, v15, -1, vcc
	v_cndmask_b32_e64 v14, v15, -1, s[22:23]
	s_mov_b32 s22, 0x5040100
	v_perm_b32 v14, v14, v16, s22
	v_xor_b32_e32 v14, v14, v18
	s_branch .LBB254_45
.LBB254_30:
                                        ; implicit-def: $vgpr8_vgpr9
                                        ; implicit-def: $vgpr14
	s_cbranch_execz .LBB254_45
; %bb.31:
	v_mov_b32_e32 v18, 0x7fff
	v_cmp_gt_i16_e32 vcc, 0, v28
	s_waitcnt lgkmcnt(0)
	v_cndmask_b32_e64 v6, v18, 0, vcc
	v_cmp_gt_i16_e32 vcc, 0, v27
	v_xor_b32_e32 v16, v6, v28
	v_cndmask_b32_e64 v6, v18, 0, vcc
	s_mov_b32 s34, 0
	v_xor_b32_e32 v17, v6, v27
	v_and_b32_e32 v19, 14, v29
	v_mov_b32_e32 v20, 0
	s_movk_i32 s35, 0x8000
	s_movk_i32 s36, 0x70
	s_branch .LBB254_33
.LBB254_32:                             ;   in Loop: Header=BB254_33 Depth=1
	v_lshlrev_b32_e32 v2, 1, v14
	s_waitcnt lgkmcnt(0)
	; wave barrier
	ds_write_b16 v2, v27
	v_lshlrev_b32_e32 v2, 1, v15
	ds_write_b16 v2, v21
	v_lshlrev_b32_e32 v2, 3, v14
	s_waitcnt lgkmcnt(0)
	; wave barrier
	s_waitcnt lgkmcnt(0)
	ds_read_u16 v16, v25
	ds_read_u16 v17, v25 offset:2
	s_waitcnt lgkmcnt(0)
	; wave barrier
	s_waitcnt lgkmcnt(0)
	ds_write_b64 v2, v[8:9]
	v_lshlrev_b32_e32 v2, 3, v15
	ds_write_b64 v2, v[6:7]
	s_waitcnt lgkmcnt(0)
	; wave barrier
	s_waitcnt lgkmcnt(0)
	ds_read2_b64 v[2:5], v13 offset1:1
	s_add_i32 s34, s34, 4
	s_waitcnt lgkmcnt(0)
	; wave barrier
	s_waitcnt lgkmcnt(0)
	s_cbranch_execz .LBB254_44
.LBB254_33:                             ; =>This Loop Header: Depth=1
                                        ;     Child Loop BB254_36 Depth 2
	v_pk_mov_b32 v[6:7], v[4:5], v[4:5] op_sel:[0,1]
	v_pk_mov_b32 v[8:9], v[2:3], v[2:3] op_sel:[0,1]
	v_mov_b32_e32 v27, v16
	v_mov_b32_e32 v21, v17
	s_and_saveexec_b64 s[22:23], s[4:5]
	s_cbranch_execz .LBB254_40
; %bb.34:                               ;   in Loop: Header=BB254_33 Depth=1
	s_mov_b32 s37, 0
	s_mov_b64 s[24:25], 0
	v_pk_mov_b32 v[2:3], v[0:1], v[0:1] op_sel:[0,1]
	s_branch .LBB254_36
.LBB254_35:                             ;   in Loop: Header=BB254_36 Depth=2
	s_or_b64 exec, exec, s[28:29]
	s_add_i32 s37, s37, 2
	v_cmp_eq_u32_e32 vcc, s37, v19
	v_add_u32_e32 v3, 32, v3
	s_or_b64 s[24:25], vcc, s[24:25]
	v_add_u32_e32 v2, 32, v2
	s_andn2_b64 exec, exec, s[24:25]
	s_cbranch_execz .LBB254_40
.LBB254_36:                             ;   Parent Loop BB254_33 Depth=1
                                        ; =>  This Inner Loop Header: Depth=2
	s_or_b32 s26, s37, 1
	v_cmp_le_u32_e64 s[26:27], s26, 7
	v_cmp_le_u32_e64 s[38:39], s37, 7
	s_and_saveexec_b64 s[28:29], s[38:39]
	s_cbranch_execz .LBB254_38
; %bb.37:                               ;   in Loop: Header=BB254_36 Depth=2
	v_lshlrev_b32_e32 v4, 2, v2
	ds_write_b32 v4, v20
.LBB254_38:                             ;   in Loop: Header=BB254_36 Depth=2
	s_or_b64 exec, exec, s[28:29]
	s_and_saveexec_b64 s[28:29], s[26:27]
	s_cbranch_execz .LBB254_35
; %bb.39:                               ;   in Loop: Header=BB254_36 Depth=2
	v_lshlrev_b32_e32 v4, 2, v3
	ds_write_b32 v4, v20
	s_branch .LBB254_35
.LBB254_40:                             ;   in Loop: Header=BB254_33 Depth=1
	s_or_b64 exec, exec, s[22:23]
	s_sub_i32 s22, 16, s34
	s_min_u32 s22, s33, s22
	v_cmp_ne_u16_e32 vcc, s35, v27
	s_lshl_b32 s22, -1, s22
	v_cndmask_b32_e32 v2, v18, v27, vcc
	s_not_b32 s22, s22
	v_lshrrev_b32_sdwa v2, s34, v2 dst_sel:DWORD dst_unused:UNUSED_PAD src0_sel:DWORD src1_sel:WORD_0
	v_and_b32_e32 v2, s22, v2
	v_lshrrev_b32_e32 v3, 3, v2
	v_lshlrev_b32_e32 v2, 4, v2
	v_and_or_b32 v2, v2, s36, v0
	v_lshlrev_b32_e32 v2, 1, v2
	v_add_lshl_u32 v29, v2, v3, 1
	ds_read_u16 v28, v29
	v_cmp_ne_u16_e32 vcc, s35, v21
	s_waitcnt lgkmcnt(0)
	v_add_u16_e32 v2, 1, v28
	ds_write_b16 v29, v2
	v_cndmask_b32_e32 v2, v18, v21, vcc
	v_lshrrev_b32_sdwa v2, s34, v2 dst_sel:DWORD dst_unused:UNUSED_PAD src0_sel:DWORD src1_sel:WORD_0
	v_and_b32_e32 v2, s22, v2
	v_lshrrev_b32_e32 v3, 3, v2
	v_lshlrev_b32_e32 v2, 4, v2
	v_and_or_b32 v2, v2, s36, v0
	v_lshlrev_b32_e32 v2, 1, v2
	v_add_lshl_u32 v31, v2, v3, 1
	ds_read_u16 v30, v31
	s_waitcnt lgkmcnt(0)
	v_add_u16_e32 v2, 1, v30
	ds_write_b16 v31, v2
	s_waitcnt lgkmcnt(0)
	; wave barrier
	s_waitcnt lgkmcnt(0)
	ds_read2_b32 v[16:17], v24 offset1:1
	ds_read2_b32 v[14:15], v24 offset0:2 offset1:3
	ds_read2_b32 v[2:3], v24 offset0:4 offset1:5
	;; [unrolled: 1-line block ×3, first 2 shown]
	s_waitcnt lgkmcnt(3)
	v_add_u32_e32 v32, v17, v16
	s_waitcnt lgkmcnt(2)
	v_add3_u32 v32, v32, v14, v15
	s_waitcnt lgkmcnt(1)
	v_add3_u32 v32, v32, v2, v3
	s_waitcnt lgkmcnt(0)
	v_add3_u32 v5, v32, v4, v5
	s_nop 1
	v_mov_b32_dpp v32, v5 row_shr:1 row_mask:0xf bank_mask:0xf
	v_cndmask_b32_e64 v32, v32, 0, s[6:7]
	v_add_u32_e32 v5, v32, v5
	s_nop 1
	v_mov_b32_dpp v32, v5 row_shr:2 row_mask:0xf bank_mask:0xf
	v_cndmask_b32_e64 v32, 0, v32, s[8:9]
	v_add_u32_e32 v5, v5, v32
	;; [unrolled: 4-line block ×4, first 2 shown]
	s_and_saveexec_b64 s[22:23], s[14:15]
	s_cbranch_execz .LBB254_42
; %bb.41:                               ;   in Loop: Header=BB254_33 Depth=1
	ds_write_b32 v20, v5 offset:512
.LBB254_42:                             ;   in Loop: Header=BB254_33 Depth=1
	s_or_b64 exec, exec, s[22:23]
	ds_bpermute_b32 v5, v26, v5
	s_waitcnt lgkmcnt(0)
	; wave barrier
	s_waitcnt lgkmcnt(0)
	ds_read_b32 v32, v20 offset:512
	s_cmp_gt_u32 s34, 11
	v_cndmask_b32_e64 v5, v5, 0, s[16:17]
	s_waitcnt lgkmcnt(0)
	v_lshl_add_u32 v5, v32, 16, v5
	v_add_u32_e32 v16, v5, v16
	v_add_u32_e32 v17, v16, v17
	ds_write2_b32 v24, v5, v16 offset1:1
	v_add_u32_e32 v5, v17, v14
	v_add_u32_e32 v14, v5, v15
	;; [unrolled: 1-line block ×5, first 2 shown]
	ds_write2_b32 v24, v17, v5 offset0:2 offset1:3
	ds_write2_b32 v24, v14, v2 offset0:4 offset1:5
	;; [unrolled: 1-line block ×3, first 2 shown]
	s_waitcnt lgkmcnt(0)
	; wave barrier
	s_waitcnt lgkmcnt(0)
	ds_read_u16 v2, v29
	ds_read_u16 v3, v31
	s_waitcnt lgkmcnt(1)
	v_add_u32_sdwa v14, v2, v28 dst_sel:DWORD dst_unused:UNUSED_PAD src0_sel:DWORD src1_sel:WORD_0
	s_waitcnt lgkmcnt(0)
	v_add_u32_sdwa v15, v3, v30 dst_sel:DWORD dst_unused:UNUSED_PAD src0_sel:DWORD src1_sel:WORD_0
	s_cbranch_scc0 .LBB254_32
; %bb.43:
                                        ; implicit-def: $vgpr4_vgpr5
                                        ; implicit-def: $sgpr34
                                        ; implicit-def: $vgpr16
                                        ; implicit-def: $vgpr17
.LBB254_44:
	v_lshlrev_b32_e32 v0, 1, v14
	s_waitcnt lgkmcnt(0)
	; wave barrier
	ds_write_b16 v0, v27
	v_lshlrev_b32_e32 v0, 1, v15
	ds_write_b16 v0, v21
	s_waitcnt lgkmcnt(0)
	; wave barrier
	s_waitcnt lgkmcnt(0)
	ds_read_b32 v2, v25
	v_lshlrev_b32_e32 v0, 3, v14
	v_lshlrev_b32_e32 v1, 3, v15
	s_waitcnt lgkmcnt(0)
	; wave barrier
	s_waitcnt lgkmcnt(0)
	ds_write_b64 v0, v[8:9]
	ds_write_b64 v1, v[6:7]
	s_waitcnt lgkmcnt(0)
	; wave barrier
	s_waitcnt lgkmcnt(0)
	ds_read2_b64 v[6:9], v13 offset1:1
	v_mov_b32_e32 v0, 0
	v_mov_b32_e32 v1, 0x7fff
	v_cmp_gt_i16_e32 vcc, 0, v2
	v_cmp_lt_i16_sdwa s[4:5], v2, v0 src0_sel:WORD_1 src1_sel:DWORD
	v_cndmask_b32_e64 v3, v1, 0, vcc
	v_cndmask_b32_e64 v0, v1, 0, s[4:5]
	s_mov_b32 s4, 0x5040100
	v_perm_b32 v0, v0, v3, s4
	v_xor_b32_e32 v14, v0, v2
.LBB254_45:
	s_waitcnt lgkmcnt(0)
	; wave barrier
	s_waitcnt lgkmcnt(0)
	ds_write_b32 v11, v14
	s_waitcnt lgkmcnt(0)
	; wave barrier
	s_waitcnt lgkmcnt(0)
	ds_read_u16 v2, v22 offset:32
	v_mov_b32_e32 v11, 0
	v_lshlrev_b64 v[0:1], 1, v[10:11]
	v_mov_b32_e32 v3, s21
	v_add_co_u32_e32 v0, vcc, s19, v0
	v_addc_co_u32_e32 v1, vcc, v3, v1, vcc
	s_and_saveexec_b64 s[4:5], s[0:1]
	s_cbranch_execz .LBB254_47
; %bb.46:
	ds_read_u16 v3, v22
	s_waitcnt lgkmcnt(0)
	global_store_short v[0:1], v3, off
.LBB254_47:
	s_or_b64 exec, exec, s[4:5]
	s_and_saveexec_b64 s[4:5], s[2:3]
	s_cbranch_execz .LBB254_49
; %bb.48:
	s_lshl_b32 s6, s18, 4
	s_mov_b32 s7, 0
	s_lshl_b64 s[6:7], s[6:7], 1
	v_mov_b32_e32 v3, s7
	v_add_co_u32_e32 v0, vcc, s6, v0
	v_addc_co_u32_e32 v1, vcc, v1, v3, vcc
	s_waitcnt lgkmcnt(0)
	global_store_short v[0:1], v2, off
.LBB254_49:
	s_or_b64 exec, exec, s[4:5]
	s_waitcnt lgkmcnt(0)
	; wave barrier
	s_waitcnt lgkmcnt(0)
	ds_write2_b64 v13, v[6:7], v[8:9] offset1:1
	s_waitcnt lgkmcnt(0)
	; wave barrier
	s_waitcnt lgkmcnt(0)
	ds_read_b64 v[0:1], v23 offset:128
	v_mov_b32_e32 v13, 0
	v_lshlrev_b64 v[2:3], 3, v[12:13]
	v_mov_b32_e32 v4, s31
	v_add_co_u32_e32 v2, vcc, s30, v2
	v_addc_co_u32_e32 v3, vcc, v4, v3, vcc
	s_and_saveexec_b64 s[4:5], s[0:1]
	s_cbranch_execz .LBB254_51
; %bb.50:
	ds_read_b64 v[4:5], v23
	s_waitcnt lgkmcnt(0)
	global_store_dwordx2 v[2:3], v[4:5], off
.LBB254_51:
	s_or_b64 exec, exec, s[4:5]
	s_and_saveexec_b64 s[0:1], s[2:3]
	s_cbranch_execz .LBB254_53
; %bb.52:
	s_lshl_b32 s0, s20, 4
	s_mov_b32 s1, 0
	s_lshl_b64 s[0:1], s[0:1], 3
	v_mov_b32_e32 v4, s1
	v_add_co_u32_e32 v2, vcc, s0, v2
	v_addc_co_u32_e32 v3, vcc, v3, v4, vcc
	s_waitcnt lgkmcnt(0)
	global_store_dwordx2 v[2:3], v[0:1], off
.LBB254_53:
	s_endpgm
	.section	.rodata,"a",@progbits
	.p2align	6, 0x0
	.amdhsa_kernel _ZN2at6native18radixSortKVInPlaceILin1ELin1ELi16ELi2EN3c108BFloat16EljEEvNS_4cuda6detail10TensorInfoIT3_T5_EES8_S8_S8_NS6_IT4_S8_EES8_b
		.amdhsa_group_segment_fixed_size 528
		.amdhsa_private_segment_fixed_size 0
		.amdhsa_kernarg_size 712
		.amdhsa_user_sgpr_count 6
		.amdhsa_user_sgpr_private_segment_buffer 1
		.amdhsa_user_sgpr_dispatch_ptr 0
		.amdhsa_user_sgpr_queue_ptr 0
		.amdhsa_user_sgpr_kernarg_segment_ptr 1
		.amdhsa_user_sgpr_dispatch_id 0
		.amdhsa_user_sgpr_flat_scratch_init 0
		.amdhsa_user_sgpr_kernarg_preload_length 0
		.amdhsa_user_sgpr_kernarg_preload_offset 0
		.amdhsa_user_sgpr_private_segment_size 0
		.amdhsa_uses_dynamic_stack 0
		.amdhsa_system_sgpr_private_segment_wavefront_offset 0
		.amdhsa_system_sgpr_workgroup_id_x 1
		.amdhsa_system_sgpr_workgroup_id_y 1
		.amdhsa_system_sgpr_workgroup_id_z 1
		.amdhsa_system_sgpr_workgroup_info 0
		.amdhsa_system_vgpr_workitem_id 0
		.amdhsa_next_free_vgpr 40
		.amdhsa_next_free_sgpr 40
		.amdhsa_accum_offset 40
		.amdhsa_reserve_vcc 1
		.amdhsa_reserve_flat_scratch 0
		.amdhsa_float_round_mode_32 0
		.amdhsa_float_round_mode_16_64 0
		.amdhsa_float_denorm_mode_32 3
		.amdhsa_float_denorm_mode_16_64 3
		.amdhsa_dx10_clamp 1
		.amdhsa_ieee_mode 1
		.amdhsa_fp16_overflow 0
		.amdhsa_tg_split 0
		.amdhsa_exception_fp_ieee_invalid_op 0
		.amdhsa_exception_fp_denorm_src 0
		.amdhsa_exception_fp_ieee_div_zero 0
		.amdhsa_exception_fp_ieee_overflow 0
		.amdhsa_exception_fp_ieee_underflow 0
		.amdhsa_exception_fp_ieee_inexact 0
		.amdhsa_exception_int_div_zero 0
	.end_amdhsa_kernel
	.section	.text._ZN2at6native18radixSortKVInPlaceILin1ELin1ELi16ELi2EN3c108BFloat16EljEEvNS_4cuda6detail10TensorInfoIT3_T5_EES8_S8_S8_NS6_IT4_S8_EES8_b,"axG",@progbits,_ZN2at6native18radixSortKVInPlaceILin1ELin1ELi16ELi2EN3c108BFloat16EljEEvNS_4cuda6detail10TensorInfoIT3_T5_EES8_S8_S8_NS6_IT4_S8_EES8_b,comdat
.Lfunc_end254:
	.size	_ZN2at6native18radixSortKVInPlaceILin1ELin1ELi16ELi2EN3c108BFloat16EljEEvNS_4cuda6detail10TensorInfoIT3_T5_EES8_S8_S8_NS6_IT4_S8_EES8_b, .Lfunc_end254-_ZN2at6native18radixSortKVInPlaceILin1ELin1ELi16ELi2EN3c108BFloat16EljEEvNS_4cuda6detail10TensorInfoIT3_T5_EES8_S8_S8_NS6_IT4_S8_EES8_b
                                        ; -- End function
	.section	.AMDGPU.csdata,"",@progbits
; Kernel info:
; codeLenInByte = 3428
; NumSgprs: 44
; NumVgprs: 40
; NumAgprs: 0
; TotalNumVgprs: 40
; ScratchSize: 0
; MemoryBound: 0
; FloatMode: 240
; IeeeMode: 1
; LDSByteSize: 528 bytes/workgroup (compile time only)
; SGPRBlocks: 5
; VGPRBlocks: 4
; NumSGPRsForWavesPerEU: 44
; NumVGPRsForWavesPerEU: 40
; AccumOffset: 40
; Occupancy: 8
; WaveLimiterHint : 1
; COMPUTE_PGM_RSRC2:SCRATCH_EN: 0
; COMPUTE_PGM_RSRC2:USER_SGPR: 6
; COMPUTE_PGM_RSRC2:TRAP_HANDLER: 0
; COMPUTE_PGM_RSRC2:TGID_X_EN: 1
; COMPUTE_PGM_RSRC2:TGID_Y_EN: 1
; COMPUTE_PGM_RSRC2:TGID_Z_EN: 1
; COMPUTE_PGM_RSRC2:TIDIG_COMP_CNT: 0
; COMPUTE_PGM_RSRC3_GFX90A:ACCUM_OFFSET: 9
; COMPUTE_PGM_RSRC3_GFX90A:TG_SPLIT: 0
	.section	.text._ZN2at6native18radixSortKVInPlaceILin1ELin1ELi512ELi8EN3c108BFloat16ElmEEvNS_4cuda6detail10TensorInfoIT3_T5_EES8_S8_S8_NS6_IT4_S8_EES8_b,"axG",@progbits,_ZN2at6native18radixSortKVInPlaceILin1ELin1ELi512ELi8EN3c108BFloat16ElmEEvNS_4cuda6detail10TensorInfoIT3_T5_EES8_S8_S8_NS6_IT4_S8_EES8_b,comdat
	.protected	_ZN2at6native18radixSortKVInPlaceILin1ELin1ELi512ELi8EN3c108BFloat16ElmEEvNS_4cuda6detail10TensorInfoIT3_T5_EES8_S8_S8_NS6_IT4_S8_EES8_b ; -- Begin function _ZN2at6native18radixSortKVInPlaceILin1ELin1ELi512ELi8EN3c108BFloat16ElmEEvNS_4cuda6detail10TensorInfoIT3_T5_EES8_S8_S8_NS6_IT4_S8_EES8_b
	.globl	_ZN2at6native18radixSortKVInPlaceILin1ELin1ELi512ELi8EN3c108BFloat16ElmEEvNS_4cuda6detail10TensorInfoIT3_T5_EES8_S8_S8_NS6_IT4_S8_EES8_b
	.p2align	8
	.type	_ZN2at6native18radixSortKVInPlaceILin1ELin1ELi512ELi8EN3c108BFloat16ElmEEvNS_4cuda6detail10TensorInfoIT3_T5_EES8_S8_S8_NS6_IT4_S8_EES8_b,@function
_ZN2at6native18radixSortKVInPlaceILin1ELin1ELi512ELi8EN3c108BFloat16ElmEEvNS_4cuda6detail10TensorInfoIT3_T5_EES8_S8_S8_NS6_IT4_S8_EES8_b: ; @_ZN2at6native18radixSortKVInPlaceILin1ELin1ELi512ELi8EN3c108BFloat16ElmEEvNS_4cuda6detail10TensorInfoIT3_T5_EES8_S8_S8_NS6_IT4_S8_EES8_b
; %bb.0:
	s_load_dwordx4 s[12:15], s[4:5], 0x1a0
	s_load_dwordx2 s[0:1], s[4:5], 0x368
	s_add_u32 s52, s4, 0x368
	s_addc_u32 s53, s5, 0
	s_waitcnt lgkmcnt(0)
	v_mov_b32_e32 v2, s12
	s_mul_i32 s1, s1, s8
	s_add_i32 s1, s1, s7
	s_mul_i32 s0, s1, s0
	v_mov_b32_e32 v3, s13
	s_add_i32 s6, s0, s6
	s_mov_b32 s7, 0
	v_cmp_ge_u64_e32 vcc, s[6:7], v[2:3]
	s_cbranch_vccnz .LBB255_160
; %bb.1:
	s_load_dword s0, s[4:5], 0x198
	s_load_dwordx2 s[48:49], s[4:5], 0x1b0
	s_mov_b64 s[2:3], 0
	s_mov_b64 s[8:9], s[6:7]
	s_waitcnt lgkmcnt(0)
	s_cmp_lt_i32 s0, 2
	s_cbranch_scc1 .LBB255_9
; %bb.2:
	s_mov_b32 s10, 0
	s_add_i32 s15, s0, 1
	s_add_i32 s0, s0, -1
	s_mov_b32 s1, s10
	s_lshl_b64 s[0:1], s[0:1], 3
	s_add_u32 s0, s0, s4
	s_addc_u32 s1, s1, s5
	s_add_u32 s12, s0, 8
	s_addc_u32 s13, s1, 0
	s_mov_b64 s[16:17], s[6:7]
.LBB255_3:                              ; =>This Inner Loop Header: Depth=1
	s_load_dwordx2 s[18:19], s[12:13], 0x0
	s_waitcnt lgkmcnt(0)
	s_or_b64 s[0:1], s[16:17], s[18:19]
	s_mov_b32 s11, s1
	s_cmp_lg_u64 s[10:11], 0
	s_cbranch_scc0 .LBB255_8
; %bb.4:                                ;   in Loop: Header=BB255_3 Depth=1
	v_cvt_f32_u32_e32 v1, s18
	v_cvt_f32_u32_e32 v2, s19
	s_sub_u32 s0, 0, s18
	s_subb_u32 s1, 0, s19
	v_mac_f32_e32 v1, 0x4f800000, v2
	v_rcp_f32_e32 v1, v1
	v_mul_f32_e32 v1, 0x5f7ffffc, v1
	v_mul_f32_e32 v2, 0x2f800000, v1
	v_trunc_f32_e32 v2, v2
	v_mac_f32_e32 v1, 0xcf800000, v2
	v_cvt_u32_f32_e32 v2, v2
	v_cvt_u32_f32_e32 v1, v1
	v_readfirstlane_b32 s8, v2
	v_readfirstlane_b32 s9, v1
	s_mul_i32 s11, s0, s8
	s_mul_hi_u32 s21, s0, s9
	s_mul_i32 s20, s1, s9
	s_add_i32 s11, s21, s11
	s_mul_i32 s22, s0, s9
	s_add_i32 s11, s11, s20
	s_mul_hi_u32 s20, s9, s11
	s_mul_i32 s21, s9, s11
	s_mul_hi_u32 s9, s9, s22
	s_add_u32 s9, s9, s21
	s_addc_u32 s20, 0, s20
	s_mul_hi_u32 s23, s8, s22
	s_mul_i32 s22, s8, s22
	s_add_u32 s9, s9, s22
	s_mul_hi_u32 s21, s8, s11
	s_addc_u32 s9, s20, s23
	s_addc_u32 s20, s21, 0
	s_mul_i32 s11, s8, s11
	s_add_u32 s9, s9, s11
	s_addc_u32 s11, 0, s20
	v_add_co_u32_e32 v1, vcc, s9, v1
	s_cmp_lg_u64 vcc, 0
	s_addc_u32 s8, s8, s11
	v_readfirstlane_b32 s11, v1
	s_mul_i32 s9, s0, s8
	s_mul_hi_u32 s20, s0, s11
	s_add_i32 s9, s20, s9
	s_mul_i32 s1, s1, s11
	s_add_i32 s9, s9, s1
	s_mul_i32 s0, s0, s11
	s_mul_hi_u32 s20, s8, s0
	s_mul_i32 s21, s8, s0
	s_mul_i32 s23, s11, s9
	s_mul_hi_u32 s0, s11, s0
	s_mul_hi_u32 s22, s11, s9
	s_add_u32 s0, s0, s23
	s_addc_u32 s11, 0, s22
	s_add_u32 s0, s0, s21
	s_mul_hi_u32 s1, s8, s9
	s_addc_u32 s0, s11, s20
	s_addc_u32 s1, s1, 0
	s_mul_i32 s9, s8, s9
	s_add_u32 s0, s0, s9
	s_addc_u32 s1, 0, s1
	v_add_co_u32_e32 v1, vcc, s0, v1
	s_cmp_lg_u64 vcc, 0
	s_addc_u32 s0, s8, s1
	v_readfirstlane_b32 s9, v1
	s_mul_i32 s8, s16, s0
	s_mul_hi_u32 s11, s16, s9
	s_mul_hi_u32 s1, s16, s0
	s_add_u32 s8, s11, s8
	s_addc_u32 s1, 0, s1
	s_mul_hi_u32 s20, s17, s9
	s_mul_i32 s9, s17, s9
	s_add_u32 s8, s8, s9
	s_mul_hi_u32 s11, s17, s0
	s_addc_u32 s1, s1, s20
	s_addc_u32 s8, s11, 0
	s_mul_i32 s0, s17, s0
	s_add_u32 s11, s1, s0
	s_addc_u32 s8, 0, s8
	s_mul_i32 s0, s18, s8
	s_mul_hi_u32 s1, s18, s11
	s_add_i32 s0, s1, s0
	s_mul_i32 s1, s19, s11
	s_add_i32 s9, s0, s1
	s_mul_i32 s1, s18, s11
	v_mov_b32_e32 v1, s1
	s_sub_i32 s0, s17, s9
	v_sub_co_u32_e32 v1, vcc, s16, v1
	s_cmp_lg_u64 vcc, 0
	s_subb_u32 s20, s0, s19
	v_subrev_co_u32_e64 v2, s[0:1], s18, v1
	s_cmp_lg_u64 s[0:1], 0
	s_subb_u32 s0, s20, 0
	s_cmp_ge_u32 s0, s19
	v_readfirstlane_b32 s20, v2
	s_cselect_b32 s1, -1, 0
	s_cmp_ge_u32 s20, s18
	s_cselect_b32 s20, -1, 0
	s_cmp_eq_u32 s0, s19
	s_cselect_b32 s0, s20, s1
	s_add_u32 s1, s11, 1
	s_addc_u32 s20, s8, 0
	s_add_u32 s21, s11, 2
	s_addc_u32 s22, s8, 0
	s_cmp_lg_u32 s0, 0
	s_cselect_b32 s0, s21, s1
	s_cselect_b32 s1, s22, s20
	s_cmp_lg_u64 vcc, 0
	s_subb_u32 s9, s17, s9
	s_cmp_ge_u32 s9, s19
	v_readfirstlane_b32 s21, v1
	s_cselect_b32 s20, -1, 0
	s_cmp_ge_u32 s21, s18
	s_cselect_b32 s21, -1, 0
	s_cmp_eq_u32 s9, s19
	s_cselect_b32 s9, s21, s20
	s_cmp_lg_u32 s9, 0
	s_cselect_b32 s9, s1, s8
	s_cselect_b32 s8, s0, s11
	s_cbranch_execnz .LBB255_6
.LBB255_5:                              ;   in Loop: Header=BB255_3 Depth=1
	v_cvt_f32_u32_e32 v1, s18
	s_sub_i32 s0, 0, s18
	v_rcp_iflag_f32_e32 v1, v1
	v_mul_f32_e32 v1, 0x4f7ffffe, v1
	v_cvt_u32_f32_e32 v1, v1
	v_readfirstlane_b32 s1, v1
	s_mul_i32 s0, s0, s1
	s_mul_hi_u32 s0, s1, s0
	s_add_i32 s1, s1, s0
	s_mul_hi_u32 s0, s16, s1
	s_mul_i32 s8, s0, s18
	s_sub_i32 s8, s16, s8
	s_add_i32 s1, s0, 1
	s_sub_i32 s9, s8, s18
	s_cmp_ge_u32 s8, s18
	s_cselect_b32 s0, s1, s0
	s_cselect_b32 s8, s9, s8
	s_add_i32 s1, s0, 1
	s_cmp_ge_u32 s8, s18
	s_cselect_b32 s8, s1, s0
	s_mov_b32 s9, s10
.LBB255_6:                              ;   in Loop: Header=BB255_3 Depth=1
	s_mul_i32 s0, s8, s19
	s_mul_hi_u32 s1, s8, s18
	s_add_i32 s11, s1, s0
	s_load_dwordx2 s[0:1], s[12:13], 0xc8
	s_mul_i32 s19, s9, s18
	s_add_i32 s11, s11, s19
	s_mul_i32 s18, s8, s18
	s_sub_u32 s16, s16, s18
	s_subb_u32 s11, s17, s11
	s_waitcnt lgkmcnt(0)
	s_mul_i32 s11, s0, s11
	s_mul_hi_u32 s17, s0, s16
	s_add_i32 s11, s17, s11
	s_mul_i32 s1, s1, s16
	s_add_i32 s11, s11, s1
	s_mul_i32 s0, s0, s16
	s_add_u32 s2, s0, s2
	s_addc_u32 s3, s11, s3
	s_add_i32 s15, s15, -1
	s_add_u32 s12, s12, -8
	s_addc_u32 s13, s13, -1
	s_cmp_gt_u32 s15, 2
	s_cbranch_scc0 .LBB255_9
; %bb.7:                                ;   in Loop: Header=BB255_3 Depth=1
	s_mov_b64 s[16:17], s[8:9]
	s_branch .LBB255_3
.LBB255_8:                              ;   in Loop: Header=BB255_3 Depth=1
                                        ; implicit-def: $sgpr8_sgpr9
	s_branch .LBB255_5
.LBB255_9:
	s_load_dword s0, s[4:5], 0x350
	s_load_dwordx2 s[10:11], s[4:5], 0xd0
	s_mov_b64 s[16:17], 0
	s_waitcnt lgkmcnt(0)
	s_cmp_lt_i32 s0, 2
	s_cbranch_scc1 .LBB255_17
; %bb.10:
	s_mov_b32 s12, 0
	s_add_i32 s15, s0, 1
	s_add_i32 s0, s0, -1
	s_mov_b32 s1, s12
	s_lshl_b64 s[0:1], s[0:1], 3
	s_add_u32 s0, s0, s4
	s_addc_u32 s1, s1, s5
	s_add_u32 s20, s0, 0x1c0
	s_addc_u32 s21, s1, 0
.LBB255_11:                             ; =>This Inner Loop Header: Depth=1
	s_load_dwordx2 s[22:23], s[20:21], 0x0
	s_waitcnt lgkmcnt(0)
	s_or_b64 s[0:1], s[6:7], s[22:23]
	s_mov_b32 s13, s1
	s_cmp_lg_u64 s[12:13], 0
	s_cbranch_scc0 .LBB255_16
; %bb.12:                               ;   in Loop: Header=BB255_11 Depth=1
	v_cvt_f32_u32_e32 v1, s22
	v_cvt_f32_u32_e32 v2, s23
	s_sub_u32 s0, 0, s22
	s_subb_u32 s1, 0, s23
	v_mac_f32_e32 v1, 0x4f800000, v2
	v_rcp_f32_e32 v1, v1
	v_mul_f32_e32 v1, 0x5f7ffffc, v1
	v_mul_f32_e32 v2, 0x2f800000, v1
	v_trunc_f32_e32 v2, v2
	v_mac_f32_e32 v1, 0xcf800000, v2
	v_cvt_u32_f32_e32 v2, v2
	v_cvt_u32_f32_e32 v1, v1
	v_readfirstlane_b32 s13, v2
	v_readfirstlane_b32 s18, v1
	s_mul_i32 s19, s0, s13
	s_mul_hi_u32 s25, s0, s18
	s_mul_i32 s24, s1, s18
	s_add_i32 s19, s25, s19
	s_mul_i32 s26, s0, s18
	s_add_i32 s19, s19, s24
	s_mul_hi_u32 s24, s18, s19
	s_mul_i32 s25, s18, s19
	s_mul_hi_u32 s18, s18, s26
	s_add_u32 s18, s18, s25
	s_addc_u32 s24, 0, s24
	s_mul_hi_u32 s27, s13, s26
	s_mul_i32 s26, s13, s26
	s_add_u32 s18, s18, s26
	s_mul_hi_u32 s25, s13, s19
	s_addc_u32 s18, s24, s27
	s_addc_u32 s24, s25, 0
	s_mul_i32 s19, s13, s19
	s_add_u32 s18, s18, s19
	s_addc_u32 s19, 0, s24
	v_add_co_u32_e32 v1, vcc, s18, v1
	s_cmp_lg_u64 vcc, 0
	s_addc_u32 s13, s13, s19
	v_readfirstlane_b32 s19, v1
	s_mul_i32 s18, s0, s13
	s_mul_hi_u32 s24, s0, s19
	s_add_i32 s18, s24, s18
	s_mul_i32 s1, s1, s19
	s_add_i32 s18, s18, s1
	s_mul_i32 s0, s0, s19
	s_mul_hi_u32 s24, s13, s0
	s_mul_i32 s25, s13, s0
	s_mul_i32 s27, s19, s18
	s_mul_hi_u32 s0, s19, s0
	s_mul_hi_u32 s26, s19, s18
	s_add_u32 s0, s0, s27
	s_addc_u32 s19, 0, s26
	s_add_u32 s0, s0, s25
	s_mul_hi_u32 s1, s13, s18
	s_addc_u32 s0, s19, s24
	s_addc_u32 s1, s1, 0
	s_mul_i32 s18, s13, s18
	s_add_u32 s0, s0, s18
	s_addc_u32 s1, 0, s1
	v_add_co_u32_e32 v1, vcc, s0, v1
	s_cmp_lg_u64 vcc, 0
	s_addc_u32 s0, s13, s1
	v_readfirstlane_b32 s18, v1
	s_mul_i32 s13, s6, s0
	s_mul_hi_u32 s19, s6, s18
	s_mul_hi_u32 s1, s6, s0
	s_add_u32 s13, s19, s13
	s_addc_u32 s1, 0, s1
	s_mul_hi_u32 s24, s7, s18
	s_mul_i32 s18, s7, s18
	s_add_u32 s13, s13, s18
	s_mul_hi_u32 s19, s7, s0
	s_addc_u32 s1, s1, s24
	s_addc_u32 s13, s19, 0
	s_mul_i32 s0, s7, s0
	s_add_u32 s18, s1, s0
	s_addc_u32 s13, 0, s13
	s_mul_i32 s0, s22, s13
	s_mul_hi_u32 s1, s22, s18
	s_add_i32 s0, s1, s0
	s_mul_i32 s1, s23, s18
	s_add_i32 s19, s0, s1
	s_mul_i32 s1, s22, s18
	v_mov_b32_e32 v1, s1
	s_sub_i32 s0, s7, s19
	v_sub_co_u32_e32 v1, vcc, s6, v1
	s_cmp_lg_u64 vcc, 0
	s_subb_u32 s24, s0, s23
	v_subrev_co_u32_e64 v2, s[0:1], s22, v1
	s_cmp_lg_u64 s[0:1], 0
	s_subb_u32 s0, s24, 0
	s_cmp_ge_u32 s0, s23
	v_readfirstlane_b32 s24, v2
	s_cselect_b32 s1, -1, 0
	s_cmp_ge_u32 s24, s22
	s_cselect_b32 s24, -1, 0
	s_cmp_eq_u32 s0, s23
	s_cselect_b32 s0, s24, s1
	s_add_u32 s1, s18, 1
	s_addc_u32 s24, s13, 0
	s_add_u32 s25, s18, 2
	s_addc_u32 s26, s13, 0
	s_cmp_lg_u32 s0, 0
	s_cselect_b32 s0, s25, s1
	s_cselect_b32 s1, s26, s24
	s_cmp_lg_u64 vcc, 0
	s_subb_u32 s19, s7, s19
	s_cmp_ge_u32 s19, s23
	v_readfirstlane_b32 s25, v1
	s_cselect_b32 s24, -1, 0
	s_cmp_ge_u32 s25, s22
	s_cselect_b32 s25, -1, 0
	s_cmp_eq_u32 s19, s23
	s_cselect_b32 s19, s25, s24
	s_cmp_lg_u32 s19, 0
	s_cselect_b32 s19, s1, s13
	s_cselect_b32 s18, s0, s18
	s_cbranch_execnz .LBB255_14
.LBB255_13:                             ;   in Loop: Header=BB255_11 Depth=1
	v_cvt_f32_u32_e32 v1, s22
	s_sub_i32 s0, 0, s22
	s_mov_b32 s19, s12
	v_rcp_iflag_f32_e32 v1, v1
	v_mul_f32_e32 v1, 0x4f7ffffe, v1
	v_cvt_u32_f32_e32 v1, v1
	v_readfirstlane_b32 s1, v1
	s_mul_i32 s0, s0, s1
	s_mul_hi_u32 s0, s1, s0
	s_add_i32 s1, s1, s0
	s_mul_hi_u32 s0, s6, s1
	s_mul_i32 s13, s0, s22
	s_sub_i32 s13, s6, s13
	s_add_i32 s1, s0, 1
	s_sub_i32 s18, s13, s22
	s_cmp_ge_u32 s13, s22
	s_cselect_b32 s0, s1, s0
	s_cselect_b32 s13, s18, s13
	s_add_i32 s1, s0, 1
	s_cmp_ge_u32 s13, s22
	s_cselect_b32 s18, s1, s0
.LBB255_14:                             ;   in Loop: Header=BB255_11 Depth=1
	s_mul_i32 s0, s18, s23
	s_mul_hi_u32 s1, s18, s22
	s_add_i32 s13, s1, s0
	s_load_dwordx2 s[0:1], s[20:21], 0xc8
	s_mul_i32 s23, s19, s22
	s_add_i32 s13, s13, s23
	s_mul_i32 s22, s18, s22
	s_sub_u32 s6, s6, s22
	s_subb_u32 s7, s7, s13
	s_waitcnt lgkmcnt(0)
	s_mul_i32 s7, s0, s7
	s_mul_hi_u32 s13, s0, s6
	s_add_i32 s7, s13, s7
	s_mul_i32 s1, s1, s6
	s_add_i32 s7, s7, s1
	s_mul_i32 s0, s0, s6
	s_add_u32 s16, s0, s16
	s_addc_u32 s17, s7, s17
	s_add_i32 s15, s15, -1
	s_add_u32 s20, s20, -8
	s_addc_u32 s21, s21, -1
	s_cmp_gt_u32 s15, 2
	s_cbranch_scc0 .LBB255_18
; %bb.15:                               ;   in Loop: Header=BB255_11 Depth=1
	s_mov_b64 s[6:7], s[18:19]
	s_branch .LBB255_11
.LBB255_16:                             ;   in Loop: Header=BB255_11 Depth=1
                                        ; implicit-def: $sgpr18_sgpr19
	s_branch .LBB255_13
.LBB255_17:
	s_mov_b64 s[18:19], s[6:7]
.LBB255_18:
	s_mul_i32 s0, s10, s9
	s_load_dword s9, s[4:5], 0x360
	s_load_dwordx2 s[6:7], s[4:5], 0x0
	s_mul_hi_u32 s1, s10, s8
	s_add_i32 s0, s1, s0
	s_mul_i32 s1, s11, s8
	s_add_i32 s1, s0, s1
	s_waitcnt lgkmcnt(0)
	s_bitcmp1_b32 s9, 0
	s_cselect_b64 s[34:35], -1, 0
	s_mul_i32 s0, s10, s8
	s_mov_b32 s10, 0xffff
	s_and_b64 s[8:9], s[34:35], exec
	s_cselect_b32 s26, s10, 0x7fff
	s_lshl_b64 s[0:1], s[0:1], 1
	s_add_u32 s6, s6, s0
	s_addc_u32 s7, s7, s1
	s_lshl_b64 s[0:1], s[2:3], 1
	s_add_u32 s33, s6, s0
	v_and_b32_e32 v42, 0x3ff, v0
	s_addc_u32 s54, s7, s1
	v_cmp_gt_u32_e64 s[0:1], s14, v42
	v_mov_b32_e32 v2, s26
	s_and_saveexec_b64 s[2:3], s[0:1]
	s_cbranch_execz .LBB255_20
; %bb.19:
	v_mad_u64_u32 v[2:3], s[6:7], v42, s48, 0
	v_mov_b32_e32 v4, v3
	v_mad_u64_u32 v[4:5], s[6:7], v42, s49, v[4:5]
	v_mov_b32_e32 v3, v4
	v_lshlrev_b64 v[2:3], 1, v[2:3]
	v_mov_b32_e32 v1, s54
	v_add_co_u32_e32 v2, vcc, s33, v2
	v_addc_co_u32_e32 v3, vcc, v1, v3, vcc
	global_load_ushort v2, v[2:3], off
.LBB255_20:
	s_or_b64 exec, exec, s[2:3]
	v_add_u32_e32 v33, 0x200, v42
	v_cmp_gt_u32_e64 s[2:3], s14, v33
	v_mov_b32_e32 v3, s26
	s_and_saveexec_b64 s[6:7], s[2:3]
	s_cbranch_execz .LBB255_22
; %bb.21:
	v_mad_u64_u32 v[4:5], s[8:9], v33, s48, 0
	v_mov_b32_e32 v6, v5
	v_mad_u64_u32 v[6:7], s[8:9], v33, s49, v[6:7]
	v_mov_b32_e32 v5, v6
	v_lshlrev_b64 v[4:5], 1, v[4:5]
	v_mov_b32_e32 v1, s54
	v_add_co_u32_e32 v4, vcc, s33, v4
	v_addc_co_u32_e32 v5, vcc, v1, v5, vcc
	global_load_ushort v3, v[4:5], off
.LBB255_22:
	s_or_b64 exec, exec, s[6:7]
	v_or_b32_e32 v31, 0x400, v42
	v_cmp_gt_u32_e64 s[44:45], s14, v31
	v_mov_b32_e32 v4, s26
	s_and_saveexec_b64 s[6:7], s[44:45]
	s_cbranch_execz .LBB255_24
; %bb.23:
	v_mad_u64_u32 v[4:5], s[8:9], v31, s48, 0
	v_mov_b32_e32 v6, v5
	v_mad_u64_u32 v[6:7], s[8:9], v31, s49, v[6:7]
	v_mov_b32_e32 v5, v6
	v_lshlrev_b64 v[4:5], 1, v[4:5]
	v_mov_b32_e32 v1, s54
	v_add_co_u32_e32 v4, vcc, s33, v4
	v_addc_co_u32_e32 v5, vcc, v1, v5, vcc
	global_load_ushort v4, v[4:5], off
.LBB255_24:
	s_or_b64 exec, exec, s[6:7]
	v_add_u32_e32 v28, 0x600, v42
	v_cmp_gt_u32_e64 s[6:7], s14, v28
	v_mov_b32_e32 v5, s26
	s_and_saveexec_b64 s[8:9], s[6:7]
	s_cbranch_execz .LBB255_26
; %bb.25:
	v_mad_u64_u32 v[6:7], s[10:11], v28, s48, 0
	v_mov_b32_e32 v8, v7
	v_mad_u64_u32 v[8:9], s[10:11], v28, s49, v[8:9]
	v_mov_b32_e32 v7, v8
	v_lshlrev_b64 v[6:7], 1, v[6:7]
	v_mov_b32_e32 v1, s54
	v_add_co_u32_e32 v6, vcc, s33, v6
	v_addc_co_u32_e32 v7, vcc, v1, v7, vcc
	global_load_ushort v5, v[6:7], off
.LBB255_26:
	s_or_b64 exec, exec, s[8:9]
	v_or_b32_e32 v25, 0x800, v42
	v_cmp_gt_u32_e64 s[8:9], s14, v25
	v_mov_b32_e32 v6, s26
	s_and_saveexec_b64 s[10:11], s[8:9]
	s_cbranch_execz .LBB255_28
; %bb.27:
	v_mad_u64_u32 v[6:7], s[12:13], v25, s48, 0
	v_mov_b32_e32 v8, v7
	v_mad_u64_u32 v[8:9], s[12:13], v25, s49, v[8:9]
	v_mov_b32_e32 v7, v8
	v_lshlrev_b64 v[6:7], 1, v[6:7]
	v_mov_b32_e32 v1, s54
	v_add_co_u32_e32 v6, vcc, s33, v6
	v_addc_co_u32_e32 v7, vcc, v1, v7, vcc
	global_load_ushort v6, v[6:7], off
.LBB255_28:
	s_or_b64 exec, exec, s[10:11]
	v_add_u32_e32 v23, 0xa00, v42
	v_cmp_gt_u32_e64 s[10:11], s14, v23
	v_mov_b32_e32 v7, s26
	s_and_saveexec_b64 s[12:13], s[10:11]
	s_cbranch_execz .LBB255_30
; %bb.29:
	v_mad_u64_u32 v[8:9], s[20:21], v23, s48, 0
	v_mov_b32_e32 v10, v9
	v_mad_u64_u32 v[10:11], s[20:21], v23, s49, v[10:11]
	v_mov_b32_e32 v9, v10
	v_lshlrev_b64 v[8:9], 1, v[8:9]
	v_mov_b32_e32 v1, s54
	v_add_co_u32_e32 v8, vcc, s33, v8
	v_addc_co_u32_e32 v9, vcc, v1, v9, vcc
	global_load_ushort v7, v[8:9], off
.LBB255_30:
	s_or_b64 exec, exec, s[12:13]
	s_load_dwordx2 s[22:23], s[4:5], 0x288
	s_load_dwordx2 s[20:21], s[4:5], 0x1b8
	v_or_b32_e32 v22, 0xc00, v42
	v_cmp_gt_u32_e64 s[12:13], s14, v22
	v_mov_b32_e32 v8, s26
	s_and_saveexec_b64 s[24:25], s[12:13]
	s_cbranch_execz .LBB255_32
; %bb.31:
	v_mad_u64_u32 v[8:9], s[28:29], v22, s48, 0
	v_mov_b32_e32 v10, v9
	v_mad_u64_u32 v[10:11], s[28:29], v22, s49, v[10:11]
	v_mov_b32_e32 v9, v10
	v_lshlrev_b64 v[8:9], 1, v[8:9]
	v_mov_b32_e32 v1, s54
	v_add_co_u32_e32 v8, vcc, s33, v8
	v_addc_co_u32_e32 v9, vcc, v1, v9, vcc
	global_load_ushort v8, v[8:9], off
.LBB255_32:
	s_or_b64 exec, exec, s[24:25]
	v_add_u32_e32 v1, 0xe00, v42
	v_cmp_gt_u32_e64 s[14:15], s14, v1
	v_mov_b32_e32 v9, s26
	s_and_saveexec_b64 s[24:25], s[14:15]
	s_cbranch_execz .LBB255_34
; %bb.33:
	v_mad_u64_u32 v[10:11], s[26:27], v1, s48, 0
	v_mov_b32_e32 v12, v11
	v_mad_u64_u32 v[12:13], s[26:27], v1, s49, v[12:13]
	v_mov_b32_e32 v11, v12
	v_lshlrev_b64 v[10:11], 1, v[10:11]
	v_mov_b32_e32 v9, s54
	v_add_co_u32_e32 v10, vcc, s33, v10
	v_addc_co_u32_e32 v11, vcc, v9, v11, vcc
	global_load_ushort v9, v[10:11], off
.LBB255_34:
	s_or_b64 exec, exec, s[24:25]
	v_lshrrev_b32_e32 v36, 5, v42
	v_and_b32_e32 v10, 30, v36
	v_add_lshl_u32 v43, v10, v42, 1
	v_lshrrev_b32_e32 v35, 5, v33
	s_waitcnt vmcnt(0)
	ds_write_b16 v43, v2
	v_and_b32_e32 v2, 62, v35
	v_lshrrev_b32_e32 v34, 5, v31
	v_add_lshl_u32 v44, v2, v42, 1
	v_and_b32_e32 v2, 62, v34
	v_lshrrev_b32_e32 v32, 5, v28
	v_add_lshl_u32 v45, v2, v42, 1
	;; [unrolled: 3-line block ×3, first 2 shown]
	v_and_b32_e32 v2, 0x5e, v30
	v_lshrrev_b32_e32 v29, 5, v23
	s_waitcnt lgkmcnt(0)
	s_mul_i32 s19, s22, s19
	s_mul_hi_u32 s24, s22, s18
	v_add_lshl_u32 v47, v2, v42, 1
	v_and_b32_e32 v2, 0x7e, v29
	v_lshrrev_b32_e32 v26, 5, v22
	s_add_i32 s19, s24, s19
	s_mul_i32 s23, s23, s18
	v_add_lshl_u32 v48, v2, v42, 1
	v_and_b32_e32 v2, 0x7e, v26
	v_lshrrev_b32_e32 v24, 5, v1
	s_add_i32 s19, s19, s23
	s_mul_i32 s18, s22, s18
	v_add_lshl_u32 v49, v2, v42, 1
	v_and_b32_e32 v2, 0xfe, v24
	v_lshrrev_b32_e32 v27, 2, v42
	s_lshl_b64 s[18:19], s[18:19], 3
	v_add_lshl_u32 v50, v2, v42, 1
	v_lshlrev_b32_e32 v60, 3, v42
	v_and_b32_e32 v2, 0xfe, v27
	s_add_u32 s18, s20, s18
	v_add_lshl_u32 v51, v2, v60, 1
	s_addc_u32 s19, s21, s19
	s_lshl_b64 s[16:17], s[16:17], 3
	s_load_dwordx2 s[50:51], s[4:5], 0x358
	ds_write_b16 v44, v3 offset:1024
	ds_write_b16 v45, v4 offset:2048
	;; [unrolled: 1-line block ×7, first 2 shown]
	s_waitcnt lgkmcnt(0)
	s_barrier
	ds_read_b128 v[18:21], v51
	s_add_u32 s55, s18, s16
	s_mov_b32 s16, 0
	s_addc_u32 s56, s19, s17
	s_mov_b32 s17, s16
	s_mov_b32 s18, s16
	;; [unrolled: 1-line block ×15, first 2 shown]
	v_pk_mov_b32 v[2:3], s[16:17], s[16:17] op_sel:[0,1]
	v_pk_mov_b32 v[4:5], s[18:19], s[18:19] op_sel:[0,1]
	;; [unrolled: 1-line block ×8, first 2 shown]
	v_pk_mov_b32 v[2:3], 0, 0
	s_waitcnt lgkmcnt(0)
	s_barrier
	s_and_saveexec_b64 s[4:5], s[0:1]
	s_cbranch_execnz .LBB255_89
; %bb.35:
	s_or_b64 exec, exec, s[4:5]
	s_and_saveexec_b64 s[4:5], s[2:3]
	s_cbranch_execnz .LBB255_90
.LBB255_36:
	s_or_b64 exec, exec, s[4:5]
	s_and_saveexec_b64 s[4:5], s[44:45]
	s_cbranch_execnz .LBB255_91
.LBB255_37:
	s_or_b64 exec, exec, s[4:5]
	s_and_saveexec_b64 s[4:5], s[6:7]
	s_cbranch_execnz .LBB255_92
.LBB255_38:
	s_or_b64 exec, exec, s[4:5]
	s_and_saveexec_b64 s[4:5], s[8:9]
	s_cbranch_execnz .LBB255_93
.LBB255_39:
	s_or_b64 exec, exec, s[4:5]
	s_and_saveexec_b64 s[4:5], s[10:11]
	s_cbranch_execnz .LBB255_94
.LBB255_40:
	s_or_b64 exec, exec, s[4:5]
	s_and_saveexec_b64 s[4:5], s[12:13]
	s_cbranch_execnz .LBB255_95
.LBB255_41:
	s_or_b64 exec, exec, s[4:5]
	s_xor_b64 s[4:5], s[34:35], -1
	s_and_saveexec_b64 s[16:17], s[14:15]
	s_cbranch_execz .LBB255_43
.LBB255_42:
	v_mad_u64_u32 v[16:17], s[18:19], v1, s50, 0
	v_mov_b32_e32 v22, v17
	v_mad_u64_u32 v[22:23], s[18:19], v1, s51, v[22:23]
	v_mov_b32_e32 v17, v22
	v_lshlrev_b64 v[16:17], 3, v[16:17]
	v_mov_b32_e32 v1, s56
	v_add_co_u32_e32 v16, vcc, s55, v16
	v_addc_co_u32_e32 v17, vcc, v1, v17, vcc
	global_load_dwordx2 v[16:17], v[16:17], off
.LBB255_43:
	s_or_b64 exec, exec, s[16:17]
	v_add_lshl_u32 v52, v36, v42, 3
	v_add_lshl_u32 v53, v35, v42, 3
	;; [unrolled: 1-line block ×9, first 2 shown]
	s_waitcnt vmcnt(0)
	ds_write_b64 v52, v[2:3]
	ds_write_b64 v53, v[4:5] offset:4096
	ds_write_b64 v54, v[6:7] offset:8192
	;; [unrolled: 1-line block ×7, first 2 shown]
	s_waitcnt lgkmcnt(0)
	s_barrier
	ds_read2_b64 v[14:17], v61 offset1:1
	ds_read2_b64 v[10:13], v61 offset0:2 offset1:3
	ds_read2_b64 v[6:9], v61 offset0:4 offset1:5
	;; [unrolled: 1-line block ×3, first 2 shown]
	s_and_b64 vcc, exec, s[4:5]
	v_bfe_u32 v63, v0, 10, 10
	v_bfe_u32 v64, v0, 20, 10
	v_mbcnt_lo_u32_b32 v65, -1, 0
	v_lshlrev_b32_e32 v62, 4, v42
	s_waitcnt lgkmcnt(0)
	s_barrier
	s_cbranch_vccz .LBB255_96
; %bb.44:
	s_movk_i32 s4, 0x8000
	v_pk_ashrrev_i16 v24, 15, v18 op_sel_hi:[0,1]
	v_or_b32_e32 v25, 0xffff8000, v24
	v_or_b32_sdwa v24, v24, s4 dst_sel:DWORD dst_unused:UNUSED_PAD src0_sel:WORD_1 src1_sel:DWORD
	v_pk_ashrrev_i16 v22, 15, v19 op_sel_hi:[0,1]
	v_xor_b32_sdwa v26, v24, v18 dst_sel:DWORD dst_unused:UNUSED_PAD src0_sel:DWORD src1_sel:WORD_1
	v_pk_ashrrev_i16 v24, 15, v21 op_sel_hi:[0,1]
	v_pk_ashrrev_i16 v28, 15, v20 op_sel_hi:[0,1]
	v_mbcnt_hi_u32_b32 v74, -1, v65
	v_and_b32_e32 v40, 0x3c0, v42
	v_or_b32_e32 v23, 0xffff8000, v22
	v_or_b32_sdwa v22, v22, s4 dst_sel:DWORD dst_unused:UNUSED_PAD src0_sel:WORD_1 src1_sel:DWORD
	v_xor_b32_e32 v27, v25, v18
	v_or_b32_e32 v25, 0xffff8000, v24
	v_or_b32_e32 v29, 0xffff8000, v28
	v_or_b32_sdwa v24, v24, s4 dst_sel:DWORD dst_unused:UNUSED_PAD src0_sel:WORD_1 src1_sel:DWORD
	v_or_b32_sdwa v28, v28, s4 dst_sel:DWORD dst_unused:UNUSED_PAD src0_sel:WORD_1 src1_sel:DWORD
	v_add_u32_e32 v0, v74, v40
	v_xor_b32_sdwa v22, v22, v19 dst_sel:DWORD dst_unused:UNUSED_PAD src0_sel:DWORD src1_sel:WORD_1
	v_xor_b32_e32 v23, v23, v19
	v_xor_b32_sdwa v28, v28, v20 dst_sel:DWORD dst_unused:UNUSED_PAD src0_sel:DWORD src1_sel:WORD_1
	v_xor_b32_sdwa v24, v24, v21 dst_sel:DWORD dst_unused:UNUSED_PAD src0_sel:DWORD src1_sel:WORD_1
	v_xor_b32_e32 v29, v29, v20
	v_xor_b32_e32 v25, v25, v21
	s_mov_b32 s4, 0x5040100
	v_lshlrev_b32_e32 v1, 4, v0
	v_perm_b32 v25, v24, v25, s4
	v_perm_b32 v24, v28, v29, s4
	;; [unrolled: 1-line block ×4, first 2 shown]
	v_and_b32_e32 v80, 0x1e00, v60
	ds_write_b128 v1, v[22:25]
	v_or_b32_e32 v1, v74, v80
	v_lshlrev_b32_e32 v22, 1, v1
	v_lshlrev_b32_e32 v0, 6, v0
	; wave barrier
	ds_read_u16 v77, v22
	ds_read_u16 v76, v22 offset:128
	ds_read_u16 v75, v22 offset:256
	;; [unrolled: 1-line block ×7, first 2 shown]
	s_waitcnt lgkmcnt(0)
	s_barrier
	ds_write2_b64 v0, v[14:15], v[16:17] offset1:1
	ds_write2_b64 v0, v[10:11], v[12:13] offset0:2 offset1:3
	ds_write2_b64 v0, v[6:7], v[8:9] offset0:4 offset1:5
	;; [unrolled: 1-line block ×3, first 2 shown]
	v_lshlrev_b32_e32 v0, 3, v1
	; wave barrier
	ds_read2st64_b64 v[34:37], v0 offset1:1
	ds_read2st64_b64 v[30:33], v0 offset0:2 offset1:3
	ds_read2st64_b64 v[26:29], v0 offset0:4 offset1:5
	;; [unrolled: 1-line block ×3, first 2 shown]
	s_waitcnt lgkmcnt(0)
	s_barrier
	s_load_dword s16, s[52:53], 0xc
	s_getpc_b64 s[4:5]
	s_add_u32 s4, s4, _ZN7rocprim17ROCPRIM_400000_NS16block_radix_sortI12hip_bfloat16Lj512ELj8ElLj1ELj1ELj0ELNS0_26block_radix_rank_algorithmE1ELNS0_18block_padding_hintE2ELNS0_4arch9wavefront6targetE1EE19radix_bits_per_passE@rel32@lo+4
	s_addc_u32 s5, s5, _ZN7rocprim17ROCPRIM_400000_NS16block_radix_sortI12hip_bfloat16Lj512ELj8ElLj1ELj1ELj0ELNS0_26block_radix_rank_algorithmE1ELNS0_18block_padding_hintE2ELNS0_4arch9wavefront6targetE1EE19radix_bits_per_passE@rel32@hi+12
	s_load_dword s46, s[4:5], 0x0
	s_movk_i32 s17, 0x7fff
	v_mov_b32_e32 v41, 0xffff8000
	s_waitcnt lgkmcnt(0)
	s_lshr_b32 s4, s16, 16
	s_and_b32 s5, s16, 0xffff
	v_mad_u32_u24 v1, v64, s4, v63
	v_mad_u64_u32 v[38:39], s[4:5], v1, s5, v[42:43]
	s_min_u32 s4, s46, 16
	s_lshl_b32 s4, -1, s4
	v_cmp_ne_u16_e32 vcc, s17, v77
	s_not_b32 s16, s4
	v_cndmask_b32_e32 v1, v41, v77, vcc
	v_lshrrev_b32_e32 v66, 6, v38
	v_and_b32_sdwa v38, s16, v1 dst_sel:DWORD dst_unused:UNUSED_PAD src0_sel:DWORD src1_sel:WORD_0
	v_lshlrev_b32_e32 v1, 3, v38
	v_add_lshl_u32 v81, v66, v1, 2
	v_and_b32_e32 v1, 1, v38
	v_add_co_u32_e32 v39, vcc, -1, v1
	v_addc_co_u32_e64 v67, s[4:5], 0, -1, vcc
	v_cmp_ne_u32_e32 vcc, 0, v1
	v_xor_b32_e32 v1, vcc_hi, v67
	v_mov_b32_e32 v0, 0
	v_and_b32_e32 v67, exec_hi, v1
	v_lshlrev_b32_e32 v1, 30, v38
	v_xor_b32_e32 v39, vcc_lo, v39
	v_cmp_gt_i64_e32 vcc, 0, v[0:1]
	v_not_b32_e32 v1, v1
	v_ashrrev_i32_e32 v1, 31, v1
	v_and_b32_e32 v39, exec_lo, v39
	v_xor_b32_e32 v68, vcc_hi, v1
	v_xor_b32_e32 v1, vcc_lo, v1
	v_and_b32_e32 v39, v39, v1
	v_lshlrev_b32_e32 v1, 29, v38
	v_cmp_gt_i64_e32 vcc, 0, v[0:1]
	v_not_b32_e32 v1, v1
	v_ashrrev_i32_e32 v1, 31, v1
	v_and_b32_e32 v67, v67, v68
	v_xor_b32_e32 v68, vcc_hi, v1
	v_xor_b32_e32 v1, vcc_lo, v1
	v_and_b32_e32 v39, v39, v1
	v_lshlrev_b32_e32 v1, 28, v38
	v_cmp_gt_i64_e32 vcc, 0, v[0:1]
	v_not_b32_e32 v1, v1
	v_ashrrev_i32_e32 v1, 31, v1
	v_and_b32_e32 v67, v67, v68
	;; [unrolled: 8-line block ×5, first 2 shown]
	v_xor_b32_e32 v68, vcc_hi, v1
	v_xor_b32_e32 v1, vcc_lo, v1
	v_and_b32_e32 v67, v67, v68
	v_and_b32_e32 v68, v39, v1
	v_lshlrev_b32_e32 v1, 24, v38
	v_cmp_gt_i64_e32 vcc, 0, v[0:1]
	v_not_b32_e32 v1, v1
	v_ashrrev_i32_e32 v1, 31, v1
	v_xor_b32_e32 v38, vcc_hi, v1
	v_xor_b32_e32 v1, vcc_lo, v1
	v_and_b32_e32 v39, v67, v38
	v_and_b32_e32 v38, v68, v1
	v_mbcnt_lo_u32_b32 v1, v38, 0
	v_mbcnt_hi_u32_b32 v82, v39, v1
	v_cmp_eq_u32_e32 vcc, 0, v82
	v_cmp_ne_u64_e64 s[4:5], 0, v[38:39]
	s_and_b64 s[18:19], s[4:5], vcc
	ds_write2_b32 v62, v0, v0 offset0:8 offset1:9
	ds_write2_b32 v62, v0, v0 offset0:10 offset1:11
	s_waitcnt lgkmcnt(0)
	s_barrier
	s_waitcnt lgkmcnt(0)
	; wave barrier
	s_and_saveexec_b64 s[4:5], s[18:19]
	s_cbranch_execz .LBB255_46
; %bb.45:
	v_bcnt_u32_b32 v1, v38, 0
	v_bcnt_u32_b32 v1, v39, v1
	ds_write_b32 v81, v1 offset:32
.LBB255_46:
	s_or_b64 exec, exec, s[4:5]
	v_cmp_ne_u16_e32 vcc, s17, v76
	v_cndmask_b32_e32 v1, v41, v76, vcc
	v_and_b32_sdwa v38, s16, v1 dst_sel:DWORD dst_unused:UNUSED_PAD src0_sel:DWORD src1_sel:WORD_0
	v_lshlrev_b32_e32 v1, 3, v38
	v_add_lshl_u32 v84, v66, v1, 2
	v_and_b32_e32 v1, 1, v38
	v_add_co_u32_e32 v39, vcc, -1, v1
	v_addc_co_u32_e64 v41, s[4:5], 0, -1, vcc
	v_cmp_ne_u32_e32 vcc, 0, v1
	v_xor_b32_e32 v1, vcc_hi, v41
	v_and_b32_e32 v41, exec_hi, v1
	v_lshlrev_b32_e32 v1, 30, v38
	v_xor_b32_e32 v39, vcc_lo, v39
	v_cmp_gt_i64_e32 vcc, 0, v[0:1]
	v_not_b32_e32 v1, v1
	v_ashrrev_i32_e32 v1, 31, v1
	v_and_b32_e32 v39, exec_lo, v39
	v_xor_b32_e32 v67, vcc_hi, v1
	v_xor_b32_e32 v1, vcc_lo, v1
	v_and_b32_e32 v39, v39, v1
	v_lshlrev_b32_e32 v1, 29, v38
	v_cmp_gt_i64_e32 vcc, 0, v[0:1]
	v_not_b32_e32 v1, v1
	v_ashrrev_i32_e32 v1, 31, v1
	v_and_b32_e32 v41, v41, v67
	v_xor_b32_e32 v67, vcc_hi, v1
	v_xor_b32_e32 v1, vcc_lo, v1
	v_and_b32_e32 v39, v39, v1
	v_lshlrev_b32_e32 v1, 28, v38
	v_cmp_gt_i64_e32 vcc, 0, v[0:1]
	v_not_b32_e32 v1, v1
	v_ashrrev_i32_e32 v1, 31, v1
	v_and_b32_e32 v41, v41, v67
	;; [unrolled: 8-line block ×5, first 2 shown]
	v_xor_b32_e32 v67, vcc_hi, v1
	v_xor_b32_e32 v1, vcc_lo, v1
	v_and_b32_e32 v39, v39, v1
	v_lshlrev_b32_e32 v1, 24, v38
	v_cmp_gt_i64_e32 vcc, 0, v[0:1]
	v_not_b32_e32 v0, v1
	v_ashrrev_i32_e32 v0, 31, v0
	v_xor_b32_e32 v1, vcc_hi, v0
	v_xor_b32_e32 v0, vcc_lo, v0
	; wave barrier
	ds_read_b32 v83, v84 offset:32
	v_and_b32_e32 v41, v41, v67
	v_and_b32_e32 v0, v39, v0
	;; [unrolled: 1-line block ×3, first 2 shown]
	v_mbcnt_lo_u32_b32 v38, v0, 0
	v_mbcnt_hi_u32_b32 v85, v1, v38
	v_cmp_eq_u32_e32 vcc, 0, v85
	v_cmp_ne_u64_e64 s[4:5], 0, v[0:1]
	s_and_b64 s[18:19], s[4:5], vcc
	; wave barrier
	s_and_saveexec_b64 s[4:5], s[18:19]
	s_cbranch_execz .LBB255_48
; %bb.47:
	v_bcnt_u32_b32 v0, v0, 0
	v_bcnt_u32_b32 v0, v1, v0
	s_waitcnt lgkmcnt(0)
	v_add_u32_e32 v0, v83, v0
	ds_write_b32 v84, v0 offset:32
.LBB255_48:
	s_or_b64 exec, exec, s[4:5]
	v_mov_b32_e32 v41, 0xffff8000
	v_cmp_ne_u16_e32 vcc, s17, v75
	v_cndmask_b32_e32 v0, v41, v75, vcc
	v_and_b32_sdwa v38, s16, v0 dst_sel:DWORD dst_unused:UNUSED_PAD src0_sel:DWORD src1_sel:WORD_0
	v_and_b32_e32 v1, 1, v38
	v_add_co_u32_e32 v39, vcc, -1, v1
	v_addc_co_u32_e64 v67, s[4:5], 0, -1, vcc
	v_cmp_ne_u32_e32 vcc, 0, v1
	v_lshlrev_b32_e32 v0, 3, v38
	v_xor_b32_e32 v1, vcc_hi, v67
	v_add_lshl_u32 v87, v66, v0, 2
	v_mov_b32_e32 v0, 0
	v_and_b32_e32 v67, exec_hi, v1
	v_lshlrev_b32_e32 v1, 30, v38
	v_xor_b32_e32 v39, vcc_lo, v39
	v_cmp_gt_i64_e32 vcc, 0, v[0:1]
	v_not_b32_e32 v1, v1
	v_ashrrev_i32_e32 v1, 31, v1
	v_and_b32_e32 v39, exec_lo, v39
	v_xor_b32_e32 v68, vcc_hi, v1
	v_xor_b32_e32 v1, vcc_lo, v1
	v_and_b32_e32 v39, v39, v1
	v_lshlrev_b32_e32 v1, 29, v38
	v_cmp_gt_i64_e32 vcc, 0, v[0:1]
	v_not_b32_e32 v1, v1
	v_ashrrev_i32_e32 v1, 31, v1
	v_and_b32_e32 v67, v67, v68
	v_xor_b32_e32 v68, vcc_hi, v1
	v_xor_b32_e32 v1, vcc_lo, v1
	v_and_b32_e32 v39, v39, v1
	v_lshlrev_b32_e32 v1, 28, v38
	v_cmp_gt_i64_e32 vcc, 0, v[0:1]
	v_not_b32_e32 v1, v1
	v_ashrrev_i32_e32 v1, 31, v1
	v_and_b32_e32 v67, v67, v68
	;; [unrolled: 8-line block ×5, first 2 shown]
	v_xor_b32_e32 v68, vcc_hi, v1
	v_xor_b32_e32 v1, vcc_lo, v1
	v_and_b32_e32 v67, v67, v68
	v_and_b32_e32 v68, v39, v1
	v_lshlrev_b32_e32 v1, 24, v38
	v_cmp_gt_i64_e32 vcc, 0, v[0:1]
	v_not_b32_e32 v1, v1
	v_ashrrev_i32_e32 v1, 31, v1
	v_xor_b32_e32 v38, vcc_hi, v1
	v_xor_b32_e32 v1, vcc_lo, v1
	; wave barrier
	ds_read_b32 v86, v87 offset:32
	v_and_b32_e32 v39, v67, v38
	v_and_b32_e32 v38, v68, v1
	v_mbcnt_lo_u32_b32 v1, v38, 0
	v_mbcnt_hi_u32_b32 v88, v39, v1
	v_cmp_eq_u32_e32 vcc, 0, v88
	v_cmp_ne_u64_e64 s[4:5], 0, v[38:39]
	s_and_b64 s[18:19], s[4:5], vcc
	; wave barrier
	s_and_saveexec_b64 s[4:5], s[18:19]
	s_cbranch_execz .LBB255_50
; %bb.49:
	v_bcnt_u32_b32 v1, v38, 0
	v_bcnt_u32_b32 v1, v39, v1
	s_waitcnt lgkmcnt(0)
	v_add_u32_e32 v1, v86, v1
	ds_write_b32 v87, v1 offset:32
.LBB255_50:
	s_or_b64 exec, exec, s[4:5]
	v_cmp_ne_u16_e32 vcc, s17, v73
	v_cndmask_b32_e32 v1, v41, v73, vcc
	v_and_b32_sdwa v38, s16, v1 dst_sel:DWORD dst_unused:UNUSED_PAD src0_sel:DWORD src1_sel:WORD_0
	v_lshlrev_b32_e32 v1, 3, v38
	v_add_lshl_u32 v90, v66, v1, 2
	v_and_b32_e32 v1, 1, v38
	v_add_co_u32_e32 v39, vcc, -1, v1
	v_addc_co_u32_e64 v41, s[4:5], 0, -1, vcc
	v_cmp_ne_u32_e32 vcc, 0, v1
	v_xor_b32_e32 v1, vcc_hi, v41
	v_and_b32_e32 v41, exec_hi, v1
	v_lshlrev_b32_e32 v1, 30, v38
	v_xor_b32_e32 v39, vcc_lo, v39
	v_cmp_gt_i64_e32 vcc, 0, v[0:1]
	v_not_b32_e32 v1, v1
	v_ashrrev_i32_e32 v1, 31, v1
	v_and_b32_e32 v39, exec_lo, v39
	v_xor_b32_e32 v67, vcc_hi, v1
	v_xor_b32_e32 v1, vcc_lo, v1
	v_and_b32_e32 v39, v39, v1
	v_lshlrev_b32_e32 v1, 29, v38
	v_cmp_gt_i64_e32 vcc, 0, v[0:1]
	v_not_b32_e32 v1, v1
	v_ashrrev_i32_e32 v1, 31, v1
	v_and_b32_e32 v41, v41, v67
	v_xor_b32_e32 v67, vcc_hi, v1
	v_xor_b32_e32 v1, vcc_lo, v1
	v_and_b32_e32 v39, v39, v1
	v_lshlrev_b32_e32 v1, 28, v38
	v_cmp_gt_i64_e32 vcc, 0, v[0:1]
	v_not_b32_e32 v1, v1
	v_ashrrev_i32_e32 v1, 31, v1
	v_and_b32_e32 v41, v41, v67
	;; [unrolled: 8-line block ×5, first 2 shown]
	v_xor_b32_e32 v67, vcc_hi, v1
	v_xor_b32_e32 v1, vcc_lo, v1
	v_and_b32_e32 v39, v39, v1
	v_lshlrev_b32_e32 v1, 24, v38
	v_cmp_gt_i64_e32 vcc, 0, v[0:1]
	v_not_b32_e32 v0, v1
	v_ashrrev_i32_e32 v0, 31, v0
	v_xor_b32_e32 v1, vcc_hi, v0
	v_xor_b32_e32 v0, vcc_lo, v0
	; wave barrier
	ds_read_b32 v89, v90 offset:32
	v_and_b32_e32 v41, v41, v67
	v_and_b32_e32 v0, v39, v0
	v_and_b32_e32 v1, v41, v1
	v_mbcnt_lo_u32_b32 v38, v0, 0
	v_mbcnt_hi_u32_b32 v91, v1, v38
	v_cmp_eq_u32_e32 vcc, 0, v91
	v_cmp_ne_u64_e64 s[4:5], 0, v[0:1]
	s_and_b64 s[18:19], s[4:5], vcc
	; wave barrier
	s_and_saveexec_b64 s[4:5], s[18:19]
	s_cbranch_execz .LBB255_52
; %bb.51:
	v_bcnt_u32_b32 v0, v0, 0
	v_bcnt_u32_b32 v0, v1, v0
	s_waitcnt lgkmcnt(0)
	v_add_u32_e32 v0, v89, v0
	ds_write_b32 v90, v0 offset:32
.LBB255_52:
	s_or_b64 exec, exec, s[4:5]
	v_mov_b32_e32 v41, 0xffff8000
	v_cmp_ne_u16_e32 vcc, s17, v72
	v_cndmask_b32_e32 v0, v41, v72, vcc
	v_and_b32_sdwa v38, s16, v0 dst_sel:DWORD dst_unused:UNUSED_PAD src0_sel:DWORD src1_sel:WORD_0
	v_and_b32_e32 v1, 1, v38
	v_add_co_u32_e32 v39, vcc, -1, v1
	v_addc_co_u32_e64 v67, s[4:5], 0, -1, vcc
	v_cmp_ne_u32_e32 vcc, 0, v1
	v_lshlrev_b32_e32 v0, 3, v38
	v_xor_b32_e32 v1, vcc_hi, v67
	v_add_lshl_u32 v93, v66, v0, 2
	v_mov_b32_e32 v0, 0
	v_and_b32_e32 v67, exec_hi, v1
	v_lshlrev_b32_e32 v1, 30, v38
	v_xor_b32_e32 v39, vcc_lo, v39
	v_cmp_gt_i64_e32 vcc, 0, v[0:1]
	v_not_b32_e32 v1, v1
	v_ashrrev_i32_e32 v1, 31, v1
	v_and_b32_e32 v39, exec_lo, v39
	v_xor_b32_e32 v68, vcc_hi, v1
	v_xor_b32_e32 v1, vcc_lo, v1
	v_and_b32_e32 v39, v39, v1
	v_lshlrev_b32_e32 v1, 29, v38
	v_cmp_gt_i64_e32 vcc, 0, v[0:1]
	v_not_b32_e32 v1, v1
	v_ashrrev_i32_e32 v1, 31, v1
	v_and_b32_e32 v67, v67, v68
	v_xor_b32_e32 v68, vcc_hi, v1
	v_xor_b32_e32 v1, vcc_lo, v1
	v_and_b32_e32 v39, v39, v1
	v_lshlrev_b32_e32 v1, 28, v38
	v_cmp_gt_i64_e32 vcc, 0, v[0:1]
	v_not_b32_e32 v1, v1
	v_ashrrev_i32_e32 v1, 31, v1
	v_and_b32_e32 v67, v67, v68
	;; [unrolled: 8-line block ×5, first 2 shown]
	v_xor_b32_e32 v68, vcc_hi, v1
	v_xor_b32_e32 v1, vcc_lo, v1
	v_and_b32_e32 v67, v67, v68
	v_and_b32_e32 v68, v39, v1
	v_lshlrev_b32_e32 v1, 24, v38
	v_cmp_gt_i64_e32 vcc, 0, v[0:1]
	v_not_b32_e32 v1, v1
	v_ashrrev_i32_e32 v1, 31, v1
	v_xor_b32_e32 v38, vcc_hi, v1
	v_xor_b32_e32 v1, vcc_lo, v1
	; wave barrier
	ds_read_b32 v92, v93 offset:32
	v_and_b32_e32 v39, v67, v38
	v_and_b32_e32 v38, v68, v1
	v_mbcnt_lo_u32_b32 v1, v38, 0
	v_mbcnt_hi_u32_b32 v94, v39, v1
	v_cmp_eq_u32_e32 vcc, 0, v94
	v_cmp_ne_u64_e64 s[4:5], 0, v[38:39]
	s_and_b64 s[18:19], s[4:5], vcc
	; wave barrier
	s_and_saveexec_b64 s[4:5], s[18:19]
	s_cbranch_execz .LBB255_54
; %bb.53:
	v_bcnt_u32_b32 v1, v38, 0
	v_bcnt_u32_b32 v1, v39, v1
	s_waitcnt lgkmcnt(0)
	v_add_u32_e32 v1, v92, v1
	ds_write_b32 v93, v1 offset:32
.LBB255_54:
	s_or_b64 exec, exec, s[4:5]
	v_cmp_ne_u16_e32 vcc, s17, v71
	v_cndmask_b32_e32 v1, v41, v71, vcc
	v_and_b32_sdwa v38, s16, v1 dst_sel:DWORD dst_unused:UNUSED_PAD src0_sel:DWORD src1_sel:WORD_0
	v_lshlrev_b32_e32 v1, 3, v38
	v_add_lshl_u32 v96, v66, v1, 2
	v_and_b32_e32 v1, 1, v38
	v_add_co_u32_e32 v39, vcc, -1, v1
	v_addc_co_u32_e64 v41, s[4:5], 0, -1, vcc
	v_cmp_ne_u32_e32 vcc, 0, v1
	v_xor_b32_e32 v1, vcc_hi, v41
	v_and_b32_e32 v41, exec_hi, v1
	v_lshlrev_b32_e32 v1, 30, v38
	v_xor_b32_e32 v39, vcc_lo, v39
	v_cmp_gt_i64_e32 vcc, 0, v[0:1]
	v_not_b32_e32 v1, v1
	v_ashrrev_i32_e32 v1, 31, v1
	v_and_b32_e32 v39, exec_lo, v39
	v_xor_b32_e32 v67, vcc_hi, v1
	v_xor_b32_e32 v1, vcc_lo, v1
	v_and_b32_e32 v39, v39, v1
	v_lshlrev_b32_e32 v1, 29, v38
	v_cmp_gt_i64_e32 vcc, 0, v[0:1]
	v_not_b32_e32 v1, v1
	v_ashrrev_i32_e32 v1, 31, v1
	v_and_b32_e32 v41, v41, v67
	v_xor_b32_e32 v67, vcc_hi, v1
	v_xor_b32_e32 v1, vcc_lo, v1
	v_and_b32_e32 v39, v39, v1
	v_lshlrev_b32_e32 v1, 28, v38
	v_cmp_gt_i64_e32 vcc, 0, v[0:1]
	v_not_b32_e32 v1, v1
	v_ashrrev_i32_e32 v1, 31, v1
	v_and_b32_e32 v41, v41, v67
	;; [unrolled: 8-line block ×5, first 2 shown]
	v_xor_b32_e32 v67, vcc_hi, v1
	v_xor_b32_e32 v1, vcc_lo, v1
	v_and_b32_e32 v39, v39, v1
	v_lshlrev_b32_e32 v1, 24, v38
	v_cmp_gt_i64_e32 vcc, 0, v[0:1]
	v_not_b32_e32 v0, v1
	v_ashrrev_i32_e32 v0, 31, v0
	v_xor_b32_e32 v1, vcc_hi, v0
	v_xor_b32_e32 v0, vcc_lo, v0
	; wave barrier
	ds_read_b32 v95, v96 offset:32
	v_and_b32_e32 v41, v41, v67
	v_and_b32_e32 v0, v39, v0
	v_and_b32_e32 v1, v41, v1
	v_mbcnt_lo_u32_b32 v38, v0, 0
	v_mbcnt_hi_u32_b32 v97, v1, v38
	v_cmp_eq_u32_e32 vcc, 0, v97
	v_cmp_ne_u64_e64 s[4:5], 0, v[0:1]
	s_and_b64 s[18:19], s[4:5], vcc
	; wave barrier
	s_and_saveexec_b64 s[4:5], s[18:19]
	s_cbranch_execz .LBB255_56
; %bb.55:
	v_bcnt_u32_b32 v0, v0, 0
	v_bcnt_u32_b32 v0, v1, v0
	s_waitcnt lgkmcnt(0)
	v_add_u32_e32 v0, v95, v0
	ds_write_b32 v96, v0 offset:32
.LBB255_56:
	s_or_b64 exec, exec, s[4:5]
	v_mov_b32_e32 v41, 0xffff8000
	v_cmp_ne_u16_e32 vcc, s17, v70
	v_cndmask_b32_e32 v0, v41, v70, vcc
	v_and_b32_sdwa v38, s16, v0 dst_sel:DWORD dst_unused:UNUSED_PAD src0_sel:DWORD src1_sel:WORD_0
	v_and_b32_e32 v1, 1, v38
	v_add_co_u32_e32 v39, vcc, -1, v1
	v_addc_co_u32_e64 v67, s[4:5], 0, -1, vcc
	v_cmp_ne_u32_e32 vcc, 0, v1
	v_lshlrev_b32_e32 v0, 3, v38
	v_xor_b32_e32 v1, vcc_hi, v67
	v_add_lshl_u32 v99, v66, v0, 2
	v_mov_b32_e32 v0, 0
	v_and_b32_e32 v67, exec_hi, v1
	v_lshlrev_b32_e32 v1, 30, v38
	v_xor_b32_e32 v39, vcc_lo, v39
	v_cmp_gt_i64_e32 vcc, 0, v[0:1]
	v_not_b32_e32 v1, v1
	v_ashrrev_i32_e32 v1, 31, v1
	v_and_b32_e32 v39, exec_lo, v39
	v_xor_b32_e32 v68, vcc_hi, v1
	v_xor_b32_e32 v1, vcc_lo, v1
	v_and_b32_e32 v39, v39, v1
	v_lshlrev_b32_e32 v1, 29, v38
	v_cmp_gt_i64_e32 vcc, 0, v[0:1]
	v_not_b32_e32 v1, v1
	v_ashrrev_i32_e32 v1, 31, v1
	v_and_b32_e32 v67, v67, v68
	v_xor_b32_e32 v68, vcc_hi, v1
	v_xor_b32_e32 v1, vcc_lo, v1
	v_and_b32_e32 v39, v39, v1
	v_lshlrev_b32_e32 v1, 28, v38
	v_cmp_gt_i64_e32 vcc, 0, v[0:1]
	v_not_b32_e32 v1, v1
	v_ashrrev_i32_e32 v1, 31, v1
	v_and_b32_e32 v67, v67, v68
	;; [unrolled: 8-line block ×5, first 2 shown]
	v_xor_b32_e32 v68, vcc_hi, v1
	v_xor_b32_e32 v1, vcc_lo, v1
	v_and_b32_e32 v67, v67, v68
	v_and_b32_e32 v68, v39, v1
	v_lshlrev_b32_e32 v1, 24, v38
	v_cmp_gt_i64_e32 vcc, 0, v[0:1]
	v_not_b32_e32 v1, v1
	v_ashrrev_i32_e32 v1, 31, v1
	v_xor_b32_e32 v38, vcc_hi, v1
	v_xor_b32_e32 v1, vcc_lo, v1
	; wave barrier
	ds_read_b32 v98, v99 offset:32
	v_and_b32_e32 v39, v67, v38
	v_and_b32_e32 v38, v68, v1
	v_mbcnt_lo_u32_b32 v1, v38, 0
	v_mbcnt_hi_u32_b32 v100, v39, v1
	v_cmp_eq_u32_e32 vcc, 0, v100
	v_cmp_ne_u64_e64 s[4:5], 0, v[38:39]
	s_and_b64 s[18:19], s[4:5], vcc
	; wave barrier
	s_and_saveexec_b64 s[4:5], s[18:19]
	s_cbranch_execz .LBB255_58
; %bb.57:
	v_bcnt_u32_b32 v1, v38, 0
	v_bcnt_u32_b32 v1, v39, v1
	s_waitcnt lgkmcnt(0)
	v_add_u32_e32 v1, v98, v1
	ds_write_b32 v99, v1 offset:32
.LBB255_58:
	s_or_b64 exec, exec, s[4:5]
	v_cmp_ne_u16_e32 vcc, s17, v69
	v_cndmask_b32_e32 v1, v41, v69, vcc
	v_and_b32_sdwa v38, s16, v1 dst_sel:DWORD dst_unused:UNUSED_PAD src0_sel:DWORD src1_sel:WORD_0
	v_lshlrev_b32_e32 v1, 3, v38
	v_add_lshl_u32 v102, v66, v1, 2
	v_and_b32_e32 v1, 1, v38
	v_add_co_u32_e32 v39, vcc, -1, v1
	v_min_u32_e32 v78, 0x1c0, v40
	v_addc_co_u32_e64 v40, s[4:5], 0, -1, vcc
	v_cmp_ne_u32_e32 vcc, 0, v1
	v_xor_b32_e32 v1, vcc_hi, v40
	v_and_b32_e32 v40, exec_hi, v1
	v_lshlrev_b32_e32 v1, 30, v38
	v_xor_b32_e32 v39, vcc_lo, v39
	v_cmp_gt_i64_e32 vcc, 0, v[0:1]
	v_not_b32_e32 v1, v1
	v_ashrrev_i32_e32 v1, 31, v1
	v_and_b32_e32 v39, exec_lo, v39
	v_xor_b32_e32 v41, vcc_hi, v1
	v_xor_b32_e32 v1, vcc_lo, v1
	v_and_b32_e32 v39, v39, v1
	v_lshlrev_b32_e32 v1, 29, v38
	v_cmp_gt_i64_e32 vcc, 0, v[0:1]
	v_not_b32_e32 v1, v1
	v_ashrrev_i32_e32 v1, 31, v1
	v_and_b32_e32 v40, v40, v41
	v_xor_b32_e32 v41, vcc_hi, v1
	v_xor_b32_e32 v1, vcc_lo, v1
	v_and_b32_e32 v39, v39, v1
	v_lshlrev_b32_e32 v1, 28, v38
	v_cmp_gt_i64_e32 vcc, 0, v[0:1]
	v_not_b32_e32 v1, v1
	v_ashrrev_i32_e32 v1, 31, v1
	v_and_b32_e32 v40, v40, v41
	v_xor_b32_e32 v41, vcc_hi, v1
	v_xor_b32_e32 v1, vcc_lo, v1
	v_and_b32_e32 v39, v39, v1
	v_lshlrev_b32_e32 v1, 27, v38
	v_cmp_gt_i64_e32 vcc, 0, v[0:1]
	v_not_b32_e32 v1, v1
	v_ashrrev_i32_e32 v1, 31, v1
	v_and_b32_e32 v40, v40, v41
	v_xor_b32_e32 v41, vcc_hi, v1
	v_xor_b32_e32 v1, vcc_lo, v1
	v_and_b32_e32 v39, v39, v1
	v_lshlrev_b32_e32 v1, 26, v38
	v_cmp_gt_i64_e32 vcc, 0, v[0:1]
	v_not_b32_e32 v1, v1
	v_ashrrev_i32_e32 v1, 31, v1
	v_and_b32_e32 v40, v40, v41
	v_xor_b32_e32 v41, vcc_hi, v1
	v_xor_b32_e32 v1, vcc_lo, v1
	v_and_b32_e32 v39, v39, v1
	v_lshlrev_b32_e32 v1, 25, v38
	v_cmp_gt_i64_e32 vcc, 0, v[0:1]
	v_not_b32_e32 v1, v1
	v_ashrrev_i32_e32 v1, 31, v1
	v_and_b32_e32 v40, v40, v41
	v_xor_b32_e32 v41, vcc_hi, v1
	v_xor_b32_e32 v1, vcc_lo, v1
	v_and_b32_e32 v39, v39, v1
	v_lshlrev_b32_e32 v1, 24, v38
	v_cmp_gt_i64_e32 vcc, 0, v[0:1]
	v_not_b32_e32 v0, v1
	v_ashrrev_i32_e32 v0, 31, v0
	v_xor_b32_e32 v1, vcc_hi, v0
	v_xor_b32_e32 v0, vcc_lo, v0
	; wave barrier
	ds_read_b32 v101, v102 offset:32
	v_and_b32_e32 v40, v40, v41
	v_and_b32_e32 v0, v39, v0
	v_and_b32_e32 v1, v40, v1
	v_mbcnt_lo_u32_b32 v38, v0, 0
	v_mbcnt_hi_u32_b32 v103, v1, v38
	v_cmp_eq_u32_e32 vcc, 0, v103
	v_cmp_ne_u64_e64 s[4:5], 0, v[0:1]
	v_add_u32_e32 v67, 32, v62
	v_lshrrev_b32_e32 v68, 6, v42
	s_and_b64 s[16:17], s[4:5], vcc
	; wave barrier
	s_and_saveexec_b64 s[4:5], s[16:17]
	s_cbranch_execz .LBB255_60
; %bb.59:
	v_bcnt_u32_b32 v0, v0, 0
	v_bcnt_u32_b32 v0, v1, v0
	s_waitcnt lgkmcnt(0)
	v_add_u32_e32 v0, v101, v0
	ds_write_b32 v102, v0 offset:32
.LBB255_60:
	s_or_b64 exec, exec, s[4:5]
	; wave barrier
	s_waitcnt lgkmcnt(0)
	s_barrier
	ds_read2_b32 v[38:39], v62 offset0:8 offset1:9
	ds_read2_b32 v[40:41], v67 offset0:2 offset1:3
	v_and_b32_e32 v1, 16, v74
	v_cmp_eq_u32_e32 vcc, 0, v1
	v_or_b32_e32 v1, 63, v78
	v_cmp_eq_u32_e64 s[16:17], v1, v42
	s_waitcnt lgkmcnt(1)
	v_add_u32_e32 v1, v39, v38
	v_and_b32_e32 v0, 15, v74
	s_waitcnt lgkmcnt(0)
	v_add3_u32 v1, v1, v40, v41
	v_cmp_eq_u32_e64 s[24:25], 0, v0
	v_cmp_lt_u32_e64 s[26:27], 1, v0
	v_mov_b32_dpp v41, v1 row_shr:1 row_mask:0xf bank_mask:0xf
	v_cndmask_b32_e64 v41, v41, 0, s[24:25]
	v_add_u32_e32 v1, v41, v1
	v_cmp_lt_u32_e64 s[30:31], 3, v0
	v_cmp_lt_u32_e64 s[34:35], 7, v0
	v_mov_b32_dpp v41, v1 row_shr:2 row_mask:0xf bank_mask:0xf
	v_cndmask_b32_e64 v41, 0, v41, s[26:27]
	v_add_u32_e32 v1, v1, v41
	v_bfe_i32 v79, v74, 4, 1
	v_cmp_lt_u32_e64 s[36:37], 31, v74
	v_mov_b32_dpp v41, v1 row_shr:4 row_mask:0xf bank_mask:0xf
	v_cndmask_b32_e64 v41, 0, v41, s[30:31]
	v_add_u32_e32 v1, v1, v41
	v_lshlrev_b32_e32 v68, 2, v68
	s_nop 0
	v_mov_b32_dpp v41, v1 row_shr:8 row_mask:0xf bank_mask:0xf
	v_cndmask_b32_e64 v0, 0, v41, s[34:35]
	v_add_u32_e32 v0, v1, v0
	s_nop 1
	v_mov_b32_dpp v1, v0 row_bcast:15 row_mask:0xf bank_mask:0xf
	v_and_b32_e32 v1, v79, v1
	v_add_u32_e32 v0, v0, v1
	s_nop 1
	v_mov_b32_dpp v1, v0 row_bcast:31 row_mask:0xf bank_mask:0xf
	v_cndmask_b32_e64 v1, 0, v1, s[36:37]
	v_add_u32_e32 v1, v0, v1
	s_and_saveexec_b64 s[4:5], s[16:17]
	s_cbranch_execz .LBB255_62
; %bb.61:
	ds_write_b32 v68, v1
.LBB255_62:
	s_or_b64 exec, exec, s[4:5]
	v_and_b32_e32 v0, 7, v74
	v_cmp_gt_u32_e64 s[28:29], 8, v42
	v_lshlrev_b32_e32 v41, 2, v42
	v_cmp_eq_u32_e64 s[22:23], 0, v0
	v_cmp_lt_u32_e64 s[20:21], 1, v0
	v_cmp_lt_u32_e64 s[18:19], 3, v0
	s_waitcnt lgkmcnt(0)
	s_barrier
	s_and_saveexec_b64 s[4:5], s[28:29]
	s_cbranch_execz .LBB255_64
; %bb.63:
	ds_read_b32 v0, v41
	s_waitcnt lgkmcnt(0)
	s_nop 0
	v_mov_b32_dpp v78, v0 row_shr:1 row_mask:0xf bank_mask:0xf
	v_cndmask_b32_e64 v78, v78, 0, s[22:23]
	v_add_u32_e32 v0, v78, v0
	s_nop 1
	v_mov_b32_dpp v78, v0 row_shr:2 row_mask:0xf bank_mask:0xf
	v_cndmask_b32_e64 v78, 0, v78, s[20:21]
	v_add_u32_e32 v0, v0, v78
	;; [unrolled: 4-line block ×3, first 2 shown]
	ds_write_b32 v41, v0
.LBB255_64:
	s_or_b64 exec, exec, s[4:5]
	v_cmp_lt_u32_e64 s[38:39], 63, v42
	v_add_u32_e32 v78, -4, v68
	v_mov_b32_e32 v0, 0
	v_mov_b32_e32 v104, 0
	s_waitcnt lgkmcnt(0)
	s_barrier
	s_and_saveexec_b64 s[4:5], s[38:39]
	s_cbranch_execz .LBB255_66
; %bb.65:
	ds_read_b32 v104, v78
.LBB255_66:
	s_or_b64 exec, exec, s[4:5]
	v_add_u32_e32 v79, -1, v74
	v_and_b32_e32 v105, 64, v74
	v_cmp_lt_i32_e64 s[4:5], v79, v105
	v_cndmask_b32_e64 v79, v79, v74, s[4:5]
	v_lshlrev_b32_e32 v79, 2, v79
	s_waitcnt lgkmcnt(0)
	v_add_u32_e32 v1, v104, v1
	ds_bpermute_b32 v1, v79, v1
	v_cmp_eq_u32_e64 s[40:41], 0, v74
	v_cmp_eq_u32_e64 s[42:43], 0, v42
	v_and_or_b32 v80, v74, 63, v80
	v_lshlrev_b32_e32 v105, 1, v80
	s_waitcnt lgkmcnt(0)
	v_cndmask_b32_e64 v1, v1, v104, s[40:41]
	v_cndmask_b32_e64 v1, v1, 0, s[42:43]
	v_add_u32_e32 v38, v1, v38
	v_add_u32_e32 v39, v38, v39
	;; [unrolled: 1-line block ×3, first 2 shown]
	ds_write2_b32 v62, v1, v38 offset0:8 offset1:9
	ds_write2_b32 v67, v39, v40 offset0:2 offset1:3
	s_waitcnt lgkmcnt(0)
	s_barrier
	ds_read_b32 v1, v81 offset:32
	ds_read_b32 v38, v84 offset:32
	ds_read_b32 v39, v87 offset:32
	ds_read_b32 v40, v90 offset:32
	ds_read_b32 v74, v93 offset:32
	ds_read_b32 v81, v96 offset:32
	ds_read_b32 v84, v99 offset:32
	ds_read_b32 v87, v102 offset:32
	s_waitcnt lgkmcnt(7)
	v_add_u32_e32 v1, v1, v82
	s_waitcnt lgkmcnt(6)
	v_add3_u32 v38, v85, v83, v38
	s_waitcnt lgkmcnt(4)
	v_add3_u32 v82, v91, v89, v40
	v_lshlrev_b32_e32 v40, 1, v1
	v_add3_u32 v39, v88, v86, v39
	s_waitcnt lgkmcnt(0)
	s_barrier
	ds_write_b16 v40, v77
	v_lshlrev_b32_e32 v40, 1, v38
	ds_write_b16 v40, v76
	v_lshlrev_b32_e32 v40, 1, v39
	v_add3_u32 v83, v94, v92, v74
	ds_write_b16 v40, v75
	v_lshlrev_b32_e32 v40, 1, v82
	v_add3_u32 v81, v97, v95, v81
	;; [unrolled: 3-line block ×4, first 2 shown]
	ds_write_b16 v40, v71
	v_lshlrev_b32_e32 v40, 1, v84
	ds_write_b16 v40, v70
	v_lshlrev_b32_e32 v40, 1, v85
	v_lshlrev_b32_e32 v1, 3, v1
	ds_write_b16 v40, v69
	s_waitcnt lgkmcnt(0)
	s_barrier
	ds_read_u16 v75, v105
	ds_read_u16 v74, v105 offset:128
	ds_read_u16 v73, v105 offset:256
	;; [unrolled: 1-line block ×7, first 2 shown]
	s_waitcnt lgkmcnt(0)
	s_barrier
	ds_write_b64 v1, v[34:35]
	v_lshlrev_b32_e32 v1, 3, v38
	ds_write_b64 v1, v[36:37]
	v_lshlrev_b32_e32 v1, 3, v39
	;; [unrolled: 2-line block ×6, first 2 shown]
	s_min_u32 s4, s46, 8
	ds_write_b64 v1, v[22:23]
	v_lshlrev_b32_e32 v1, 3, v85
	s_lshl_b32 s4, -1, s4
	s_movk_i32 s58, 0x7fff
	ds_write_b64 v1, v[24:25]
	s_not_b32 s57, s4
	v_lshrrev_b16_e32 v1, 8, v75
	v_mov_b32_e32 v38, 0x80
	v_cmp_ne_u16_e64 s[4:5], s58, v75
	v_cndmask_b32_e64 v1, v38, v1, s[4:5]
	v_and_b32_sdwa v39, v1, s57 dst_sel:DWORD dst_unused:UNUSED_PAD src0_sel:WORD_0 src1_sel:DWORD
	v_lshlrev_b32_e32 v1, 3, v39
	v_add_lshl_u32 v76, v1, v66, 2
	v_and_b32_e32 v1, 1, v39
	v_lshlrev_b32_e32 v80, 3, v80
	v_add_co_u32_e64 v77, s[4:5], -1, v1
	s_waitcnt lgkmcnt(0)
	s_barrier
	ds_read2st64_b64 v[34:37], v80 offset1:1
	ds_read2st64_b64 v[30:33], v80 offset0:2 offset1:3
	ds_read2st64_b64 v[26:29], v80 offset0:4 offset1:5
	;; [unrolled: 1-line block ×3, first 2 shown]
	v_addc_co_u32_e64 v80, s[4:5], 0, -1, s[4:5]
	v_cmp_ne_u32_e64 s[4:5], 0, v1
	v_xor_b32_e32 v1, s5, v80
	v_and_b32_e32 v80, exec_hi, v1
	v_lshlrev_b32_e32 v1, 30, v39
	v_xor_b32_e32 v77, s4, v77
	v_cmp_gt_i64_e64 s[4:5], 0, v[0:1]
	v_not_b32_e32 v1, v1
	v_ashrrev_i32_e32 v1, 31, v1
	v_and_b32_e32 v77, exec_lo, v77
	v_xor_b32_e32 v81, s5, v1
	v_xor_b32_e32 v1, s4, v1
	v_and_b32_e32 v77, v77, v1
	v_lshlrev_b32_e32 v1, 29, v39
	v_cmp_gt_i64_e64 s[4:5], 0, v[0:1]
	v_not_b32_e32 v1, v1
	v_ashrrev_i32_e32 v1, 31, v1
	v_and_b32_e32 v80, v80, v81
	v_xor_b32_e32 v81, s5, v1
	v_xor_b32_e32 v1, s4, v1
	v_and_b32_e32 v77, v77, v1
	v_lshlrev_b32_e32 v1, 28, v39
	v_cmp_gt_i64_e64 s[4:5], 0, v[0:1]
	v_not_b32_e32 v1, v1
	v_ashrrev_i32_e32 v1, 31, v1
	v_and_b32_e32 v80, v80, v81
	;; [unrolled: 8-line block ×5, first 2 shown]
	v_xor_b32_e32 v81, s5, v1
	v_xor_b32_e32 v1, s4, v1
	v_and_b32_e32 v77, v77, v1
	v_lshlrev_b32_e32 v1, 24, v39
	s_waitcnt lgkmcnt(0)
	s_barrier
	ds_write2_b32 v62, v0, v0 offset0:8 offset1:9
	ds_write2_b32 v67, v0, v0 offset0:2 offset1:3
	v_cmp_gt_i64_e64 s[4:5], 0, v[0:1]
	v_not_b32_e32 v0, v1
	v_ashrrev_i32_e32 v0, 31, v0
	v_xor_b32_e32 v1, s5, v0
	v_xor_b32_e32 v0, s4, v0
	v_and_b32_e32 v80, v80, v81
	v_and_b32_e32 v0, v77, v0
	;; [unrolled: 1-line block ×3, first 2 shown]
	v_mbcnt_lo_u32_b32 v39, v0, 0
	v_mbcnt_hi_u32_b32 v77, v1, v39
	v_cmp_eq_u32_e64 s[4:5], 0, v77
	v_cmp_ne_u64_e64 s[46:47], 0, v[0:1]
	s_and_b64 s[46:47], s[46:47], s[4:5]
	s_waitcnt lgkmcnt(0)
	s_barrier
	s_waitcnt lgkmcnt(0)
	; wave barrier
	s_and_saveexec_b64 s[4:5], s[46:47]
	s_cbranch_execz .LBB255_68
; %bb.67:
	v_bcnt_u32_b32 v0, v0, 0
	v_bcnt_u32_b32 v0, v1, v0
	ds_write_b32 v76, v0 offset:32
.LBB255_68:
	s_or_b64 exec, exec, s[4:5]
	v_lshrrev_b16_e32 v0, 8, v74
	v_cmp_ne_u16_e64 s[4:5], s58, v74
	v_cndmask_b32_e64 v0, v38, v0, s[4:5]
	v_and_b32_e32 v38, s57, v0
	v_and_b32_e32 v1, 1, v38
	v_add_co_u32_e64 v39, s[4:5], -1, v1
	v_addc_co_u32_e64 v82, s[4:5], 0, -1, s[4:5]
	v_cmp_ne_u32_e64 s[4:5], 0, v1
	v_lshlrev_b32_e32 v0, 3, v38
	v_xor_b32_e32 v1, s5, v82
	v_add_lshl_u32 v81, v0, v66, 2
	v_mov_b32_e32 v0, 0
	v_and_b32_e32 v82, exec_hi, v1
	v_lshlrev_b32_e32 v1, 30, v38
	v_xor_b32_e32 v39, s4, v39
	v_cmp_gt_i64_e64 s[4:5], 0, v[0:1]
	v_not_b32_e32 v1, v1
	v_ashrrev_i32_e32 v1, 31, v1
	v_and_b32_e32 v39, exec_lo, v39
	v_xor_b32_e32 v83, s5, v1
	v_xor_b32_e32 v1, s4, v1
	v_and_b32_e32 v39, v39, v1
	v_lshlrev_b32_e32 v1, 29, v38
	v_cmp_gt_i64_e64 s[4:5], 0, v[0:1]
	v_not_b32_e32 v1, v1
	v_ashrrev_i32_e32 v1, 31, v1
	v_and_b32_e32 v82, v82, v83
	v_xor_b32_e32 v83, s5, v1
	v_xor_b32_e32 v1, s4, v1
	v_and_b32_e32 v39, v39, v1
	v_lshlrev_b32_e32 v1, 28, v38
	v_cmp_gt_i64_e64 s[4:5], 0, v[0:1]
	v_not_b32_e32 v1, v1
	v_ashrrev_i32_e32 v1, 31, v1
	v_and_b32_e32 v82, v82, v83
	;; [unrolled: 8-line block ×5, first 2 shown]
	v_xor_b32_e32 v83, s5, v1
	v_xor_b32_e32 v1, s4, v1
	v_and_b32_e32 v82, v82, v83
	v_and_b32_e32 v83, v39, v1
	v_lshlrev_b32_e32 v1, 24, v38
	v_cmp_gt_i64_e64 s[4:5], 0, v[0:1]
	v_not_b32_e32 v1, v1
	v_ashrrev_i32_e32 v1, 31, v1
	v_xor_b32_e32 v38, s5, v1
	v_xor_b32_e32 v1, s4, v1
	; wave barrier
	ds_read_b32 v80, v81 offset:32
	v_and_b32_e32 v39, v82, v38
	v_and_b32_e32 v38, v83, v1
	v_mbcnt_lo_u32_b32 v1, v38, 0
	v_mbcnt_hi_u32_b32 v82, v39, v1
	v_cmp_eq_u32_e64 s[4:5], 0, v82
	v_cmp_ne_u64_e64 s[46:47], 0, v[38:39]
	s_and_b64 s[46:47], s[46:47], s[4:5]
	; wave barrier
	s_and_saveexec_b64 s[4:5], s[46:47]
	s_cbranch_execz .LBB255_70
; %bb.69:
	v_bcnt_u32_b32 v1, v38, 0
	v_bcnt_u32_b32 v1, v39, v1
	s_waitcnt lgkmcnt(0)
	v_add_u32_e32 v1, v80, v1
	ds_write_b32 v81, v1 offset:32
.LBB255_70:
	s_or_b64 exec, exec, s[4:5]
	v_lshrrev_b16_e32 v1, 8, v73
	v_mov_b32_e32 v38, 0x80
	v_cmp_ne_u16_e64 s[4:5], s58, v73
	v_cndmask_b32_e64 v1, v38, v1, s[4:5]
	v_and_b32_e32 v39, s57, v1
	v_lshlrev_b32_e32 v1, 3, v39
	v_add_lshl_u32 v84, v1, v66, 2
	v_and_b32_e32 v1, 1, v39
	v_add_co_u32_e64 v85, s[4:5], -1, v1
	v_addc_co_u32_e64 v86, s[4:5], 0, -1, s[4:5]
	v_cmp_ne_u32_e64 s[4:5], 0, v1
	v_xor_b32_e32 v1, s5, v86
	v_and_b32_e32 v86, exec_hi, v1
	v_lshlrev_b32_e32 v1, 30, v39
	v_xor_b32_e32 v85, s4, v85
	v_cmp_gt_i64_e64 s[4:5], 0, v[0:1]
	v_not_b32_e32 v1, v1
	v_ashrrev_i32_e32 v1, 31, v1
	v_and_b32_e32 v85, exec_lo, v85
	v_xor_b32_e32 v87, s5, v1
	v_xor_b32_e32 v1, s4, v1
	v_and_b32_e32 v85, v85, v1
	v_lshlrev_b32_e32 v1, 29, v39
	v_cmp_gt_i64_e64 s[4:5], 0, v[0:1]
	v_not_b32_e32 v1, v1
	v_ashrrev_i32_e32 v1, 31, v1
	v_and_b32_e32 v86, v86, v87
	v_xor_b32_e32 v87, s5, v1
	v_xor_b32_e32 v1, s4, v1
	v_and_b32_e32 v85, v85, v1
	v_lshlrev_b32_e32 v1, 28, v39
	v_cmp_gt_i64_e64 s[4:5], 0, v[0:1]
	v_not_b32_e32 v1, v1
	v_ashrrev_i32_e32 v1, 31, v1
	v_and_b32_e32 v86, v86, v87
	;; [unrolled: 8-line block ×5, first 2 shown]
	v_xor_b32_e32 v87, s5, v1
	v_xor_b32_e32 v1, s4, v1
	v_and_b32_e32 v85, v85, v1
	v_lshlrev_b32_e32 v1, 24, v39
	v_cmp_gt_i64_e64 s[4:5], 0, v[0:1]
	v_not_b32_e32 v0, v1
	v_ashrrev_i32_e32 v0, 31, v0
	v_xor_b32_e32 v1, s5, v0
	v_xor_b32_e32 v0, s4, v0
	; wave barrier
	ds_read_b32 v83, v84 offset:32
	v_and_b32_e32 v86, v86, v87
	v_and_b32_e32 v0, v85, v0
	;; [unrolled: 1-line block ×3, first 2 shown]
	v_mbcnt_lo_u32_b32 v39, v0, 0
	v_mbcnt_hi_u32_b32 v85, v1, v39
	v_cmp_eq_u32_e64 s[4:5], 0, v85
	v_cmp_ne_u64_e64 s[46:47], 0, v[0:1]
	s_and_b64 s[46:47], s[46:47], s[4:5]
	; wave barrier
	s_and_saveexec_b64 s[4:5], s[46:47]
	s_cbranch_execz .LBB255_72
; %bb.71:
	v_bcnt_u32_b32 v0, v0, 0
	v_bcnt_u32_b32 v0, v1, v0
	s_waitcnt lgkmcnt(0)
	v_add_u32_e32 v0, v83, v0
	ds_write_b32 v84, v0 offset:32
.LBB255_72:
	s_or_b64 exec, exec, s[4:5]
	v_lshrrev_b16_e32 v0, 8, v72
	v_cmp_ne_u16_e64 s[4:5], s58, v72
	v_cndmask_b32_e64 v0, v38, v0, s[4:5]
	v_and_b32_e32 v38, s57, v0
	v_and_b32_e32 v1, 1, v38
	v_add_co_u32_e64 v39, s[4:5], -1, v1
	v_addc_co_u32_e64 v88, s[4:5], 0, -1, s[4:5]
	v_cmp_ne_u32_e64 s[4:5], 0, v1
	v_lshlrev_b32_e32 v0, 3, v38
	v_xor_b32_e32 v1, s5, v88
	v_add_lshl_u32 v87, v0, v66, 2
	v_mov_b32_e32 v0, 0
	v_and_b32_e32 v88, exec_hi, v1
	v_lshlrev_b32_e32 v1, 30, v38
	v_xor_b32_e32 v39, s4, v39
	v_cmp_gt_i64_e64 s[4:5], 0, v[0:1]
	v_not_b32_e32 v1, v1
	v_ashrrev_i32_e32 v1, 31, v1
	v_and_b32_e32 v39, exec_lo, v39
	v_xor_b32_e32 v89, s5, v1
	v_xor_b32_e32 v1, s4, v1
	v_and_b32_e32 v39, v39, v1
	v_lshlrev_b32_e32 v1, 29, v38
	v_cmp_gt_i64_e64 s[4:5], 0, v[0:1]
	v_not_b32_e32 v1, v1
	v_ashrrev_i32_e32 v1, 31, v1
	v_and_b32_e32 v88, v88, v89
	v_xor_b32_e32 v89, s5, v1
	v_xor_b32_e32 v1, s4, v1
	v_and_b32_e32 v39, v39, v1
	v_lshlrev_b32_e32 v1, 28, v38
	v_cmp_gt_i64_e64 s[4:5], 0, v[0:1]
	v_not_b32_e32 v1, v1
	v_ashrrev_i32_e32 v1, 31, v1
	v_and_b32_e32 v88, v88, v89
	v_xor_b32_e32 v89, s5, v1
	v_xor_b32_e32 v1, s4, v1
	v_and_b32_e32 v39, v39, v1
	v_lshlrev_b32_e32 v1, 27, v38
	v_cmp_gt_i64_e64 s[4:5], 0, v[0:1]
	v_not_b32_e32 v1, v1
	v_ashrrev_i32_e32 v1, 31, v1
	v_and_b32_e32 v88, v88, v89
	v_xor_b32_e32 v89, s5, v1
	v_xor_b32_e32 v1, s4, v1
	v_and_b32_e32 v39, v39, v1
	v_lshlrev_b32_e32 v1, 26, v38
	v_cmp_gt_i64_e64 s[4:5], 0, v[0:1]
	v_not_b32_e32 v1, v1
	v_ashrrev_i32_e32 v1, 31, v1
	v_and_b32_e32 v88, v88, v89
	v_xor_b32_e32 v89, s5, v1
	v_xor_b32_e32 v1, s4, v1
	v_and_b32_e32 v39, v39, v1
	v_lshlrev_b32_e32 v1, 25, v38
	v_cmp_gt_i64_e64 s[4:5], 0, v[0:1]
	v_not_b32_e32 v1, v1
	v_ashrrev_i32_e32 v1, 31, v1
	v_and_b32_e32 v88, v88, v89
	v_xor_b32_e32 v89, s5, v1
	v_xor_b32_e32 v1, s4, v1
	v_and_b32_e32 v88, v88, v89
	v_and_b32_e32 v89, v39, v1
	v_lshlrev_b32_e32 v1, 24, v38
	v_cmp_gt_i64_e64 s[4:5], 0, v[0:1]
	v_not_b32_e32 v1, v1
	v_ashrrev_i32_e32 v1, 31, v1
	v_xor_b32_e32 v38, s5, v1
	v_xor_b32_e32 v1, s4, v1
	; wave barrier
	ds_read_b32 v86, v87 offset:32
	v_and_b32_e32 v39, v88, v38
	v_and_b32_e32 v38, v89, v1
	v_mbcnt_lo_u32_b32 v1, v38, 0
	v_mbcnt_hi_u32_b32 v88, v39, v1
	v_cmp_eq_u32_e64 s[4:5], 0, v88
	v_cmp_ne_u64_e64 s[46:47], 0, v[38:39]
	s_and_b64 s[46:47], s[46:47], s[4:5]
	; wave barrier
	s_and_saveexec_b64 s[4:5], s[46:47]
	s_cbranch_execz .LBB255_74
; %bb.73:
	v_bcnt_u32_b32 v1, v38, 0
	v_bcnt_u32_b32 v1, v39, v1
	s_waitcnt lgkmcnt(0)
	v_add_u32_e32 v1, v86, v1
	ds_write_b32 v87, v1 offset:32
.LBB255_74:
	s_or_b64 exec, exec, s[4:5]
	v_lshrrev_b16_e32 v1, 8, v71
	v_mov_b32_e32 v38, 0x80
	v_cmp_ne_u16_e64 s[4:5], s58, v71
	v_cndmask_b32_e64 v1, v38, v1, s[4:5]
	v_and_b32_e32 v39, s57, v1
	v_lshlrev_b32_e32 v1, 3, v39
	v_add_lshl_u32 v90, v1, v66, 2
	v_and_b32_e32 v1, 1, v39
	v_add_co_u32_e64 v91, s[4:5], -1, v1
	v_addc_co_u32_e64 v92, s[4:5], 0, -1, s[4:5]
	v_cmp_ne_u32_e64 s[4:5], 0, v1
	v_xor_b32_e32 v1, s5, v92
	v_and_b32_e32 v92, exec_hi, v1
	v_lshlrev_b32_e32 v1, 30, v39
	v_xor_b32_e32 v91, s4, v91
	v_cmp_gt_i64_e64 s[4:5], 0, v[0:1]
	v_not_b32_e32 v1, v1
	v_ashrrev_i32_e32 v1, 31, v1
	v_and_b32_e32 v91, exec_lo, v91
	v_xor_b32_e32 v93, s5, v1
	v_xor_b32_e32 v1, s4, v1
	v_and_b32_e32 v91, v91, v1
	v_lshlrev_b32_e32 v1, 29, v39
	v_cmp_gt_i64_e64 s[4:5], 0, v[0:1]
	v_not_b32_e32 v1, v1
	v_ashrrev_i32_e32 v1, 31, v1
	v_and_b32_e32 v92, v92, v93
	v_xor_b32_e32 v93, s5, v1
	v_xor_b32_e32 v1, s4, v1
	v_and_b32_e32 v91, v91, v1
	v_lshlrev_b32_e32 v1, 28, v39
	v_cmp_gt_i64_e64 s[4:5], 0, v[0:1]
	v_not_b32_e32 v1, v1
	v_ashrrev_i32_e32 v1, 31, v1
	v_and_b32_e32 v92, v92, v93
	;; [unrolled: 8-line block ×5, first 2 shown]
	v_xor_b32_e32 v93, s5, v1
	v_xor_b32_e32 v1, s4, v1
	v_and_b32_e32 v91, v91, v1
	v_lshlrev_b32_e32 v1, 24, v39
	v_cmp_gt_i64_e64 s[4:5], 0, v[0:1]
	v_not_b32_e32 v0, v1
	v_ashrrev_i32_e32 v0, 31, v0
	v_xor_b32_e32 v1, s5, v0
	v_xor_b32_e32 v0, s4, v0
	; wave barrier
	ds_read_b32 v89, v90 offset:32
	v_and_b32_e32 v92, v92, v93
	v_and_b32_e32 v0, v91, v0
	;; [unrolled: 1-line block ×3, first 2 shown]
	v_mbcnt_lo_u32_b32 v39, v0, 0
	v_mbcnt_hi_u32_b32 v91, v1, v39
	v_cmp_eq_u32_e64 s[4:5], 0, v91
	v_cmp_ne_u64_e64 s[46:47], 0, v[0:1]
	s_and_b64 s[46:47], s[46:47], s[4:5]
	; wave barrier
	s_and_saveexec_b64 s[4:5], s[46:47]
	s_cbranch_execz .LBB255_76
; %bb.75:
	v_bcnt_u32_b32 v0, v0, 0
	v_bcnt_u32_b32 v0, v1, v0
	s_waitcnt lgkmcnt(0)
	v_add_u32_e32 v0, v89, v0
	ds_write_b32 v90, v0 offset:32
.LBB255_76:
	s_or_b64 exec, exec, s[4:5]
	v_lshrrev_b16_e32 v0, 8, v70
	v_cmp_ne_u16_e64 s[4:5], s58, v70
	v_cndmask_b32_e64 v0, v38, v0, s[4:5]
	v_and_b32_e32 v38, s57, v0
	v_and_b32_e32 v1, 1, v38
	v_add_co_u32_e64 v39, s[4:5], -1, v1
	v_addc_co_u32_e64 v94, s[4:5], 0, -1, s[4:5]
	v_cmp_ne_u32_e64 s[4:5], 0, v1
	v_lshlrev_b32_e32 v0, 3, v38
	v_xor_b32_e32 v1, s5, v94
	v_add_lshl_u32 v93, v0, v66, 2
	v_mov_b32_e32 v0, 0
	v_and_b32_e32 v94, exec_hi, v1
	v_lshlrev_b32_e32 v1, 30, v38
	v_xor_b32_e32 v39, s4, v39
	v_cmp_gt_i64_e64 s[4:5], 0, v[0:1]
	v_not_b32_e32 v1, v1
	v_ashrrev_i32_e32 v1, 31, v1
	v_and_b32_e32 v39, exec_lo, v39
	v_xor_b32_e32 v95, s5, v1
	v_xor_b32_e32 v1, s4, v1
	v_and_b32_e32 v39, v39, v1
	v_lshlrev_b32_e32 v1, 29, v38
	v_cmp_gt_i64_e64 s[4:5], 0, v[0:1]
	v_not_b32_e32 v1, v1
	v_ashrrev_i32_e32 v1, 31, v1
	v_and_b32_e32 v94, v94, v95
	v_xor_b32_e32 v95, s5, v1
	v_xor_b32_e32 v1, s4, v1
	v_and_b32_e32 v39, v39, v1
	v_lshlrev_b32_e32 v1, 28, v38
	v_cmp_gt_i64_e64 s[4:5], 0, v[0:1]
	v_not_b32_e32 v1, v1
	v_ashrrev_i32_e32 v1, 31, v1
	v_and_b32_e32 v94, v94, v95
	;; [unrolled: 8-line block ×5, first 2 shown]
	v_xor_b32_e32 v95, s5, v1
	v_xor_b32_e32 v1, s4, v1
	v_and_b32_e32 v94, v94, v95
	v_and_b32_e32 v95, v39, v1
	v_lshlrev_b32_e32 v1, 24, v38
	v_cmp_gt_i64_e64 s[4:5], 0, v[0:1]
	v_not_b32_e32 v1, v1
	v_ashrrev_i32_e32 v1, 31, v1
	v_xor_b32_e32 v38, s5, v1
	v_xor_b32_e32 v1, s4, v1
	; wave barrier
	ds_read_b32 v92, v93 offset:32
	v_and_b32_e32 v39, v94, v38
	v_and_b32_e32 v38, v95, v1
	v_mbcnt_lo_u32_b32 v1, v38, 0
	v_mbcnt_hi_u32_b32 v94, v39, v1
	v_cmp_eq_u32_e64 s[4:5], 0, v94
	v_cmp_ne_u64_e64 s[46:47], 0, v[38:39]
	s_and_b64 s[46:47], s[46:47], s[4:5]
	; wave barrier
	s_and_saveexec_b64 s[4:5], s[46:47]
	s_cbranch_execz .LBB255_78
; %bb.77:
	v_bcnt_u32_b32 v1, v38, 0
	v_bcnt_u32_b32 v1, v39, v1
	s_waitcnt lgkmcnt(0)
	v_add_u32_e32 v1, v92, v1
	ds_write_b32 v93, v1 offset:32
.LBB255_78:
	s_or_b64 exec, exec, s[4:5]
	v_lshrrev_b16_e32 v1, 8, v69
	v_mov_b32_e32 v38, 0x80
	v_cmp_ne_u16_e64 s[4:5], s58, v69
	v_cndmask_b32_e64 v1, v38, v1, s[4:5]
	v_and_b32_e32 v39, s57, v1
	v_lshlrev_b32_e32 v1, 3, v39
	v_add_lshl_u32 v96, v1, v66, 2
	v_and_b32_e32 v1, 1, v39
	v_add_co_u32_e64 v97, s[4:5], -1, v1
	v_addc_co_u32_e64 v98, s[4:5], 0, -1, s[4:5]
	v_cmp_ne_u32_e64 s[4:5], 0, v1
	v_xor_b32_e32 v1, s5, v98
	v_and_b32_e32 v98, exec_hi, v1
	v_lshlrev_b32_e32 v1, 30, v39
	v_xor_b32_e32 v97, s4, v97
	v_cmp_gt_i64_e64 s[4:5], 0, v[0:1]
	v_not_b32_e32 v1, v1
	v_ashrrev_i32_e32 v1, 31, v1
	v_and_b32_e32 v97, exec_lo, v97
	v_xor_b32_e32 v99, s5, v1
	v_xor_b32_e32 v1, s4, v1
	v_and_b32_e32 v97, v97, v1
	v_lshlrev_b32_e32 v1, 29, v39
	v_cmp_gt_i64_e64 s[4:5], 0, v[0:1]
	v_not_b32_e32 v1, v1
	v_ashrrev_i32_e32 v1, 31, v1
	v_and_b32_e32 v98, v98, v99
	v_xor_b32_e32 v99, s5, v1
	v_xor_b32_e32 v1, s4, v1
	v_and_b32_e32 v97, v97, v1
	v_lshlrev_b32_e32 v1, 28, v39
	v_cmp_gt_i64_e64 s[4:5], 0, v[0:1]
	v_not_b32_e32 v1, v1
	v_ashrrev_i32_e32 v1, 31, v1
	v_and_b32_e32 v98, v98, v99
	;; [unrolled: 8-line block ×5, first 2 shown]
	v_xor_b32_e32 v99, s5, v1
	v_xor_b32_e32 v1, s4, v1
	v_and_b32_e32 v97, v97, v1
	v_lshlrev_b32_e32 v1, 24, v39
	v_cmp_gt_i64_e64 s[4:5], 0, v[0:1]
	v_not_b32_e32 v0, v1
	v_ashrrev_i32_e32 v0, 31, v0
	v_xor_b32_e32 v1, s5, v0
	v_xor_b32_e32 v0, s4, v0
	; wave barrier
	ds_read_b32 v95, v96 offset:32
	v_and_b32_e32 v98, v98, v99
	v_and_b32_e32 v0, v97, v0
	;; [unrolled: 1-line block ×3, first 2 shown]
	v_mbcnt_lo_u32_b32 v39, v0, 0
	v_mbcnt_hi_u32_b32 v97, v1, v39
	v_cmp_eq_u32_e64 s[4:5], 0, v97
	v_cmp_ne_u64_e64 s[46:47], 0, v[0:1]
	s_and_b64 s[46:47], s[46:47], s[4:5]
	; wave barrier
	s_and_saveexec_b64 s[4:5], s[46:47]
	s_cbranch_execz .LBB255_80
; %bb.79:
	v_bcnt_u32_b32 v0, v0, 0
	v_bcnt_u32_b32 v0, v1, v0
	s_waitcnt lgkmcnt(0)
	v_add_u32_e32 v0, v95, v0
	ds_write_b32 v96, v0 offset:32
.LBB255_80:
	s_or_b64 exec, exec, s[4:5]
	v_lshrrev_b16_e32 v0, 8, v40
	v_cmp_ne_u16_e64 s[4:5], s58, v40
	v_cndmask_b32_e64 v0, v38, v0, s[4:5]
	v_and_b32_e32 v38, s57, v0
	v_and_b32_e32 v1, 1, v38
	v_add_co_u32_e64 v39, s[4:5], -1, v1
	v_addc_co_u32_e64 v99, s[4:5], 0, -1, s[4:5]
	v_cmp_ne_u32_e64 s[4:5], 0, v1
	v_lshlrev_b32_e32 v0, 3, v38
	v_xor_b32_e32 v1, s5, v99
	v_add_lshl_u32 v98, v0, v66, 2
	v_mov_b32_e32 v0, 0
	v_and_b32_e32 v99, exec_hi, v1
	v_lshlrev_b32_e32 v1, 30, v38
	v_xor_b32_e32 v39, s4, v39
	v_cmp_gt_i64_e64 s[4:5], 0, v[0:1]
	v_not_b32_e32 v1, v1
	v_ashrrev_i32_e32 v1, 31, v1
	v_and_b32_e32 v39, exec_lo, v39
	v_xor_b32_e32 v100, s5, v1
	v_xor_b32_e32 v1, s4, v1
	v_and_b32_e32 v39, v39, v1
	v_lshlrev_b32_e32 v1, 29, v38
	v_cmp_gt_i64_e64 s[4:5], 0, v[0:1]
	v_not_b32_e32 v1, v1
	v_ashrrev_i32_e32 v1, 31, v1
	v_and_b32_e32 v99, v99, v100
	v_xor_b32_e32 v100, s5, v1
	v_xor_b32_e32 v1, s4, v1
	v_and_b32_e32 v39, v39, v1
	v_lshlrev_b32_e32 v1, 28, v38
	v_cmp_gt_i64_e64 s[4:5], 0, v[0:1]
	v_not_b32_e32 v1, v1
	v_ashrrev_i32_e32 v1, 31, v1
	v_and_b32_e32 v99, v99, v100
	;; [unrolled: 8-line block ×5, first 2 shown]
	v_xor_b32_e32 v100, s5, v1
	v_xor_b32_e32 v1, s4, v1
	v_and_b32_e32 v39, v39, v1
	v_lshlrev_b32_e32 v1, 24, v38
	v_cmp_gt_i64_e64 s[4:5], 0, v[0:1]
	v_not_b32_e32 v0, v1
	v_ashrrev_i32_e32 v0, 31, v0
	v_xor_b32_e32 v1, s5, v0
	v_xor_b32_e32 v0, s4, v0
	; wave barrier
	ds_read_b32 v66, v98 offset:32
	v_and_b32_e32 v99, v99, v100
	v_and_b32_e32 v0, v39, v0
	;; [unrolled: 1-line block ×3, first 2 shown]
	v_mbcnt_lo_u32_b32 v38, v0, 0
	v_mbcnt_hi_u32_b32 v99, v1, v38
	v_cmp_eq_u32_e64 s[4:5], 0, v99
	v_cmp_ne_u64_e64 s[46:47], 0, v[0:1]
	s_and_b64 s[46:47], s[46:47], s[4:5]
	; wave barrier
	s_and_saveexec_b64 s[4:5], s[46:47]
	s_cbranch_execz .LBB255_82
; %bb.81:
	v_bcnt_u32_b32 v0, v0, 0
	v_bcnt_u32_b32 v0, v1, v0
	s_waitcnt lgkmcnt(0)
	v_add_u32_e32 v0, v66, v0
	ds_write_b32 v98, v0 offset:32
.LBB255_82:
	s_or_b64 exec, exec, s[4:5]
	; wave barrier
	s_waitcnt lgkmcnt(0)
	s_barrier
	ds_read2_b32 v[38:39], v62 offset0:8 offset1:9
	ds_read2_b32 v[0:1], v67 offset0:2 offset1:3
	s_waitcnt lgkmcnt(1)
	v_add_u32_e32 v100, v39, v38
	s_waitcnt lgkmcnt(0)
	v_add3_u32 v1, v100, v0, v1
	s_nop 1
	v_mov_b32_dpp v100, v1 row_shr:1 row_mask:0xf bank_mask:0xf
	v_cndmask_b32_e64 v100, v100, 0, s[24:25]
	v_add_u32_e32 v1, v100, v1
	s_nop 1
	v_mov_b32_dpp v100, v1 row_shr:2 row_mask:0xf bank_mask:0xf
	v_cndmask_b32_e64 v100, 0, v100, s[26:27]
	v_add_u32_e32 v1, v1, v100
	s_nop 1
	v_mov_b32_dpp v100, v1 row_shr:4 row_mask:0xf bank_mask:0xf
	v_cndmask_b32_e64 v100, 0, v100, s[30:31]
	v_add_u32_e32 v1, v1, v100
	s_nop 1
	v_mov_b32_dpp v100, v1 row_shr:8 row_mask:0xf bank_mask:0xf
	v_cndmask_b32_e64 v100, 0, v100, s[34:35]
	v_add_u32_e32 v1, v1, v100
	s_nop 1
	v_mov_b32_dpp v100, v1 row_bcast:15 row_mask:0xf bank_mask:0xf
	v_cndmask_b32_e64 v100, v100, 0, vcc
	v_add_u32_e32 v1, v1, v100
	s_nop 1
	v_mov_b32_dpp v100, v1 row_bcast:31 row_mask:0xf bank_mask:0xf
	v_cndmask_b32_e64 v100, 0, v100, s[36:37]
	v_add_u32_e32 v100, v1, v100
	s_and_saveexec_b64 s[4:5], s[16:17]
	s_cbranch_execz .LBB255_84
; %bb.83:
	ds_write_b32 v68, v100
.LBB255_84:
	s_or_b64 exec, exec, s[4:5]
	s_waitcnt lgkmcnt(0)
	s_barrier
	s_and_saveexec_b64 s[4:5], s[28:29]
	s_cbranch_execz .LBB255_86
; %bb.85:
	ds_read_b32 v1, v41
	s_waitcnt lgkmcnt(0)
	s_nop 0
	v_mov_b32_dpp v68, v1 row_shr:1 row_mask:0xf bank_mask:0xf
	v_cndmask_b32_e64 v68, v68, 0, s[22:23]
	v_add_u32_e32 v1, v68, v1
	s_nop 1
	v_mov_b32_dpp v68, v1 row_shr:2 row_mask:0xf bank_mask:0xf
	v_cndmask_b32_e64 v68, 0, v68, s[20:21]
	v_add_u32_e32 v1, v1, v68
	;; [unrolled: 4-line block ×3, first 2 shown]
	ds_write_b32 v41, v1
.LBB255_86:
	s_or_b64 exec, exec, s[4:5]
	v_mov_b32_e32 v1, 0
	v_mov_b32_e32 v41, 0
	s_waitcnt lgkmcnt(0)
	s_barrier
	s_and_saveexec_b64 s[4:5], s[38:39]
	s_cbranch_execz .LBB255_88
; %bb.87:
	ds_read_b32 v41, v78
.LBB255_88:
	s_or_b64 exec, exec, s[4:5]
	s_waitcnt lgkmcnt(0)
	v_add_u32_e32 v68, v41, v100
	ds_bpermute_b32 v68, v79, v68
	s_mov_b32 s16, 0x5040100
	s_waitcnt lgkmcnt(0)
	v_cndmask_b32_e64 v41, v68, v41, s[40:41]
	v_cndmask_b32_e64 v41, v41, 0, s[42:43]
	v_add_u32_e32 v38, v41, v38
	v_add_u32_e32 v39, v38, v39
	v_add_u32_e32 v0, v39, v0
	ds_write2_b32 v62, v41, v38 offset0:8 offset1:9
	ds_write2_b32 v67, v39, v0 offset0:2 offset1:3
	s_waitcnt lgkmcnt(0)
	s_barrier
	ds_read_b32 v0, v98 offset:32
	ds_read_b32 v38, v96 offset:32
	;; [unrolled: 1-line block ×4, first 2 shown]
	s_waitcnt lgkmcnt(3)
	v_add3_u32 v0, v99, v66, v0
	ds_read_b32 v66, v87 offset:32
	ds_read_b32 v67, v84 offset:32
	;; [unrolled: 1-line block ×4, first 2 shown]
	s_waitcnt lgkmcnt(0)
	s_barrier
	v_add3_u32 v67, v85, v83, v67
	v_add3_u32 v68, v82, v80, v68
	v_add_u32_e32 v76, v76, v77
	v_lshlrev_b32_e32 v77, 1, v76
	ds_write_b16 v77, v75
	v_lshlrev_b32_e32 v75, 1, v68
	v_add3_u32 v66, v88, v86, v66
	ds_write_b16 v75, v74
	v_lshlrev_b32_e32 v74, 1, v67
	v_add3_u32 v41, v91, v89, v41
	;; [unrolled: 3-line block ×4, first 2 shown]
	ds_write_b16 v72, v71
	v_lshlrev_b32_e32 v71, 1, v39
	ds_write_b16 v71, v70
	v_lshlrev_b32_e32 v70, 1, v38
	;; [unrolled: 2-line block ×4, first 2 shown]
	s_waitcnt lgkmcnt(0)
	s_barrier
	v_lshlrev_b32_e32 v70, 3, v41
	v_lshlrev_b32_e32 v71, 3, v39
	;; [unrolled: 1-line block ×3, first 2 shown]
	ds_read_b128 v[38:41], v40
	v_mov_b32_e32 v75, 0xffff8000
	v_lshlrev_b32_e32 v69, 3, v76
	v_lshlrev_b32_e32 v73, 3, v60
	v_lshlrev_b32_e32 v68, 3, v68
	s_waitcnt lgkmcnt(0)
	v_cmp_lt_i16_sdwa vcc, v38, v1 src0_sel:WORD_1 src1_sel:DWORD
	v_cndmask_b32_e32 v76, -1, v75, vcc
	v_cmp_gt_i16_e32 vcc, 0, v38
	v_lshlrev_b32_e32 v67, 3, v67
	v_lshlrev_b32_e32 v66, 3, v66
	;; [unrolled: 1-line block ×3, first 2 shown]
	v_cndmask_b32_e32 v77, -1, v75, vcc
	v_cmp_lt_i16_e32 vcc, -1, v39
	s_barrier
	ds_write_b64 v69, v[34:35]
	ds_write_b64 v68, v[36:37]
	;; [unrolled: 1-line block ×8, first 2 shown]
	s_waitcnt lgkmcnt(0)
	s_barrier
	ds_read2_b64 v[22:25], v73 offset1:1
	ds_read2_b64 v[26:29], v73 offset0:2 offset1:3
	ds_read2_b64 v[30:33], v73 offset0:4 offset1:5
	;; [unrolled: 1-line block ×3, first 2 shown]
	v_mov_b32_e32 v74, -1
	v_cndmask_b32_e64 v79, v75, -1, vcc
	v_cmp_lt_i16_sdwa vcc, v40, v1 src0_sel:WORD_1 src1_sel:DWORD
	v_cmp_gt_i16_sdwa s[4:5], v39, v74 src0_sel:WORD_1 src1_sel:DWORD
	v_cndmask_b32_e32 v0, -1, v75, vcc
	v_cmp_gt_i16_e32 vcc, 0, v40
	v_cndmask_b32_e64 v78, v75, -1, s[4:5]
	v_cndmask_b32_e32 v1, -1, v75, vcc
	v_cmp_gt_i16_sdwa s[4:5], v41, v74 src0_sel:WORD_1 src1_sel:DWORD
	v_cmp_lt_i16_e32 vcc, -1, v41
	v_cndmask_b32_e64 v66, v75, -1, s[4:5]
	v_cndmask_b32_e64 v67, v75, -1, vcc
	v_xor_b32_e32 v79, v79, v39
	v_xor_b32_sdwa v39, v78, v39 dst_sel:DWORD dst_unused:UNUSED_PAD src0_sel:DWORD src1_sel:WORD_1
	v_xor_b32_e32 v77, v77, v38
	v_xor_b32_sdwa v38, v76, v38 dst_sel:DWORD dst_unused:UNUSED_PAD src0_sel:DWORD src1_sel:WORD_1
	;; [unrolled: 2-line block ×4, first 2 shown]
	v_perm_b32 v39, v39, v79, s16
	v_perm_b32 v38, v38, v77, s16
	;; [unrolled: 1-line block ×4, first 2 shown]
	s_branch .LBB255_142
.LBB255_89:
	v_mad_u64_u32 v[2:3], s[16:17], v42, s50, 0
	v_mov_b32_e32 v4, v3
	v_mad_u64_u32 v[4:5], s[16:17], v42, s51, v[4:5]
	v_mov_b32_e32 v3, v4
	v_lshlrev_b64 v[2:3], 3, v[2:3]
	v_mov_b32_e32 v4, s56
	v_add_co_u32_e32 v2, vcc, s55, v2
	v_addc_co_u32_e32 v3, vcc, v4, v3, vcc
	global_load_dwordx2 v[2:3], v[2:3], off
	v_mov_b32_e32 v4, 0
	v_mov_b32_e32 v5, v4
	;; [unrolled: 1-line block ×14, first 2 shown]
	s_or_b64 exec, exec, s[4:5]
	s_and_saveexec_b64 s[4:5], s[2:3]
	s_cbranch_execz .LBB255_36
.LBB255_90:
	v_mad_u64_u32 v[4:5], s[16:17], v33, s50, 0
	v_mov_b32_e32 v38, v5
	v_mad_u64_u32 v[38:39], s[16:17], v33, s51, v[38:39]
	v_mov_b32_e32 v5, v38
	v_lshlrev_b64 v[4:5], 3, v[4:5]
	v_mov_b32_e32 v33, s56
	v_add_co_u32_e32 v4, vcc, s55, v4
	v_addc_co_u32_e32 v5, vcc, v33, v5, vcc
	global_load_dwordx2 v[4:5], v[4:5], off
	s_or_b64 exec, exec, s[4:5]
	s_and_saveexec_b64 s[4:5], s[44:45]
	s_cbranch_execz .LBB255_37
.LBB255_91:
	v_mad_u64_u32 v[6:7], s[16:17], v31, s50, 0
	v_mov_b32_e32 v38, v7
	v_mad_u64_u32 v[38:39], s[16:17], v31, s51, v[38:39]
	v_mov_b32_e32 v7, v38
	v_lshlrev_b64 v[6:7], 3, v[6:7]
	v_mov_b32_e32 v31, s56
	v_add_co_u32_e32 v6, vcc, s55, v6
	v_addc_co_u32_e32 v7, vcc, v31, v7, vcc
	global_load_dwordx2 v[6:7], v[6:7], off
	s_or_b64 exec, exec, s[4:5]
	s_and_saveexec_b64 s[4:5], s[6:7]
	s_cbranch_execz .LBB255_38
.LBB255_92:
	v_mad_u64_u32 v[8:9], s[16:17], v28, s50, 0
	v_mov_b32_e32 v38, v9
	v_mad_u64_u32 v[38:39], s[16:17], v28, s51, v[38:39]
	v_mov_b32_e32 v9, v38
	v_lshlrev_b64 v[8:9], 3, v[8:9]
	v_mov_b32_e32 v28, s56
	v_add_co_u32_e32 v8, vcc, s55, v8
	v_addc_co_u32_e32 v9, vcc, v28, v9, vcc
	global_load_dwordx2 v[8:9], v[8:9], off
	s_or_b64 exec, exec, s[4:5]
	s_and_saveexec_b64 s[4:5], s[8:9]
	s_cbranch_execz .LBB255_39
.LBB255_93:
	v_mad_u64_u32 v[10:11], s[16:17], v25, s50, 0
	v_mov_b32_e32 v28, v11
	v_mad_u64_u32 v[38:39], s[16:17], v25, s51, v[28:29]
	v_mov_b32_e32 v11, v38
	v_lshlrev_b64 v[10:11], 3, v[10:11]
	v_mov_b32_e32 v25, s56
	v_add_co_u32_e32 v10, vcc, s55, v10
	v_addc_co_u32_e32 v11, vcc, v25, v11, vcc
	global_load_dwordx2 v[10:11], v[10:11], off
	s_or_b64 exec, exec, s[4:5]
	s_and_saveexec_b64 s[4:5], s[10:11]
	s_cbranch_execz .LBB255_40
.LBB255_94:
	v_mad_u64_u32 v[12:13], s[16:17], v23, s50, 0
	v_mov_b32_e32 v28, v13
	v_mad_u64_u32 v[38:39], s[16:17], v23, s51, v[28:29]
	v_mov_b32_e32 v13, v38
	v_lshlrev_b64 v[12:13], 3, v[12:13]
	v_mov_b32_e32 v23, s56
	v_add_co_u32_e32 v12, vcc, s55, v12
	v_addc_co_u32_e32 v13, vcc, v23, v13, vcc
	global_load_dwordx2 v[12:13], v[12:13], off
	s_or_b64 exec, exec, s[4:5]
	s_and_saveexec_b64 s[4:5], s[12:13]
	s_cbranch_execz .LBB255_41
.LBB255_95:
	v_mad_u64_u32 v[14:15], s[16:17], v22, s50, 0
	v_mov_b32_e32 v28, v15
	v_mad_u64_u32 v[22:23], s[16:17], v22, s51, v[28:29]
	v_mov_b32_e32 v15, v22
	v_lshlrev_b64 v[14:15], 3, v[14:15]
	v_mov_b32_e32 v22, s56
	v_add_co_u32_e32 v14, vcc, s55, v14
	v_addc_co_u32_e32 v15, vcc, v22, v15, vcc
	global_load_dwordx2 v[14:15], v[14:15], off
	s_or_b64 exec, exec, s[4:5]
	s_xor_b64 s[4:5], s[34:35], -1
	s_and_saveexec_b64 s[16:17], s[14:15]
	s_cbranch_execnz .LBB255_42
	s_branch .LBB255_43
.LBB255_96:
                                        ; implicit-def: $vgpr36_vgpr37
                                        ; implicit-def: $vgpr32_vgpr33
                                        ; implicit-def: $vgpr28_vgpr29
                                        ; implicit-def: $vgpr24_vgpr25
                                        ; implicit-def: $vgpr40_vgpr41
	s_cbranch_execz .LBB255_142
; %bb.97:
	s_waitcnt lgkmcnt(3)
	v_mov_b32_e32 v22, 0
	s_waitcnt lgkmcnt(0)
	v_mov_b32_e32 v35, 0x7fff
	v_cmp_gt_i16_e32 vcc, 0, v19
	v_cmp_lt_i16_sdwa s[4:5], v19, v22 src0_sel:WORD_1 src1_sel:DWORD
	v_cndmask_b32_e64 v23, v35, 0, vcc
	v_cmp_gt_i16_e32 vcc, 0, v18
	v_cndmask_b32_e64 v25, v35, 0, s[4:5]
	v_cmp_lt_i16_sdwa s[4:5], v18, v22 src0_sel:WORD_1 src1_sel:DWORD
	v_cndmask_b32_e64 v24, v35, 0, vcc
	v_cndmask_b32_e64 v27, v35, 0, s[4:5]
	v_cmp_gt_i16_e32 vcc, 0, v21
	v_cmp_lt_i16_sdwa s[4:5], v21, v22 src0_sel:WORD_1 src1_sel:DWORD
	v_xor_b32_sdwa v25, v25, v19 dst_sel:DWORD dst_unused:UNUSED_PAD src0_sel:DWORD src1_sel:WORD_1
	v_xor_b32_e32 v19, v23, v19
	v_cndmask_b32_e64 v23, v35, 0, vcc
	v_cmp_gt_i16_e32 vcc, 0, v20
	v_cndmask_b32_e64 v28, v35, 0, s[4:5]
	v_cmp_lt_i16_sdwa s[4:5], v20, v22 src0_sel:WORD_1 src1_sel:DWORD
	v_mbcnt_hi_u32_b32 v26, -1, v65
	v_and_b32_e32 v34, 0x3c0, v42
	v_xor_b32_sdwa v27, v27, v18 dst_sel:DWORD dst_unused:UNUSED_PAD src0_sel:DWORD src1_sel:WORD_1
	v_xor_b32_e32 v18, v24, v18
	v_cndmask_b32_e64 v24, v35, 0, vcc
	v_cndmask_b32_e64 v29, v35, 0, s[4:5]
	v_add_u32_e32 v0, v26, v34
	v_xor_b32_sdwa v29, v29, v20 dst_sel:DWORD dst_unused:UNUSED_PAD src0_sel:DWORD src1_sel:WORD_1
	v_xor_b32_sdwa v28, v28, v21 dst_sel:DWORD dst_unused:UNUSED_PAD src0_sel:DWORD src1_sel:WORD_1
	v_xor_b32_e32 v20, v24, v20
	v_xor_b32_e32 v21, v23, v21
	s_mov_b32 s4, 0x5040100
	v_lshlrev_b32_e32 v1, 4, v0
	v_perm_b32 v21, v28, v21, s4
	v_perm_b32 v20, v29, v20, s4
	;; [unrolled: 1-line block ×4, first 2 shown]
	v_and_b32_e32 v36, 0x1e00, v60
	ds_write_b128 v1, v[18:21]
	v_or_b32_e32 v1, v26, v36
	v_lshlrev_b32_e32 v18, 1, v1
	v_lshlrev_b32_e32 v0, 6, v0
	; wave barrier
	ds_read_u16 v33, v18
	ds_read_u16 v32, v18 offset:128
	ds_read_u16 v31, v18 offset:256
	ds_read_u16 v30, v18 offset:384
	ds_read_u16 v29, v18 offset:512
	ds_read_u16 v28, v18 offset:640
	ds_read_u16 v27, v18 offset:768
	ds_read_u16 v25, v18 offset:896
	s_waitcnt lgkmcnt(0)
	s_barrier
	ds_write2_b64 v0, v[14:15], v[16:17] offset1:1
	ds_write2_b64 v0, v[10:11], v[12:13] offset0:2 offset1:3
	ds_write2_b64 v0, v[6:7], v[8:9] offset0:4 offset1:5
	;; [unrolled: 1-line block ×3, first 2 shown]
	v_lshlrev_b32_e32 v0, 3, v1
	; wave barrier
	ds_read2st64_b64 v[12:15], v0 offset1:1
	ds_read2st64_b64 v[8:11], v0 offset0:2 offset1:3
	ds_read2st64_b64 v[4:7], v0 offset0:4 offset1:5
	;; [unrolled: 1-line block ×3, first 2 shown]
	s_waitcnt lgkmcnt(0)
	s_barrier
	s_load_dword s16, s[52:53], 0xc
	s_getpc_b64 s[4:5]
	s_add_u32 s4, s4, _ZN7rocprim17ROCPRIM_400000_NS16block_radix_sortI12hip_bfloat16Lj512ELj8ElLj1ELj1ELj0ELNS0_26block_radix_rank_algorithmE1ELNS0_18block_padding_hintE2ELNS0_4arch9wavefront6targetE1EE19radix_bits_per_passE@rel32@lo+4
	s_addc_u32 s5, s5, _ZN7rocprim17ROCPRIM_400000_NS16block_radix_sortI12hip_bfloat16Lj512ELj8ElLj1ELj1ELj0ELNS0_26block_radix_rank_algorithmE1ELNS0_18block_padding_hintE2ELNS0_4arch9wavefront6targetE1EE19radix_bits_per_passE@rel32@hi+12
	s_load_dword s46, s[4:5], 0x0
	s_movk_i32 s17, 0x8000
	v_cmp_ne_u16_e32 vcc, s17, v33
	s_waitcnt lgkmcnt(0)
	s_lshr_b32 s4, s16, 16
	s_and_b32 s5, s16, 0xffff
	v_mad_u32_u24 v16, v64, s4, v63
	v_mad_u64_u32 v[16:17], s[4:5], v16, s5, v[42:43]
	s_min_u32 s4, s46, 16
	s_lshl_b32 s4, -1, s4
	v_lshrrev_b32_e32 v24, 6, v16
	s_not_b32 s16, s4
	v_cndmask_b32_e32 v16, v35, v33, vcc
	v_and_b32_sdwa v16, s16, v16 dst_sel:DWORD dst_unused:UNUSED_PAD src0_sel:DWORD src1_sel:WORD_0
	v_lshlrev_b32_e32 v17, 3, v16
	v_add_lshl_u32 v37, v24, v17, 2
	v_and_b32_e32 v17, 1, v16
	v_add_co_u32_e32 v18, vcc, -1, v17
	v_addc_co_u32_e64 v19, s[4:5], 0, -1, vcc
	v_cmp_ne_u32_e32 vcc, 0, v17
	v_lshlrev_b32_e32 v23, 30, v16
	v_xor_b32_e32 v17, vcc_hi, v19
	v_not_b32_e32 v19, v23
	v_xor_b32_e32 v18, vcc_lo, v18
	v_cmp_gt_i64_e32 vcc, 0, v[22:23]
	v_ashrrev_i32_e32 v19, 31, v19
	v_and_b32_e32 v18, exec_lo, v18
	v_xor_b32_e32 v20, vcc_hi, v19
	v_xor_b32_e32 v19, vcc_lo, v19
	v_lshlrev_b32_e32 v23, 29, v16
	v_and_b32_e32 v18, v18, v19
	v_not_b32_e32 v19, v23
	v_and_b32_e32 v17, exec_hi, v17
	v_cmp_gt_i64_e32 vcc, 0, v[22:23]
	v_ashrrev_i32_e32 v19, 31, v19
	v_and_b32_e32 v17, v17, v20
	v_xor_b32_e32 v20, vcc_hi, v19
	v_xor_b32_e32 v19, vcc_lo, v19
	v_lshlrev_b32_e32 v23, 28, v16
	v_and_b32_e32 v18, v18, v19
	v_not_b32_e32 v19, v23
	v_cmp_gt_i64_e32 vcc, 0, v[22:23]
	v_ashrrev_i32_e32 v19, 31, v19
	v_and_b32_e32 v17, v17, v20
	v_xor_b32_e32 v20, vcc_hi, v19
	v_xor_b32_e32 v19, vcc_lo, v19
	v_lshlrev_b32_e32 v23, 27, v16
	v_and_b32_e32 v18, v18, v19
	v_not_b32_e32 v19, v23
	;; [unrolled: 8-line block ×3, first 2 shown]
	v_cmp_gt_i64_e32 vcc, 0, v[22:23]
	v_ashrrev_i32_e32 v19, 31, v19
	v_and_b32_e32 v17, v17, v20
	v_xor_b32_e32 v20, vcc_hi, v19
	v_xor_b32_e32 v19, vcc_lo, v19
	v_lshlrev_b32_e32 v23, 25, v16
	v_and_b32_e32 v18, v18, v19
	v_cmp_gt_i64_e32 vcc, 0, v[22:23]
	v_not_b32_e32 v19, v23
	v_lshlrev_b32_e32 v23, 24, v16
	v_ashrrev_i32_e32 v19, 31, v19
	v_not_b32_e32 v16, v23
	v_and_b32_e32 v17, v17, v20
	v_xor_b32_e32 v20, vcc_hi, v19
	v_xor_b32_e32 v19, vcc_lo, v19
	v_cmp_gt_i64_e32 vcc, 0, v[22:23]
	v_ashrrev_i32_e32 v16, 31, v16
	v_and_b32_e32 v18, v18, v19
	v_xor_b32_e32 v19, vcc_hi, v16
	v_xor_b32_e32 v16, vcc_lo, v16
	v_and_b32_e32 v17, v17, v20
	v_and_b32_e32 v16, v18, v16
	;; [unrolled: 1-line block ×3, first 2 shown]
	v_mbcnt_lo_u32_b32 v18, v16, 0
	v_mbcnt_hi_u32_b32 v38, v17, v18
	v_cmp_eq_u32_e32 vcc, 0, v38
	v_cmp_ne_u64_e64 s[4:5], 0, v[16:17]
	s_and_b64 s[18:19], s[4:5], vcc
	ds_write2_b32 v62, v22, v22 offset0:8 offset1:9
	ds_write2_b32 v62, v22, v22 offset0:10 offset1:11
	s_waitcnt lgkmcnt(0)
	s_barrier
	s_waitcnt lgkmcnt(0)
	; wave barrier
	s_and_saveexec_b64 s[4:5], s[18:19]
	s_cbranch_execz .LBB255_99
; %bb.98:
	v_bcnt_u32_b32 v16, v16, 0
	v_bcnt_u32_b32 v16, v17, v16
	ds_write_b32 v37, v16 offset:32
.LBB255_99:
	s_or_b64 exec, exec, s[4:5]
	v_cmp_ne_u16_e32 vcc, s17, v32
	v_cndmask_b32_e32 v16, v35, v32, vcc
	v_and_b32_sdwa v16, s16, v16 dst_sel:DWORD dst_unused:UNUSED_PAD src0_sel:DWORD src1_sel:WORD_0
	v_lshlrev_b32_e32 v17, 3, v16
	v_add_lshl_u32 v40, v24, v17, 2
	v_and_b32_e32 v17, 1, v16
	v_add_co_u32_e32 v18, vcc, -1, v17
	v_addc_co_u32_e64 v19, s[4:5], 0, -1, vcc
	v_cmp_ne_u32_e32 vcc, 0, v17
	v_lshlrev_b32_e32 v23, 30, v16
	v_xor_b32_e32 v17, vcc_hi, v19
	v_not_b32_e32 v19, v23
	v_xor_b32_e32 v18, vcc_lo, v18
	v_cmp_gt_i64_e32 vcc, 0, v[22:23]
	v_ashrrev_i32_e32 v19, 31, v19
	v_and_b32_e32 v18, exec_lo, v18
	v_xor_b32_e32 v20, vcc_hi, v19
	v_xor_b32_e32 v19, vcc_lo, v19
	v_lshlrev_b32_e32 v23, 29, v16
	v_and_b32_e32 v18, v18, v19
	v_not_b32_e32 v19, v23
	v_and_b32_e32 v17, exec_hi, v17
	v_cmp_gt_i64_e32 vcc, 0, v[22:23]
	v_ashrrev_i32_e32 v19, 31, v19
	v_and_b32_e32 v17, v17, v20
	v_xor_b32_e32 v20, vcc_hi, v19
	v_xor_b32_e32 v19, vcc_lo, v19
	v_lshlrev_b32_e32 v23, 28, v16
	v_and_b32_e32 v18, v18, v19
	v_not_b32_e32 v19, v23
	v_cmp_gt_i64_e32 vcc, 0, v[22:23]
	v_ashrrev_i32_e32 v19, 31, v19
	v_and_b32_e32 v17, v17, v20
	v_xor_b32_e32 v20, vcc_hi, v19
	v_xor_b32_e32 v19, vcc_lo, v19
	v_lshlrev_b32_e32 v23, 27, v16
	v_and_b32_e32 v18, v18, v19
	v_not_b32_e32 v19, v23
	;; [unrolled: 8-line block ×3, first 2 shown]
	v_cmp_gt_i64_e32 vcc, 0, v[22:23]
	v_ashrrev_i32_e32 v19, 31, v19
	v_and_b32_e32 v17, v17, v20
	v_xor_b32_e32 v20, vcc_hi, v19
	v_xor_b32_e32 v19, vcc_lo, v19
	v_lshlrev_b32_e32 v23, 25, v16
	v_and_b32_e32 v18, v18, v19
	v_cmp_gt_i64_e32 vcc, 0, v[22:23]
	v_not_b32_e32 v19, v23
	v_lshlrev_b32_e32 v23, 24, v16
	v_ashrrev_i32_e32 v19, 31, v19
	v_not_b32_e32 v16, v23
	v_and_b32_e32 v17, v17, v20
	v_xor_b32_e32 v20, vcc_hi, v19
	v_xor_b32_e32 v19, vcc_lo, v19
	v_cmp_gt_i64_e32 vcc, 0, v[22:23]
	v_ashrrev_i32_e32 v16, 31, v16
	v_and_b32_e32 v18, v18, v19
	v_xor_b32_e32 v19, vcc_hi, v16
	v_xor_b32_e32 v16, vcc_lo, v16
	; wave barrier
	ds_read_b32 v39, v40 offset:32
	v_and_b32_e32 v17, v17, v20
	v_and_b32_e32 v16, v18, v16
	;; [unrolled: 1-line block ×3, first 2 shown]
	v_mbcnt_lo_u32_b32 v18, v16, 0
	v_mbcnt_hi_u32_b32 v41, v17, v18
	v_cmp_eq_u32_e32 vcc, 0, v41
	v_cmp_ne_u64_e64 s[4:5], 0, v[16:17]
	s_and_b64 s[18:19], s[4:5], vcc
	; wave barrier
	s_and_saveexec_b64 s[4:5], s[18:19]
	s_cbranch_execz .LBB255_101
; %bb.100:
	v_bcnt_u32_b32 v16, v16, 0
	v_bcnt_u32_b32 v16, v17, v16
	s_waitcnt lgkmcnt(0)
	v_add_u32_e32 v16, v39, v16
	ds_write_b32 v40, v16 offset:32
.LBB255_101:
	s_or_b64 exec, exec, s[4:5]
	v_mov_b32_e32 v20, 0x7fff
	v_cmp_ne_u16_e32 vcc, s17, v31
	v_cndmask_b32_e32 v16, v20, v31, vcc
	v_and_b32_sdwa v18, s16, v16 dst_sel:DWORD dst_unused:UNUSED_PAD src0_sel:DWORD src1_sel:WORD_0
	v_and_b32_e32 v17, 1, v18
	v_add_co_u32_e32 v19, vcc, -1, v17
	v_addc_co_u32_e64 v21, s[4:5], 0, -1, vcc
	v_cmp_ne_u32_e32 vcc, 0, v17
	v_lshlrev_b32_e32 v16, 3, v18
	v_xor_b32_e32 v17, vcc_hi, v21
	v_add_lshl_u32 v64, v24, v16, 2
	v_mov_b32_e32 v16, 0
	v_and_b32_e32 v21, exec_hi, v17
	v_lshlrev_b32_e32 v17, 30, v18
	v_xor_b32_e32 v19, vcc_lo, v19
	v_cmp_gt_i64_e32 vcc, 0, v[16:17]
	v_not_b32_e32 v17, v17
	v_ashrrev_i32_e32 v17, 31, v17
	v_and_b32_e32 v19, exec_lo, v19
	v_xor_b32_e32 v22, vcc_hi, v17
	v_xor_b32_e32 v17, vcc_lo, v17
	v_and_b32_e32 v19, v19, v17
	v_lshlrev_b32_e32 v17, 29, v18
	v_cmp_gt_i64_e32 vcc, 0, v[16:17]
	v_not_b32_e32 v17, v17
	v_ashrrev_i32_e32 v17, 31, v17
	v_and_b32_e32 v21, v21, v22
	v_xor_b32_e32 v22, vcc_hi, v17
	v_xor_b32_e32 v17, vcc_lo, v17
	v_and_b32_e32 v19, v19, v17
	v_lshlrev_b32_e32 v17, 28, v18
	v_cmp_gt_i64_e32 vcc, 0, v[16:17]
	v_not_b32_e32 v17, v17
	v_ashrrev_i32_e32 v17, 31, v17
	v_and_b32_e32 v21, v21, v22
	;; [unrolled: 8-line block ×5, first 2 shown]
	v_xor_b32_e32 v22, vcc_hi, v17
	v_xor_b32_e32 v17, vcc_lo, v17
	v_and_b32_e32 v21, v21, v22
	v_and_b32_e32 v22, v19, v17
	v_lshlrev_b32_e32 v17, 24, v18
	v_cmp_gt_i64_e32 vcc, 0, v[16:17]
	v_not_b32_e32 v17, v17
	v_ashrrev_i32_e32 v17, 31, v17
	v_xor_b32_e32 v18, vcc_hi, v17
	v_xor_b32_e32 v17, vcc_lo, v17
	; wave barrier
	ds_read_b32 v63, v64 offset:32
	v_and_b32_e32 v19, v21, v18
	v_and_b32_e32 v18, v22, v17
	v_mbcnt_lo_u32_b32 v17, v18, 0
	v_mbcnt_hi_u32_b32 v65, v19, v17
	v_cmp_eq_u32_e32 vcc, 0, v65
	v_cmp_ne_u64_e64 s[4:5], 0, v[18:19]
	s_and_b64 s[18:19], s[4:5], vcc
	; wave barrier
	s_and_saveexec_b64 s[4:5], s[18:19]
	s_cbranch_execz .LBB255_103
; %bb.102:
	v_bcnt_u32_b32 v17, v18, 0
	v_bcnt_u32_b32 v17, v19, v17
	s_waitcnt lgkmcnt(0)
	v_add_u32_e32 v17, v63, v17
	ds_write_b32 v64, v17 offset:32
.LBB255_103:
	s_or_b64 exec, exec, s[4:5]
	v_cmp_ne_u16_e32 vcc, s17, v30
	v_cndmask_b32_e32 v17, v20, v30, vcc
	v_and_b32_sdwa v18, s16, v17 dst_sel:DWORD dst_unused:UNUSED_PAD src0_sel:DWORD src1_sel:WORD_0
	v_lshlrev_b32_e32 v17, 3, v18
	v_add_lshl_u32 v67, v24, v17, 2
	v_and_b32_e32 v17, 1, v18
	v_add_co_u32_e32 v19, vcc, -1, v17
	v_addc_co_u32_e64 v20, s[4:5], 0, -1, vcc
	v_cmp_ne_u32_e32 vcc, 0, v17
	v_xor_b32_e32 v17, vcc_hi, v20
	v_and_b32_e32 v20, exec_hi, v17
	v_lshlrev_b32_e32 v17, 30, v18
	v_xor_b32_e32 v19, vcc_lo, v19
	v_cmp_gt_i64_e32 vcc, 0, v[16:17]
	v_not_b32_e32 v17, v17
	v_ashrrev_i32_e32 v17, 31, v17
	v_and_b32_e32 v19, exec_lo, v19
	v_xor_b32_e32 v21, vcc_hi, v17
	v_xor_b32_e32 v17, vcc_lo, v17
	v_and_b32_e32 v19, v19, v17
	v_lshlrev_b32_e32 v17, 29, v18
	v_cmp_gt_i64_e32 vcc, 0, v[16:17]
	v_not_b32_e32 v17, v17
	v_ashrrev_i32_e32 v17, 31, v17
	v_and_b32_e32 v20, v20, v21
	v_xor_b32_e32 v21, vcc_hi, v17
	v_xor_b32_e32 v17, vcc_lo, v17
	v_and_b32_e32 v19, v19, v17
	v_lshlrev_b32_e32 v17, 28, v18
	v_cmp_gt_i64_e32 vcc, 0, v[16:17]
	v_not_b32_e32 v17, v17
	v_ashrrev_i32_e32 v17, 31, v17
	v_and_b32_e32 v20, v20, v21
	;; [unrolled: 8-line block ×5, first 2 shown]
	v_xor_b32_e32 v21, vcc_hi, v17
	v_xor_b32_e32 v17, vcc_lo, v17
	v_and_b32_e32 v19, v19, v17
	v_lshlrev_b32_e32 v17, 24, v18
	v_cmp_gt_i64_e32 vcc, 0, v[16:17]
	v_not_b32_e32 v16, v17
	v_ashrrev_i32_e32 v16, 31, v16
	v_xor_b32_e32 v17, vcc_hi, v16
	v_xor_b32_e32 v16, vcc_lo, v16
	; wave barrier
	ds_read_b32 v66, v67 offset:32
	v_and_b32_e32 v20, v20, v21
	v_and_b32_e32 v16, v19, v16
	;; [unrolled: 1-line block ×3, first 2 shown]
	v_mbcnt_lo_u32_b32 v18, v16, 0
	v_mbcnt_hi_u32_b32 v68, v17, v18
	v_cmp_eq_u32_e32 vcc, 0, v68
	v_cmp_ne_u64_e64 s[4:5], 0, v[16:17]
	s_and_b64 s[18:19], s[4:5], vcc
	; wave barrier
	s_and_saveexec_b64 s[4:5], s[18:19]
	s_cbranch_execz .LBB255_105
; %bb.104:
	v_bcnt_u32_b32 v16, v16, 0
	v_bcnt_u32_b32 v16, v17, v16
	s_waitcnt lgkmcnt(0)
	v_add_u32_e32 v16, v66, v16
	ds_write_b32 v67, v16 offset:32
.LBB255_105:
	s_or_b64 exec, exec, s[4:5]
	v_mov_b32_e32 v20, 0x7fff
	v_cmp_ne_u16_e32 vcc, s17, v29
	v_cndmask_b32_e32 v16, v20, v29, vcc
	v_and_b32_sdwa v18, s16, v16 dst_sel:DWORD dst_unused:UNUSED_PAD src0_sel:DWORD src1_sel:WORD_0
	v_and_b32_e32 v17, 1, v18
	v_add_co_u32_e32 v19, vcc, -1, v17
	v_addc_co_u32_e64 v21, s[4:5], 0, -1, vcc
	v_cmp_ne_u32_e32 vcc, 0, v17
	v_lshlrev_b32_e32 v16, 3, v18
	v_xor_b32_e32 v17, vcc_hi, v21
	v_add_lshl_u32 v70, v24, v16, 2
	v_mov_b32_e32 v16, 0
	v_and_b32_e32 v21, exec_hi, v17
	v_lshlrev_b32_e32 v17, 30, v18
	v_xor_b32_e32 v19, vcc_lo, v19
	v_cmp_gt_i64_e32 vcc, 0, v[16:17]
	v_not_b32_e32 v17, v17
	v_ashrrev_i32_e32 v17, 31, v17
	v_and_b32_e32 v19, exec_lo, v19
	v_xor_b32_e32 v22, vcc_hi, v17
	v_xor_b32_e32 v17, vcc_lo, v17
	v_and_b32_e32 v19, v19, v17
	v_lshlrev_b32_e32 v17, 29, v18
	v_cmp_gt_i64_e32 vcc, 0, v[16:17]
	v_not_b32_e32 v17, v17
	v_ashrrev_i32_e32 v17, 31, v17
	v_and_b32_e32 v21, v21, v22
	v_xor_b32_e32 v22, vcc_hi, v17
	v_xor_b32_e32 v17, vcc_lo, v17
	v_and_b32_e32 v19, v19, v17
	v_lshlrev_b32_e32 v17, 28, v18
	v_cmp_gt_i64_e32 vcc, 0, v[16:17]
	v_not_b32_e32 v17, v17
	v_ashrrev_i32_e32 v17, 31, v17
	v_and_b32_e32 v21, v21, v22
	;; [unrolled: 8-line block ×5, first 2 shown]
	v_xor_b32_e32 v22, vcc_hi, v17
	v_xor_b32_e32 v17, vcc_lo, v17
	v_and_b32_e32 v21, v21, v22
	v_and_b32_e32 v22, v19, v17
	v_lshlrev_b32_e32 v17, 24, v18
	v_cmp_gt_i64_e32 vcc, 0, v[16:17]
	v_not_b32_e32 v17, v17
	v_ashrrev_i32_e32 v17, 31, v17
	v_xor_b32_e32 v18, vcc_hi, v17
	v_xor_b32_e32 v17, vcc_lo, v17
	; wave barrier
	ds_read_b32 v69, v70 offset:32
	v_and_b32_e32 v19, v21, v18
	v_and_b32_e32 v18, v22, v17
	v_mbcnt_lo_u32_b32 v17, v18, 0
	v_mbcnt_hi_u32_b32 v71, v19, v17
	v_cmp_eq_u32_e32 vcc, 0, v71
	v_cmp_ne_u64_e64 s[4:5], 0, v[18:19]
	s_and_b64 s[18:19], s[4:5], vcc
	; wave barrier
	s_and_saveexec_b64 s[4:5], s[18:19]
	s_cbranch_execz .LBB255_107
; %bb.106:
	v_bcnt_u32_b32 v17, v18, 0
	v_bcnt_u32_b32 v17, v19, v17
	s_waitcnt lgkmcnt(0)
	v_add_u32_e32 v17, v69, v17
	ds_write_b32 v70, v17 offset:32
.LBB255_107:
	s_or_b64 exec, exec, s[4:5]
	v_cmp_ne_u16_e32 vcc, s17, v28
	v_cndmask_b32_e32 v17, v20, v28, vcc
	v_and_b32_sdwa v18, s16, v17 dst_sel:DWORD dst_unused:UNUSED_PAD src0_sel:DWORD src1_sel:WORD_0
	v_lshlrev_b32_e32 v17, 3, v18
	v_add_lshl_u32 v73, v24, v17, 2
	v_and_b32_e32 v17, 1, v18
	v_add_co_u32_e32 v19, vcc, -1, v17
	v_addc_co_u32_e64 v20, s[4:5], 0, -1, vcc
	v_cmp_ne_u32_e32 vcc, 0, v17
	v_xor_b32_e32 v17, vcc_hi, v20
	v_and_b32_e32 v20, exec_hi, v17
	v_lshlrev_b32_e32 v17, 30, v18
	v_xor_b32_e32 v19, vcc_lo, v19
	v_cmp_gt_i64_e32 vcc, 0, v[16:17]
	v_not_b32_e32 v17, v17
	v_ashrrev_i32_e32 v17, 31, v17
	v_and_b32_e32 v19, exec_lo, v19
	v_xor_b32_e32 v21, vcc_hi, v17
	v_xor_b32_e32 v17, vcc_lo, v17
	v_and_b32_e32 v19, v19, v17
	v_lshlrev_b32_e32 v17, 29, v18
	v_cmp_gt_i64_e32 vcc, 0, v[16:17]
	v_not_b32_e32 v17, v17
	v_ashrrev_i32_e32 v17, 31, v17
	v_and_b32_e32 v20, v20, v21
	v_xor_b32_e32 v21, vcc_hi, v17
	v_xor_b32_e32 v17, vcc_lo, v17
	v_and_b32_e32 v19, v19, v17
	v_lshlrev_b32_e32 v17, 28, v18
	v_cmp_gt_i64_e32 vcc, 0, v[16:17]
	v_not_b32_e32 v17, v17
	v_ashrrev_i32_e32 v17, 31, v17
	v_and_b32_e32 v20, v20, v21
	;; [unrolled: 8-line block ×5, first 2 shown]
	v_xor_b32_e32 v21, vcc_hi, v17
	v_xor_b32_e32 v17, vcc_lo, v17
	v_and_b32_e32 v19, v19, v17
	v_lshlrev_b32_e32 v17, 24, v18
	v_cmp_gt_i64_e32 vcc, 0, v[16:17]
	v_not_b32_e32 v16, v17
	v_ashrrev_i32_e32 v16, 31, v16
	v_xor_b32_e32 v17, vcc_hi, v16
	v_xor_b32_e32 v16, vcc_lo, v16
	; wave barrier
	ds_read_b32 v72, v73 offset:32
	v_and_b32_e32 v20, v20, v21
	v_and_b32_e32 v16, v19, v16
	;; [unrolled: 1-line block ×3, first 2 shown]
	v_mbcnt_lo_u32_b32 v18, v16, 0
	v_mbcnt_hi_u32_b32 v74, v17, v18
	v_cmp_eq_u32_e32 vcc, 0, v74
	v_cmp_ne_u64_e64 s[4:5], 0, v[16:17]
	s_and_b64 s[18:19], s[4:5], vcc
	; wave barrier
	s_and_saveexec_b64 s[4:5], s[18:19]
	s_cbranch_execz .LBB255_109
; %bb.108:
	v_bcnt_u32_b32 v16, v16, 0
	v_bcnt_u32_b32 v16, v17, v16
	s_waitcnt lgkmcnt(0)
	v_add_u32_e32 v16, v72, v16
	ds_write_b32 v73, v16 offset:32
.LBB255_109:
	s_or_b64 exec, exec, s[4:5]
	v_mov_b32_e32 v20, 0x7fff
	v_cmp_ne_u16_e32 vcc, s17, v27
	v_cndmask_b32_e32 v16, v20, v27, vcc
	v_and_b32_sdwa v18, s16, v16 dst_sel:DWORD dst_unused:UNUSED_PAD src0_sel:DWORD src1_sel:WORD_0
	v_and_b32_e32 v17, 1, v18
	v_add_co_u32_e32 v19, vcc, -1, v17
	v_addc_co_u32_e64 v21, s[4:5], 0, -1, vcc
	v_cmp_ne_u32_e32 vcc, 0, v17
	v_lshlrev_b32_e32 v16, 3, v18
	v_xor_b32_e32 v17, vcc_hi, v21
	v_add_lshl_u32 v76, v24, v16, 2
	v_mov_b32_e32 v16, 0
	v_and_b32_e32 v21, exec_hi, v17
	v_lshlrev_b32_e32 v17, 30, v18
	v_xor_b32_e32 v19, vcc_lo, v19
	v_cmp_gt_i64_e32 vcc, 0, v[16:17]
	v_not_b32_e32 v17, v17
	v_ashrrev_i32_e32 v17, 31, v17
	v_and_b32_e32 v19, exec_lo, v19
	v_xor_b32_e32 v22, vcc_hi, v17
	v_xor_b32_e32 v17, vcc_lo, v17
	v_and_b32_e32 v19, v19, v17
	v_lshlrev_b32_e32 v17, 29, v18
	v_cmp_gt_i64_e32 vcc, 0, v[16:17]
	v_not_b32_e32 v17, v17
	v_ashrrev_i32_e32 v17, 31, v17
	v_and_b32_e32 v21, v21, v22
	v_xor_b32_e32 v22, vcc_hi, v17
	v_xor_b32_e32 v17, vcc_lo, v17
	v_and_b32_e32 v19, v19, v17
	v_lshlrev_b32_e32 v17, 28, v18
	v_cmp_gt_i64_e32 vcc, 0, v[16:17]
	v_not_b32_e32 v17, v17
	v_ashrrev_i32_e32 v17, 31, v17
	v_and_b32_e32 v21, v21, v22
	;; [unrolled: 8-line block ×5, first 2 shown]
	v_xor_b32_e32 v22, vcc_hi, v17
	v_xor_b32_e32 v17, vcc_lo, v17
	v_and_b32_e32 v21, v21, v22
	v_and_b32_e32 v22, v19, v17
	v_lshlrev_b32_e32 v17, 24, v18
	v_cmp_gt_i64_e32 vcc, 0, v[16:17]
	v_not_b32_e32 v17, v17
	v_ashrrev_i32_e32 v17, 31, v17
	v_xor_b32_e32 v18, vcc_hi, v17
	v_xor_b32_e32 v17, vcc_lo, v17
	; wave barrier
	ds_read_b32 v75, v76 offset:32
	v_and_b32_e32 v19, v21, v18
	v_and_b32_e32 v18, v22, v17
	v_mbcnt_lo_u32_b32 v17, v18, 0
	v_mbcnt_hi_u32_b32 v77, v19, v17
	v_cmp_eq_u32_e32 vcc, 0, v77
	v_cmp_ne_u64_e64 s[4:5], 0, v[18:19]
	s_and_b64 s[18:19], s[4:5], vcc
	; wave barrier
	s_and_saveexec_b64 s[4:5], s[18:19]
	s_cbranch_execz .LBB255_111
; %bb.110:
	v_bcnt_u32_b32 v17, v18, 0
	v_bcnt_u32_b32 v17, v19, v17
	s_waitcnt lgkmcnt(0)
	v_add_u32_e32 v17, v75, v17
	ds_write_b32 v76, v17 offset:32
.LBB255_111:
	s_or_b64 exec, exec, s[4:5]
	v_cmp_ne_u16_e32 vcc, s17, v25
	v_cndmask_b32_e32 v17, v20, v25, vcc
	v_and_b32_sdwa v18, s16, v17 dst_sel:DWORD dst_unused:UNUSED_PAD src0_sel:DWORD src1_sel:WORD_0
	v_lshlrev_b32_e32 v17, 3, v18
	v_add_lshl_u32 v79, v24, v17, 2
	v_and_b32_e32 v17, 1, v18
	v_add_co_u32_e32 v19, vcc, -1, v17
	v_addc_co_u32_e64 v20, s[4:5], 0, -1, vcc
	v_cmp_ne_u32_e32 vcc, 0, v17
	v_xor_b32_e32 v17, vcc_hi, v20
	v_and_b32_e32 v20, exec_hi, v17
	v_lshlrev_b32_e32 v17, 30, v18
	v_xor_b32_e32 v19, vcc_lo, v19
	v_cmp_gt_i64_e32 vcc, 0, v[16:17]
	v_not_b32_e32 v17, v17
	v_ashrrev_i32_e32 v17, 31, v17
	v_and_b32_e32 v19, exec_lo, v19
	v_xor_b32_e32 v21, vcc_hi, v17
	v_xor_b32_e32 v17, vcc_lo, v17
	v_and_b32_e32 v19, v19, v17
	v_lshlrev_b32_e32 v17, 29, v18
	v_cmp_gt_i64_e32 vcc, 0, v[16:17]
	v_not_b32_e32 v17, v17
	v_ashrrev_i32_e32 v17, 31, v17
	v_and_b32_e32 v20, v20, v21
	v_xor_b32_e32 v21, vcc_hi, v17
	v_xor_b32_e32 v17, vcc_lo, v17
	v_and_b32_e32 v19, v19, v17
	v_lshlrev_b32_e32 v17, 28, v18
	v_cmp_gt_i64_e32 vcc, 0, v[16:17]
	v_not_b32_e32 v17, v17
	v_ashrrev_i32_e32 v17, 31, v17
	v_and_b32_e32 v20, v20, v21
	;; [unrolled: 8-line block ×5, first 2 shown]
	v_xor_b32_e32 v21, vcc_hi, v17
	v_xor_b32_e32 v17, vcc_lo, v17
	v_and_b32_e32 v19, v19, v17
	v_lshlrev_b32_e32 v17, 24, v18
	v_cmp_gt_i64_e32 vcc, 0, v[16:17]
	v_not_b32_e32 v16, v17
	v_ashrrev_i32_e32 v16, 31, v16
	v_xor_b32_e32 v17, vcc_hi, v16
	v_xor_b32_e32 v16, vcc_lo, v16
	; wave barrier
	ds_read_b32 v78, v79 offset:32
	v_and_b32_e32 v20, v20, v21
	v_and_b32_e32 v16, v19, v16
	;; [unrolled: 1-line block ×3, first 2 shown]
	v_mbcnt_lo_u32_b32 v18, v16, 0
	v_mbcnt_hi_u32_b32 v80, v17, v18
	v_cmp_eq_u32_e32 vcc, 0, v80
	v_cmp_ne_u64_e64 s[4:5], 0, v[16:17]
	v_add_u32_e32 v22, 32, v62
	v_lshrrev_b32_e32 v23, 6, v42
	v_min_u32_e32 v34, 0x1c0, v34
	s_and_b64 s[16:17], s[4:5], vcc
	; wave barrier
	s_and_saveexec_b64 s[4:5], s[16:17]
	s_cbranch_execz .LBB255_113
; %bb.112:
	v_bcnt_u32_b32 v16, v16, 0
	v_bcnt_u32_b32 v16, v17, v16
	s_waitcnt lgkmcnt(0)
	v_add_u32_e32 v16, v78, v16
	ds_write_b32 v79, v16 offset:32
.LBB255_113:
	s_or_b64 exec, exec, s[4:5]
	; wave barrier
	s_waitcnt lgkmcnt(0)
	s_barrier
	ds_read2_b32 v[18:19], v62 offset0:8 offset1:9
	ds_read2_b32 v[20:21], v22 offset0:2 offset1:3
	v_and_b32_e32 v17, 16, v26
	v_cmp_eq_u32_e32 vcc, 0, v17
	v_or_b32_e32 v17, 63, v34
	v_cmp_eq_u32_e64 s[16:17], v17, v42
	s_waitcnt lgkmcnt(1)
	v_add_u32_e32 v17, v19, v18
	v_and_b32_e32 v16, 15, v26
	s_waitcnt lgkmcnt(0)
	v_add3_u32 v17, v17, v20, v21
	v_cmp_eq_u32_e64 s[24:25], 0, v16
	v_cmp_lt_u32_e64 s[26:27], 1, v16
	v_mov_b32_dpp v21, v17 row_shr:1 row_mask:0xf bank_mask:0xf
	v_cndmask_b32_e64 v21, v21, 0, s[24:25]
	v_add_u32_e32 v17, v21, v17
	v_cmp_lt_u32_e64 s[30:31], 3, v16
	v_cmp_lt_u32_e64 s[34:35], 7, v16
	v_mov_b32_dpp v21, v17 row_shr:2 row_mask:0xf bank_mask:0xf
	v_cndmask_b32_e64 v21, 0, v21, s[26:27]
	v_add_u32_e32 v17, v17, v21
	v_bfe_i32 v35, v26, 4, 1
	v_cmp_lt_u32_e64 s[36:37], 31, v26
	v_mov_b32_dpp v21, v17 row_shr:4 row_mask:0xf bank_mask:0xf
	v_cndmask_b32_e64 v21, 0, v21, s[30:31]
	v_add_u32_e32 v17, v17, v21
	v_lshlrev_b32_e32 v23, 2, v23
	s_nop 0
	v_mov_b32_dpp v21, v17 row_shr:8 row_mask:0xf bank_mask:0xf
	v_cndmask_b32_e64 v16, 0, v21, s[34:35]
	v_add_u32_e32 v16, v17, v16
	s_nop 1
	v_mov_b32_dpp v17, v16 row_bcast:15 row_mask:0xf bank_mask:0xf
	v_and_b32_e32 v17, v35, v17
	v_add_u32_e32 v16, v16, v17
	s_nop 1
	v_mov_b32_dpp v17, v16 row_bcast:31 row_mask:0xf bank_mask:0xf
	v_cndmask_b32_e64 v17, 0, v17, s[36:37]
	v_add_u32_e32 v17, v16, v17
	s_and_saveexec_b64 s[4:5], s[16:17]
	s_cbranch_execz .LBB255_115
; %bb.114:
	ds_write_b32 v23, v17
.LBB255_115:
	s_or_b64 exec, exec, s[4:5]
	v_and_b32_e32 v16, 7, v26
	v_cmp_gt_u32_e64 s[28:29], 8, v42
	v_lshlrev_b32_e32 v21, 2, v42
	v_cmp_eq_u32_e64 s[22:23], 0, v16
	v_cmp_lt_u32_e64 s[20:21], 1, v16
	v_cmp_lt_u32_e64 s[18:19], 3, v16
	s_waitcnt lgkmcnt(0)
	s_barrier
	s_and_saveexec_b64 s[4:5], s[28:29]
	s_cbranch_execz .LBB255_117
; %bb.116:
	ds_read_b32 v16, v21
	s_waitcnt lgkmcnt(0)
	s_nop 0
	v_mov_b32_dpp v34, v16 row_shr:1 row_mask:0xf bank_mask:0xf
	v_cndmask_b32_e64 v34, v34, 0, s[22:23]
	v_add_u32_e32 v16, v34, v16
	s_nop 1
	v_mov_b32_dpp v34, v16 row_shr:2 row_mask:0xf bank_mask:0xf
	v_cndmask_b32_e64 v34, 0, v34, s[20:21]
	v_add_u32_e32 v16, v16, v34
	;; [unrolled: 4-line block ×3, first 2 shown]
	ds_write_b32 v21, v16
.LBB255_117:
	s_or_b64 exec, exec, s[4:5]
	v_cmp_lt_u32_e64 s[38:39], 63, v42
	v_add_u32_e32 v34, -4, v23
	v_mov_b32_e32 v16, 0
	v_mov_b32_e32 v81, 0
	s_waitcnt lgkmcnt(0)
	s_barrier
	s_and_saveexec_b64 s[4:5], s[38:39]
	s_cbranch_execz .LBB255_119
; %bb.118:
	ds_read_b32 v81, v34
.LBB255_119:
	s_or_b64 exec, exec, s[4:5]
	v_add_u32_e32 v35, -1, v26
	v_and_b32_e32 v82, 64, v26
	v_cmp_lt_i32_e64 s[4:5], v35, v82
	v_cndmask_b32_e64 v35, v35, v26, s[4:5]
	v_lshlrev_b32_e32 v35, 2, v35
	s_waitcnt lgkmcnt(0)
	v_add_u32_e32 v17, v81, v17
	ds_bpermute_b32 v17, v35, v17
	v_cmp_eq_u32_e64 s[40:41], 0, v26
	v_cmp_eq_u32_e64 s[42:43], 0, v42
	v_and_or_b32 v36, v26, 63, v36
	v_lshlrev_b32_e32 v82, 1, v36
	s_waitcnt lgkmcnt(0)
	v_cndmask_b32_e64 v17, v17, v81, s[40:41]
	v_cndmask_b32_e64 v17, v17, 0, s[42:43]
	v_add_u32_e32 v18, v17, v18
	v_add_u32_e32 v19, v18, v19
	;; [unrolled: 1-line block ×3, first 2 shown]
	ds_write2_b32 v62, v17, v18 offset0:8 offset1:9
	ds_write2_b32 v22, v19, v20 offset0:2 offset1:3
	s_waitcnt lgkmcnt(0)
	s_barrier
	ds_read_b32 v17, v37 offset:32
	ds_read_b32 v18, v40 offset:32
	;; [unrolled: 1-line block ×8, first 2 shown]
	s_waitcnt lgkmcnt(7)
	v_add_u32_e32 v17, v17, v38
	s_waitcnt lgkmcnt(6)
	v_add3_u32 v18, v41, v39, v18
	s_waitcnt lgkmcnt(4)
	v_add3_u32 v38, v68, v66, v20
	v_lshlrev_b32_e32 v20, 1, v17
	v_add3_u32 v19, v65, v63, v19
	s_waitcnt lgkmcnt(0)
	s_barrier
	ds_write_b16 v20, v33
	v_lshlrev_b32_e32 v20, 1, v18
	ds_write_b16 v20, v32
	v_lshlrev_b32_e32 v20, 1, v19
	v_add3_u32 v39, v71, v69, v26
	ds_write_b16 v20, v31
	v_lshlrev_b32_e32 v20, 1, v38
	v_add3_u32 v37, v74, v72, v37
	;; [unrolled: 3-line block ×4, first 2 shown]
	ds_write_b16 v20, v28
	v_lshlrev_b32_e32 v20, 1, v40
	ds_write_b16 v20, v27
	v_lshlrev_b32_e32 v20, 1, v41
	v_lshlrev_b32_e32 v17, 3, v17
	s_min_u32 s4, s46, 8
	ds_write_b16 v20, v25
	s_waitcnt lgkmcnt(0)
	s_barrier
	ds_read_u16 v31, v82
	ds_read_u16 v30, v82 offset:128
	ds_read_u16 v29, v82 offset:256
	;; [unrolled: 1-line block ×7, first 2 shown]
	s_waitcnt lgkmcnt(0)
	s_barrier
	ds_write_b64 v17, v[12:13]
	v_lshlrev_b32_e32 v12, 3, v18
	s_lshl_b32 s4, -1, s4
	s_movk_i32 s53, 0x8000
	ds_write_b64 v12, v[14:15]
	v_lshlrev_b32_e32 v12, 3, v19
	s_not_b32 s52, s4
	v_lshrrev_b16_e32 v17, 8, v31
	v_mov_b32_e32 v18, 0x7f
	v_cmp_ne_u16_e64 s[4:5], s53, v31
	ds_write_b64 v12, v[8:9]
	v_lshlrev_b32_e32 v8, 3, v38
	v_cndmask_b32_e64 v17, v18, v17, s[4:5]
	ds_write_b64 v8, v[10:11]
	v_lshlrev_b32_e32 v8, 3, v39
	v_and_b32_sdwa v19, v17, s52 dst_sel:DWORD dst_unused:UNUSED_PAD src0_sel:WORD_0 src1_sel:DWORD
	ds_write_b64 v8, v[4:5]
	v_lshlrev_b32_e32 v4, 3, v37
	v_lshlrev_b32_e32 v17, 3, v19
	ds_write_b64 v4, v[6:7]
	v_lshlrev_b32_e32 v4, 3, v40
	v_add_lshl_u32 v32, v17, v24, 2
	v_and_b32_e32 v17, 1, v19
	v_lshlrev_b32_e32 v36, 3, v36
	ds_write_b64 v4, v[0:1]
	v_lshlrev_b32_e32 v0, 3, v41
	v_add_co_u32_e64 v33, s[4:5], -1, v17
	ds_write_b64 v0, v[2:3]
	s_waitcnt lgkmcnt(0)
	s_barrier
	ds_read2st64_b64 v[12:15], v36 offset1:1
	ds_read2st64_b64 v[8:11], v36 offset0:2 offset1:3
	ds_read2st64_b64 v[4:7], v36 offset0:4 offset1:5
	;; [unrolled: 1-line block ×3, first 2 shown]
	v_addc_co_u32_e64 v36, s[4:5], 0, -1, s[4:5]
	v_cmp_ne_u32_e64 s[4:5], 0, v17
	v_xor_b32_e32 v17, s5, v36
	v_and_b32_e32 v36, exec_hi, v17
	v_lshlrev_b32_e32 v17, 30, v19
	v_xor_b32_e32 v33, s4, v33
	v_cmp_gt_i64_e64 s[4:5], 0, v[16:17]
	v_not_b32_e32 v17, v17
	v_ashrrev_i32_e32 v17, 31, v17
	v_and_b32_e32 v33, exec_lo, v33
	v_xor_b32_e32 v37, s5, v17
	v_xor_b32_e32 v17, s4, v17
	v_and_b32_e32 v33, v33, v17
	v_lshlrev_b32_e32 v17, 29, v19
	v_cmp_gt_i64_e64 s[4:5], 0, v[16:17]
	v_not_b32_e32 v17, v17
	v_ashrrev_i32_e32 v17, 31, v17
	v_and_b32_e32 v36, v36, v37
	v_xor_b32_e32 v37, s5, v17
	v_xor_b32_e32 v17, s4, v17
	v_and_b32_e32 v33, v33, v17
	v_lshlrev_b32_e32 v17, 28, v19
	v_cmp_gt_i64_e64 s[4:5], 0, v[16:17]
	v_not_b32_e32 v17, v17
	v_ashrrev_i32_e32 v17, 31, v17
	v_and_b32_e32 v36, v36, v37
	;; [unrolled: 8-line block ×5, first 2 shown]
	v_xor_b32_e32 v37, s5, v17
	v_xor_b32_e32 v17, s4, v17
	v_and_b32_e32 v33, v33, v17
	v_lshlrev_b32_e32 v17, 24, v19
	s_waitcnt lgkmcnt(0)
	s_barrier
	ds_write2_b32 v62, v16, v16 offset0:8 offset1:9
	ds_write2_b32 v22, v16, v16 offset0:2 offset1:3
	v_cmp_gt_i64_e64 s[4:5], 0, v[16:17]
	v_not_b32_e32 v16, v17
	v_ashrrev_i32_e32 v16, 31, v16
	v_xor_b32_e32 v17, s5, v16
	v_xor_b32_e32 v16, s4, v16
	v_and_b32_e32 v36, v36, v37
	v_and_b32_e32 v16, v33, v16
	;; [unrolled: 1-line block ×3, first 2 shown]
	v_mbcnt_lo_u32_b32 v19, v16, 0
	v_mbcnt_hi_u32_b32 v33, v17, v19
	v_cmp_eq_u32_e64 s[4:5], 0, v33
	v_cmp_ne_u64_e64 s[46:47], 0, v[16:17]
	s_and_b64 s[46:47], s[46:47], s[4:5]
	s_waitcnt lgkmcnt(0)
	s_barrier
	s_waitcnt lgkmcnt(0)
	; wave barrier
	s_and_saveexec_b64 s[4:5], s[46:47]
	s_cbranch_execz .LBB255_121
; %bb.120:
	v_bcnt_u32_b32 v16, v16, 0
	v_bcnt_u32_b32 v16, v17, v16
	ds_write_b32 v32, v16 offset:32
.LBB255_121:
	s_or_b64 exec, exec, s[4:5]
	v_lshrrev_b16_e32 v16, 8, v30
	v_cmp_ne_u16_e64 s[4:5], s53, v30
	v_cndmask_b32_e64 v16, v18, v16, s[4:5]
	v_and_b32_e32 v18, s52, v16
	v_and_b32_e32 v17, 1, v18
	v_add_co_u32_e64 v19, s[4:5], -1, v17
	v_addc_co_u32_e64 v38, s[4:5], 0, -1, s[4:5]
	v_cmp_ne_u32_e64 s[4:5], 0, v17
	v_lshlrev_b32_e32 v16, 3, v18
	v_xor_b32_e32 v17, s5, v38
	v_add_lshl_u32 v37, v16, v24, 2
	v_mov_b32_e32 v16, 0
	v_and_b32_e32 v38, exec_hi, v17
	v_lshlrev_b32_e32 v17, 30, v18
	v_xor_b32_e32 v19, s4, v19
	v_cmp_gt_i64_e64 s[4:5], 0, v[16:17]
	v_not_b32_e32 v17, v17
	v_ashrrev_i32_e32 v17, 31, v17
	v_and_b32_e32 v19, exec_lo, v19
	v_xor_b32_e32 v39, s5, v17
	v_xor_b32_e32 v17, s4, v17
	v_and_b32_e32 v19, v19, v17
	v_lshlrev_b32_e32 v17, 29, v18
	v_cmp_gt_i64_e64 s[4:5], 0, v[16:17]
	v_not_b32_e32 v17, v17
	v_ashrrev_i32_e32 v17, 31, v17
	v_and_b32_e32 v38, v38, v39
	v_xor_b32_e32 v39, s5, v17
	v_xor_b32_e32 v17, s4, v17
	v_and_b32_e32 v19, v19, v17
	v_lshlrev_b32_e32 v17, 28, v18
	v_cmp_gt_i64_e64 s[4:5], 0, v[16:17]
	v_not_b32_e32 v17, v17
	v_ashrrev_i32_e32 v17, 31, v17
	v_and_b32_e32 v38, v38, v39
	;; [unrolled: 8-line block ×5, first 2 shown]
	v_xor_b32_e32 v39, s5, v17
	v_xor_b32_e32 v17, s4, v17
	v_and_b32_e32 v38, v38, v39
	v_and_b32_e32 v39, v19, v17
	v_lshlrev_b32_e32 v17, 24, v18
	v_cmp_gt_i64_e64 s[4:5], 0, v[16:17]
	v_not_b32_e32 v17, v17
	v_ashrrev_i32_e32 v17, 31, v17
	v_xor_b32_e32 v18, s5, v17
	v_xor_b32_e32 v17, s4, v17
	; wave barrier
	ds_read_b32 v36, v37 offset:32
	v_and_b32_e32 v19, v38, v18
	v_and_b32_e32 v18, v39, v17
	v_mbcnt_lo_u32_b32 v17, v18, 0
	v_mbcnt_hi_u32_b32 v38, v19, v17
	v_cmp_eq_u32_e64 s[4:5], 0, v38
	v_cmp_ne_u64_e64 s[46:47], 0, v[18:19]
	s_and_b64 s[46:47], s[46:47], s[4:5]
	; wave barrier
	s_and_saveexec_b64 s[4:5], s[46:47]
	s_cbranch_execz .LBB255_123
; %bb.122:
	v_bcnt_u32_b32 v17, v18, 0
	v_bcnt_u32_b32 v17, v19, v17
	s_waitcnt lgkmcnt(0)
	v_add_u32_e32 v17, v36, v17
	ds_write_b32 v37, v17 offset:32
.LBB255_123:
	s_or_b64 exec, exec, s[4:5]
	v_lshrrev_b16_e32 v17, 8, v29
	v_mov_b32_e32 v18, 0x7f
	v_cmp_ne_u16_e64 s[4:5], s53, v29
	v_cndmask_b32_e64 v17, v18, v17, s[4:5]
	v_and_b32_e32 v19, s52, v17
	v_lshlrev_b32_e32 v17, 3, v19
	v_add_lshl_u32 v40, v17, v24, 2
	v_and_b32_e32 v17, 1, v19
	v_add_co_u32_e64 v41, s[4:5], -1, v17
	v_addc_co_u32_e64 v63, s[4:5], 0, -1, s[4:5]
	v_cmp_ne_u32_e64 s[4:5], 0, v17
	v_xor_b32_e32 v17, s5, v63
	v_and_b32_e32 v63, exec_hi, v17
	v_lshlrev_b32_e32 v17, 30, v19
	v_xor_b32_e32 v41, s4, v41
	v_cmp_gt_i64_e64 s[4:5], 0, v[16:17]
	v_not_b32_e32 v17, v17
	v_ashrrev_i32_e32 v17, 31, v17
	v_and_b32_e32 v41, exec_lo, v41
	v_xor_b32_e32 v64, s5, v17
	v_xor_b32_e32 v17, s4, v17
	v_and_b32_e32 v41, v41, v17
	v_lshlrev_b32_e32 v17, 29, v19
	v_cmp_gt_i64_e64 s[4:5], 0, v[16:17]
	v_not_b32_e32 v17, v17
	v_ashrrev_i32_e32 v17, 31, v17
	v_and_b32_e32 v63, v63, v64
	v_xor_b32_e32 v64, s5, v17
	v_xor_b32_e32 v17, s4, v17
	v_and_b32_e32 v41, v41, v17
	v_lshlrev_b32_e32 v17, 28, v19
	v_cmp_gt_i64_e64 s[4:5], 0, v[16:17]
	v_not_b32_e32 v17, v17
	v_ashrrev_i32_e32 v17, 31, v17
	v_and_b32_e32 v63, v63, v64
	;; [unrolled: 8-line block ×5, first 2 shown]
	v_xor_b32_e32 v64, s5, v17
	v_xor_b32_e32 v17, s4, v17
	v_and_b32_e32 v41, v41, v17
	v_lshlrev_b32_e32 v17, 24, v19
	v_cmp_gt_i64_e64 s[4:5], 0, v[16:17]
	v_not_b32_e32 v16, v17
	v_ashrrev_i32_e32 v16, 31, v16
	v_xor_b32_e32 v17, s5, v16
	v_xor_b32_e32 v16, s4, v16
	; wave barrier
	ds_read_b32 v39, v40 offset:32
	v_and_b32_e32 v63, v63, v64
	v_and_b32_e32 v16, v41, v16
	;; [unrolled: 1-line block ×3, first 2 shown]
	v_mbcnt_lo_u32_b32 v19, v16, 0
	v_mbcnt_hi_u32_b32 v41, v17, v19
	v_cmp_eq_u32_e64 s[4:5], 0, v41
	v_cmp_ne_u64_e64 s[46:47], 0, v[16:17]
	s_and_b64 s[46:47], s[46:47], s[4:5]
	; wave barrier
	s_and_saveexec_b64 s[4:5], s[46:47]
	s_cbranch_execz .LBB255_125
; %bb.124:
	v_bcnt_u32_b32 v16, v16, 0
	v_bcnt_u32_b32 v16, v17, v16
	s_waitcnt lgkmcnt(0)
	v_add_u32_e32 v16, v39, v16
	ds_write_b32 v40, v16 offset:32
.LBB255_125:
	s_or_b64 exec, exec, s[4:5]
	v_lshrrev_b16_e32 v16, 8, v28
	v_cmp_ne_u16_e64 s[4:5], s53, v28
	v_cndmask_b32_e64 v16, v18, v16, s[4:5]
	v_and_b32_e32 v18, s52, v16
	v_and_b32_e32 v17, 1, v18
	v_add_co_u32_e64 v19, s[4:5], -1, v17
	v_addc_co_u32_e64 v65, s[4:5], 0, -1, s[4:5]
	v_cmp_ne_u32_e64 s[4:5], 0, v17
	v_lshlrev_b32_e32 v16, 3, v18
	v_xor_b32_e32 v17, s5, v65
	v_add_lshl_u32 v64, v16, v24, 2
	v_mov_b32_e32 v16, 0
	v_and_b32_e32 v65, exec_hi, v17
	v_lshlrev_b32_e32 v17, 30, v18
	v_xor_b32_e32 v19, s4, v19
	v_cmp_gt_i64_e64 s[4:5], 0, v[16:17]
	v_not_b32_e32 v17, v17
	v_ashrrev_i32_e32 v17, 31, v17
	v_and_b32_e32 v19, exec_lo, v19
	v_xor_b32_e32 v66, s5, v17
	v_xor_b32_e32 v17, s4, v17
	v_and_b32_e32 v19, v19, v17
	v_lshlrev_b32_e32 v17, 29, v18
	v_cmp_gt_i64_e64 s[4:5], 0, v[16:17]
	v_not_b32_e32 v17, v17
	v_ashrrev_i32_e32 v17, 31, v17
	v_and_b32_e32 v65, v65, v66
	v_xor_b32_e32 v66, s5, v17
	v_xor_b32_e32 v17, s4, v17
	v_and_b32_e32 v19, v19, v17
	v_lshlrev_b32_e32 v17, 28, v18
	v_cmp_gt_i64_e64 s[4:5], 0, v[16:17]
	v_not_b32_e32 v17, v17
	v_ashrrev_i32_e32 v17, 31, v17
	v_and_b32_e32 v65, v65, v66
	;; [unrolled: 8-line block ×5, first 2 shown]
	v_xor_b32_e32 v66, s5, v17
	v_xor_b32_e32 v17, s4, v17
	v_and_b32_e32 v65, v65, v66
	v_and_b32_e32 v66, v19, v17
	v_lshlrev_b32_e32 v17, 24, v18
	v_cmp_gt_i64_e64 s[4:5], 0, v[16:17]
	v_not_b32_e32 v17, v17
	v_ashrrev_i32_e32 v17, 31, v17
	v_xor_b32_e32 v18, s5, v17
	v_xor_b32_e32 v17, s4, v17
	; wave barrier
	ds_read_b32 v63, v64 offset:32
	v_and_b32_e32 v19, v65, v18
	v_and_b32_e32 v18, v66, v17
	v_mbcnt_lo_u32_b32 v17, v18, 0
	v_mbcnt_hi_u32_b32 v65, v19, v17
	v_cmp_eq_u32_e64 s[4:5], 0, v65
	v_cmp_ne_u64_e64 s[46:47], 0, v[18:19]
	s_and_b64 s[46:47], s[46:47], s[4:5]
	; wave barrier
	s_and_saveexec_b64 s[4:5], s[46:47]
	s_cbranch_execz .LBB255_127
; %bb.126:
	v_bcnt_u32_b32 v17, v18, 0
	v_bcnt_u32_b32 v17, v19, v17
	s_waitcnt lgkmcnt(0)
	v_add_u32_e32 v17, v63, v17
	ds_write_b32 v64, v17 offset:32
.LBB255_127:
	s_or_b64 exec, exec, s[4:5]
	v_lshrrev_b16_e32 v17, 8, v27
	v_mov_b32_e32 v18, 0x7f
	v_cmp_ne_u16_e64 s[4:5], s53, v27
	v_cndmask_b32_e64 v17, v18, v17, s[4:5]
	v_and_b32_e32 v19, s52, v17
	v_lshlrev_b32_e32 v17, 3, v19
	v_add_lshl_u32 v67, v17, v24, 2
	v_and_b32_e32 v17, 1, v19
	v_add_co_u32_e64 v68, s[4:5], -1, v17
	v_addc_co_u32_e64 v69, s[4:5], 0, -1, s[4:5]
	v_cmp_ne_u32_e64 s[4:5], 0, v17
	v_xor_b32_e32 v17, s5, v69
	v_and_b32_e32 v69, exec_hi, v17
	v_lshlrev_b32_e32 v17, 30, v19
	v_xor_b32_e32 v68, s4, v68
	v_cmp_gt_i64_e64 s[4:5], 0, v[16:17]
	v_not_b32_e32 v17, v17
	v_ashrrev_i32_e32 v17, 31, v17
	v_and_b32_e32 v68, exec_lo, v68
	v_xor_b32_e32 v70, s5, v17
	v_xor_b32_e32 v17, s4, v17
	v_and_b32_e32 v68, v68, v17
	v_lshlrev_b32_e32 v17, 29, v19
	v_cmp_gt_i64_e64 s[4:5], 0, v[16:17]
	v_not_b32_e32 v17, v17
	v_ashrrev_i32_e32 v17, 31, v17
	v_and_b32_e32 v69, v69, v70
	v_xor_b32_e32 v70, s5, v17
	v_xor_b32_e32 v17, s4, v17
	v_and_b32_e32 v68, v68, v17
	v_lshlrev_b32_e32 v17, 28, v19
	v_cmp_gt_i64_e64 s[4:5], 0, v[16:17]
	v_not_b32_e32 v17, v17
	v_ashrrev_i32_e32 v17, 31, v17
	v_and_b32_e32 v69, v69, v70
	;; [unrolled: 8-line block ×5, first 2 shown]
	v_xor_b32_e32 v70, s5, v17
	v_xor_b32_e32 v17, s4, v17
	v_and_b32_e32 v68, v68, v17
	v_lshlrev_b32_e32 v17, 24, v19
	v_cmp_gt_i64_e64 s[4:5], 0, v[16:17]
	v_not_b32_e32 v16, v17
	v_ashrrev_i32_e32 v16, 31, v16
	v_xor_b32_e32 v17, s5, v16
	v_xor_b32_e32 v16, s4, v16
	; wave barrier
	ds_read_b32 v66, v67 offset:32
	v_and_b32_e32 v69, v69, v70
	v_and_b32_e32 v16, v68, v16
	;; [unrolled: 1-line block ×3, first 2 shown]
	v_mbcnt_lo_u32_b32 v19, v16, 0
	v_mbcnt_hi_u32_b32 v68, v17, v19
	v_cmp_eq_u32_e64 s[4:5], 0, v68
	v_cmp_ne_u64_e64 s[46:47], 0, v[16:17]
	s_and_b64 s[46:47], s[46:47], s[4:5]
	; wave barrier
	s_and_saveexec_b64 s[4:5], s[46:47]
	s_cbranch_execz .LBB255_129
; %bb.128:
	v_bcnt_u32_b32 v16, v16, 0
	v_bcnt_u32_b32 v16, v17, v16
	s_waitcnt lgkmcnt(0)
	v_add_u32_e32 v16, v66, v16
	ds_write_b32 v67, v16 offset:32
.LBB255_129:
	s_or_b64 exec, exec, s[4:5]
	v_lshrrev_b16_e32 v16, 8, v26
	v_cmp_ne_u16_e64 s[4:5], s53, v26
	v_cndmask_b32_e64 v16, v18, v16, s[4:5]
	v_and_b32_e32 v18, s52, v16
	v_and_b32_e32 v17, 1, v18
	v_add_co_u32_e64 v19, s[4:5], -1, v17
	v_addc_co_u32_e64 v71, s[4:5], 0, -1, s[4:5]
	v_cmp_ne_u32_e64 s[4:5], 0, v17
	v_lshlrev_b32_e32 v16, 3, v18
	v_xor_b32_e32 v17, s5, v71
	v_add_lshl_u32 v70, v16, v24, 2
	v_mov_b32_e32 v16, 0
	v_and_b32_e32 v71, exec_hi, v17
	v_lshlrev_b32_e32 v17, 30, v18
	v_xor_b32_e32 v19, s4, v19
	v_cmp_gt_i64_e64 s[4:5], 0, v[16:17]
	v_not_b32_e32 v17, v17
	v_ashrrev_i32_e32 v17, 31, v17
	v_and_b32_e32 v19, exec_lo, v19
	v_xor_b32_e32 v72, s5, v17
	v_xor_b32_e32 v17, s4, v17
	v_and_b32_e32 v19, v19, v17
	v_lshlrev_b32_e32 v17, 29, v18
	v_cmp_gt_i64_e64 s[4:5], 0, v[16:17]
	v_not_b32_e32 v17, v17
	v_ashrrev_i32_e32 v17, 31, v17
	v_and_b32_e32 v71, v71, v72
	v_xor_b32_e32 v72, s5, v17
	v_xor_b32_e32 v17, s4, v17
	v_and_b32_e32 v19, v19, v17
	v_lshlrev_b32_e32 v17, 28, v18
	v_cmp_gt_i64_e64 s[4:5], 0, v[16:17]
	v_not_b32_e32 v17, v17
	v_ashrrev_i32_e32 v17, 31, v17
	v_and_b32_e32 v71, v71, v72
	v_xor_b32_e32 v72, s5, v17
	v_xor_b32_e32 v17, s4, v17
	v_and_b32_e32 v19, v19, v17
	v_lshlrev_b32_e32 v17, 27, v18
	v_cmp_gt_i64_e64 s[4:5], 0, v[16:17]
	v_not_b32_e32 v17, v17
	v_ashrrev_i32_e32 v17, 31, v17
	v_and_b32_e32 v71, v71, v72
	v_xor_b32_e32 v72, s5, v17
	v_xor_b32_e32 v17, s4, v17
	v_and_b32_e32 v19, v19, v17
	v_lshlrev_b32_e32 v17, 26, v18
	v_cmp_gt_i64_e64 s[4:5], 0, v[16:17]
	v_not_b32_e32 v17, v17
	v_ashrrev_i32_e32 v17, 31, v17
	v_and_b32_e32 v71, v71, v72
	v_xor_b32_e32 v72, s5, v17
	v_xor_b32_e32 v17, s4, v17
	v_and_b32_e32 v19, v19, v17
	v_lshlrev_b32_e32 v17, 25, v18
	v_cmp_gt_i64_e64 s[4:5], 0, v[16:17]
	v_not_b32_e32 v17, v17
	v_ashrrev_i32_e32 v17, 31, v17
	v_and_b32_e32 v71, v71, v72
	v_xor_b32_e32 v72, s5, v17
	v_xor_b32_e32 v17, s4, v17
	v_and_b32_e32 v71, v71, v72
	v_and_b32_e32 v72, v19, v17
	v_lshlrev_b32_e32 v17, 24, v18
	v_cmp_gt_i64_e64 s[4:5], 0, v[16:17]
	v_not_b32_e32 v17, v17
	v_ashrrev_i32_e32 v17, 31, v17
	v_xor_b32_e32 v18, s5, v17
	v_xor_b32_e32 v17, s4, v17
	; wave barrier
	ds_read_b32 v69, v70 offset:32
	v_and_b32_e32 v19, v71, v18
	v_and_b32_e32 v18, v72, v17
	v_mbcnt_lo_u32_b32 v17, v18, 0
	v_mbcnt_hi_u32_b32 v71, v19, v17
	v_cmp_eq_u32_e64 s[4:5], 0, v71
	v_cmp_ne_u64_e64 s[46:47], 0, v[18:19]
	s_and_b64 s[46:47], s[46:47], s[4:5]
	; wave barrier
	s_and_saveexec_b64 s[4:5], s[46:47]
	s_cbranch_execz .LBB255_131
; %bb.130:
	v_bcnt_u32_b32 v17, v18, 0
	v_bcnt_u32_b32 v17, v19, v17
	s_waitcnt lgkmcnt(0)
	v_add_u32_e32 v17, v69, v17
	ds_write_b32 v70, v17 offset:32
.LBB255_131:
	s_or_b64 exec, exec, s[4:5]
	v_lshrrev_b16_e32 v17, 8, v25
	v_mov_b32_e32 v18, 0x7f
	v_cmp_ne_u16_e64 s[4:5], s53, v25
	v_cndmask_b32_e64 v17, v18, v17, s[4:5]
	v_and_b32_e32 v19, s52, v17
	v_lshlrev_b32_e32 v17, 3, v19
	v_add_lshl_u32 v73, v17, v24, 2
	v_and_b32_e32 v17, 1, v19
	v_add_co_u32_e64 v74, s[4:5], -1, v17
	v_addc_co_u32_e64 v75, s[4:5], 0, -1, s[4:5]
	v_cmp_ne_u32_e64 s[4:5], 0, v17
	v_xor_b32_e32 v17, s5, v75
	v_and_b32_e32 v75, exec_hi, v17
	v_lshlrev_b32_e32 v17, 30, v19
	v_xor_b32_e32 v74, s4, v74
	v_cmp_gt_i64_e64 s[4:5], 0, v[16:17]
	v_not_b32_e32 v17, v17
	v_ashrrev_i32_e32 v17, 31, v17
	v_and_b32_e32 v74, exec_lo, v74
	v_xor_b32_e32 v76, s5, v17
	v_xor_b32_e32 v17, s4, v17
	v_and_b32_e32 v74, v74, v17
	v_lshlrev_b32_e32 v17, 29, v19
	v_cmp_gt_i64_e64 s[4:5], 0, v[16:17]
	v_not_b32_e32 v17, v17
	v_ashrrev_i32_e32 v17, 31, v17
	v_and_b32_e32 v75, v75, v76
	v_xor_b32_e32 v76, s5, v17
	v_xor_b32_e32 v17, s4, v17
	v_and_b32_e32 v74, v74, v17
	v_lshlrev_b32_e32 v17, 28, v19
	v_cmp_gt_i64_e64 s[4:5], 0, v[16:17]
	v_not_b32_e32 v17, v17
	v_ashrrev_i32_e32 v17, 31, v17
	v_and_b32_e32 v75, v75, v76
	;; [unrolled: 8-line block ×5, first 2 shown]
	v_xor_b32_e32 v76, s5, v17
	v_xor_b32_e32 v17, s4, v17
	v_and_b32_e32 v74, v74, v17
	v_lshlrev_b32_e32 v17, 24, v19
	v_cmp_gt_i64_e64 s[4:5], 0, v[16:17]
	v_not_b32_e32 v16, v17
	v_ashrrev_i32_e32 v16, 31, v16
	v_xor_b32_e32 v17, s5, v16
	v_xor_b32_e32 v16, s4, v16
	; wave barrier
	ds_read_b32 v72, v73 offset:32
	v_and_b32_e32 v75, v75, v76
	v_and_b32_e32 v16, v74, v16
	;; [unrolled: 1-line block ×3, first 2 shown]
	v_mbcnt_lo_u32_b32 v19, v16, 0
	v_mbcnt_hi_u32_b32 v74, v17, v19
	v_cmp_eq_u32_e64 s[4:5], 0, v74
	v_cmp_ne_u64_e64 s[46:47], 0, v[16:17]
	s_and_b64 s[46:47], s[46:47], s[4:5]
	; wave barrier
	s_and_saveexec_b64 s[4:5], s[46:47]
	s_cbranch_execz .LBB255_133
; %bb.132:
	v_bcnt_u32_b32 v16, v16, 0
	v_bcnt_u32_b32 v16, v17, v16
	s_waitcnt lgkmcnt(0)
	v_add_u32_e32 v16, v72, v16
	ds_write_b32 v73, v16 offset:32
.LBB255_133:
	s_or_b64 exec, exec, s[4:5]
	v_lshrrev_b16_e32 v16, 8, v20
	v_cmp_ne_u16_e64 s[4:5], s53, v20
	v_cndmask_b32_e64 v16, v18, v16, s[4:5]
	v_and_b32_e32 v18, s52, v16
	v_and_b32_e32 v17, 1, v18
	v_add_co_u32_e64 v19, s[4:5], -1, v17
	v_addc_co_u32_e64 v76, s[4:5], 0, -1, s[4:5]
	v_cmp_ne_u32_e64 s[4:5], 0, v17
	v_lshlrev_b32_e32 v16, 3, v18
	v_xor_b32_e32 v17, s5, v76
	v_add_lshl_u32 v75, v16, v24, 2
	v_mov_b32_e32 v16, 0
	v_and_b32_e32 v76, exec_hi, v17
	v_lshlrev_b32_e32 v17, 30, v18
	v_xor_b32_e32 v19, s4, v19
	v_cmp_gt_i64_e64 s[4:5], 0, v[16:17]
	v_not_b32_e32 v17, v17
	v_ashrrev_i32_e32 v17, 31, v17
	v_and_b32_e32 v19, exec_lo, v19
	v_xor_b32_e32 v77, s5, v17
	v_xor_b32_e32 v17, s4, v17
	v_and_b32_e32 v19, v19, v17
	v_lshlrev_b32_e32 v17, 29, v18
	v_cmp_gt_i64_e64 s[4:5], 0, v[16:17]
	v_not_b32_e32 v17, v17
	v_ashrrev_i32_e32 v17, 31, v17
	v_and_b32_e32 v76, v76, v77
	v_xor_b32_e32 v77, s5, v17
	v_xor_b32_e32 v17, s4, v17
	v_and_b32_e32 v19, v19, v17
	v_lshlrev_b32_e32 v17, 28, v18
	v_cmp_gt_i64_e64 s[4:5], 0, v[16:17]
	v_not_b32_e32 v17, v17
	v_ashrrev_i32_e32 v17, 31, v17
	v_and_b32_e32 v76, v76, v77
	;; [unrolled: 8-line block ×5, first 2 shown]
	v_xor_b32_e32 v77, s5, v17
	v_xor_b32_e32 v17, s4, v17
	v_and_b32_e32 v19, v19, v17
	v_lshlrev_b32_e32 v17, 24, v18
	v_cmp_gt_i64_e64 s[4:5], 0, v[16:17]
	v_not_b32_e32 v16, v17
	v_ashrrev_i32_e32 v16, 31, v16
	v_xor_b32_e32 v17, s5, v16
	v_xor_b32_e32 v16, s4, v16
	; wave barrier
	ds_read_b32 v24, v75 offset:32
	v_and_b32_e32 v76, v76, v77
	v_and_b32_e32 v16, v19, v16
	;; [unrolled: 1-line block ×3, first 2 shown]
	v_mbcnt_lo_u32_b32 v18, v16, 0
	v_mbcnt_hi_u32_b32 v76, v17, v18
	v_cmp_eq_u32_e64 s[4:5], 0, v76
	v_cmp_ne_u64_e64 s[46:47], 0, v[16:17]
	s_and_b64 s[46:47], s[46:47], s[4:5]
	; wave barrier
	s_and_saveexec_b64 s[4:5], s[46:47]
	s_cbranch_execz .LBB255_135
; %bb.134:
	v_bcnt_u32_b32 v16, v16, 0
	v_bcnt_u32_b32 v16, v17, v16
	s_waitcnt lgkmcnt(0)
	v_add_u32_e32 v16, v24, v16
	ds_write_b32 v75, v16 offset:32
.LBB255_135:
	s_or_b64 exec, exec, s[4:5]
	; wave barrier
	s_waitcnt lgkmcnt(0)
	s_barrier
	ds_read2_b32 v[18:19], v62 offset0:8 offset1:9
	ds_read2_b32 v[16:17], v22 offset0:2 offset1:3
	s_waitcnt lgkmcnt(1)
	v_add_u32_e32 v77, v19, v18
	s_waitcnt lgkmcnt(0)
	v_add3_u32 v17, v77, v16, v17
	s_nop 1
	v_mov_b32_dpp v77, v17 row_shr:1 row_mask:0xf bank_mask:0xf
	v_cndmask_b32_e64 v77, v77, 0, s[24:25]
	v_add_u32_e32 v17, v77, v17
	s_nop 1
	v_mov_b32_dpp v77, v17 row_shr:2 row_mask:0xf bank_mask:0xf
	v_cndmask_b32_e64 v77, 0, v77, s[26:27]
	v_add_u32_e32 v17, v17, v77
	;; [unrolled: 4-line block ×4, first 2 shown]
	s_nop 1
	v_mov_b32_dpp v77, v17 row_bcast:15 row_mask:0xf bank_mask:0xf
	v_cndmask_b32_e64 v77, v77, 0, vcc
	v_add_u32_e32 v17, v17, v77
	s_nop 1
	v_mov_b32_dpp v77, v17 row_bcast:31 row_mask:0xf bank_mask:0xf
	v_cndmask_b32_e64 v77, 0, v77, s[36:37]
	v_add_u32_e32 v77, v17, v77
	s_and_saveexec_b64 s[4:5], s[16:17]
	s_cbranch_execz .LBB255_137
; %bb.136:
	ds_write_b32 v23, v77
.LBB255_137:
	s_or_b64 exec, exec, s[4:5]
	s_waitcnt lgkmcnt(0)
	s_barrier
	s_and_saveexec_b64 s[4:5], s[28:29]
	s_cbranch_execz .LBB255_139
; %bb.138:
	ds_read_b32 v17, v21
	s_waitcnt lgkmcnt(0)
	s_nop 0
	v_mov_b32_dpp v23, v17 row_shr:1 row_mask:0xf bank_mask:0xf
	v_cndmask_b32_e64 v23, v23, 0, s[22:23]
	v_add_u32_e32 v17, v23, v17
	s_nop 1
	v_mov_b32_dpp v23, v17 row_shr:2 row_mask:0xf bank_mask:0xf
	v_cndmask_b32_e64 v23, 0, v23, s[20:21]
	v_add_u32_e32 v17, v17, v23
	;; [unrolled: 4-line block ×3, first 2 shown]
	ds_write_b32 v21, v17
.LBB255_139:
	s_or_b64 exec, exec, s[4:5]
	v_mov_b32_e32 v17, 0
	v_mov_b32_e32 v21, 0
	s_waitcnt lgkmcnt(0)
	s_barrier
	s_and_saveexec_b64 s[4:5], s[38:39]
	s_cbranch_execz .LBB255_141
; %bb.140:
	ds_read_b32 v21, v34
.LBB255_141:
	s_or_b64 exec, exec, s[4:5]
	s_waitcnt lgkmcnt(0)
	v_add_u32_e32 v23, v21, v77
	ds_bpermute_b32 v23, v35, v23
	v_lshlrev_b32_e32 v34, 3, v60
	s_mov_b32 s16, 0x5040100
	s_waitcnt lgkmcnt(0)
	v_cndmask_b32_e64 v21, v23, v21, s[40:41]
	v_cndmask_b32_e64 v21, v21, 0, s[42:43]
	v_add_u32_e32 v18, v21, v18
	v_add_u32_e32 v19, v18, v19
	;; [unrolled: 1-line block ×3, first 2 shown]
	ds_write2_b32 v62, v21, v18 offset0:8 offset1:9
	ds_write2_b32 v22, v19, v16 offset0:2 offset1:3
	s_waitcnt lgkmcnt(0)
	s_barrier
	ds_read_b32 v16, v75 offset:32
	ds_read_b32 v18, v73 offset:32
	;; [unrolled: 1-line block ×4, first 2 shown]
	s_waitcnt lgkmcnt(3)
	v_add3_u32 v16, v76, v24, v16
	ds_read_b32 v22, v64 offset:32
	ds_read_b32 v23, v40 offset:32
	;; [unrolled: 1-line block ×4, first 2 shown]
	s_waitcnt lgkmcnt(0)
	s_barrier
	v_add3_u32 v23, v41, v39, v23
	v_add3_u32 v24, v38, v36, v24
	v_add_u32_e32 v32, v32, v33
	v_lshlrev_b32_e32 v33, 1, v32
	ds_write_b16 v33, v31
	v_lshlrev_b32_e32 v31, 1, v24
	v_add3_u32 v22, v65, v63, v22
	ds_write_b16 v31, v30
	v_lshlrev_b32_e32 v30, 1, v23
	v_add3_u32 v21, v68, v66, v21
	;; [unrolled: 3-line block ×4, first 2 shown]
	ds_write_b16 v28, v27
	v_lshlrev_b32_e32 v27, 1, v19
	ds_write_b16 v27, v26
	v_lshlrev_b32_e32 v26, 1, v18
	;; [unrolled: 2-line block ×4, first 2 shown]
	s_waitcnt lgkmcnt(0)
	s_barrier
	v_lshlrev_b32_e32 v26, 3, v21
	v_lshlrev_b32_e32 v27, 3, v19
	v_lshlrev_b32_e32 v28, 3, v18
	ds_read_b128 v[18:21], v20
	v_mov_b32_e32 v40, -1
	v_mov_b32_e32 v41, 0x7fff
	v_lshlrev_b32_e32 v25, 3, v32
	v_lshlrev_b32_e32 v24, 3, v24
	s_waitcnt lgkmcnt(0)
	v_cmp_gt_i16_sdwa vcc, v18, v40 src0_sel:WORD_1 src1_sel:DWORD
	v_cndmask_b32_e32 v29, 0, v41, vcc
	v_cmp_lt_i16_e32 vcc, -1, v18
	v_cndmask_b32_e32 v30, 0, v41, vcc
	v_cmp_lt_i16_sdwa s[4:5], v19, v17 src0_sel:WORD_1 src1_sel:DWORD
	v_cmp_gt_i16_e32 vcc, 0, v19
	v_cndmask_b32_e64 v31, v41, 0, s[4:5]
	v_cndmask_b32_e64 v32, v41, 0, vcc
	v_lshlrev_b32_e32 v23, 3, v23
	v_lshlrev_b32_e32 v22, 3, v22
	v_xor_b32_e32 v32, v32, v19
	v_xor_b32_sdwa v19, v31, v19 dst_sel:DWORD dst_unused:UNUSED_PAD src0_sel:DWORD src1_sel:WORD_1
	v_lshlrev_b32_e32 v16, 3, v16
	v_perm_b32 v39, v19, v32, s16
	v_xor_b32_e32 v19, v30, v18
	v_xor_b32_sdwa v18, v29, v18 dst_sel:DWORD dst_unused:UNUSED_PAD src0_sel:DWORD src1_sel:WORD_1
	s_barrier
	ds_write_b64 v25, v[12:13]
	ds_write_b64 v24, v[14:15]
	;; [unrolled: 1-line block ×8, first 2 shown]
	s_waitcnt lgkmcnt(0)
	s_barrier
	ds_read2_b64 v[22:25], v34 offset1:1
	ds_read2_b64 v[26:29], v34 offset0:2 offset1:3
	ds_read2_b64 v[30:33], v34 offset0:4 offset1:5
	;; [unrolled: 1-line block ×3, first 2 shown]
	v_cmp_gt_i16_sdwa vcc, v20, v40 src0_sel:WORD_1 src1_sel:DWORD
	v_cndmask_b32_e32 v0, 0, v41, vcc
	v_cmp_lt_i16_e32 vcc, -1, v20
	v_cndmask_b32_e32 v1, 0, v41, vcc
	v_cmp_lt_i16_sdwa s[4:5], v21, v17 src0_sel:WORD_1 src1_sel:DWORD
	v_cmp_gt_i16_e32 vcc, 0, v21
	v_cndmask_b32_e64 v2, v41, 0, s[4:5]
	v_cndmask_b32_e64 v3, v41, 0, vcc
	v_xor_b32_e32 v3, v3, v21
	v_xor_b32_sdwa v2, v2, v21 dst_sel:DWORD dst_unused:UNUSED_PAD src0_sel:DWORD src1_sel:WORD_1
	v_xor_b32_e32 v1, v1, v20
	v_xor_b32_sdwa v0, v0, v20 dst_sel:DWORD dst_unused:UNUSED_PAD src0_sel:DWORD src1_sel:WORD_1
	v_perm_b32 v38, v18, v19, s16
	v_perm_b32 v41, v2, v3, s16
	;; [unrolled: 1-line block ×3, first 2 shown]
.LBB255_142:
	s_waitcnt lgkmcnt(0)
	s_barrier
	ds_write_b128 v51, v[38:41]
	s_waitcnt lgkmcnt(0)
	s_barrier
	ds_read_u16 v8, v44 offset:1024
	ds_read_u16 v7, v45 offset:2048
	;; [unrolled: 1-line block ×7, first 2 shown]
	v_mad_u64_u32 v[0:1], s[4:5], v42, s48, 0
	v_mov_b32_e32 v10, v1
	v_mad_u64_u32 v[10:11], s[4:5], v42, s49, v[10:11]
	v_mov_b32_e32 v1, v10
	v_lshlrev_b64 v[0:1], 1, v[0:1]
	v_mov_b32_e32 v9, s54
	v_add_co_u32_e32 v0, vcc, s33, v0
	v_addc_co_u32_e32 v1, vcc, v9, v1, vcc
	s_and_saveexec_b64 s[4:5], s[0:1]
	s_cbranch_execnz .LBB255_161
; %bb.143:
	s_or_b64 exec, exec, s[4:5]
	s_and_saveexec_b64 s[4:5], s[2:3]
	s_cbranch_execnz .LBB255_162
.LBB255_144:
	s_or_b64 exec, exec, s[4:5]
	s_and_saveexec_b64 s[4:5], s[44:45]
	s_cbranch_execnz .LBB255_163
.LBB255_145:
	s_or_b64 exec, exec, s[4:5]
	s_and_saveexec_b64 s[4:5], s[6:7]
	s_cbranch_execnz .LBB255_164
.LBB255_146:
	s_or_b64 exec, exec, s[4:5]
	s_and_saveexec_b64 s[4:5], s[8:9]
	s_cbranch_execnz .LBB255_165
.LBB255_147:
	s_or_b64 exec, exec, s[4:5]
	s_and_saveexec_b64 s[4:5], s[10:11]
	s_cbranch_execnz .LBB255_166
.LBB255_148:
	s_or_b64 exec, exec, s[4:5]
	s_and_saveexec_b64 s[4:5], s[12:13]
	s_cbranch_execnz .LBB255_167
.LBB255_149:
	s_or_b64 exec, exec, s[4:5]
	s_and_saveexec_b64 s[4:5], s[14:15]
	s_cbranch_execz .LBB255_151
.LBB255_150:
	s_waitcnt lgkmcnt(1)
	v_mov_b32_e32 v3, 0x1c00
	v_mad_u64_u32 v[0:1], s[16:17], s48, v3, v[0:1]
	s_mul_i32 s16, s49, 0x1c00
	v_add_u32_e32 v1, s16, v1
	s_waitcnt lgkmcnt(0)
	global_store_short v[0:1], v2, off
.LBB255_151:
	s_or_b64 exec, exec, s[4:5]
	s_waitcnt lgkmcnt(0)
	s_barrier
	ds_write2_b64 v61, v[22:23], v[24:25] offset1:1
	ds_write2_b64 v61, v[26:27], v[28:29] offset0:2 offset1:3
	ds_write2_b64 v61, v[30:31], v[32:33] offset0:4 offset1:5
	;; [unrolled: 1-line block ×3, first 2 shown]
	s_waitcnt lgkmcnt(0)
	s_barrier
	ds_read_b64 v[14:15], v53 offset:4096
	ds_read_b64 v[12:13], v54 offset:8192
	;; [unrolled: 1-line block ×7, first 2 shown]
	v_mad_u64_u32 v[4:5], s[4:5], v42, s50, 0
	v_mov_b32_e32 v16, v5
	v_mad_u64_u32 v[16:17], s[4:5], v42, s51, v[16:17]
	v_mov_b32_e32 v5, v16
	v_lshlrev_b64 v[4:5], 3, v[4:5]
	v_mov_b32_e32 v16, s56
	v_add_co_u32_e32 v4, vcc, s55, v4
	v_addc_co_u32_e32 v5, vcc, v16, v5, vcc
	s_and_saveexec_b64 s[4:5], s[0:1]
	s_cbranch_execnz .LBB255_168
; %bb.152:
	s_or_b64 exec, exec, s[4:5]
	s_and_saveexec_b64 s[0:1], s[2:3]
	s_cbranch_execnz .LBB255_169
.LBB255_153:
	s_or_b64 exec, exec, s[0:1]
	s_and_saveexec_b64 s[0:1], s[44:45]
	s_cbranch_execnz .LBB255_170
.LBB255_154:
	s_or_b64 exec, exec, s[0:1]
	s_and_saveexec_b64 s[0:1], s[6:7]
	s_cbranch_execnz .LBB255_171
.LBB255_155:
	s_or_b64 exec, exec, s[0:1]
	s_and_saveexec_b64 s[0:1], s[8:9]
	s_cbranch_execnz .LBB255_172
.LBB255_156:
	s_or_b64 exec, exec, s[0:1]
	s_and_saveexec_b64 s[0:1], s[10:11]
	s_cbranch_execnz .LBB255_173
.LBB255_157:
	s_or_b64 exec, exec, s[0:1]
	s_and_saveexec_b64 s[0:1], s[12:13]
	s_cbranch_execnz .LBB255_174
.LBB255_158:
	s_or_b64 exec, exec, s[0:1]
	s_and_saveexec_b64 s[0:1], s[14:15]
	s_cbranch_execz .LBB255_160
.LBB255_159:
	s_waitcnt lgkmcnt(1)
	v_mov_b32_e32 v2, 0x7000
	v_mad_u64_u32 v[2:3], s[0:1], s50, v2, v[4:5]
	s_mul_i32 s0, s51, 0x7000
	v_add_u32_e32 v3, s0, v3
	s_waitcnt lgkmcnt(0)
	global_store_dwordx2 v[2:3], v[0:1], off
.LBB255_160:
	s_endpgm
.LBB255_161:
	ds_read_u16 v9, v43
	s_waitcnt lgkmcnt(0)
	global_store_short v[0:1], v9, off
	s_or_b64 exec, exec, s[4:5]
	s_and_saveexec_b64 s[4:5], s[2:3]
	s_cbranch_execz .LBB255_144
.LBB255_162:
	s_lshl_b64 s[16:17], s[48:49], 10
	v_mov_b32_e32 v9, s17
	v_add_co_u32_e32 v10, vcc, s16, v0
	v_addc_co_u32_e32 v11, vcc, v1, v9, vcc
	s_waitcnt lgkmcnt(6)
	global_store_short v[10:11], v8, off
	s_or_b64 exec, exec, s[4:5]
	s_and_saveexec_b64 s[4:5], s[44:45]
	s_cbranch_execz .LBB255_145
.LBB255_163:
	s_lshl_b64 s[16:17], s[48:49], 11
	v_mov_b32_e32 v9, s17
	s_waitcnt lgkmcnt(6)
	v_add_co_u32_e32 v8, vcc, s16, v0
	v_addc_co_u32_e32 v9, vcc, v1, v9, vcc
	s_waitcnt lgkmcnt(5)
	global_store_short v[8:9], v7, off
	s_or_b64 exec, exec, s[4:5]
	s_and_saveexec_b64 s[4:5], s[6:7]
	s_cbranch_execz .LBB255_146
.LBB255_164:
	s_waitcnt lgkmcnt(5)
	v_mov_b32_e32 v7, 0xc00
	v_mad_u64_u32 v[8:9], s[16:17], s48, v7, v[0:1]
	s_mul_i32 s16, s49, 0xc00
	v_add_u32_e32 v9, s16, v9
	s_waitcnt lgkmcnt(4)
	global_store_short v[8:9], v6, off
	s_or_b64 exec, exec, s[4:5]
	s_and_saveexec_b64 s[4:5], s[8:9]
	s_cbranch_execz .LBB255_147
.LBB255_165:
	s_lshl_b64 s[16:17], s[48:49], 12
	s_waitcnt lgkmcnt(5)
	v_mov_b32_e32 v7, s17
	s_waitcnt lgkmcnt(4)
	v_add_co_u32_e32 v6, vcc, s16, v0
	v_addc_co_u32_e32 v7, vcc, v1, v7, vcc
	s_waitcnt lgkmcnt(3)
	global_store_short v[6:7], v5, off
	s_or_b64 exec, exec, s[4:5]
	s_and_saveexec_b64 s[4:5], s[10:11]
	s_cbranch_execz .LBB255_148
.LBB255_166:
	s_waitcnt lgkmcnt(3)
	v_mov_b32_e32 v5, 0x1400
	v_mad_u64_u32 v[6:7], s[16:17], s48, v5, v[0:1]
	s_mul_i32 s16, s49, 0x1400
	v_add_u32_e32 v7, s16, v7
	s_waitcnt lgkmcnt(2)
	global_store_short v[6:7], v4, off
	s_or_b64 exec, exec, s[4:5]
	s_and_saveexec_b64 s[4:5], s[12:13]
	s_cbranch_execz .LBB255_149
.LBB255_167:
	s_waitcnt lgkmcnt(2)
	v_mov_b32_e32 v4, 0x1800
	v_mad_u64_u32 v[4:5], s[16:17], s48, v4, v[0:1]
	s_mul_i32 s16, s49, 0x1800
	v_add_u32_e32 v5, s16, v5
	s_waitcnt lgkmcnt(1)
	global_store_short v[4:5], v3, off
	s_or_b64 exec, exec, s[4:5]
	s_and_saveexec_b64 s[4:5], s[14:15]
	s_cbranch_execnz .LBB255_150
	s_branch .LBB255_151
.LBB255_168:
	ds_read_b64 v[16:17], v52
	s_waitcnt lgkmcnt(0)
	global_store_dwordx2 v[4:5], v[16:17], off
	s_or_b64 exec, exec, s[4:5]
	s_and_saveexec_b64 s[0:1], s[2:3]
	s_cbranch_execz .LBB255_153
.LBB255_169:
	s_lshl_b64 s[2:3], s[50:51], 12
	v_mov_b32_e32 v17, s3
	v_add_co_u32_e32 v16, vcc, s2, v4
	v_addc_co_u32_e32 v17, vcc, v5, v17, vcc
	s_waitcnt lgkmcnt(6)
	global_store_dwordx2 v[16:17], v[14:15], off
	s_or_b64 exec, exec, s[0:1]
	s_and_saveexec_b64 s[0:1], s[44:45]
	s_cbranch_execz .LBB255_154
.LBB255_170:
	s_lshl_b64 s[2:3], s[50:51], 13
	s_waitcnt lgkmcnt(6)
	v_mov_b32_e32 v15, s3
	v_add_co_u32_e32 v14, vcc, s2, v4
	v_addc_co_u32_e32 v15, vcc, v5, v15, vcc
	s_waitcnt lgkmcnt(5)
	global_store_dwordx2 v[14:15], v[12:13], off
	s_or_b64 exec, exec, s[0:1]
	s_and_saveexec_b64 s[0:1], s[6:7]
	s_cbranch_execz .LBB255_155
.LBB255_171:
	s_waitcnt lgkmcnt(5)
	v_mov_b32_e32 v12, 0x3000
	v_mad_u64_u32 v[12:13], s[2:3], s50, v12, v[4:5]
	s_mul_i32 s2, s51, 0x3000
	v_add_u32_e32 v13, s2, v13
	s_waitcnt lgkmcnt(4)
	global_store_dwordx2 v[12:13], v[10:11], off
	s_or_b64 exec, exec, s[0:1]
	s_and_saveexec_b64 s[0:1], s[8:9]
	s_cbranch_execz .LBB255_156
.LBB255_172:
	s_lshl_b64 s[2:3], s[50:51], 14
	s_waitcnt lgkmcnt(4)
	v_mov_b32_e32 v11, s3
	v_add_co_u32_e32 v10, vcc, s2, v4
	v_addc_co_u32_e32 v11, vcc, v5, v11, vcc
	s_waitcnt lgkmcnt(3)
	global_store_dwordx2 v[10:11], v[8:9], off
	s_or_b64 exec, exec, s[0:1]
	s_and_saveexec_b64 s[0:1], s[10:11]
	s_cbranch_execz .LBB255_157
.LBB255_173:
	s_waitcnt lgkmcnt(3)
	v_mov_b32_e32 v8, 0x5000
	v_mad_u64_u32 v[8:9], s[2:3], s50, v8, v[4:5]
	s_mul_i32 s2, s51, 0x5000
	v_add_u32_e32 v9, s2, v9
	s_waitcnt lgkmcnt(2)
	global_store_dwordx2 v[8:9], v[6:7], off
	s_or_b64 exec, exec, s[0:1]
	s_and_saveexec_b64 s[0:1], s[12:13]
	s_cbranch_execz .LBB255_158
.LBB255_174:
	s_waitcnt lgkmcnt(2)
	v_mov_b32_e32 v6, 0x6000
	v_mad_u64_u32 v[6:7], s[2:3], s50, v6, v[4:5]
	s_mul_i32 s2, s51, 0x6000
	v_add_u32_e32 v7, s2, v7
	s_waitcnt lgkmcnt(1)
	global_store_dwordx2 v[6:7], v[2:3], off
	s_or_b64 exec, exec, s[0:1]
	s_and_saveexec_b64 s[0:1], s[14:15]
	s_cbranch_execnz .LBB255_159
	s_branch .LBB255_160
	.section	.rodata,"a",@progbits
	.p2align	6, 0x0
	.amdhsa_kernel _ZN2at6native18radixSortKVInPlaceILin1ELin1ELi512ELi8EN3c108BFloat16ElmEEvNS_4cuda6detail10TensorInfoIT3_T5_EES8_S8_S8_NS6_IT4_S8_EES8_b
		.amdhsa_group_segment_fixed_size 33792
		.amdhsa_private_segment_fixed_size 0
		.amdhsa_kernarg_size 1128
		.amdhsa_user_sgpr_count 6
		.amdhsa_user_sgpr_private_segment_buffer 1
		.amdhsa_user_sgpr_dispatch_ptr 0
		.amdhsa_user_sgpr_queue_ptr 0
		.amdhsa_user_sgpr_kernarg_segment_ptr 1
		.amdhsa_user_sgpr_dispatch_id 0
		.amdhsa_user_sgpr_flat_scratch_init 0
		.amdhsa_user_sgpr_kernarg_preload_length 0
		.amdhsa_user_sgpr_kernarg_preload_offset 0
		.amdhsa_user_sgpr_private_segment_size 0
		.amdhsa_uses_dynamic_stack 0
		.amdhsa_system_sgpr_private_segment_wavefront_offset 0
		.amdhsa_system_sgpr_workgroup_id_x 1
		.amdhsa_system_sgpr_workgroup_id_y 1
		.amdhsa_system_sgpr_workgroup_id_z 1
		.amdhsa_system_sgpr_workgroup_info 0
		.amdhsa_system_vgpr_workitem_id 2
		.amdhsa_next_free_vgpr 106
		.amdhsa_next_free_sgpr 59
		.amdhsa_accum_offset 108
		.amdhsa_reserve_vcc 1
		.amdhsa_reserve_flat_scratch 0
		.amdhsa_float_round_mode_32 0
		.amdhsa_float_round_mode_16_64 0
		.amdhsa_float_denorm_mode_32 3
		.amdhsa_float_denorm_mode_16_64 3
		.amdhsa_dx10_clamp 1
		.amdhsa_ieee_mode 1
		.amdhsa_fp16_overflow 0
		.amdhsa_tg_split 0
		.amdhsa_exception_fp_ieee_invalid_op 0
		.amdhsa_exception_fp_denorm_src 0
		.amdhsa_exception_fp_ieee_div_zero 0
		.amdhsa_exception_fp_ieee_overflow 0
		.amdhsa_exception_fp_ieee_underflow 0
		.amdhsa_exception_fp_ieee_inexact 0
		.amdhsa_exception_int_div_zero 0
	.end_amdhsa_kernel
	.section	.text._ZN2at6native18radixSortKVInPlaceILin1ELin1ELi512ELi8EN3c108BFloat16ElmEEvNS_4cuda6detail10TensorInfoIT3_T5_EES8_S8_S8_NS6_IT4_S8_EES8_b,"axG",@progbits,_ZN2at6native18radixSortKVInPlaceILin1ELin1ELi512ELi8EN3c108BFloat16ElmEEvNS_4cuda6detail10TensorInfoIT3_T5_EES8_S8_S8_NS6_IT4_S8_EES8_b,comdat
.Lfunc_end255:
	.size	_ZN2at6native18radixSortKVInPlaceILin1ELin1ELi512ELi8EN3c108BFloat16ElmEEvNS_4cuda6detail10TensorInfoIT3_T5_EES8_S8_S8_NS6_IT4_S8_EES8_b, .Lfunc_end255-_ZN2at6native18radixSortKVInPlaceILin1ELin1ELi512ELi8EN3c108BFloat16ElmEEvNS_4cuda6detail10TensorInfoIT3_T5_EES8_S8_S8_NS6_IT4_S8_EES8_b
                                        ; -- End function
	.section	.AMDGPU.csdata,"",@progbits
; Kernel info:
; codeLenInByte = 23136
; NumSgprs: 63
; NumVgprs: 106
; NumAgprs: 0
; TotalNumVgprs: 106
; ScratchSize: 0
; MemoryBound: 0
; FloatMode: 240
; IeeeMode: 1
; LDSByteSize: 33792 bytes/workgroup (compile time only)
; SGPRBlocks: 7
; VGPRBlocks: 13
; NumSGPRsForWavesPerEU: 63
; NumVGPRsForWavesPerEU: 106
; AccumOffset: 108
; Occupancy: 2
; WaveLimiterHint : 1
; COMPUTE_PGM_RSRC2:SCRATCH_EN: 0
; COMPUTE_PGM_RSRC2:USER_SGPR: 6
; COMPUTE_PGM_RSRC2:TRAP_HANDLER: 0
; COMPUTE_PGM_RSRC2:TGID_X_EN: 1
; COMPUTE_PGM_RSRC2:TGID_Y_EN: 1
; COMPUTE_PGM_RSRC2:TGID_Z_EN: 1
; COMPUTE_PGM_RSRC2:TIDIG_COMP_CNT: 2
; COMPUTE_PGM_RSRC3_GFX90A:ACCUM_OFFSET: 26
; COMPUTE_PGM_RSRC3_GFX90A:TG_SPLIT: 0
	.section	.text._ZN2at6native18radixSortKVInPlaceILin1ELin1ELi256ELi8EN3c108BFloat16ElmEEvNS_4cuda6detail10TensorInfoIT3_T5_EES8_S8_S8_NS6_IT4_S8_EES8_b,"axG",@progbits,_ZN2at6native18radixSortKVInPlaceILin1ELin1ELi256ELi8EN3c108BFloat16ElmEEvNS_4cuda6detail10TensorInfoIT3_T5_EES8_S8_S8_NS6_IT4_S8_EES8_b,comdat
	.protected	_ZN2at6native18radixSortKVInPlaceILin1ELin1ELi256ELi8EN3c108BFloat16ElmEEvNS_4cuda6detail10TensorInfoIT3_T5_EES8_S8_S8_NS6_IT4_S8_EES8_b ; -- Begin function _ZN2at6native18radixSortKVInPlaceILin1ELin1ELi256ELi8EN3c108BFloat16ElmEEvNS_4cuda6detail10TensorInfoIT3_T5_EES8_S8_S8_NS6_IT4_S8_EES8_b
	.globl	_ZN2at6native18radixSortKVInPlaceILin1ELin1ELi256ELi8EN3c108BFloat16ElmEEvNS_4cuda6detail10TensorInfoIT3_T5_EES8_S8_S8_NS6_IT4_S8_EES8_b
	.p2align	8
	.type	_ZN2at6native18radixSortKVInPlaceILin1ELin1ELi256ELi8EN3c108BFloat16ElmEEvNS_4cuda6detail10TensorInfoIT3_T5_EES8_S8_S8_NS6_IT4_S8_EES8_b,@function
_ZN2at6native18radixSortKVInPlaceILin1ELin1ELi256ELi8EN3c108BFloat16ElmEEvNS_4cuda6detail10TensorInfoIT3_T5_EES8_S8_S8_NS6_IT4_S8_EES8_b: ; @_ZN2at6native18radixSortKVInPlaceILin1ELin1ELi256ELi8EN3c108BFloat16ElmEEvNS_4cuda6detail10TensorInfoIT3_T5_EES8_S8_S8_NS6_IT4_S8_EES8_b
; %bb.0:
	s_load_dwordx4 s[12:15], s[4:5], 0x1a0
	s_load_dwordx2 s[0:1], s[4:5], 0x368
	s_add_u32 s50, s4, 0x368
	s_addc_u32 s51, s5, 0
	s_waitcnt lgkmcnt(0)
	v_mov_b32_e32 v2, s12
	s_mul_i32 s1, s1, s8
	s_add_i32 s1, s1, s7
	s_mul_i32 s0, s1, s0
	v_mov_b32_e32 v3, s13
	s_add_i32 s6, s0, s6
	s_mov_b32 s7, 0
	v_cmp_ge_u64_e32 vcc, s[6:7], v[2:3]
	s_cbranch_vccnz .LBB256_160
; %bb.1:
	s_load_dword s0, s[4:5], 0x198
	s_load_dwordx2 s[46:47], s[4:5], 0x1b0
	s_mov_b64 s[2:3], 0
	s_mov_b64 s[8:9], s[6:7]
	s_waitcnt lgkmcnt(0)
	s_cmp_lt_i32 s0, 2
	s_cbranch_scc1 .LBB256_9
; %bb.2:
	s_mov_b32 s10, 0
	s_add_i32 s15, s0, 1
	s_add_i32 s0, s0, -1
	s_mov_b32 s1, s10
	s_lshl_b64 s[0:1], s[0:1], 3
	s_add_u32 s0, s0, s4
	s_addc_u32 s1, s1, s5
	s_add_u32 s12, s0, 8
	s_addc_u32 s13, s1, 0
	s_mov_b64 s[16:17], s[6:7]
.LBB256_3:                              ; =>This Inner Loop Header: Depth=1
	s_load_dwordx2 s[18:19], s[12:13], 0x0
	s_waitcnt lgkmcnt(0)
	s_or_b64 s[0:1], s[16:17], s[18:19]
	s_mov_b32 s11, s1
	s_cmp_lg_u64 s[10:11], 0
	s_cbranch_scc0 .LBB256_8
; %bb.4:                                ;   in Loop: Header=BB256_3 Depth=1
	v_cvt_f32_u32_e32 v1, s18
	v_cvt_f32_u32_e32 v2, s19
	s_sub_u32 s0, 0, s18
	s_subb_u32 s1, 0, s19
	v_mac_f32_e32 v1, 0x4f800000, v2
	v_rcp_f32_e32 v1, v1
	v_mul_f32_e32 v1, 0x5f7ffffc, v1
	v_mul_f32_e32 v2, 0x2f800000, v1
	v_trunc_f32_e32 v2, v2
	v_mac_f32_e32 v1, 0xcf800000, v2
	v_cvt_u32_f32_e32 v2, v2
	v_cvt_u32_f32_e32 v1, v1
	v_readfirstlane_b32 s8, v2
	v_readfirstlane_b32 s9, v1
	s_mul_i32 s11, s0, s8
	s_mul_hi_u32 s21, s0, s9
	s_mul_i32 s20, s1, s9
	s_add_i32 s11, s21, s11
	s_mul_i32 s22, s0, s9
	s_add_i32 s11, s11, s20
	s_mul_hi_u32 s20, s9, s11
	s_mul_i32 s21, s9, s11
	s_mul_hi_u32 s9, s9, s22
	s_add_u32 s9, s9, s21
	s_addc_u32 s20, 0, s20
	s_mul_hi_u32 s23, s8, s22
	s_mul_i32 s22, s8, s22
	s_add_u32 s9, s9, s22
	s_mul_hi_u32 s21, s8, s11
	s_addc_u32 s9, s20, s23
	s_addc_u32 s20, s21, 0
	s_mul_i32 s11, s8, s11
	s_add_u32 s9, s9, s11
	s_addc_u32 s11, 0, s20
	v_add_co_u32_e32 v1, vcc, s9, v1
	s_cmp_lg_u64 vcc, 0
	s_addc_u32 s8, s8, s11
	v_readfirstlane_b32 s11, v1
	s_mul_i32 s9, s0, s8
	s_mul_hi_u32 s20, s0, s11
	s_add_i32 s9, s20, s9
	s_mul_i32 s1, s1, s11
	s_add_i32 s9, s9, s1
	s_mul_i32 s0, s0, s11
	s_mul_hi_u32 s20, s8, s0
	s_mul_i32 s21, s8, s0
	s_mul_i32 s23, s11, s9
	s_mul_hi_u32 s0, s11, s0
	s_mul_hi_u32 s22, s11, s9
	s_add_u32 s0, s0, s23
	s_addc_u32 s11, 0, s22
	s_add_u32 s0, s0, s21
	s_mul_hi_u32 s1, s8, s9
	s_addc_u32 s0, s11, s20
	s_addc_u32 s1, s1, 0
	s_mul_i32 s9, s8, s9
	s_add_u32 s0, s0, s9
	s_addc_u32 s1, 0, s1
	v_add_co_u32_e32 v1, vcc, s0, v1
	s_cmp_lg_u64 vcc, 0
	s_addc_u32 s0, s8, s1
	v_readfirstlane_b32 s9, v1
	s_mul_i32 s8, s16, s0
	s_mul_hi_u32 s11, s16, s9
	s_mul_hi_u32 s1, s16, s0
	s_add_u32 s8, s11, s8
	s_addc_u32 s1, 0, s1
	s_mul_hi_u32 s20, s17, s9
	s_mul_i32 s9, s17, s9
	s_add_u32 s8, s8, s9
	s_mul_hi_u32 s11, s17, s0
	s_addc_u32 s1, s1, s20
	s_addc_u32 s8, s11, 0
	s_mul_i32 s0, s17, s0
	s_add_u32 s11, s1, s0
	s_addc_u32 s8, 0, s8
	s_mul_i32 s0, s18, s8
	s_mul_hi_u32 s1, s18, s11
	s_add_i32 s0, s1, s0
	s_mul_i32 s1, s19, s11
	s_add_i32 s9, s0, s1
	s_mul_i32 s1, s18, s11
	v_mov_b32_e32 v1, s1
	s_sub_i32 s0, s17, s9
	v_sub_co_u32_e32 v1, vcc, s16, v1
	s_cmp_lg_u64 vcc, 0
	s_subb_u32 s20, s0, s19
	v_subrev_co_u32_e64 v2, s[0:1], s18, v1
	s_cmp_lg_u64 s[0:1], 0
	s_subb_u32 s0, s20, 0
	s_cmp_ge_u32 s0, s19
	v_readfirstlane_b32 s20, v2
	s_cselect_b32 s1, -1, 0
	s_cmp_ge_u32 s20, s18
	s_cselect_b32 s20, -1, 0
	s_cmp_eq_u32 s0, s19
	s_cselect_b32 s0, s20, s1
	s_add_u32 s1, s11, 1
	s_addc_u32 s20, s8, 0
	s_add_u32 s21, s11, 2
	s_addc_u32 s22, s8, 0
	s_cmp_lg_u32 s0, 0
	s_cselect_b32 s0, s21, s1
	s_cselect_b32 s1, s22, s20
	s_cmp_lg_u64 vcc, 0
	s_subb_u32 s9, s17, s9
	s_cmp_ge_u32 s9, s19
	v_readfirstlane_b32 s21, v1
	s_cselect_b32 s20, -1, 0
	s_cmp_ge_u32 s21, s18
	s_cselect_b32 s21, -1, 0
	s_cmp_eq_u32 s9, s19
	s_cselect_b32 s9, s21, s20
	s_cmp_lg_u32 s9, 0
	s_cselect_b32 s9, s1, s8
	s_cselect_b32 s8, s0, s11
	s_cbranch_execnz .LBB256_6
.LBB256_5:                              ;   in Loop: Header=BB256_3 Depth=1
	v_cvt_f32_u32_e32 v1, s18
	s_sub_i32 s0, 0, s18
	v_rcp_iflag_f32_e32 v1, v1
	v_mul_f32_e32 v1, 0x4f7ffffe, v1
	v_cvt_u32_f32_e32 v1, v1
	v_readfirstlane_b32 s1, v1
	s_mul_i32 s0, s0, s1
	s_mul_hi_u32 s0, s1, s0
	s_add_i32 s1, s1, s0
	s_mul_hi_u32 s0, s16, s1
	s_mul_i32 s8, s0, s18
	s_sub_i32 s8, s16, s8
	s_add_i32 s1, s0, 1
	s_sub_i32 s9, s8, s18
	s_cmp_ge_u32 s8, s18
	s_cselect_b32 s0, s1, s0
	s_cselect_b32 s8, s9, s8
	s_add_i32 s1, s0, 1
	s_cmp_ge_u32 s8, s18
	s_cselect_b32 s8, s1, s0
	s_mov_b32 s9, s10
.LBB256_6:                              ;   in Loop: Header=BB256_3 Depth=1
	s_mul_i32 s0, s8, s19
	s_mul_hi_u32 s1, s8, s18
	s_add_i32 s11, s1, s0
	s_load_dwordx2 s[0:1], s[12:13], 0xc8
	s_mul_i32 s19, s9, s18
	s_add_i32 s11, s11, s19
	s_mul_i32 s18, s8, s18
	s_sub_u32 s16, s16, s18
	s_subb_u32 s11, s17, s11
	s_waitcnt lgkmcnt(0)
	s_mul_i32 s11, s0, s11
	s_mul_hi_u32 s17, s0, s16
	s_add_i32 s11, s17, s11
	s_mul_i32 s1, s1, s16
	s_add_i32 s11, s11, s1
	s_mul_i32 s0, s0, s16
	s_add_u32 s2, s0, s2
	s_addc_u32 s3, s11, s3
	s_add_i32 s15, s15, -1
	s_add_u32 s12, s12, -8
	s_addc_u32 s13, s13, -1
	s_cmp_gt_u32 s15, 2
	s_cbranch_scc0 .LBB256_9
; %bb.7:                                ;   in Loop: Header=BB256_3 Depth=1
	s_mov_b64 s[16:17], s[8:9]
	s_branch .LBB256_3
.LBB256_8:                              ;   in Loop: Header=BB256_3 Depth=1
                                        ; implicit-def: $sgpr8_sgpr9
	s_branch .LBB256_5
.LBB256_9:
	s_load_dword s0, s[4:5], 0x350
	s_load_dwordx2 s[10:11], s[4:5], 0xd0
	s_mov_b64 s[16:17], 0
	s_waitcnt lgkmcnt(0)
	s_cmp_lt_i32 s0, 2
	s_cbranch_scc1 .LBB256_17
; %bb.10:
	s_mov_b32 s12, 0
	s_add_i32 s15, s0, 1
	s_add_i32 s0, s0, -1
	s_mov_b32 s1, s12
	s_lshl_b64 s[0:1], s[0:1], 3
	s_add_u32 s0, s0, s4
	s_addc_u32 s1, s1, s5
	s_add_u32 s20, s0, 0x1c0
	s_addc_u32 s21, s1, 0
.LBB256_11:                             ; =>This Inner Loop Header: Depth=1
	s_load_dwordx2 s[22:23], s[20:21], 0x0
	s_waitcnt lgkmcnt(0)
	s_or_b64 s[0:1], s[6:7], s[22:23]
	s_mov_b32 s13, s1
	s_cmp_lg_u64 s[12:13], 0
	s_cbranch_scc0 .LBB256_16
; %bb.12:                               ;   in Loop: Header=BB256_11 Depth=1
	v_cvt_f32_u32_e32 v1, s22
	v_cvt_f32_u32_e32 v2, s23
	s_sub_u32 s0, 0, s22
	s_subb_u32 s1, 0, s23
	v_mac_f32_e32 v1, 0x4f800000, v2
	v_rcp_f32_e32 v1, v1
	v_mul_f32_e32 v1, 0x5f7ffffc, v1
	v_mul_f32_e32 v2, 0x2f800000, v1
	v_trunc_f32_e32 v2, v2
	v_mac_f32_e32 v1, 0xcf800000, v2
	v_cvt_u32_f32_e32 v2, v2
	v_cvt_u32_f32_e32 v1, v1
	v_readfirstlane_b32 s13, v2
	v_readfirstlane_b32 s18, v1
	s_mul_i32 s19, s0, s13
	s_mul_hi_u32 s25, s0, s18
	s_mul_i32 s24, s1, s18
	s_add_i32 s19, s25, s19
	s_mul_i32 s26, s0, s18
	s_add_i32 s19, s19, s24
	s_mul_hi_u32 s24, s18, s19
	s_mul_i32 s25, s18, s19
	s_mul_hi_u32 s18, s18, s26
	s_add_u32 s18, s18, s25
	s_addc_u32 s24, 0, s24
	s_mul_hi_u32 s27, s13, s26
	s_mul_i32 s26, s13, s26
	s_add_u32 s18, s18, s26
	s_mul_hi_u32 s25, s13, s19
	s_addc_u32 s18, s24, s27
	s_addc_u32 s24, s25, 0
	s_mul_i32 s19, s13, s19
	s_add_u32 s18, s18, s19
	s_addc_u32 s19, 0, s24
	v_add_co_u32_e32 v1, vcc, s18, v1
	s_cmp_lg_u64 vcc, 0
	s_addc_u32 s13, s13, s19
	v_readfirstlane_b32 s19, v1
	s_mul_i32 s18, s0, s13
	s_mul_hi_u32 s24, s0, s19
	s_add_i32 s18, s24, s18
	s_mul_i32 s1, s1, s19
	s_add_i32 s18, s18, s1
	s_mul_i32 s0, s0, s19
	s_mul_hi_u32 s24, s13, s0
	s_mul_i32 s25, s13, s0
	s_mul_i32 s27, s19, s18
	s_mul_hi_u32 s0, s19, s0
	s_mul_hi_u32 s26, s19, s18
	s_add_u32 s0, s0, s27
	s_addc_u32 s19, 0, s26
	s_add_u32 s0, s0, s25
	s_mul_hi_u32 s1, s13, s18
	s_addc_u32 s0, s19, s24
	s_addc_u32 s1, s1, 0
	s_mul_i32 s18, s13, s18
	s_add_u32 s0, s0, s18
	s_addc_u32 s1, 0, s1
	v_add_co_u32_e32 v1, vcc, s0, v1
	s_cmp_lg_u64 vcc, 0
	s_addc_u32 s0, s13, s1
	v_readfirstlane_b32 s18, v1
	s_mul_i32 s13, s6, s0
	s_mul_hi_u32 s19, s6, s18
	s_mul_hi_u32 s1, s6, s0
	s_add_u32 s13, s19, s13
	s_addc_u32 s1, 0, s1
	s_mul_hi_u32 s24, s7, s18
	s_mul_i32 s18, s7, s18
	s_add_u32 s13, s13, s18
	s_mul_hi_u32 s19, s7, s0
	s_addc_u32 s1, s1, s24
	s_addc_u32 s13, s19, 0
	s_mul_i32 s0, s7, s0
	s_add_u32 s18, s1, s0
	s_addc_u32 s13, 0, s13
	s_mul_i32 s0, s22, s13
	s_mul_hi_u32 s1, s22, s18
	s_add_i32 s0, s1, s0
	s_mul_i32 s1, s23, s18
	s_add_i32 s19, s0, s1
	s_mul_i32 s1, s22, s18
	v_mov_b32_e32 v1, s1
	s_sub_i32 s0, s7, s19
	v_sub_co_u32_e32 v1, vcc, s6, v1
	s_cmp_lg_u64 vcc, 0
	s_subb_u32 s24, s0, s23
	v_subrev_co_u32_e64 v2, s[0:1], s22, v1
	s_cmp_lg_u64 s[0:1], 0
	s_subb_u32 s0, s24, 0
	s_cmp_ge_u32 s0, s23
	v_readfirstlane_b32 s24, v2
	s_cselect_b32 s1, -1, 0
	s_cmp_ge_u32 s24, s22
	s_cselect_b32 s24, -1, 0
	s_cmp_eq_u32 s0, s23
	s_cselect_b32 s0, s24, s1
	s_add_u32 s1, s18, 1
	s_addc_u32 s24, s13, 0
	s_add_u32 s25, s18, 2
	s_addc_u32 s26, s13, 0
	s_cmp_lg_u32 s0, 0
	s_cselect_b32 s0, s25, s1
	s_cselect_b32 s1, s26, s24
	s_cmp_lg_u64 vcc, 0
	s_subb_u32 s19, s7, s19
	s_cmp_ge_u32 s19, s23
	v_readfirstlane_b32 s25, v1
	s_cselect_b32 s24, -1, 0
	s_cmp_ge_u32 s25, s22
	s_cselect_b32 s25, -1, 0
	s_cmp_eq_u32 s19, s23
	s_cselect_b32 s19, s25, s24
	s_cmp_lg_u32 s19, 0
	s_cselect_b32 s19, s1, s13
	s_cselect_b32 s18, s0, s18
	s_cbranch_execnz .LBB256_14
.LBB256_13:                             ;   in Loop: Header=BB256_11 Depth=1
	v_cvt_f32_u32_e32 v1, s22
	s_sub_i32 s0, 0, s22
	s_mov_b32 s19, s12
	v_rcp_iflag_f32_e32 v1, v1
	v_mul_f32_e32 v1, 0x4f7ffffe, v1
	v_cvt_u32_f32_e32 v1, v1
	v_readfirstlane_b32 s1, v1
	s_mul_i32 s0, s0, s1
	s_mul_hi_u32 s0, s1, s0
	s_add_i32 s1, s1, s0
	s_mul_hi_u32 s0, s6, s1
	s_mul_i32 s13, s0, s22
	s_sub_i32 s13, s6, s13
	s_add_i32 s1, s0, 1
	s_sub_i32 s18, s13, s22
	s_cmp_ge_u32 s13, s22
	s_cselect_b32 s0, s1, s0
	s_cselect_b32 s13, s18, s13
	s_add_i32 s1, s0, 1
	s_cmp_ge_u32 s13, s22
	s_cselect_b32 s18, s1, s0
.LBB256_14:                             ;   in Loop: Header=BB256_11 Depth=1
	s_mul_i32 s0, s18, s23
	s_mul_hi_u32 s1, s18, s22
	s_add_i32 s13, s1, s0
	s_load_dwordx2 s[0:1], s[20:21], 0xc8
	s_mul_i32 s23, s19, s22
	s_add_i32 s13, s13, s23
	s_mul_i32 s22, s18, s22
	s_sub_u32 s6, s6, s22
	s_subb_u32 s7, s7, s13
	s_waitcnt lgkmcnt(0)
	s_mul_i32 s7, s0, s7
	s_mul_hi_u32 s13, s0, s6
	s_add_i32 s7, s13, s7
	s_mul_i32 s1, s1, s6
	s_add_i32 s7, s7, s1
	s_mul_i32 s0, s0, s6
	s_add_u32 s16, s0, s16
	s_addc_u32 s17, s7, s17
	s_add_i32 s15, s15, -1
	s_add_u32 s20, s20, -8
	s_addc_u32 s21, s21, -1
	s_cmp_gt_u32 s15, 2
	s_cbranch_scc0 .LBB256_18
; %bb.15:                               ;   in Loop: Header=BB256_11 Depth=1
	s_mov_b64 s[6:7], s[18:19]
	s_branch .LBB256_11
.LBB256_16:                             ;   in Loop: Header=BB256_11 Depth=1
                                        ; implicit-def: $sgpr18_sgpr19
	s_branch .LBB256_13
.LBB256_17:
	s_mov_b64 s[18:19], s[6:7]
.LBB256_18:
	s_mul_i32 s0, s10, s9
	s_load_dword s9, s[4:5], 0x360
	s_load_dwordx2 s[6:7], s[4:5], 0x0
	s_mul_hi_u32 s1, s10, s8
	s_add_i32 s0, s1, s0
	s_mul_i32 s1, s11, s8
	s_add_i32 s1, s0, s1
	s_waitcnt lgkmcnt(0)
	s_bitcmp1_b32 s9, 0
	s_cselect_b64 s[34:35], -1, 0
	s_mul_i32 s0, s10, s8
	s_mov_b32 s10, 0xffff
	s_and_b64 s[8:9], s[34:35], exec
	s_cselect_b32 s26, s10, 0x7fff
	s_lshl_b64 s[0:1], s[0:1], 1
	s_add_u32 s6, s6, s0
	s_addc_u32 s7, s7, s1
	s_lshl_b64 s[0:1], s[2:3], 1
	s_add_u32 s33, s6, s0
	v_and_b32_e32 v42, 0x3ff, v0
	s_addc_u32 s52, s7, s1
	v_cmp_gt_u32_e64 s[0:1], s14, v42
	v_mov_b32_e32 v2, s26
	s_and_saveexec_b64 s[2:3], s[0:1]
	s_cbranch_execz .LBB256_20
; %bb.19:
	v_mad_u64_u32 v[2:3], s[6:7], v42, s46, 0
	v_mov_b32_e32 v4, v3
	v_mad_u64_u32 v[4:5], s[6:7], v42, s47, v[4:5]
	v_mov_b32_e32 v3, v4
	v_lshlrev_b64 v[2:3], 1, v[2:3]
	v_mov_b32_e32 v1, s52
	v_add_co_u32_e32 v2, vcc, s33, v2
	v_addc_co_u32_e32 v3, vcc, v1, v3, vcc
	global_load_ushort v2, v[2:3], off
.LBB256_20:
	s_or_b64 exec, exec, s[2:3]
	v_add_u32_e32 v33, 0x100, v42
	v_cmp_gt_u32_e64 s[2:3], s14, v33
	v_mov_b32_e32 v3, s26
	s_and_saveexec_b64 s[6:7], s[2:3]
	s_cbranch_execz .LBB256_22
; %bb.21:
	v_mad_u64_u32 v[4:5], s[8:9], v33, s46, 0
	v_mov_b32_e32 v6, v5
	v_mad_u64_u32 v[6:7], s[8:9], v33, s47, v[6:7]
	v_mov_b32_e32 v5, v6
	v_lshlrev_b64 v[4:5], 1, v[4:5]
	v_mov_b32_e32 v1, s52
	v_add_co_u32_e32 v4, vcc, s33, v4
	v_addc_co_u32_e32 v5, vcc, v1, v5, vcc
	global_load_ushort v3, v[4:5], off
.LBB256_22:
	s_or_b64 exec, exec, s[6:7]
	v_add_u32_e32 v31, 0x200, v42
	;; [unrolled: 17-line block ×3, first 2 shown]
	v_cmp_gt_u32_e64 s[6:7], s14, v28
	v_mov_b32_e32 v5, s26
	s_and_saveexec_b64 s[8:9], s[6:7]
	s_cbranch_execz .LBB256_26
; %bb.25:
	v_mad_u64_u32 v[6:7], s[10:11], v28, s46, 0
	v_mov_b32_e32 v8, v7
	v_mad_u64_u32 v[8:9], s[10:11], v28, s47, v[8:9]
	v_mov_b32_e32 v7, v8
	v_lshlrev_b64 v[6:7], 1, v[6:7]
	v_mov_b32_e32 v1, s52
	v_add_co_u32_e32 v6, vcc, s33, v6
	v_addc_co_u32_e32 v7, vcc, v1, v7, vcc
	global_load_ushort v5, v[6:7], off
.LBB256_26:
	s_or_b64 exec, exec, s[8:9]
	v_or_b32_e32 v25, 0x400, v42
	v_cmp_gt_u32_e64 s[8:9], s14, v25
	v_mov_b32_e32 v6, s26
	s_and_saveexec_b64 s[10:11], s[8:9]
	s_cbranch_execz .LBB256_28
; %bb.27:
	v_mad_u64_u32 v[6:7], s[12:13], v25, s46, 0
	v_mov_b32_e32 v8, v7
	v_mad_u64_u32 v[8:9], s[12:13], v25, s47, v[8:9]
	v_mov_b32_e32 v7, v8
	v_lshlrev_b64 v[6:7], 1, v[6:7]
	v_mov_b32_e32 v1, s52
	v_add_co_u32_e32 v6, vcc, s33, v6
	v_addc_co_u32_e32 v7, vcc, v1, v7, vcc
	global_load_ushort v6, v[6:7], off
.LBB256_28:
	s_or_b64 exec, exec, s[10:11]
	v_add_u32_e32 v23, 0x500, v42
	v_cmp_gt_u32_e64 s[10:11], s14, v23
	v_mov_b32_e32 v7, s26
	s_and_saveexec_b64 s[12:13], s[10:11]
	s_cbranch_execz .LBB256_30
; %bb.29:
	v_mad_u64_u32 v[8:9], s[20:21], v23, s46, 0
	v_mov_b32_e32 v10, v9
	v_mad_u64_u32 v[10:11], s[20:21], v23, s47, v[10:11]
	v_mov_b32_e32 v9, v10
	v_lshlrev_b64 v[8:9], 1, v[8:9]
	v_mov_b32_e32 v1, s52
	v_add_co_u32_e32 v8, vcc, s33, v8
	v_addc_co_u32_e32 v9, vcc, v1, v9, vcc
	global_load_ushort v7, v[8:9], off
.LBB256_30:
	s_or_b64 exec, exec, s[12:13]
	s_load_dwordx2 s[22:23], s[4:5], 0x288
	s_load_dwordx2 s[20:21], s[4:5], 0x1b8
	v_add_u32_e32 v22, 0x600, v42
	v_cmp_gt_u32_e64 s[12:13], s14, v22
	v_mov_b32_e32 v8, s26
	s_and_saveexec_b64 s[24:25], s[12:13]
	s_cbranch_execz .LBB256_32
; %bb.31:
	v_mad_u64_u32 v[8:9], s[28:29], v22, s46, 0
	v_mov_b32_e32 v10, v9
	v_mad_u64_u32 v[10:11], s[28:29], v22, s47, v[10:11]
	v_mov_b32_e32 v9, v10
	v_lshlrev_b64 v[8:9], 1, v[8:9]
	v_mov_b32_e32 v1, s52
	v_add_co_u32_e32 v8, vcc, s33, v8
	v_addc_co_u32_e32 v9, vcc, v1, v9, vcc
	global_load_ushort v8, v[8:9], off
.LBB256_32:
	s_or_b64 exec, exec, s[24:25]
	v_add_u32_e32 v1, 0x700, v42
	v_cmp_gt_u32_e64 s[14:15], s14, v1
	v_mov_b32_e32 v9, s26
	s_and_saveexec_b64 s[24:25], s[14:15]
	s_cbranch_execz .LBB256_34
; %bb.33:
	v_mad_u64_u32 v[10:11], s[26:27], v1, s46, 0
	v_mov_b32_e32 v12, v11
	v_mad_u64_u32 v[12:13], s[26:27], v1, s47, v[12:13]
	v_mov_b32_e32 v11, v12
	v_lshlrev_b64 v[10:11], 1, v[10:11]
	v_mov_b32_e32 v9, s52
	v_add_co_u32_e32 v10, vcc, s33, v10
	v_addc_co_u32_e32 v11, vcc, v9, v11, vcc
	global_load_ushort v9, v[10:11], off
.LBB256_34:
	s_or_b64 exec, exec, s[24:25]
	v_lshrrev_b32_e32 v36, 5, v42
	v_and_b32_e32 v10, 30, v36
	v_add_lshl_u32 v43, v10, v42, 1
	v_lshrrev_b32_e32 v35, 5, v33
	s_waitcnt vmcnt(0)
	ds_write_b16 v43, v2
	v_and_b32_e32 v2, 62, v35
	v_lshrrev_b32_e32 v34, 5, v31
	v_add_lshl_u32 v44, v2, v42, 1
	v_and_b32_e32 v2, 62, v34
	v_lshrrev_b32_e32 v32, 5, v28
	v_add_lshl_u32 v45, v2, v42, 1
	;; [unrolled: 3-line block ×3, first 2 shown]
	v_and_b32_e32 v2, 62, v30
	v_lshrrev_b32_e32 v29, 5, v23
	s_waitcnt lgkmcnt(0)
	s_mul_i32 s19, s22, s19
	s_mul_hi_u32 s24, s22, s18
	v_add_lshl_u32 v47, v2, v42, 1
	v_and_b32_e32 v2, 0x7e, v29
	v_lshrrev_b32_e32 v26, 5, v22
	s_add_i32 s19, s24, s19
	s_mul_i32 s23, s23, s18
	v_add_lshl_u32 v48, v2, v42, 1
	v_and_b32_e32 v2, 0x7e, v26
	v_lshrrev_b32_e32 v24, 5, v1
	s_add_i32 s19, s19, s23
	s_mul_i32 s18, s22, s18
	v_add_lshl_u32 v49, v2, v42, 1
	v_and_b32_e32 v2, 0x7e, v24
	v_lshrrev_b32_e32 v27, 2, v42
	s_lshl_b64 s[18:19], s[18:19], 3
	v_add_lshl_u32 v50, v2, v42, 1
	v_lshlrev_b32_e32 v60, 3, v42
	v_and_b32_e32 v2, 0xfe, v27
	s_add_u32 s18, s20, s18
	v_add_lshl_u32 v51, v2, v60, 1
	s_addc_u32 s19, s21, s19
	s_lshl_b64 s[16:17], s[16:17], 3
	s_load_dwordx2 s[48:49], s[4:5], 0x358
	ds_write_b16 v44, v3 offset:512
	ds_write_b16 v45, v4 offset:1024
	;; [unrolled: 1-line block ×7, first 2 shown]
	s_waitcnt lgkmcnt(0)
	s_barrier
	ds_read_b128 v[18:21], v51
	s_add_u32 s53, s18, s16
	s_mov_b32 s16, 0
	s_addc_u32 s54, s19, s17
	s_mov_b32 s17, s16
	s_mov_b32 s18, s16
	;; [unrolled: 1-line block ×15, first 2 shown]
	v_pk_mov_b32 v[2:3], s[16:17], s[16:17] op_sel:[0,1]
	v_pk_mov_b32 v[4:5], s[18:19], s[18:19] op_sel:[0,1]
	;; [unrolled: 1-line block ×8, first 2 shown]
	v_pk_mov_b32 v[2:3], 0, 0
	s_waitcnt lgkmcnt(0)
	s_barrier
	s_and_saveexec_b64 s[4:5], s[0:1]
	s_cbranch_execnz .LBB256_89
; %bb.35:
	s_or_b64 exec, exec, s[4:5]
	s_and_saveexec_b64 s[4:5], s[2:3]
	s_cbranch_execnz .LBB256_90
.LBB256_36:
	s_or_b64 exec, exec, s[4:5]
	s_and_saveexec_b64 s[4:5], s[42:43]
	s_cbranch_execnz .LBB256_91
.LBB256_37:
	s_or_b64 exec, exec, s[4:5]
	s_and_saveexec_b64 s[4:5], s[6:7]
	s_cbranch_execnz .LBB256_92
.LBB256_38:
	s_or_b64 exec, exec, s[4:5]
	s_and_saveexec_b64 s[4:5], s[8:9]
	s_cbranch_execnz .LBB256_93
.LBB256_39:
	s_or_b64 exec, exec, s[4:5]
	s_and_saveexec_b64 s[4:5], s[10:11]
	s_cbranch_execnz .LBB256_94
.LBB256_40:
	s_or_b64 exec, exec, s[4:5]
	s_and_saveexec_b64 s[4:5], s[12:13]
	s_cbranch_execnz .LBB256_95
.LBB256_41:
	s_or_b64 exec, exec, s[4:5]
	s_xor_b64 s[4:5], s[34:35], -1
	s_and_saveexec_b64 s[16:17], s[14:15]
	s_cbranch_execz .LBB256_43
.LBB256_42:
	v_mad_u64_u32 v[16:17], s[18:19], v1, s48, 0
	v_mov_b32_e32 v22, v17
	v_mad_u64_u32 v[22:23], s[18:19], v1, s49, v[22:23]
	v_mov_b32_e32 v17, v22
	v_lshlrev_b64 v[16:17], 3, v[16:17]
	v_mov_b32_e32 v1, s54
	v_add_co_u32_e32 v16, vcc, s53, v16
	v_addc_co_u32_e32 v17, vcc, v1, v17, vcc
	global_load_dwordx2 v[16:17], v[16:17], off
.LBB256_43:
	s_or_b64 exec, exec, s[16:17]
	v_add_lshl_u32 v52, v36, v42, 3
	v_add_lshl_u32 v53, v35, v42, 3
	;; [unrolled: 1-line block ×9, first 2 shown]
	s_waitcnt vmcnt(0)
	ds_write_b64 v52, v[2:3]
	ds_write_b64 v53, v[4:5] offset:2048
	ds_write_b64 v54, v[6:7] offset:4096
	;; [unrolled: 1-line block ×7, first 2 shown]
	s_waitcnt lgkmcnt(0)
	s_barrier
	ds_read2_b64 v[14:17], v61 offset1:1
	ds_read2_b64 v[10:13], v61 offset0:2 offset1:3
	ds_read2_b64 v[6:9], v61 offset0:4 offset1:5
	;; [unrolled: 1-line block ×3, first 2 shown]
	s_and_b64 vcc, exec, s[4:5]
	v_bfe_u32 v63, v0, 10, 10
	v_bfe_u32 v64, v0, 20, 10
	v_mbcnt_lo_u32_b32 v65, -1, 0
	v_lshlrev_b32_e32 v62, 4, v42
	s_waitcnt lgkmcnt(0)
	s_barrier
	s_cbranch_vccz .LBB256_96
; %bb.44:
	s_movk_i32 s4, 0x8000
	v_pk_ashrrev_i16 v24, 15, v18 op_sel_hi:[0,1]
	v_or_b32_e32 v25, 0xffff8000, v24
	v_or_b32_sdwa v24, v24, s4 dst_sel:DWORD dst_unused:UNUSED_PAD src0_sel:WORD_1 src1_sel:DWORD
	v_pk_ashrrev_i16 v22, 15, v19 op_sel_hi:[0,1]
	v_xor_b32_sdwa v26, v24, v18 dst_sel:DWORD dst_unused:UNUSED_PAD src0_sel:DWORD src1_sel:WORD_1
	v_pk_ashrrev_i16 v24, 15, v21 op_sel_hi:[0,1]
	v_pk_ashrrev_i16 v28, 15, v20 op_sel_hi:[0,1]
	v_mbcnt_hi_u32_b32 v74, -1, v65
	v_and_b32_e32 v40, 0x3c0, v42
	v_or_b32_e32 v23, 0xffff8000, v22
	v_or_b32_sdwa v22, v22, s4 dst_sel:DWORD dst_unused:UNUSED_PAD src0_sel:WORD_1 src1_sel:DWORD
	v_xor_b32_e32 v27, v25, v18
	v_or_b32_e32 v25, 0xffff8000, v24
	v_or_b32_e32 v29, 0xffff8000, v28
	v_or_b32_sdwa v24, v24, s4 dst_sel:DWORD dst_unused:UNUSED_PAD src0_sel:WORD_1 src1_sel:DWORD
	v_or_b32_sdwa v28, v28, s4 dst_sel:DWORD dst_unused:UNUSED_PAD src0_sel:WORD_1 src1_sel:DWORD
	v_add_u32_e32 v0, v74, v40
	v_xor_b32_sdwa v22, v22, v19 dst_sel:DWORD dst_unused:UNUSED_PAD src0_sel:DWORD src1_sel:WORD_1
	v_xor_b32_e32 v23, v23, v19
	v_xor_b32_sdwa v28, v28, v20 dst_sel:DWORD dst_unused:UNUSED_PAD src0_sel:DWORD src1_sel:WORD_1
	v_xor_b32_sdwa v24, v24, v21 dst_sel:DWORD dst_unused:UNUSED_PAD src0_sel:DWORD src1_sel:WORD_1
	v_xor_b32_e32 v29, v29, v20
	v_xor_b32_e32 v25, v25, v21
	s_mov_b32 s4, 0x5040100
	v_lshlrev_b32_e32 v1, 4, v0
	v_perm_b32 v25, v24, v25, s4
	v_perm_b32 v24, v28, v29, s4
	;; [unrolled: 1-line block ×4, first 2 shown]
	v_and_b32_e32 v80, 0x1e00, v60
	ds_write_b128 v1, v[22:25]
	v_or_b32_e32 v1, v74, v80
	v_lshlrev_b32_e32 v22, 1, v1
	v_lshlrev_b32_e32 v0, 6, v0
	; wave barrier
	ds_read_u16 v77, v22
	ds_read_u16 v76, v22 offset:128
	ds_read_u16 v75, v22 offset:256
	ds_read_u16 v73, v22 offset:384
	ds_read_u16 v72, v22 offset:512
	ds_read_u16 v71, v22 offset:640
	ds_read_u16 v70, v22 offset:768
	ds_read_u16 v69, v22 offset:896
	s_waitcnt lgkmcnt(0)
	s_barrier
	ds_write2_b64 v0, v[14:15], v[16:17] offset1:1
	ds_write2_b64 v0, v[10:11], v[12:13] offset0:2 offset1:3
	ds_write2_b64 v0, v[6:7], v[8:9] offset0:4 offset1:5
	;; [unrolled: 1-line block ×3, first 2 shown]
	v_lshlrev_b32_e32 v0, 3, v1
	; wave barrier
	ds_read2st64_b64 v[34:37], v0 offset1:1
	ds_read2st64_b64 v[30:33], v0 offset0:2 offset1:3
	ds_read2st64_b64 v[26:29], v0 offset0:4 offset1:5
	;; [unrolled: 1-line block ×3, first 2 shown]
	s_waitcnt lgkmcnt(0)
	s_barrier
	s_load_dword s16, s[50:51], 0xc
	s_getpc_b64 s[4:5]
	s_add_u32 s4, s4, _ZN7rocprim17ROCPRIM_400000_NS16block_radix_sortI12hip_bfloat16Lj256ELj8ElLj1ELj1ELj0ELNS0_26block_radix_rank_algorithmE1ELNS0_18block_padding_hintE2ELNS0_4arch9wavefront6targetE1EE19radix_bits_per_passE@rel32@lo+4
	s_addc_u32 s5, s5, _ZN7rocprim17ROCPRIM_400000_NS16block_radix_sortI12hip_bfloat16Lj256ELj8ElLj1ELj1ELj0ELNS0_26block_radix_rank_algorithmE1ELNS0_18block_padding_hintE2ELNS0_4arch9wavefront6targetE1EE19radix_bits_per_passE@rel32@hi+12
	s_load_dword s44, s[4:5], 0x0
	s_movk_i32 s17, 0x7fff
	v_mov_b32_e32 v41, 0xffff8000
	s_waitcnt lgkmcnt(0)
	s_lshr_b32 s4, s16, 16
	s_and_b32 s5, s16, 0xffff
	v_mad_u32_u24 v1, v64, s4, v63
	v_mad_u64_u32 v[38:39], s[4:5], v1, s5, v[42:43]
	s_min_u32 s4, s44, 16
	s_lshl_b32 s4, -1, s4
	v_cmp_ne_u16_e32 vcc, s17, v77
	s_not_b32 s16, s4
	v_cndmask_b32_e32 v1, v41, v77, vcc
	v_lshrrev_b32_e32 v66, 6, v38
	v_and_b32_sdwa v38, s16, v1 dst_sel:DWORD dst_unused:UNUSED_PAD src0_sel:DWORD src1_sel:WORD_0
	v_lshlrev_b32_e32 v1, 2, v38
	v_add_lshl_u32 v81, v66, v1, 2
	v_and_b32_e32 v1, 1, v38
	v_add_co_u32_e32 v39, vcc, -1, v1
	v_addc_co_u32_e64 v67, s[4:5], 0, -1, vcc
	v_cmp_ne_u32_e32 vcc, 0, v1
	v_xor_b32_e32 v1, vcc_hi, v67
	v_mov_b32_e32 v0, 0
	v_and_b32_e32 v67, exec_hi, v1
	v_lshlrev_b32_e32 v1, 30, v38
	v_xor_b32_e32 v39, vcc_lo, v39
	v_cmp_gt_i64_e32 vcc, 0, v[0:1]
	v_not_b32_e32 v1, v1
	v_ashrrev_i32_e32 v1, 31, v1
	v_and_b32_e32 v39, exec_lo, v39
	v_xor_b32_e32 v68, vcc_hi, v1
	v_xor_b32_e32 v1, vcc_lo, v1
	v_and_b32_e32 v39, v39, v1
	v_lshlrev_b32_e32 v1, 29, v38
	v_cmp_gt_i64_e32 vcc, 0, v[0:1]
	v_not_b32_e32 v1, v1
	v_ashrrev_i32_e32 v1, 31, v1
	v_and_b32_e32 v67, v67, v68
	v_xor_b32_e32 v68, vcc_hi, v1
	v_xor_b32_e32 v1, vcc_lo, v1
	v_and_b32_e32 v39, v39, v1
	v_lshlrev_b32_e32 v1, 28, v38
	v_cmp_gt_i64_e32 vcc, 0, v[0:1]
	v_not_b32_e32 v1, v1
	v_ashrrev_i32_e32 v1, 31, v1
	v_and_b32_e32 v67, v67, v68
	v_xor_b32_e32 v68, vcc_hi, v1
	v_xor_b32_e32 v1, vcc_lo, v1
	v_and_b32_e32 v39, v39, v1
	v_lshlrev_b32_e32 v1, 27, v38
	v_cmp_gt_i64_e32 vcc, 0, v[0:1]
	v_not_b32_e32 v1, v1
	v_ashrrev_i32_e32 v1, 31, v1
	v_and_b32_e32 v67, v67, v68
	v_xor_b32_e32 v68, vcc_hi, v1
	v_xor_b32_e32 v1, vcc_lo, v1
	v_and_b32_e32 v39, v39, v1
	v_lshlrev_b32_e32 v1, 26, v38
	v_cmp_gt_i64_e32 vcc, 0, v[0:1]
	v_not_b32_e32 v1, v1
	v_ashrrev_i32_e32 v1, 31, v1
	v_and_b32_e32 v67, v67, v68
	v_xor_b32_e32 v68, vcc_hi, v1
	v_xor_b32_e32 v1, vcc_lo, v1
	v_and_b32_e32 v39, v39, v1
	v_lshlrev_b32_e32 v1, 25, v38
	v_cmp_gt_i64_e32 vcc, 0, v[0:1]
	v_not_b32_e32 v1, v1
	v_ashrrev_i32_e32 v1, 31, v1
	v_and_b32_e32 v67, v67, v68
	v_xor_b32_e32 v68, vcc_hi, v1
	v_xor_b32_e32 v1, vcc_lo, v1
	v_and_b32_e32 v67, v67, v68
	v_and_b32_e32 v68, v39, v1
	v_lshlrev_b32_e32 v1, 24, v38
	v_cmp_gt_i64_e32 vcc, 0, v[0:1]
	v_not_b32_e32 v1, v1
	v_ashrrev_i32_e32 v1, 31, v1
	v_xor_b32_e32 v38, vcc_hi, v1
	v_xor_b32_e32 v1, vcc_lo, v1
	v_and_b32_e32 v39, v67, v38
	v_and_b32_e32 v38, v68, v1
	v_mbcnt_lo_u32_b32 v1, v38, 0
	v_mbcnt_hi_u32_b32 v82, v39, v1
	v_cmp_eq_u32_e32 vcc, 0, v82
	v_cmp_ne_u64_e64 s[4:5], 0, v[38:39]
	s_and_b64 s[18:19], s[4:5], vcc
	ds_write2_b32 v62, v0, v0 offset0:4 offset1:5
	ds_write2_b32 v62, v0, v0 offset0:6 offset1:7
	s_waitcnt lgkmcnt(0)
	s_barrier
	s_waitcnt lgkmcnt(0)
	; wave barrier
	s_and_saveexec_b64 s[4:5], s[18:19]
	s_cbranch_execz .LBB256_46
; %bb.45:
	v_bcnt_u32_b32 v1, v38, 0
	v_bcnt_u32_b32 v1, v39, v1
	ds_write_b32 v81, v1 offset:16
.LBB256_46:
	s_or_b64 exec, exec, s[4:5]
	v_cmp_ne_u16_e32 vcc, s17, v76
	v_cndmask_b32_e32 v1, v41, v76, vcc
	v_and_b32_sdwa v38, s16, v1 dst_sel:DWORD dst_unused:UNUSED_PAD src0_sel:DWORD src1_sel:WORD_0
	v_lshlrev_b32_e32 v1, 2, v38
	v_add_lshl_u32 v84, v66, v1, 2
	v_and_b32_e32 v1, 1, v38
	v_add_co_u32_e32 v39, vcc, -1, v1
	v_addc_co_u32_e64 v41, s[4:5], 0, -1, vcc
	v_cmp_ne_u32_e32 vcc, 0, v1
	v_xor_b32_e32 v1, vcc_hi, v41
	v_and_b32_e32 v41, exec_hi, v1
	v_lshlrev_b32_e32 v1, 30, v38
	v_xor_b32_e32 v39, vcc_lo, v39
	v_cmp_gt_i64_e32 vcc, 0, v[0:1]
	v_not_b32_e32 v1, v1
	v_ashrrev_i32_e32 v1, 31, v1
	v_and_b32_e32 v39, exec_lo, v39
	v_xor_b32_e32 v67, vcc_hi, v1
	v_xor_b32_e32 v1, vcc_lo, v1
	v_and_b32_e32 v39, v39, v1
	v_lshlrev_b32_e32 v1, 29, v38
	v_cmp_gt_i64_e32 vcc, 0, v[0:1]
	v_not_b32_e32 v1, v1
	v_ashrrev_i32_e32 v1, 31, v1
	v_and_b32_e32 v41, v41, v67
	v_xor_b32_e32 v67, vcc_hi, v1
	v_xor_b32_e32 v1, vcc_lo, v1
	v_and_b32_e32 v39, v39, v1
	v_lshlrev_b32_e32 v1, 28, v38
	v_cmp_gt_i64_e32 vcc, 0, v[0:1]
	v_not_b32_e32 v1, v1
	v_ashrrev_i32_e32 v1, 31, v1
	v_and_b32_e32 v41, v41, v67
	;; [unrolled: 8-line block ×5, first 2 shown]
	v_xor_b32_e32 v67, vcc_hi, v1
	v_xor_b32_e32 v1, vcc_lo, v1
	v_and_b32_e32 v39, v39, v1
	v_lshlrev_b32_e32 v1, 24, v38
	v_cmp_gt_i64_e32 vcc, 0, v[0:1]
	v_not_b32_e32 v0, v1
	v_ashrrev_i32_e32 v0, 31, v0
	v_xor_b32_e32 v1, vcc_hi, v0
	v_xor_b32_e32 v0, vcc_lo, v0
	; wave barrier
	ds_read_b32 v83, v84 offset:16
	v_and_b32_e32 v41, v41, v67
	v_and_b32_e32 v0, v39, v0
	;; [unrolled: 1-line block ×3, first 2 shown]
	v_mbcnt_lo_u32_b32 v38, v0, 0
	v_mbcnt_hi_u32_b32 v85, v1, v38
	v_cmp_eq_u32_e32 vcc, 0, v85
	v_cmp_ne_u64_e64 s[4:5], 0, v[0:1]
	s_and_b64 s[18:19], s[4:5], vcc
	; wave barrier
	s_and_saveexec_b64 s[4:5], s[18:19]
	s_cbranch_execz .LBB256_48
; %bb.47:
	v_bcnt_u32_b32 v0, v0, 0
	v_bcnt_u32_b32 v0, v1, v0
	s_waitcnt lgkmcnt(0)
	v_add_u32_e32 v0, v83, v0
	ds_write_b32 v84, v0 offset:16
.LBB256_48:
	s_or_b64 exec, exec, s[4:5]
	v_mov_b32_e32 v41, 0xffff8000
	v_cmp_ne_u16_e32 vcc, s17, v75
	v_cndmask_b32_e32 v0, v41, v75, vcc
	v_and_b32_sdwa v38, s16, v0 dst_sel:DWORD dst_unused:UNUSED_PAD src0_sel:DWORD src1_sel:WORD_0
	v_and_b32_e32 v1, 1, v38
	v_add_co_u32_e32 v39, vcc, -1, v1
	v_addc_co_u32_e64 v67, s[4:5], 0, -1, vcc
	v_cmp_ne_u32_e32 vcc, 0, v1
	v_lshlrev_b32_e32 v0, 2, v38
	v_xor_b32_e32 v1, vcc_hi, v67
	v_add_lshl_u32 v87, v66, v0, 2
	v_mov_b32_e32 v0, 0
	v_and_b32_e32 v67, exec_hi, v1
	v_lshlrev_b32_e32 v1, 30, v38
	v_xor_b32_e32 v39, vcc_lo, v39
	v_cmp_gt_i64_e32 vcc, 0, v[0:1]
	v_not_b32_e32 v1, v1
	v_ashrrev_i32_e32 v1, 31, v1
	v_and_b32_e32 v39, exec_lo, v39
	v_xor_b32_e32 v68, vcc_hi, v1
	v_xor_b32_e32 v1, vcc_lo, v1
	v_and_b32_e32 v39, v39, v1
	v_lshlrev_b32_e32 v1, 29, v38
	v_cmp_gt_i64_e32 vcc, 0, v[0:1]
	v_not_b32_e32 v1, v1
	v_ashrrev_i32_e32 v1, 31, v1
	v_and_b32_e32 v67, v67, v68
	v_xor_b32_e32 v68, vcc_hi, v1
	v_xor_b32_e32 v1, vcc_lo, v1
	v_and_b32_e32 v39, v39, v1
	v_lshlrev_b32_e32 v1, 28, v38
	v_cmp_gt_i64_e32 vcc, 0, v[0:1]
	v_not_b32_e32 v1, v1
	v_ashrrev_i32_e32 v1, 31, v1
	v_and_b32_e32 v67, v67, v68
	;; [unrolled: 8-line block ×5, first 2 shown]
	v_xor_b32_e32 v68, vcc_hi, v1
	v_xor_b32_e32 v1, vcc_lo, v1
	v_and_b32_e32 v67, v67, v68
	v_and_b32_e32 v68, v39, v1
	v_lshlrev_b32_e32 v1, 24, v38
	v_cmp_gt_i64_e32 vcc, 0, v[0:1]
	v_not_b32_e32 v1, v1
	v_ashrrev_i32_e32 v1, 31, v1
	v_xor_b32_e32 v38, vcc_hi, v1
	v_xor_b32_e32 v1, vcc_lo, v1
	; wave barrier
	ds_read_b32 v86, v87 offset:16
	v_and_b32_e32 v39, v67, v38
	v_and_b32_e32 v38, v68, v1
	v_mbcnt_lo_u32_b32 v1, v38, 0
	v_mbcnt_hi_u32_b32 v88, v39, v1
	v_cmp_eq_u32_e32 vcc, 0, v88
	v_cmp_ne_u64_e64 s[4:5], 0, v[38:39]
	s_and_b64 s[18:19], s[4:5], vcc
	; wave barrier
	s_and_saveexec_b64 s[4:5], s[18:19]
	s_cbranch_execz .LBB256_50
; %bb.49:
	v_bcnt_u32_b32 v1, v38, 0
	v_bcnt_u32_b32 v1, v39, v1
	s_waitcnt lgkmcnt(0)
	v_add_u32_e32 v1, v86, v1
	ds_write_b32 v87, v1 offset:16
.LBB256_50:
	s_or_b64 exec, exec, s[4:5]
	v_cmp_ne_u16_e32 vcc, s17, v73
	v_cndmask_b32_e32 v1, v41, v73, vcc
	v_and_b32_sdwa v38, s16, v1 dst_sel:DWORD dst_unused:UNUSED_PAD src0_sel:DWORD src1_sel:WORD_0
	v_lshlrev_b32_e32 v1, 2, v38
	v_add_lshl_u32 v90, v66, v1, 2
	v_and_b32_e32 v1, 1, v38
	v_add_co_u32_e32 v39, vcc, -1, v1
	v_addc_co_u32_e64 v41, s[4:5], 0, -1, vcc
	v_cmp_ne_u32_e32 vcc, 0, v1
	v_xor_b32_e32 v1, vcc_hi, v41
	v_and_b32_e32 v41, exec_hi, v1
	v_lshlrev_b32_e32 v1, 30, v38
	v_xor_b32_e32 v39, vcc_lo, v39
	v_cmp_gt_i64_e32 vcc, 0, v[0:1]
	v_not_b32_e32 v1, v1
	v_ashrrev_i32_e32 v1, 31, v1
	v_and_b32_e32 v39, exec_lo, v39
	v_xor_b32_e32 v67, vcc_hi, v1
	v_xor_b32_e32 v1, vcc_lo, v1
	v_and_b32_e32 v39, v39, v1
	v_lshlrev_b32_e32 v1, 29, v38
	v_cmp_gt_i64_e32 vcc, 0, v[0:1]
	v_not_b32_e32 v1, v1
	v_ashrrev_i32_e32 v1, 31, v1
	v_and_b32_e32 v41, v41, v67
	v_xor_b32_e32 v67, vcc_hi, v1
	v_xor_b32_e32 v1, vcc_lo, v1
	v_and_b32_e32 v39, v39, v1
	v_lshlrev_b32_e32 v1, 28, v38
	v_cmp_gt_i64_e32 vcc, 0, v[0:1]
	v_not_b32_e32 v1, v1
	v_ashrrev_i32_e32 v1, 31, v1
	v_and_b32_e32 v41, v41, v67
	;; [unrolled: 8-line block ×5, first 2 shown]
	v_xor_b32_e32 v67, vcc_hi, v1
	v_xor_b32_e32 v1, vcc_lo, v1
	v_and_b32_e32 v39, v39, v1
	v_lshlrev_b32_e32 v1, 24, v38
	v_cmp_gt_i64_e32 vcc, 0, v[0:1]
	v_not_b32_e32 v0, v1
	v_ashrrev_i32_e32 v0, 31, v0
	v_xor_b32_e32 v1, vcc_hi, v0
	v_xor_b32_e32 v0, vcc_lo, v0
	; wave barrier
	ds_read_b32 v89, v90 offset:16
	v_and_b32_e32 v41, v41, v67
	v_and_b32_e32 v0, v39, v0
	;; [unrolled: 1-line block ×3, first 2 shown]
	v_mbcnt_lo_u32_b32 v38, v0, 0
	v_mbcnt_hi_u32_b32 v91, v1, v38
	v_cmp_eq_u32_e32 vcc, 0, v91
	v_cmp_ne_u64_e64 s[4:5], 0, v[0:1]
	s_and_b64 s[18:19], s[4:5], vcc
	; wave barrier
	s_and_saveexec_b64 s[4:5], s[18:19]
	s_cbranch_execz .LBB256_52
; %bb.51:
	v_bcnt_u32_b32 v0, v0, 0
	v_bcnt_u32_b32 v0, v1, v0
	s_waitcnt lgkmcnt(0)
	v_add_u32_e32 v0, v89, v0
	ds_write_b32 v90, v0 offset:16
.LBB256_52:
	s_or_b64 exec, exec, s[4:5]
	v_mov_b32_e32 v41, 0xffff8000
	v_cmp_ne_u16_e32 vcc, s17, v72
	v_cndmask_b32_e32 v0, v41, v72, vcc
	v_and_b32_sdwa v38, s16, v0 dst_sel:DWORD dst_unused:UNUSED_PAD src0_sel:DWORD src1_sel:WORD_0
	v_and_b32_e32 v1, 1, v38
	v_add_co_u32_e32 v39, vcc, -1, v1
	v_addc_co_u32_e64 v67, s[4:5], 0, -1, vcc
	v_cmp_ne_u32_e32 vcc, 0, v1
	v_lshlrev_b32_e32 v0, 2, v38
	v_xor_b32_e32 v1, vcc_hi, v67
	v_add_lshl_u32 v93, v66, v0, 2
	v_mov_b32_e32 v0, 0
	v_and_b32_e32 v67, exec_hi, v1
	v_lshlrev_b32_e32 v1, 30, v38
	v_xor_b32_e32 v39, vcc_lo, v39
	v_cmp_gt_i64_e32 vcc, 0, v[0:1]
	v_not_b32_e32 v1, v1
	v_ashrrev_i32_e32 v1, 31, v1
	v_and_b32_e32 v39, exec_lo, v39
	v_xor_b32_e32 v68, vcc_hi, v1
	v_xor_b32_e32 v1, vcc_lo, v1
	v_and_b32_e32 v39, v39, v1
	v_lshlrev_b32_e32 v1, 29, v38
	v_cmp_gt_i64_e32 vcc, 0, v[0:1]
	v_not_b32_e32 v1, v1
	v_ashrrev_i32_e32 v1, 31, v1
	v_and_b32_e32 v67, v67, v68
	v_xor_b32_e32 v68, vcc_hi, v1
	v_xor_b32_e32 v1, vcc_lo, v1
	v_and_b32_e32 v39, v39, v1
	v_lshlrev_b32_e32 v1, 28, v38
	v_cmp_gt_i64_e32 vcc, 0, v[0:1]
	v_not_b32_e32 v1, v1
	v_ashrrev_i32_e32 v1, 31, v1
	v_and_b32_e32 v67, v67, v68
	;; [unrolled: 8-line block ×5, first 2 shown]
	v_xor_b32_e32 v68, vcc_hi, v1
	v_xor_b32_e32 v1, vcc_lo, v1
	v_and_b32_e32 v67, v67, v68
	v_and_b32_e32 v68, v39, v1
	v_lshlrev_b32_e32 v1, 24, v38
	v_cmp_gt_i64_e32 vcc, 0, v[0:1]
	v_not_b32_e32 v1, v1
	v_ashrrev_i32_e32 v1, 31, v1
	v_xor_b32_e32 v38, vcc_hi, v1
	v_xor_b32_e32 v1, vcc_lo, v1
	; wave barrier
	ds_read_b32 v92, v93 offset:16
	v_and_b32_e32 v39, v67, v38
	v_and_b32_e32 v38, v68, v1
	v_mbcnt_lo_u32_b32 v1, v38, 0
	v_mbcnt_hi_u32_b32 v94, v39, v1
	v_cmp_eq_u32_e32 vcc, 0, v94
	v_cmp_ne_u64_e64 s[4:5], 0, v[38:39]
	s_and_b64 s[18:19], s[4:5], vcc
	; wave barrier
	s_and_saveexec_b64 s[4:5], s[18:19]
	s_cbranch_execz .LBB256_54
; %bb.53:
	v_bcnt_u32_b32 v1, v38, 0
	v_bcnt_u32_b32 v1, v39, v1
	s_waitcnt lgkmcnt(0)
	v_add_u32_e32 v1, v92, v1
	ds_write_b32 v93, v1 offset:16
.LBB256_54:
	s_or_b64 exec, exec, s[4:5]
	v_cmp_ne_u16_e32 vcc, s17, v71
	v_cndmask_b32_e32 v1, v41, v71, vcc
	v_and_b32_sdwa v38, s16, v1 dst_sel:DWORD dst_unused:UNUSED_PAD src0_sel:DWORD src1_sel:WORD_0
	v_lshlrev_b32_e32 v1, 2, v38
	v_add_lshl_u32 v96, v66, v1, 2
	v_and_b32_e32 v1, 1, v38
	v_add_co_u32_e32 v39, vcc, -1, v1
	v_addc_co_u32_e64 v41, s[4:5], 0, -1, vcc
	v_cmp_ne_u32_e32 vcc, 0, v1
	v_xor_b32_e32 v1, vcc_hi, v41
	v_and_b32_e32 v41, exec_hi, v1
	v_lshlrev_b32_e32 v1, 30, v38
	v_xor_b32_e32 v39, vcc_lo, v39
	v_cmp_gt_i64_e32 vcc, 0, v[0:1]
	v_not_b32_e32 v1, v1
	v_ashrrev_i32_e32 v1, 31, v1
	v_and_b32_e32 v39, exec_lo, v39
	v_xor_b32_e32 v67, vcc_hi, v1
	v_xor_b32_e32 v1, vcc_lo, v1
	v_and_b32_e32 v39, v39, v1
	v_lshlrev_b32_e32 v1, 29, v38
	v_cmp_gt_i64_e32 vcc, 0, v[0:1]
	v_not_b32_e32 v1, v1
	v_ashrrev_i32_e32 v1, 31, v1
	v_and_b32_e32 v41, v41, v67
	v_xor_b32_e32 v67, vcc_hi, v1
	v_xor_b32_e32 v1, vcc_lo, v1
	v_and_b32_e32 v39, v39, v1
	v_lshlrev_b32_e32 v1, 28, v38
	v_cmp_gt_i64_e32 vcc, 0, v[0:1]
	v_not_b32_e32 v1, v1
	v_ashrrev_i32_e32 v1, 31, v1
	v_and_b32_e32 v41, v41, v67
	;; [unrolled: 8-line block ×5, first 2 shown]
	v_xor_b32_e32 v67, vcc_hi, v1
	v_xor_b32_e32 v1, vcc_lo, v1
	v_and_b32_e32 v39, v39, v1
	v_lshlrev_b32_e32 v1, 24, v38
	v_cmp_gt_i64_e32 vcc, 0, v[0:1]
	v_not_b32_e32 v0, v1
	v_ashrrev_i32_e32 v0, 31, v0
	v_xor_b32_e32 v1, vcc_hi, v0
	v_xor_b32_e32 v0, vcc_lo, v0
	; wave barrier
	ds_read_b32 v95, v96 offset:16
	v_and_b32_e32 v41, v41, v67
	v_and_b32_e32 v0, v39, v0
	v_and_b32_e32 v1, v41, v1
	v_mbcnt_lo_u32_b32 v38, v0, 0
	v_mbcnt_hi_u32_b32 v97, v1, v38
	v_cmp_eq_u32_e32 vcc, 0, v97
	v_cmp_ne_u64_e64 s[4:5], 0, v[0:1]
	s_and_b64 s[18:19], s[4:5], vcc
	; wave barrier
	s_and_saveexec_b64 s[4:5], s[18:19]
	s_cbranch_execz .LBB256_56
; %bb.55:
	v_bcnt_u32_b32 v0, v0, 0
	v_bcnt_u32_b32 v0, v1, v0
	s_waitcnt lgkmcnt(0)
	v_add_u32_e32 v0, v95, v0
	ds_write_b32 v96, v0 offset:16
.LBB256_56:
	s_or_b64 exec, exec, s[4:5]
	v_mov_b32_e32 v41, 0xffff8000
	v_cmp_ne_u16_e32 vcc, s17, v70
	v_cndmask_b32_e32 v0, v41, v70, vcc
	v_and_b32_sdwa v38, s16, v0 dst_sel:DWORD dst_unused:UNUSED_PAD src0_sel:DWORD src1_sel:WORD_0
	v_and_b32_e32 v1, 1, v38
	v_add_co_u32_e32 v39, vcc, -1, v1
	v_addc_co_u32_e64 v67, s[4:5], 0, -1, vcc
	v_cmp_ne_u32_e32 vcc, 0, v1
	v_lshlrev_b32_e32 v0, 2, v38
	v_xor_b32_e32 v1, vcc_hi, v67
	v_add_lshl_u32 v99, v66, v0, 2
	v_mov_b32_e32 v0, 0
	v_and_b32_e32 v67, exec_hi, v1
	v_lshlrev_b32_e32 v1, 30, v38
	v_xor_b32_e32 v39, vcc_lo, v39
	v_cmp_gt_i64_e32 vcc, 0, v[0:1]
	v_not_b32_e32 v1, v1
	v_ashrrev_i32_e32 v1, 31, v1
	v_and_b32_e32 v39, exec_lo, v39
	v_xor_b32_e32 v68, vcc_hi, v1
	v_xor_b32_e32 v1, vcc_lo, v1
	v_and_b32_e32 v39, v39, v1
	v_lshlrev_b32_e32 v1, 29, v38
	v_cmp_gt_i64_e32 vcc, 0, v[0:1]
	v_not_b32_e32 v1, v1
	v_ashrrev_i32_e32 v1, 31, v1
	v_and_b32_e32 v67, v67, v68
	v_xor_b32_e32 v68, vcc_hi, v1
	v_xor_b32_e32 v1, vcc_lo, v1
	v_and_b32_e32 v39, v39, v1
	v_lshlrev_b32_e32 v1, 28, v38
	v_cmp_gt_i64_e32 vcc, 0, v[0:1]
	v_not_b32_e32 v1, v1
	v_ashrrev_i32_e32 v1, 31, v1
	v_and_b32_e32 v67, v67, v68
	;; [unrolled: 8-line block ×5, first 2 shown]
	v_xor_b32_e32 v68, vcc_hi, v1
	v_xor_b32_e32 v1, vcc_lo, v1
	v_and_b32_e32 v67, v67, v68
	v_and_b32_e32 v68, v39, v1
	v_lshlrev_b32_e32 v1, 24, v38
	v_cmp_gt_i64_e32 vcc, 0, v[0:1]
	v_not_b32_e32 v1, v1
	v_ashrrev_i32_e32 v1, 31, v1
	v_xor_b32_e32 v38, vcc_hi, v1
	v_xor_b32_e32 v1, vcc_lo, v1
	; wave barrier
	ds_read_b32 v98, v99 offset:16
	v_and_b32_e32 v39, v67, v38
	v_and_b32_e32 v38, v68, v1
	v_mbcnt_lo_u32_b32 v1, v38, 0
	v_mbcnt_hi_u32_b32 v100, v39, v1
	v_cmp_eq_u32_e32 vcc, 0, v100
	v_cmp_ne_u64_e64 s[4:5], 0, v[38:39]
	s_and_b64 s[18:19], s[4:5], vcc
	; wave barrier
	s_and_saveexec_b64 s[4:5], s[18:19]
	s_cbranch_execz .LBB256_58
; %bb.57:
	v_bcnt_u32_b32 v1, v38, 0
	v_bcnt_u32_b32 v1, v39, v1
	s_waitcnt lgkmcnt(0)
	v_add_u32_e32 v1, v98, v1
	ds_write_b32 v99, v1 offset:16
.LBB256_58:
	s_or_b64 exec, exec, s[4:5]
	v_cmp_ne_u16_e32 vcc, s17, v69
	v_cndmask_b32_e32 v1, v41, v69, vcc
	v_and_b32_sdwa v38, s16, v1 dst_sel:DWORD dst_unused:UNUSED_PAD src0_sel:DWORD src1_sel:WORD_0
	v_lshlrev_b32_e32 v1, 2, v38
	v_add_lshl_u32 v102, v66, v1, 2
	v_and_b32_e32 v1, 1, v38
	v_add_co_u32_e32 v39, vcc, -1, v1
	v_min_u32_e32 v78, 0xc0, v40
	v_addc_co_u32_e64 v40, s[4:5], 0, -1, vcc
	v_cmp_ne_u32_e32 vcc, 0, v1
	v_xor_b32_e32 v1, vcc_hi, v40
	v_and_b32_e32 v40, exec_hi, v1
	v_lshlrev_b32_e32 v1, 30, v38
	v_xor_b32_e32 v39, vcc_lo, v39
	v_cmp_gt_i64_e32 vcc, 0, v[0:1]
	v_not_b32_e32 v1, v1
	v_ashrrev_i32_e32 v1, 31, v1
	v_and_b32_e32 v39, exec_lo, v39
	v_xor_b32_e32 v41, vcc_hi, v1
	v_xor_b32_e32 v1, vcc_lo, v1
	v_and_b32_e32 v39, v39, v1
	v_lshlrev_b32_e32 v1, 29, v38
	v_cmp_gt_i64_e32 vcc, 0, v[0:1]
	v_not_b32_e32 v1, v1
	v_ashrrev_i32_e32 v1, 31, v1
	v_and_b32_e32 v40, v40, v41
	v_xor_b32_e32 v41, vcc_hi, v1
	v_xor_b32_e32 v1, vcc_lo, v1
	v_and_b32_e32 v39, v39, v1
	v_lshlrev_b32_e32 v1, 28, v38
	v_cmp_gt_i64_e32 vcc, 0, v[0:1]
	v_not_b32_e32 v1, v1
	v_ashrrev_i32_e32 v1, 31, v1
	v_and_b32_e32 v40, v40, v41
	;; [unrolled: 8-line block ×5, first 2 shown]
	v_xor_b32_e32 v41, vcc_hi, v1
	v_xor_b32_e32 v1, vcc_lo, v1
	v_and_b32_e32 v39, v39, v1
	v_lshlrev_b32_e32 v1, 24, v38
	v_cmp_gt_i64_e32 vcc, 0, v[0:1]
	v_not_b32_e32 v0, v1
	v_ashrrev_i32_e32 v0, 31, v0
	v_xor_b32_e32 v1, vcc_hi, v0
	v_xor_b32_e32 v0, vcc_lo, v0
	; wave barrier
	ds_read_b32 v101, v102 offset:16
	v_and_b32_e32 v40, v40, v41
	v_and_b32_e32 v0, v39, v0
	;; [unrolled: 1-line block ×3, first 2 shown]
	v_mbcnt_lo_u32_b32 v38, v0, 0
	v_mbcnt_hi_u32_b32 v103, v1, v38
	v_cmp_eq_u32_e32 vcc, 0, v103
	v_cmp_ne_u64_e64 s[4:5], 0, v[0:1]
	v_add_u32_e32 v67, 16, v62
	v_lshrrev_b32_e32 v68, 6, v42
	s_and_b64 s[16:17], s[4:5], vcc
	; wave barrier
	s_and_saveexec_b64 s[4:5], s[16:17]
	s_cbranch_execz .LBB256_60
; %bb.59:
	v_bcnt_u32_b32 v0, v0, 0
	v_bcnt_u32_b32 v0, v1, v0
	s_waitcnt lgkmcnt(0)
	v_add_u32_e32 v0, v101, v0
	ds_write_b32 v102, v0 offset:16
.LBB256_60:
	s_or_b64 exec, exec, s[4:5]
	; wave barrier
	s_waitcnt lgkmcnt(0)
	s_barrier
	ds_read2_b32 v[38:39], v62 offset0:4 offset1:5
	ds_read2_b32 v[40:41], v67 offset0:2 offset1:3
	v_and_b32_e32 v1, 16, v74
	v_cmp_eq_u32_e32 vcc, 0, v1
	v_or_b32_e32 v1, 63, v78
	v_cmp_eq_u32_e64 s[16:17], v1, v42
	s_waitcnt lgkmcnt(1)
	v_add_u32_e32 v1, v39, v38
	v_and_b32_e32 v0, 15, v74
	s_waitcnt lgkmcnt(0)
	v_add3_u32 v1, v1, v40, v41
	v_cmp_eq_u32_e64 s[22:23], 0, v0
	v_cmp_lt_u32_e64 s[24:25], 1, v0
	v_mov_b32_dpp v41, v1 row_shr:1 row_mask:0xf bank_mask:0xf
	v_cndmask_b32_e64 v41, v41, 0, s[22:23]
	v_add_u32_e32 v1, v41, v1
	v_cmp_lt_u32_e64 s[28:29], 3, v0
	v_cmp_lt_u32_e64 s[30:31], 7, v0
	v_mov_b32_dpp v41, v1 row_shr:2 row_mask:0xf bank_mask:0xf
	v_cndmask_b32_e64 v41, 0, v41, s[24:25]
	v_add_u32_e32 v1, v1, v41
	v_bfe_i32 v79, v74, 4, 1
	v_cmp_lt_u32_e64 s[34:35], 31, v74
	v_mov_b32_dpp v41, v1 row_shr:4 row_mask:0xf bank_mask:0xf
	v_cndmask_b32_e64 v41, 0, v41, s[28:29]
	v_add_u32_e32 v1, v1, v41
	v_lshlrev_b32_e32 v68, 2, v68
	s_nop 0
	v_mov_b32_dpp v41, v1 row_shr:8 row_mask:0xf bank_mask:0xf
	v_cndmask_b32_e64 v0, 0, v41, s[30:31]
	v_add_u32_e32 v0, v1, v0
	s_nop 1
	v_mov_b32_dpp v1, v0 row_bcast:15 row_mask:0xf bank_mask:0xf
	v_and_b32_e32 v1, v79, v1
	v_add_u32_e32 v0, v0, v1
	s_nop 1
	v_mov_b32_dpp v1, v0 row_bcast:31 row_mask:0xf bank_mask:0xf
	v_cndmask_b32_e64 v1, 0, v1, s[34:35]
	v_add_u32_e32 v1, v0, v1
	s_and_saveexec_b64 s[4:5], s[16:17]
	s_cbranch_execz .LBB256_62
; %bb.61:
	ds_write_b32 v68, v1
.LBB256_62:
	s_or_b64 exec, exec, s[4:5]
	v_and_b32_e32 v0, 3, v74
	v_cmp_gt_u32_e64 s[26:27], 4, v42
	v_lshlrev_b32_e32 v41, 2, v42
	v_cmp_eq_u32_e64 s[20:21], 0, v0
	v_cmp_lt_u32_e64 s[18:19], 1, v0
	s_waitcnt lgkmcnt(0)
	s_barrier
	s_and_saveexec_b64 s[4:5], s[26:27]
	s_cbranch_execz .LBB256_64
; %bb.63:
	ds_read_b32 v0, v41
	s_waitcnt lgkmcnt(0)
	s_nop 0
	v_mov_b32_dpp v78, v0 row_shr:1 row_mask:0xf bank_mask:0xf
	v_cndmask_b32_e64 v78, v78, 0, s[20:21]
	v_add_u32_e32 v0, v78, v0
	s_nop 1
	v_mov_b32_dpp v78, v0 row_shr:2 row_mask:0xf bank_mask:0xf
	v_cndmask_b32_e64 v78, 0, v78, s[18:19]
	v_add_u32_e32 v0, v0, v78
	ds_write_b32 v41, v0
.LBB256_64:
	s_or_b64 exec, exec, s[4:5]
	v_cmp_lt_u32_e64 s[36:37], 63, v42
	v_add_u32_e32 v78, -4, v68
	v_mov_b32_e32 v0, 0
	v_mov_b32_e32 v104, 0
	s_waitcnt lgkmcnt(0)
	s_barrier
	s_and_saveexec_b64 s[4:5], s[36:37]
	s_cbranch_execz .LBB256_66
; %bb.65:
	ds_read_b32 v104, v78
.LBB256_66:
	s_or_b64 exec, exec, s[4:5]
	v_add_u32_e32 v79, -1, v74
	v_and_b32_e32 v105, 64, v74
	v_cmp_lt_i32_e64 s[4:5], v79, v105
	v_cndmask_b32_e64 v79, v79, v74, s[4:5]
	v_lshlrev_b32_e32 v79, 2, v79
	s_waitcnt lgkmcnt(0)
	v_add_u32_e32 v1, v104, v1
	ds_bpermute_b32 v1, v79, v1
	v_cmp_eq_u32_e64 s[38:39], 0, v74
	v_cmp_eq_u32_e64 s[40:41], 0, v42
	v_and_or_b32 v80, v74, 63, v80
	v_lshlrev_b32_e32 v105, 1, v80
	s_waitcnt lgkmcnt(0)
	v_cndmask_b32_e64 v1, v1, v104, s[38:39]
	v_cndmask_b32_e64 v1, v1, 0, s[40:41]
	v_add_u32_e32 v38, v1, v38
	v_add_u32_e32 v39, v38, v39
	;; [unrolled: 1-line block ×3, first 2 shown]
	ds_write2_b32 v62, v1, v38 offset0:4 offset1:5
	ds_write2_b32 v67, v39, v40 offset0:2 offset1:3
	s_waitcnt lgkmcnt(0)
	s_barrier
	ds_read_b32 v1, v81 offset:16
	ds_read_b32 v38, v84 offset:16
	;; [unrolled: 1-line block ×8, first 2 shown]
	s_waitcnt lgkmcnt(7)
	v_add_u32_e32 v1, v1, v82
	s_waitcnt lgkmcnt(6)
	v_add3_u32 v38, v85, v83, v38
	s_waitcnt lgkmcnt(4)
	v_add3_u32 v82, v91, v89, v40
	v_lshlrev_b32_e32 v40, 1, v1
	v_add3_u32 v39, v88, v86, v39
	s_waitcnt lgkmcnt(0)
	s_barrier
	ds_write_b16 v40, v77
	v_lshlrev_b32_e32 v40, 1, v38
	ds_write_b16 v40, v76
	v_lshlrev_b32_e32 v40, 1, v39
	v_add3_u32 v83, v94, v92, v74
	ds_write_b16 v40, v75
	v_lshlrev_b32_e32 v40, 1, v82
	v_add3_u32 v81, v97, v95, v81
	;; [unrolled: 3-line block ×4, first 2 shown]
	ds_write_b16 v40, v71
	v_lshlrev_b32_e32 v40, 1, v84
	ds_write_b16 v40, v70
	v_lshlrev_b32_e32 v40, 1, v85
	v_lshlrev_b32_e32 v1, 3, v1
	ds_write_b16 v40, v69
	s_waitcnt lgkmcnt(0)
	s_barrier
	ds_read_u16 v75, v105
	ds_read_u16 v74, v105 offset:128
	ds_read_u16 v73, v105 offset:256
	;; [unrolled: 1-line block ×7, first 2 shown]
	s_waitcnt lgkmcnt(0)
	s_barrier
	ds_write_b64 v1, v[34:35]
	v_lshlrev_b32_e32 v1, 3, v38
	ds_write_b64 v1, v[36:37]
	v_lshlrev_b32_e32 v1, 3, v39
	;; [unrolled: 2-line block ×6, first 2 shown]
	s_min_u32 s4, s44, 8
	ds_write_b64 v1, v[22:23]
	v_lshlrev_b32_e32 v1, 3, v85
	s_lshl_b32 s4, -1, s4
	s_movk_i32 s56, 0x7fff
	ds_write_b64 v1, v[24:25]
	s_not_b32 s55, s4
	v_lshrrev_b16_e32 v1, 8, v75
	v_mov_b32_e32 v38, 0x80
	v_cmp_ne_u16_e64 s[4:5], s56, v75
	v_cndmask_b32_e64 v1, v38, v1, s[4:5]
	v_and_b32_sdwa v39, v1, s55 dst_sel:DWORD dst_unused:UNUSED_PAD src0_sel:WORD_0 src1_sel:DWORD
	v_lshlrev_b32_e32 v1, 2, v39
	v_add_lshl_u32 v76, v1, v66, 2
	v_and_b32_e32 v1, 1, v39
	v_lshlrev_b32_e32 v80, 3, v80
	v_add_co_u32_e64 v77, s[4:5], -1, v1
	s_waitcnt lgkmcnt(0)
	s_barrier
	ds_read2st64_b64 v[34:37], v80 offset1:1
	ds_read2st64_b64 v[30:33], v80 offset0:2 offset1:3
	ds_read2st64_b64 v[26:29], v80 offset0:4 offset1:5
	;; [unrolled: 1-line block ×3, first 2 shown]
	v_addc_co_u32_e64 v80, s[4:5], 0, -1, s[4:5]
	v_cmp_ne_u32_e64 s[4:5], 0, v1
	v_xor_b32_e32 v1, s5, v80
	v_and_b32_e32 v80, exec_hi, v1
	v_lshlrev_b32_e32 v1, 30, v39
	v_xor_b32_e32 v77, s4, v77
	v_cmp_gt_i64_e64 s[4:5], 0, v[0:1]
	v_not_b32_e32 v1, v1
	v_ashrrev_i32_e32 v1, 31, v1
	v_and_b32_e32 v77, exec_lo, v77
	v_xor_b32_e32 v81, s5, v1
	v_xor_b32_e32 v1, s4, v1
	v_and_b32_e32 v77, v77, v1
	v_lshlrev_b32_e32 v1, 29, v39
	v_cmp_gt_i64_e64 s[4:5], 0, v[0:1]
	v_not_b32_e32 v1, v1
	v_ashrrev_i32_e32 v1, 31, v1
	v_and_b32_e32 v80, v80, v81
	v_xor_b32_e32 v81, s5, v1
	v_xor_b32_e32 v1, s4, v1
	v_and_b32_e32 v77, v77, v1
	v_lshlrev_b32_e32 v1, 28, v39
	v_cmp_gt_i64_e64 s[4:5], 0, v[0:1]
	v_not_b32_e32 v1, v1
	v_ashrrev_i32_e32 v1, 31, v1
	v_and_b32_e32 v80, v80, v81
	;; [unrolled: 8-line block ×5, first 2 shown]
	v_xor_b32_e32 v81, s5, v1
	v_xor_b32_e32 v1, s4, v1
	v_and_b32_e32 v77, v77, v1
	v_lshlrev_b32_e32 v1, 24, v39
	s_waitcnt lgkmcnt(0)
	s_barrier
	ds_write2_b32 v62, v0, v0 offset0:4 offset1:5
	ds_write2_b32 v67, v0, v0 offset0:2 offset1:3
	v_cmp_gt_i64_e64 s[4:5], 0, v[0:1]
	v_not_b32_e32 v0, v1
	v_ashrrev_i32_e32 v0, 31, v0
	v_xor_b32_e32 v1, s5, v0
	v_xor_b32_e32 v0, s4, v0
	v_and_b32_e32 v80, v80, v81
	v_and_b32_e32 v0, v77, v0
	;; [unrolled: 1-line block ×3, first 2 shown]
	v_mbcnt_lo_u32_b32 v39, v0, 0
	v_mbcnt_hi_u32_b32 v77, v1, v39
	v_cmp_eq_u32_e64 s[4:5], 0, v77
	v_cmp_ne_u64_e64 s[44:45], 0, v[0:1]
	s_and_b64 s[44:45], s[44:45], s[4:5]
	s_waitcnt lgkmcnt(0)
	s_barrier
	s_waitcnt lgkmcnt(0)
	; wave barrier
	s_and_saveexec_b64 s[4:5], s[44:45]
	s_cbranch_execz .LBB256_68
; %bb.67:
	v_bcnt_u32_b32 v0, v0, 0
	v_bcnt_u32_b32 v0, v1, v0
	ds_write_b32 v76, v0 offset:16
.LBB256_68:
	s_or_b64 exec, exec, s[4:5]
	v_lshrrev_b16_e32 v0, 8, v74
	v_cmp_ne_u16_e64 s[4:5], s56, v74
	v_cndmask_b32_e64 v0, v38, v0, s[4:5]
	v_and_b32_e32 v38, s55, v0
	v_and_b32_e32 v1, 1, v38
	v_add_co_u32_e64 v39, s[4:5], -1, v1
	v_addc_co_u32_e64 v82, s[4:5], 0, -1, s[4:5]
	v_cmp_ne_u32_e64 s[4:5], 0, v1
	v_lshlrev_b32_e32 v0, 2, v38
	v_xor_b32_e32 v1, s5, v82
	v_add_lshl_u32 v81, v0, v66, 2
	v_mov_b32_e32 v0, 0
	v_and_b32_e32 v82, exec_hi, v1
	v_lshlrev_b32_e32 v1, 30, v38
	v_xor_b32_e32 v39, s4, v39
	v_cmp_gt_i64_e64 s[4:5], 0, v[0:1]
	v_not_b32_e32 v1, v1
	v_ashrrev_i32_e32 v1, 31, v1
	v_and_b32_e32 v39, exec_lo, v39
	v_xor_b32_e32 v83, s5, v1
	v_xor_b32_e32 v1, s4, v1
	v_and_b32_e32 v39, v39, v1
	v_lshlrev_b32_e32 v1, 29, v38
	v_cmp_gt_i64_e64 s[4:5], 0, v[0:1]
	v_not_b32_e32 v1, v1
	v_ashrrev_i32_e32 v1, 31, v1
	v_and_b32_e32 v82, v82, v83
	v_xor_b32_e32 v83, s5, v1
	v_xor_b32_e32 v1, s4, v1
	v_and_b32_e32 v39, v39, v1
	v_lshlrev_b32_e32 v1, 28, v38
	v_cmp_gt_i64_e64 s[4:5], 0, v[0:1]
	v_not_b32_e32 v1, v1
	v_ashrrev_i32_e32 v1, 31, v1
	v_and_b32_e32 v82, v82, v83
	;; [unrolled: 8-line block ×5, first 2 shown]
	v_xor_b32_e32 v83, s5, v1
	v_xor_b32_e32 v1, s4, v1
	v_and_b32_e32 v82, v82, v83
	v_and_b32_e32 v83, v39, v1
	v_lshlrev_b32_e32 v1, 24, v38
	v_cmp_gt_i64_e64 s[4:5], 0, v[0:1]
	v_not_b32_e32 v1, v1
	v_ashrrev_i32_e32 v1, 31, v1
	v_xor_b32_e32 v38, s5, v1
	v_xor_b32_e32 v1, s4, v1
	; wave barrier
	ds_read_b32 v80, v81 offset:16
	v_and_b32_e32 v39, v82, v38
	v_and_b32_e32 v38, v83, v1
	v_mbcnt_lo_u32_b32 v1, v38, 0
	v_mbcnt_hi_u32_b32 v82, v39, v1
	v_cmp_eq_u32_e64 s[4:5], 0, v82
	v_cmp_ne_u64_e64 s[44:45], 0, v[38:39]
	s_and_b64 s[44:45], s[44:45], s[4:5]
	; wave barrier
	s_and_saveexec_b64 s[4:5], s[44:45]
	s_cbranch_execz .LBB256_70
; %bb.69:
	v_bcnt_u32_b32 v1, v38, 0
	v_bcnt_u32_b32 v1, v39, v1
	s_waitcnt lgkmcnt(0)
	v_add_u32_e32 v1, v80, v1
	ds_write_b32 v81, v1 offset:16
.LBB256_70:
	s_or_b64 exec, exec, s[4:5]
	v_lshrrev_b16_e32 v1, 8, v73
	v_mov_b32_e32 v38, 0x80
	v_cmp_ne_u16_e64 s[4:5], s56, v73
	v_cndmask_b32_e64 v1, v38, v1, s[4:5]
	v_and_b32_e32 v39, s55, v1
	v_lshlrev_b32_e32 v1, 2, v39
	v_add_lshl_u32 v84, v1, v66, 2
	v_and_b32_e32 v1, 1, v39
	v_add_co_u32_e64 v85, s[4:5], -1, v1
	v_addc_co_u32_e64 v86, s[4:5], 0, -1, s[4:5]
	v_cmp_ne_u32_e64 s[4:5], 0, v1
	v_xor_b32_e32 v1, s5, v86
	v_and_b32_e32 v86, exec_hi, v1
	v_lshlrev_b32_e32 v1, 30, v39
	v_xor_b32_e32 v85, s4, v85
	v_cmp_gt_i64_e64 s[4:5], 0, v[0:1]
	v_not_b32_e32 v1, v1
	v_ashrrev_i32_e32 v1, 31, v1
	v_and_b32_e32 v85, exec_lo, v85
	v_xor_b32_e32 v87, s5, v1
	v_xor_b32_e32 v1, s4, v1
	v_and_b32_e32 v85, v85, v1
	v_lshlrev_b32_e32 v1, 29, v39
	v_cmp_gt_i64_e64 s[4:5], 0, v[0:1]
	v_not_b32_e32 v1, v1
	v_ashrrev_i32_e32 v1, 31, v1
	v_and_b32_e32 v86, v86, v87
	v_xor_b32_e32 v87, s5, v1
	v_xor_b32_e32 v1, s4, v1
	v_and_b32_e32 v85, v85, v1
	v_lshlrev_b32_e32 v1, 28, v39
	v_cmp_gt_i64_e64 s[4:5], 0, v[0:1]
	v_not_b32_e32 v1, v1
	v_ashrrev_i32_e32 v1, 31, v1
	v_and_b32_e32 v86, v86, v87
	;; [unrolled: 8-line block ×5, first 2 shown]
	v_xor_b32_e32 v87, s5, v1
	v_xor_b32_e32 v1, s4, v1
	v_and_b32_e32 v85, v85, v1
	v_lshlrev_b32_e32 v1, 24, v39
	v_cmp_gt_i64_e64 s[4:5], 0, v[0:1]
	v_not_b32_e32 v0, v1
	v_ashrrev_i32_e32 v0, 31, v0
	v_xor_b32_e32 v1, s5, v0
	v_xor_b32_e32 v0, s4, v0
	; wave barrier
	ds_read_b32 v83, v84 offset:16
	v_and_b32_e32 v86, v86, v87
	v_and_b32_e32 v0, v85, v0
	;; [unrolled: 1-line block ×3, first 2 shown]
	v_mbcnt_lo_u32_b32 v39, v0, 0
	v_mbcnt_hi_u32_b32 v85, v1, v39
	v_cmp_eq_u32_e64 s[4:5], 0, v85
	v_cmp_ne_u64_e64 s[44:45], 0, v[0:1]
	s_and_b64 s[44:45], s[44:45], s[4:5]
	; wave barrier
	s_and_saveexec_b64 s[4:5], s[44:45]
	s_cbranch_execz .LBB256_72
; %bb.71:
	v_bcnt_u32_b32 v0, v0, 0
	v_bcnt_u32_b32 v0, v1, v0
	s_waitcnt lgkmcnt(0)
	v_add_u32_e32 v0, v83, v0
	ds_write_b32 v84, v0 offset:16
.LBB256_72:
	s_or_b64 exec, exec, s[4:5]
	v_lshrrev_b16_e32 v0, 8, v72
	v_cmp_ne_u16_e64 s[4:5], s56, v72
	v_cndmask_b32_e64 v0, v38, v0, s[4:5]
	v_and_b32_e32 v38, s55, v0
	v_and_b32_e32 v1, 1, v38
	v_add_co_u32_e64 v39, s[4:5], -1, v1
	v_addc_co_u32_e64 v88, s[4:5], 0, -1, s[4:5]
	v_cmp_ne_u32_e64 s[4:5], 0, v1
	v_lshlrev_b32_e32 v0, 2, v38
	v_xor_b32_e32 v1, s5, v88
	v_add_lshl_u32 v87, v0, v66, 2
	v_mov_b32_e32 v0, 0
	v_and_b32_e32 v88, exec_hi, v1
	v_lshlrev_b32_e32 v1, 30, v38
	v_xor_b32_e32 v39, s4, v39
	v_cmp_gt_i64_e64 s[4:5], 0, v[0:1]
	v_not_b32_e32 v1, v1
	v_ashrrev_i32_e32 v1, 31, v1
	v_and_b32_e32 v39, exec_lo, v39
	v_xor_b32_e32 v89, s5, v1
	v_xor_b32_e32 v1, s4, v1
	v_and_b32_e32 v39, v39, v1
	v_lshlrev_b32_e32 v1, 29, v38
	v_cmp_gt_i64_e64 s[4:5], 0, v[0:1]
	v_not_b32_e32 v1, v1
	v_ashrrev_i32_e32 v1, 31, v1
	v_and_b32_e32 v88, v88, v89
	v_xor_b32_e32 v89, s5, v1
	v_xor_b32_e32 v1, s4, v1
	v_and_b32_e32 v39, v39, v1
	v_lshlrev_b32_e32 v1, 28, v38
	v_cmp_gt_i64_e64 s[4:5], 0, v[0:1]
	v_not_b32_e32 v1, v1
	v_ashrrev_i32_e32 v1, 31, v1
	v_and_b32_e32 v88, v88, v89
	;; [unrolled: 8-line block ×5, first 2 shown]
	v_xor_b32_e32 v89, s5, v1
	v_xor_b32_e32 v1, s4, v1
	v_and_b32_e32 v88, v88, v89
	v_and_b32_e32 v89, v39, v1
	v_lshlrev_b32_e32 v1, 24, v38
	v_cmp_gt_i64_e64 s[4:5], 0, v[0:1]
	v_not_b32_e32 v1, v1
	v_ashrrev_i32_e32 v1, 31, v1
	v_xor_b32_e32 v38, s5, v1
	v_xor_b32_e32 v1, s4, v1
	; wave barrier
	ds_read_b32 v86, v87 offset:16
	v_and_b32_e32 v39, v88, v38
	v_and_b32_e32 v38, v89, v1
	v_mbcnt_lo_u32_b32 v1, v38, 0
	v_mbcnt_hi_u32_b32 v88, v39, v1
	v_cmp_eq_u32_e64 s[4:5], 0, v88
	v_cmp_ne_u64_e64 s[44:45], 0, v[38:39]
	s_and_b64 s[44:45], s[44:45], s[4:5]
	; wave barrier
	s_and_saveexec_b64 s[4:5], s[44:45]
	s_cbranch_execz .LBB256_74
; %bb.73:
	v_bcnt_u32_b32 v1, v38, 0
	v_bcnt_u32_b32 v1, v39, v1
	s_waitcnt lgkmcnt(0)
	v_add_u32_e32 v1, v86, v1
	ds_write_b32 v87, v1 offset:16
.LBB256_74:
	s_or_b64 exec, exec, s[4:5]
	v_lshrrev_b16_e32 v1, 8, v71
	v_mov_b32_e32 v38, 0x80
	v_cmp_ne_u16_e64 s[4:5], s56, v71
	v_cndmask_b32_e64 v1, v38, v1, s[4:5]
	v_and_b32_e32 v39, s55, v1
	v_lshlrev_b32_e32 v1, 2, v39
	v_add_lshl_u32 v90, v1, v66, 2
	v_and_b32_e32 v1, 1, v39
	v_add_co_u32_e64 v91, s[4:5], -1, v1
	v_addc_co_u32_e64 v92, s[4:5], 0, -1, s[4:5]
	v_cmp_ne_u32_e64 s[4:5], 0, v1
	v_xor_b32_e32 v1, s5, v92
	v_and_b32_e32 v92, exec_hi, v1
	v_lshlrev_b32_e32 v1, 30, v39
	v_xor_b32_e32 v91, s4, v91
	v_cmp_gt_i64_e64 s[4:5], 0, v[0:1]
	v_not_b32_e32 v1, v1
	v_ashrrev_i32_e32 v1, 31, v1
	v_and_b32_e32 v91, exec_lo, v91
	v_xor_b32_e32 v93, s5, v1
	v_xor_b32_e32 v1, s4, v1
	v_and_b32_e32 v91, v91, v1
	v_lshlrev_b32_e32 v1, 29, v39
	v_cmp_gt_i64_e64 s[4:5], 0, v[0:1]
	v_not_b32_e32 v1, v1
	v_ashrrev_i32_e32 v1, 31, v1
	v_and_b32_e32 v92, v92, v93
	v_xor_b32_e32 v93, s5, v1
	v_xor_b32_e32 v1, s4, v1
	v_and_b32_e32 v91, v91, v1
	v_lshlrev_b32_e32 v1, 28, v39
	v_cmp_gt_i64_e64 s[4:5], 0, v[0:1]
	v_not_b32_e32 v1, v1
	v_ashrrev_i32_e32 v1, 31, v1
	v_and_b32_e32 v92, v92, v93
	;; [unrolled: 8-line block ×5, first 2 shown]
	v_xor_b32_e32 v93, s5, v1
	v_xor_b32_e32 v1, s4, v1
	v_and_b32_e32 v91, v91, v1
	v_lshlrev_b32_e32 v1, 24, v39
	v_cmp_gt_i64_e64 s[4:5], 0, v[0:1]
	v_not_b32_e32 v0, v1
	v_ashrrev_i32_e32 v0, 31, v0
	v_xor_b32_e32 v1, s5, v0
	v_xor_b32_e32 v0, s4, v0
	; wave barrier
	ds_read_b32 v89, v90 offset:16
	v_and_b32_e32 v92, v92, v93
	v_and_b32_e32 v0, v91, v0
	;; [unrolled: 1-line block ×3, first 2 shown]
	v_mbcnt_lo_u32_b32 v39, v0, 0
	v_mbcnt_hi_u32_b32 v91, v1, v39
	v_cmp_eq_u32_e64 s[4:5], 0, v91
	v_cmp_ne_u64_e64 s[44:45], 0, v[0:1]
	s_and_b64 s[44:45], s[44:45], s[4:5]
	; wave barrier
	s_and_saveexec_b64 s[4:5], s[44:45]
	s_cbranch_execz .LBB256_76
; %bb.75:
	v_bcnt_u32_b32 v0, v0, 0
	v_bcnt_u32_b32 v0, v1, v0
	s_waitcnt lgkmcnt(0)
	v_add_u32_e32 v0, v89, v0
	ds_write_b32 v90, v0 offset:16
.LBB256_76:
	s_or_b64 exec, exec, s[4:5]
	v_lshrrev_b16_e32 v0, 8, v70
	v_cmp_ne_u16_e64 s[4:5], s56, v70
	v_cndmask_b32_e64 v0, v38, v0, s[4:5]
	v_and_b32_e32 v38, s55, v0
	v_and_b32_e32 v1, 1, v38
	v_add_co_u32_e64 v39, s[4:5], -1, v1
	v_addc_co_u32_e64 v94, s[4:5], 0, -1, s[4:5]
	v_cmp_ne_u32_e64 s[4:5], 0, v1
	v_lshlrev_b32_e32 v0, 2, v38
	v_xor_b32_e32 v1, s5, v94
	v_add_lshl_u32 v93, v0, v66, 2
	v_mov_b32_e32 v0, 0
	v_and_b32_e32 v94, exec_hi, v1
	v_lshlrev_b32_e32 v1, 30, v38
	v_xor_b32_e32 v39, s4, v39
	v_cmp_gt_i64_e64 s[4:5], 0, v[0:1]
	v_not_b32_e32 v1, v1
	v_ashrrev_i32_e32 v1, 31, v1
	v_and_b32_e32 v39, exec_lo, v39
	v_xor_b32_e32 v95, s5, v1
	v_xor_b32_e32 v1, s4, v1
	v_and_b32_e32 v39, v39, v1
	v_lshlrev_b32_e32 v1, 29, v38
	v_cmp_gt_i64_e64 s[4:5], 0, v[0:1]
	v_not_b32_e32 v1, v1
	v_ashrrev_i32_e32 v1, 31, v1
	v_and_b32_e32 v94, v94, v95
	v_xor_b32_e32 v95, s5, v1
	v_xor_b32_e32 v1, s4, v1
	v_and_b32_e32 v39, v39, v1
	v_lshlrev_b32_e32 v1, 28, v38
	v_cmp_gt_i64_e64 s[4:5], 0, v[0:1]
	v_not_b32_e32 v1, v1
	v_ashrrev_i32_e32 v1, 31, v1
	v_and_b32_e32 v94, v94, v95
	v_xor_b32_e32 v95, s5, v1
	v_xor_b32_e32 v1, s4, v1
	v_and_b32_e32 v39, v39, v1
	v_lshlrev_b32_e32 v1, 27, v38
	v_cmp_gt_i64_e64 s[4:5], 0, v[0:1]
	v_not_b32_e32 v1, v1
	v_ashrrev_i32_e32 v1, 31, v1
	v_and_b32_e32 v94, v94, v95
	v_xor_b32_e32 v95, s5, v1
	v_xor_b32_e32 v1, s4, v1
	v_and_b32_e32 v39, v39, v1
	v_lshlrev_b32_e32 v1, 26, v38
	v_cmp_gt_i64_e64 s[4:5], 0, v[0:1]
	v_not_b32_e32 v1, v1
	v_ashrrev_i32_e32 v1, 31, v1
	v_and_b32_e32 v94, v94, v95
	v_xor_b32_e32 v95, s5, v1
	v_xor_b32_e32 v1, s4, v1
	v_and_b32_e32 v39, v39, v1
	v_lshlrev_b32_e32 v1, 25, v38
	v_cmp_gt_i64_e64 s[4:5], 0, v[0:1]
	v_not_b32_e32 v1, v1
	v_ashrrev_i32_e32 v1, 31, v1
	v_and_b32_e32 v94, v94, v95
	v_xor_b32_e32 v95, s5, v1
	v_xor_b32_e32 v1, s4, v1
	v_and_b32_e32 v94, v94, v95
	v_and_b32_e32 v95, v39, v1
	v_lshlrev_b32_e32 v1, 24, v38
	v_cmp_gt_i64_e64 s[4:5], 0, v[0:1]
	v_not_b32_e32 v1, v1
	v_ashrrev_i32_e32 v1, 31, v1
	v_xor_b32_e32 v38, s5, v1
	v_xor_b32_e32 v1, s4, v1
	; wave barrier
	ds_read_b32 v92, v93 offset:16
	v_and_b32_e32 v39, v94, v38
	v_and_b32_e32 v38, v95, v1
	v_mbcnt_lo_u32_b32 v1, v38, 0
	v_mbcnt_hi_u32_b32 v94, v39, v1
	v_cmp_eq_u32_e64 s[4:5], 0, v94
	v_cmp_ne_u64_e64 s[44:45], 0, v[38:39]
	s_and_b64 s[44:45], s[44:45], s[4:5]
	; wave barrier
	s_and_saveexec_b64 s[4:5], s[44:45]
	s_cbranch_execz .LBB256_78
; %bb.77:
	v_bcnt_u32_b32 v1, v38, 0
	v_bcnt_u32_b32 v1, v39, v1
	s_waitcnt lgkmcnt(0)
	v_add_u32_e32 v1, v92, v1
	ds_write_b32 v93, v1 offset:16
.LBB256_78:
	s_or_b64 exec, exec, s[4:5]
	v_lshrrev_b16_e32 v1, 8, v69
	v_mov_b32_e32 v38, 0x80
	v_cmp_ne_u16_e64 s[4:5], s56, v69
	v_cndmask_b32_e64 v1, v38, v1, s[4:5]
	v_and_b32_e32 v39, s55, v1
	v_lshlrev_b32_e32 v1, 2, v39
	v_add_lshl_u32 v96, v1, v66, 2
	v_and_b32_e32 v1, 1, v39
	v_add_co_u32_e64 v97, s[4:5], -1, v1
	v_addc_co_u32_e64 v98, s[4:5], 0, -1, s[4:5]
	v_cmp_ne_u32_e64 s[4:5], 0, v1
	v_xor_b32_e32 v1, s5, v98
	v_and_b32_e32 v98, exec_hi, v1
	v_lshlrev_b32_e32 v1, 30, v39
	v_xor_b32_e32 v97, s4, v97
	v_cmp_gt_i64_e64 s[4:5], 0, v[0:1]
	v_not_b32_e32 v1, v1
	v_ashrrev_i32_e32 v1, 31, v1
	v_and_b32_e32 v97, exec_lo, v97
	v_xor_b32_e32 v99, s5, v1
	v_xor_b32_e32 v1, s4, v1
	v_and_b32_e32 v97, v97, v1
	v_lshlrev_b32_e32 v1, 29, v39
	v_cmp_gt_i64_e64 s[4:5], 0, v[0:1]
	v_not_b32_e32 v1, v1
	v_ashrrev_i32_e32 v1, 31, v1
	v_and_b32_e32 v98, v98, v99
	v_xor_b32_e32 v99, s5, v1
	v_xor_b32_e32 v1, s4, v1
	v_and_b32_e32 v97, v97, v1
	v_lshlrev_b32_e32 v1, 28, v39
	v_cmp_gt_i64_e64 s[4:5], 0, v[0:1]
	v_not_b32_e32 v1, v1
	v_ashrrev_i32_e32 v1, 31, v1
	v_and_b32_e32 v98, v98, v99
	;; [unrolled: 8-line block ×5, first 2 shown]
	v_xor_b32_e32 v99, s5, v1
	v_xor_b32_e32 v1, s4, v1
	v_and_b32_e32 v97, v97, v1
	v_lshlrev_b32_e32 v1, 24, v39
	v_cmp_gt_i64_e64 s[4:5], 0, v[0:1]
	v_not_b32_e32 v0, v1
	v_ashrrev_i32_e32 v0, 31, v0
	v_xor_b32_e32 v1, s5, v0
	v_xor_b32_e32 v0, s4, v0
	; wave barrier
	ds_read_b32 v95, v96 offset:16
	v_and_b32_e32 v98, v98, v99
	v_and_b32_e32 v0, v97, v0
	v_and_b32_e32 v1, v98, v1
	v_mbcnt_lo_u32_b32 v39, v0, 0
	v_mbcnt_hi_u32_b32 v97, v1, v39
	v_cmp_eq_u32_e64 s[4:5], 0, v97
	v_cmp_ne_u64_e64 s[44:45], 0, v[0:1]
	s_and_b64 s[44:45], s[44:45], s[4:5]
	; wave barrier
	s_and_saveexec_b64 s[4:5], s[44:45]
	s_cbranch_execz .LBB256_80
; %bb.79:
	v_bcnt_u32_b32 v0, v0, 0
	v_bcnt_u32_b32 v0, v1, v0
	s_waitcnt lgkmcnt(0)
	v_add_u32_e32 v0, v95, v0
	ds_write_b32 v96, v0 offset:16
.LBB256_80:
	s_or_b64 exec, exec, s[4:5]
	v_lshrrev_b16_e32 v0, 8, v40
	v_cmp_ne_u16_e64 s[4:5], s56, v40
	v_cndmask_b32_e64 v0, v38, v0, s[4:5]
	v_and_b32_e32 v38, s55, v0
	v_and_b32_e32 v1, 1, v38
	v_add_co_u32_e64 v39, s[4:5], -1, v1
	v_addc_co_u32_e64 v99, s[4:5], 0, -1, s[4:5]
	v_cmp_ne_u32_e64 s[4:5], 0, v1
	v_lshlrev_b32_e32 v0, 2, v38
	v_xor_b32_e32 v1, s5, v99
	v_add_lshl_u32 v98, v0, v66, 2
	v_mov_b32_e32 v0, 0
	v_and_b32_e32 v99, exec_hi, v1
	v_lshlrev_b32_e32 v1, 30, v38
	v_xor_b32_e32 v39, s4, v39
	v_cmp_gt_i64_e64 s[4:5], 0, v[0:1]
	v_not_b32_e32 v1, v1
	v_ashrrev_i32_e32 v1, 31, v1
	v_and_b32_e32 v39, exec_lo, v39
	v_xor_b32_e32 v100, s5, v1
	v_xor_b32_e32 v1, s4, v1
	v_and_b32_e32 v39, v39, v1
	v_lshlrev_b32_e32 v1, 29, v38
	v_cmp_gt_i64_e64 s[4:5], 0, v[0:1]
	v_not_b32_e32 v1, v1
	v_ashrrev_i32_e32 v1, 31, v1
	v_and_b32_e32 v99, v99, v100
	v_xor_b32_e32 v100, s5, v1
	v_xor_b32_e32 v1, s4, v1
	v_and_b32_e32 v39, v39, v1
	v_lshlrev_b32_e32 v1, 28, v38
	v_cmp_gt_i64_e64 s[4:5], 0, v[0:1]
	v_not_b32_e32 v1, v1
	v_ashrrev_i32_e32 v1, 31, v1
	v_and_b32_e32 v99, v99, v100
	;; [unrolled: 8-line block ×5, first 2 shown]
	v_xor_b32_e32 v100, s5, v1
	v_xor_b32_e32 v1, s4, v1
	v_and_b32_e32 v39, v39, v1
	v_lshlrev_b32_e32 v1, 24, v38
	v_cmp_gt_i64_e64 s[4:5], 0, v[0:1]
	v_not_b32_e32 v0, v1
	v_ashrrev_i32_e32 v0, 31, v0
	v_xor_b32_e32 v1, s5, v0
	v_xor_b32_e32 v0, s4, v0
	; wave barrier
	ds_read_b32 v66, v98 offset:16
	v_and_b32_e32 v99, v99, v100
	v_and_b32_e32 v0, v39, v0
	;; [unrolled: 1-line block ×3, first 2 shown]
	v_mbcnt_lo_u32_b32 v38, v0, 0
	v_mbcnt_hi_u32_b32 v99, v1, v38
	v_cmp_eq_u32_e64 s[4:5], 0, v99
	v_cmp_ne_u64_e64 s[44:45], 0, v[0:1]
	s_and_b64 s[44:45], s[44:45], s[4:5]
	; wave barrier
	s_and_saveexec_b64 s[4:5], s[44:45]
	s_cbranch_execz .LBB256_82
; %bb.81:
	v_bcnt_u32_b32 v0, v0, 0
	v_bcnt_u32_b32 v0, v1, v0
	s_waitcnt lgkmcnt(0)
	v_add_u32_e32 v0, v66, v0
	ds_write_b32 v98, v0 offset:16
.LBB256_82:
	s_or_b64 exec, exec, s[4:5]
	; wave barrier
	s_waitcnt lgkmcnt(0)
	s_barrier
	ds_read2_b32 v[38:39], v62 offset0:4 offset1:5
	ds_read2_b32 v[0:1], v67 offset0:2 offset1:3
	s_waitcnt lgkmcnt(1)
	v_add_u32_e32 v100, v39, v38
	s_waitcnt lgkmcnt(0)
	v_add3_u32 v1, v100, v0, v1
	s_nop 1
	v_mov_b32_dpp v100, v1 row_shr:1 row_mask:0xf bank_mask:0xf
	v_cndmask_b32_e64 v100, v100, 0, s[22:23]
	v_add_u32_e32 v1, v100, v1
	s_nop 1
	v_mov_b32_dpp v100, v1 row_shr:2 row_mask:0xf bank_mask:0xf
	v_cndmask_b32_e64 v100, 0, v100, s[24:25]
	v_add_u32_e32 v1, v1, v100
	;; [unrolled: 4-line block ×4, first 2 shown]
	s_nop 1
	v_mov_b32_dpp v100, v1 row_bcast:15 row_mask:0xf bank_mask:0xf
	v_cndmask_b32_e64 v100, v100, 0, vcc
	v_add_u32_e32 v1, v1, v100
	s_nop 1
	v_mov_b32_dpp v100, v1 row_bcast:31 row_mask:0xf bank_mask:0xf
	v_cndmask_b32_e64 v100, 0, v100, s[34:35]
	v_add_u32_e32 v100, v1, v100
	s_and_saveexec_b64 s[4:5], s[16:17]
	s_cbranch_execz .LBB256_84
; %bb.83:
	ds_write_b32 v68, v100
.LBB256_84:
	s_or_b64 exec, exec, s[4:5]
	s_waitcnt lgkmcnt(0)
	s_barrier
	s_and_saveexec_b64 s[4:5], s[26:27]
	s_cbranch_execz .LBB256_86
; %bb.85:
	ds_read_b32 v1, v41
	s_waitcnt lgkmcnt(0)
	s_nop 0
	v_mov_b32_dpp v68, v1 row_shr:1 row_mask:0xf bank_mask:0xf
	v_cndmask_b32_e64 v68, v68, 0, s[20:21]
	v_add_u32_e32 v1, v68, v1
	s_nop 1
	v_mov_b32_dpp v68, v1 row_shr:2 row_mask:0xf bank_mask:0xf
	v_cndmask_b32_e64 v68, 0, v68, s[18:19]
	v_add_u32_e32 v1, v1, v68
	ds_write_b32 v41, v1
.LBB256_86:
	s_or_b64 exec, exec, s[4:5]
	v_mov_b32_e32 v1, 0
	v_mov_b32_e32 v41, 0
	s_waitcnt lgkmcnt(0)
	s_barrier
	s_and_saveexec_b64 s[4:5], s[36:37]
	s_cbranch_execz .LBB256_88
; %bb.87:
	ds_read_b32 v41, v78
.LBB256_88:
	s_or_b64 exec, exec, s[4:5]
	s_waitcnt lgkmcnt(0)
	v_add_u32_e32 v68, v41, v100
	ds_bpermute_b32 v68, v79, v68
	s_mov_b32 s16, 0x5040100
	s_waitcnt lgkmcnt(0)
	v_cndmask_b32_e64 v41, v68, v41, s[38:39]
	v_cndmask_b32_e64 v41, v41, 0, s[40:41]
	v_add_u32_e32 v38, v41, v38
	v_add_u32_e32 v39, v38, v39
	;; [unrolled: 1-line block ×3, first 2 shown]
	ds_write2_b32 v62, v41, v38 offset0:4 offset1:5
	ds_write2_b32 v67, v39, v0 offset0:2 offset1:3
	s_waitcnt lgkmcnt(0)
	s_barrier
	ds_read_b32 v0, v98 offset:16
	ds_read_b32 v38, v96 offset:16
	;; [unrolled: 1-line block ×4, first 2 shown]
	s_waitcnt lgkmcnt(3)
	v_add3_u32 v0, v99, v66, v0
	ds_read_b32 v66, v87 offset:16
	ds_read_b32 v67, v84 offset:16
	;; [unrolled: 1-line block ×4, first 2 shown]
	s_waitcnt lgkmcnt(0)
	s_barrier
	v_add3_u32 v67, v85, v83, v67
	v_add3_u32 v68, v82, v80, v68
	v_add_u32_e32 v76, v76, v77
	v_lshlrev_b32_e32 v77, 1, v76
	ds_write_b16 v77, v75
	v_lshlrev_b32_e32 v75, 1, v68
	v_add3_u32 v66, v88, v86, v66
	ds_write_b16 v75, v74
	v_lshlrev_b32_e32 v74, 1, v67
	v_add3_u32 v41, v91, v89, v41
	;; [unrolled: 3-line block ×4, first 2 shown]
	ds_write_b16 v72, v71
	v_lshlrev_b32_e32 v71, 1, v39
	ds_write_b16 v71, v70
	v_lshlrev_b32_e32 v70, 1, v38
	;; [unrolled: 2-line block ×4, first 2 shown]
	s_waitcnt lgkmcnt(0)
	s_barrier
	v_lshlrev_b32_e32 v70, 3, v41
	v_lshlrev_b32_e32 v71, 3, v39
	;; [unrolled: 1-line block ×3, first 2 shown]
	ds_read_b128 v[38:41], v40
	v_mov_b32_e32 v75, 0xffff8000
	v_lshlrev_b32_e32 v69, 3, v76
	v_lshlrev_b32_e32 v73, 3, v60
	;; [unrolled: 1-line block ×3, first 2 shown]
	s_waitcnt lgkmcnt(0)
	v_cmp_lt_i16_sdwa vcc, v38, v1 src0_sel:WORD_1 src1_sel:DWORD
	v_cndmask_b32_e32 v76, -1, v75, vcc
	v_cmp_gt_i16_e32 vcc, 0, v38
	v_lshlrev_b32_e32 v67, 3, v67
	v_lshlrev_b32_e32 v66, 3, v66
	v_lshlrev_b32_e32 v0, 3, v0
	v_cndmask_b32_e32 v77, -1, v75, vcc
	v_cmp_lt_i16_e32 vcc, -1, v39
	s_barrier
	ds_write_b64 v69, v[34:35]
	ds_write_b64 v68, v[36:37]
	;; [unrolled: 1-line block ×8, first 2 shown]
	s_waitcnt lgkmcnt(0)
	s_barrier
	ds_read2_b64 v[22:25], v73 offset1:1
	ds_read2_b64 v[26:29], v73 offset0:2 offset1:3
	ds_read2_b64 v[30:33], v73 offset0:4 offset1:5
	;; [unrolled: 1-line block ×3, first 2 shown]
	v_mov_b32_e32 v74, -1
	v_cndmask_b32_e64 v79, v75, -1, vcc
	v_cmp_lt_i16_sdwa vcc, v40, v1 src0_sel:WORD_1 src1_sel:DWORD
	v_cmp_gt_i16_sdwa s[4:5], v39, v74 src0_sel:WORD_1 src1_sel:DWORD
	v_cndmask_b32_e32 v0, -1, v75, vcc
	v_cmp_gt_i16_e32 vcc, 0, v40
	v_cndmask_b32_e64 v78, v75, -1, s[4:5]
	v_cndmask_b32_e32 v1, -1, v75, vcc
	v_cmp_gt_i16_sdwa s[4:5], v41, v74 src0_sel:WORD_1 src1_sel:DWORD
	v_cmp_lt_i16_e32 vcc, -1, v41
	v_cndmask_b32_e64 v66, v75, -1, s[4:5]
	v_cndmask_b32_e64 v67, v75, -1, vcc
	v_xor_b32_e32 v79, v79, v39
	v_xor_b32_sdwa v39, v78, v39 dst_sel:DWORD dst_unused:UNUSED_PAD src0_sel:DWORD src1_sel:WORD_1
	v_xor_b32_e32 v77, v77, v38
	v_xor_b32_sdwa v38, v76, v38 dst_sel:DWORD dst_unused:UNUSED_PAD src0_sel:DWORD src1_sel:WORD_1
	;; [unrolled: 2-line block ×4, first 2 shown]
	v_perm_b32 v39, v39, v79, s16
	v_perm_b32 v38, v38, v77, s16
	;; [unrolled: 1-line block ×4, first 2 shown]
	s_branch .LBB256_142
.LBB256_89:
	v_mad_u64_u32 v[2:3], s[16:17], v42, s48, 0
	v_mov_b32_e32 v4, v3
	v_mad_u64_u32 v[4:5], s[16:17], v42, s49, v[4:5]
	v_mov_b32_e32 v3, v4
	v_lshlrev_b64 v[2:3], 3, v[2:3]
	v_mov_b32_e32 v4, s54
	v_add_co_u32_e32 v2, vcc, s53, v2
	v_addc_co_u32_e32 v3, vcc, v4, v3, vcc
	global_load_dwordx2 v[2:3], v[2:3], off
	v_mov_b32_e32 v4, 0
	v_mov_b32_e32 v5, v4
	;; [unrolled: 1-line block ×14, first 2 shown]
	s_or_b64 exec, exec, s[4:5]
	s_and_saveexec_b64 s[4:5], s[2:3]
	s_cbranch_execz .LBB256_36
.LBB256_90:
	v_mad_u64_u32 v[4:5], s[16:17], v33, s48, 0
	v_mov_b32_e32 v38, v5
	v_mad_u64_u32 v[38:39], s[16:17], v33, s49, v[38:39]
	v_mov_b32_e32 v5, v38
	v_lshlrev_b64 v[4:5], 3, v[4:5]
	v_mov_b32_e32 v33, s54
	v_add_co_u32_e32 v4, vcc, s53, v4
	v_addc_co_u32_e32 v5, vcc, v33, v5, vcc
	global_load_dwordx2 v[4:5], v[4:5], off
	s_or_b64 exec, exec, s[4:5]
	s_and_saveexec_b64 s[4:5], s[42:43]
	s_cbranch_execz .LBB256_37
.LBB256_91:
	v_mad_u64_u32 v[6:7], s[16:17], v31, s48, 0
	v_mov_b32_e32 v38, v7
	v_mad_u64_u32 v[38:39], s[16:17], v31, s49, v[38:39]
	v_mov_b32_e32 v7, v38
	v_lshlrev_b64 v[6:7], 3, v[6:7]
	v_mov_b32_e32 v31, s54
	v_add_co_u32_e32 v6, vcc, s53, v6
	v_addc_co_u32_e32 v7, vcc, v31, v7, vcc
	global_load_dwordx2 v[6:7], v[6:7], off
	s_or_b64 exec, exec, s[4:5]
	s_and_saveexec_b64 s[4:5], s[6:7]
	s_cbranch_execz .LBB256_38
.LBB256_92:
	v_mad_u64_u32 v[8:9], s[16:17], v28, s48, 0
	v_mov_b32_e32 v38, v9
	v_mad_u64_u32 v[38:39], s[16:17], v28, s49, v[38:39]
	v_mov_b32_e32 v9, v38
	v_lshlrev_b64 v[8:9], 3, v[8:9]
	v_mov_b32_e32 v28, s54
	v_add_co_u32_e32 v8, vcc, s53, v8
	v_addc_co_u32_e32 v9, vcc, v28, v9, vcc
	global_load_dwordx2 v[8:9], v[8:9], off
	s_or_b64 exec, exec, s[4:5]
	s_and_saveexec_b64 s[4:5], s[8:9]
	s_cbranch_execz .LBB256_39
.LBB256_93:
	v_mad_u64_u32 v[10:11], s[16:17], v25, s48, 0
	v_mov_b32_e32 v28, v11
	v_mad_u64_u32 v[38:39], s[16:17], v25, s49, v[28:29]
	v_mov_b32_e32 v11, v38
	v_lshlrev_b64 v[10:11], 3, v[10:11]
	v_mov_b32_e32 v25, s54
	v_add_co_u32_e32 v10, vcc, s53, v10
	v_addc_co_u32_e32 v11, vcc, v25, v11, vcc
	global_load_dwordx2 v[10:11], v[10:11], off
	s_or_b64 exec, exec, s[4:5]
	s_and_saveexec_b64 s[4:5], s[10:11]
	s_cbranch_execz .LBB256_40
.LBB256_94:
	v_mad_u64_u32 v[12:13], s[16:17], v23, s48, 0
	v_mov_b32_e32 v28, v13
	v_mad_u64_u32 v[38:39], s[16:17], v23, s49, v[28:29]
	v_mov_b32_e32 v13, v38
	v_lshlrev_b64 v[12:13], 3, v[12:13]
	v_mov_b32_e32 v23, s54
	v_add_co_u32_e32 v12, vcc, s53, v12
	v_addc_co_u32_e32 v13, vcc, v23, v13, vcc
	global_load_dwordx2 v[12:13], v[12:13], off
	s_or_b64 exec, exec, s[4:5]
	s_and_saveexec_b64 s[4:5], s[12:13]
	s_cbranch_execz .LBB256_41
.LBB256_95:
	v_mad_u64_u32 v[14:15], s[16:17], v22, s48, 0
	v_mov_b32_e32 v28, v15
	v_mad_u64_u32 v[22:23], s[16:17], v22, s49, v[28:29]
	v_mov_b32_e32 v15, v22
	v_lshlrev_b64 v[14:15], 3, v[14:15]
	v_mov_b32_e32 v22, s54
	v_add_co_u32_e32 v14, vcc, s53, v14
	v_addc_co_u32_e32 v15, vcc, v22, v15, vcc
	global_load_dwordx2 v[14:15], v[14:15], off
	s_or_b64 exec, exec, s[4:5]
	s_xor_b64 s[4:5], s[34:35], -1
	s_and_saveexec_b64 s[16:17], s[14:15]
	s_cbranch_execnz .LBB256_42
	s_branch .LBB256_43
.LBB256_96:
                                        ; implicit-def: $vgpr36_vgpr37
                                        ; implicit-def: $vgpr32_vgpr33
                                        ; implicit-def: $vgpr28_vgpr29
                                        ; implicit-def: $vgpr24_vgpr25
                                        ; implicit-def: $vgpr40_vgpr41
	s_cbranch_execz .LBB256_142
; %bb.97:
	s_waitcnt lgkmcnt(3)
	v_mov_b32_e32 v22, 0
	s_waitcnt lgkmcnt(0)
	v_mov_b32_e32 v35, 0x7fff
	v_cmp_gt_i16_e32 vcc, 0, v19
	v_cmp_lt_i16_sdwa s[4:5], v19, v22 src0_sel:WORD_1 src1_sel:DWORD
	v_cndmask_b32_e64 v23, v35, 0, vcc
	v_cmp_gt_i16_e32 vcc, 0, v18
	v_cndmask_b32_e64 v25, v35, 0, s[4:5]
	v_cmp_lt_i16_sdwa s[4:5], v18, v22 src0_sel:WORD_1 src1_sel:DWORD
	v_cndmask_b32_e64 v24, v35, 0, vcc
	v_cndmask_b32_e64 v27, v35, 0, s[4:5]
	v_cmp_gt_i16_e32 vcc, 0, v21
	v_cmp_lt_i16_sdwa s[4:5], v21, v22 src0_sel:WORD_1 src1_sel:DWORD
	v_xor_b32_sdwa v25, v25, v19 dst_sel:DWORD dst_unused:UNUSED_PAD src0_sel:DWORD src1_sel:WORD_1
	v_xor_b32_e32 v19, v23, v19
	v_cndmask_b32_e64 v23, v35, 0, vcc
	v_cmp_gt_i16_e32 vcc, 0, v20
	v_cndmask_b32_e64 v28, v35, 0, s[4:5]
	v_cmp_lt_i16_sdwa s[4:5], v20, v22 src0_sel:WORD_1 src1_sel:DWORD
	v_mbcnt_hi_u32_b32 v26, -1, v65
	v_and_b32_e32 v34, 0x3c0, v42
	v_xor_b32_sdwa v27, v27, v18 dst_sel:DWORD dst_unused:UNUSED_PAD src0_sel:DWORD src1_sel:WORD_1
	v_xor_b32_e32 v18, v24, v18
	v_cndmask_b32_e64 v24, v35, 0, vcc
	v_cndmask_b32_e64 v29, v35, 0, s[4:5]
	v_add_u32_e32 v0, v26, v34
	v_xor_b32_sdwa v29, v29, v20 dst_sel:DWORD dst_unused:UNUSED_PAD src0_sel:DWORD src1_sel:WORD_1
	v_xor_b32_sdwa v28, v28, v21 dst_sel:DWORD dst_unused:UNUSED_PAD src0_sel:DWORD src1_sel:WORD_1
	v_xor_b32_e32 v20, v24, v20
	v_xor_b32_e32 v21, v23, v21
	s_mov_b32 s4, 0x5040100
	v_lshlrev_b32_e32 v1, 4, v0
	v_perm_b32 v21, v28, v21, s4
	v_perm_b32 v20, v29, v20, s4
	;; [unrolled: 1-line block ×4, first 2 shown]
	v_and_b32_e32 v36, 0x1e00, v60
	ds_write_b128 v1, v[18:21]
	v_or_b32_e32 v1, v26, v36
	v_lshlrev_b32_e32 v18, 1, v1
	v_lshlrev_b32_e32 v0, 6, v0
	; wave barrier
	ds_read_u16 v33, v18
	ds_read_u16 v32, v18 offset:128
	ds_read_u16 v31, v18 offset:256
	;; [unrolled: 1-line block ×7, first 2 shown]
	s_waitcnt lgkmcnt(0)
	s_barrier
	ds_write2_b64 v0, v[14:15], v[16:17] offset1:1
	ds_write2_b64 v0, v[10:11], v[12:13] offset0:2 offset1:3
	ds_write2_b64 v0, v[6:7], v[8:9] offset0:4 offset1:5
	;; [unrolled: 1-line block ×3, first 2 shown]
	v_lshlrev_b32_e32 v0, 3, v1
	; wave barrier
	ds_read2st64_b64 v[12:15], v0 offset1:1
	ds_read2st64_b64 v[8:11], v0 offset0:2 offset1:3
	ds_read2st64_b64 v[4:7], v0 offset0:4 offset1:5
	;; [unrolled: 1-line block ×3, first 2 shown]
	s_waitcnt lgkmcnt(0)
	s_barrier
	s_load_dword s16, s[50:51], 0xc
	s_getpc_b64 s[4:5]
	s_add_u32 s4, s4, _ZN7rocprim17ROCPRIM_400000_NS16block_radix_sortI12hip_bfloat16Lj256ELj8ElLj1ELj1ELj0ELNS0_26block_radix_rank_algorithmE1ELNS0_18block_padding_hintE2ELNS0_4arch9wavefront6targetE1EE19radix_bits_per_passE@rel32@lo+4
	s_addc_u32 s5, s5, _ZN7rocprim17ROCPRIM_400000_NS16block_radix_sortI12hip_bfloat16Lj256ELj8ElLj1ELj1ELj0ELNS0_26block_radix_rank_algorithmE1ELNS0_18block_padding_hintE2ELNS0_4arch9wavefront6targetE1EE19radix_bits_per_passE@rel32@hi+12
	s_load_dword s44, s[4:5], 0x0
	s_movk_i32 s17, 0x8000
	v_cmp_ne_u16_e32 vcc, s17, v33
	s_waitcnt lgkmcnt(0)
	s_lshr_b32 s4, s16, 16
	s_and_b32 s5, s16, 0xffff
	v_mad_u32_u24 v16, v64, s4, v63
	v_mad_u64_u32 v[16:17], s[4:5], v16, s5, v[42:43]
	s_min_u32 s4, s44, 16
	s_lshl_b32 s4, -1, s4
	v_lshrrev_b32_e32 v24, 6, v16
	s_not_b32 s16, s4
	v_cndmask_b32_e32 v16, v35, v33, vcc
	v_and_b32_sdwa v16, s16, v16 dst_sel:DWORD dst_unused:UNUSED_PAD src0_sel:DWORD src1_sel:WORD_0
	v_lshlrev_b32_e32 v17, 2, v16
	v_add_lshl_u32 v37, v24, v17, 2
	v_and_b32_e32 v17, 1, v16
	v_add_co_u32_e32 v18, vcc, -1, v17
	v_addc_co_u32_e64 v19, s[4:5], 0, -1, vcc
	v_cmp_ne_u32_e32 vcc, 0, v17
	v_lshlrev_b32_e32 v23, 30, v16
	v_xor_b32_e32 v17, vcc_hi, v19
	v_not_b32_e32 v19, v23
	v_xor_b32_e32 v18, vcc_lo, v18
	v_cmp_gt_i64_e32 vcc, 0, v[22:23]
	v_ashrrev_i32_e32 v19, 31, v19
	v_and_b32_e32 v18, exec_lo, v18
	v_xor_b32_e32 v20, vcc_hi, v19
	v_xor_b32_e32 v19, vcc_lo, v19
	v_lshlrev_b32_e32 v23, 29, v16
	v_and_b32_e32 v18, v18, v19
	v_not_b32_e32 v19, v23
	v_and_b32_e32 v17, exec_hi, v17
	v_cmp_gt_i64_e32 vcc, 0, v[22:23]
	v_ashrrev_i32_e32 v19, 31, v19
	v_and_b32_e32 v17, v17, v20
	v_xor_b32_e32 v20, vcc_hi, v19
	v_xor_b32_e32 v19, vcc_lo, v19
	v_lshlrev_b32_e32 v23, 28, v16
	v_and_b32_e32 v18, v18, v19
	v_not_b32_e32 v19, v23
	v_cmp_gt_i64_e32 vcc, 0, v[22:23]
	v_ashrrev_i32_e32 v19, 31, v19
	v_and_b32_e32 v17, v17, v20
	v_xor_b32_e32 v20, vcc_hi, v19
	v_xor_b32_e32 v19, vcc_lo, v19
	v_lshlrev_b32_e32 v23, 27, v16
	v_and_b32_e32 v18, v18, v19
	v_not_b32_e32 v19, v23
	;; [unrolled: 8-line block ×3, first 2 shown]
	v_cmp_gt_i64_e32 vcc, 0, v[22:23]
	v_ashrrev_i32_e32 v19, 31, v19
	v_and_b32_e32 v17, v17, v20
	v_xor_b32_e32 v20, vcc_hi, v19
	v_xor_b32_e32 v19, vcc_lo, v19
	v_lshlrev_b32_e32 v23, 25, v16
	v_and_b32_e32 v18, v18, v19
	v_cmp_gt_i64_e32 vcc, 0, v[22:23]
	v_not_b32_e32 v19, v23
	v_lshlrev_b32_e32 v23, 24, v16
	v_ashrrev_i32_e32 v19, 31, v19
	v_not_b32_e32 v16, v23
	v_and_b32_e32 v17, v17, v20
	v_xor_b32_e32 v20, vcc_hi, v19
	v_xor_b32_e32 v19, vcc_lo, v19
	v_cmp_gt_i64_e32 vcc, 0, v[22:23]
	v_ashrrev_i32_e32 v16, 31, v16
	v_and_b32_e32 v18, v18, v19
	v_xor_b32_e32 v19, vcc_hi, v16
	v_xor_b32_e32 v16, vcc_lo, v16
	v_and_b32_e32 v17, v17, v20
	v_and_b32_e32 v16, v18, v16
	;; [unrolled: 1-line block ×3, first 2 shown]
	v_mbcnt_lo_u32_b32 v18, v16, 0
	v_mbcnt_hi_u32_b32 v38, v17, v18
	v_cmp_eq_u32_e32 vcc, 0, v38
	v_cmp_ne_u64_e64 s[4:5], 0, v[16:17]
	s_and_b64 s[18:19], s[4:5], vcc
	ds_write2_b32 v62, v22, v22 offset0:4 offset1:5
	ds_write2_b32 v62, v22, v22 offset0:6 offset1:7
	s_waitcnt lgkmcnt(0)
	s_barrier
	s_waitcnt lgkmcnt(0)
	; wave barrier
	s_and_saveexec_b64 s[4:5], s[18:19]
	s_cbranch_execz .LBB256_99
; %bb.98:
	v_bcnt_u32_b32 v16, v16, 0
	v_bcnt_u32_b32 v16, v17, v16
	ds_write_b32 v37, v16 offset:16
.LBB256_99:
	s_or_b64 exec, exec, s[4:5]
	v_cmp_ne_u16_e32 vcc, s17, v32
	v_cndmask_b32_e32 v16, v35, v32, vcc
	v_and_b32_sdwa v16, s16, v16 dst_sel:DWORD dst_unused:UNUSED_PAD src0_sel:DWORD src1_sel:WORD_0
	v_lshlrev_b32_e32 v17, 2, v16
	v_add_lshl_u32 v40, v24, v17, 2
	v_and_b32_e32 v17, 1, v16
	v_add_co_u32_e32 v18, vcc, -1, v17
	v_addc_co_u32_e64 v19, s[4:5], 0, -1, vcc
	v_cmp_ne_u32_e32 vcc, 0, v17
	v_lshlrev_b32_e32 v23, 30, v16
	v_xor_b32_e32 v17, vcc_hi, v19
	v_not_b32_e32 v19, v23
	v_xor_b32_e32 v18, vcc_lo, v18
	v_cmp_gt_i64_e32 vcc, 0, v[22:23]
	v_ashrrev_i32_e32 v19, 31, v19
	v_and_b32_e32 v18, exec_lo, v18
	v_xor_b32_e32 v20, vcc_hi, v19
	v_xor_b32_e32 v19, vcc_lo, v19
	v_lshlrev_b32_e32 v23, 29, v16
	v_and_b32_e32 v18, v18, v19
	v_not_b32_e32 v19, v23
	v_and_b32_e32 v17, exec_hi, v17
	v_cmp_gt_i64_e32 vcc, 0, v[22:23]
	v_ashrrev_i32_e32 v19, 31, v19
	v_and_b32_e32 v17, v17, v20
	v_xor_b32_e32 v20, vcc_hi, v19
	v_xor_b32_e32 v19, vcc_lo, v19
	v_lshlrev_b32_e32 v23, 28, v16
	v_and_b32_e32 v18, v18, v19
	v_not_b32_e32 v19, v23
	v_cmp_gt_i64_e32 vcc, 0, v[22:23]
	v_ashrrev_i32_e32 v19, 31, v19
	v_and_b32_e32 v17, v17, v20
	v_xor_b32_e32 v20, vcc_hi, v19
	v_xor_b32_e32 v19, vcc_lo, v19
	v_lshlrev_b32_e32 v23, 27, v16
	v_and_b32_e32 v18, v18, v19
	v_not_b32_e32 v19, v23
	;; [unrolled: 8-line block ×3, first 2 shown]
	v_cmp_gt_i64_e32 vcc, 0, v[22:23]
	v_ashrrev_i32_e32 v19, 31, v19
	v_and_b32_e32 v17, v17, v20
	v_xor_b32_e32 v20, vcc_hi, v19
	v_xor_b32_e32 v19, vcc_lo, v19
	v_lshlrev_b32_e32 v23, 25, v16
	v_and_b32_e32 v18, v18, v19
	v_cmp_gt_i64_e32 vcc, 0, v[22:23]
	v_not_b32_e32 v19, v23
	v_lshlrev_b32_e32 v23, 24, v16
	v_ashrrev_i32_e32 v19, 31, v19
	v_not_b32_e32 v16, v23
	v_and_b32_e32 v17, v17, v20
	v_xor_b32_e32 v20, vcc_hi, v19
	v_xor_b32_e32 v19, vcc_lo, v19
	v_cmp_gt_i64_e32 vcc, 0, v[22:23]
	v_ashrrev_i32_e32 v16, 31, v16
	v_and_b32_e32 v18, v18, v19
	v_xor_b32_e32 v19, vcc_hi, v16
	v_xor_b32_e32 v16, vcc_lo, v16
	; wave barrier
	ds_read_b32 v39, v40 offset:16
	v_and_b32_e32 v17, v17, v20
	v_and_b32_e32 v16, v18, v16
	v_and_b32_e32 v17, v17, v19
	v_mbcnt_lo_u32_b32 v18, v16, 0
	v_mbcnt_hi_u32_b32 v41, v17, v18
	v_cmp_eq_u32_e32 vcc, 0, v41
	v_cmp_ne_u64_e64 s[4:5], 0, v[16:17]
	s_and_b64 s[18:19], s[4:5], vcc
	; wave barrier
	s_and_saveexec_b64 s[4:5], s[18:19]
	s_cbranch_execz .LBB256_101
; %bb.100:
	v_bcnt_u32_b32 v16, v16, 0
	v_bcnt_u32_b32 v16, v17, v16
	s_waitcnt lgkmcnt(0)
	v_add_u32_e32 v16, v39, v16
	ds_write_b32 v40, v16 offset:16
.LBB256_101:
	s_or_b64 exec, exec, s[4:5]
	v_mov_b32_e32 v20, 0x7fff
	v_cmp_ne_u16_e32 vcc, s17, v31
	v_cndmask_b32_e32 v16, v20, v31, vcc
	v_and_b32_sdwa v18, s16, v16 dst_sel:DWORD dst_unused:UNUSED_PAD src0_sel:DWORD src1_sel:WORD_0
	v_and_b32_e32 v17, 1, v18
	v_add_co_u32_e32 v19, vcc, -1, v17
	v_addc_co_u32_e64 v21, s[4:5], 0, -1, vcc
	v_cmp_ne_u32_e32 vcc, 0, v17
	v_lshlrev_b32_e32 v16, 2, v18
	v_xor_b32_e32 v17, vcc_hi, v21
	v_add_lshl_u32 v64, v24, v16, 2
	v_mov_b32_e32 v16, 0
	v_and_b32_e32 v21, exec_hi, v17
	v_lshlrev_b32_e32 v17, 30, v18
	v_xor_b32_e32 v19, vcc_lo, v19
	v_cmp_gt_i64_e32 vcc, 0, v[16:17]
	v_not_b32_e32 v17, v17
	v_ashrrev_i32_e32 v17, 31, v17
	v_and_b32_e32 v19, exec_lo, v19
	v_xor_b32_e32 v22, vcc_hi, v17
	v_xor_b32_e32 v17, vcc_lo, v17
	v_and_b32_e32 v19, v19, v17
	v_lshlrev_b32_e32 v17, 29, v18
	v_cmp_gt_i64_e32 vcc, 0, v[16:17]
	v_not_b32_e32 v17, v17
	v_ashrrev_i32_e32 v17, 31, v17
	v_and_b32_e32 v21, v21, v22
	v_xor_b32_e32 v22, vcc_hi, v17
	v_xor_b32_e32 v17, vcc_lo, v17
	v_and_b32_e32 v19, v19, v17
	v_lshlrev_b32_e32 v17, 28, v18
	v_cmp_gt_i64_e32 vcc, 0, v[16:17]
	v_not_b32_e32 v17, v17
	v_ashrrev_i32_e32 v17, 31, v17
	v_and_b32_e32 v21, v21, v22
	;; [unrolled: 8-line block ×5, first 2 shown]
	v_xor_b32_e32 v22, vcc_hi, v17
	v_xor_b32_e32 v17, vcc_lo, v17
	v_and_b32_e32 v21, v21, v22
	v_and_b32_e32 v22, v19, v17
	v_lshlrev_b32_e32 v17, 24, v18
	v_cmp_gt_i64_e32 vcc, 0, v[16:17]
	v_not_b32_e32 v17, v17
	v_ashrrev_i32_e32 v17, 31, v17
	v_xor_b32_e32 v18, vcc_hi, v17
	v_xor_b32_e32 v17, vcc_lo, v17
	; wave barrier
	ds_read_b32 v63, v64 offset:16
	v_and_b32_e32 v19, v21, v18
	v_and_b32_e32 v18, v22, v17
	v_mbcnt_lo_u32_b32 v17, v18, 0
	v_mbcnt_hi_u32_b32 v65, v19, v17
	v_cmp_eq_u32_e32 vcc, 0, v65
	v_cmp_ne_u64_e64 s[4:5], 0, v[18:19]
	s_and_b64 s[18:19], s[4:5], vcc
	; wave barrier
	s_and_saveexec_b64 s[4:5], s[18:19]
	s_cbranch_execz .LBB256_103
; %bb.102:
	v_bcnt_u32_b32 v17, v18, 0
	v_bcnt_u32_b32 v17, v19, v17
	s_waitcnt lgkmcnt(0)
	v_add_u32_e32 v17, v63, v17
	ds_write_b32 v64, v17 offset:16
.LBB256_103:
	s_or_b64 exec, exec, s[4:5]
	v_cmp_ne_u16_e32 vcc, s17, v30
	v_cndmask_b32_e32 v17, v20, v30, vcc
	v_and_b32_sdwa v18, s16, v17 dst_sel:DWORD dst_unused:UNUSED_PAD src0_sel:DWORD src1_sel:WORD_0
	v_lshlrev_b32_e32 v17, 2, v18
	v_add_lshl_u32 v67, v24, v17, 2
	v_and_b32_e32 v17, 1, v18
	v_add_co_u32_e32 v19, vcc, -1, v17
	v_addc_co_u32_e64 v20, s[4:5], 0, -1, vcc
	v_cmp_ne_u32_e32 vcc, 0, v17
	v_xor_b32_e32 v17, vcc_hi, v20
	v_and_b32_e32 v20, exec_hi, v17
	v_lshlrev_b32_e32 v17, 30, v18
	v_xor_b32_e32 v19, vcc_lo, v19
	v_cmp_gt_i64_e32 vcc, 0, v[16:17]
	v_not_b32_e32 v17, v17
	v_ashrrev_i32_e32 v17, 31, v17
	v_and_b32_e32 v19, exec_lo, v19
	v_xor_b32_e32 v21, vcc_hi, v17
	v_xor_b32_e32 v17, vcc_lo, v17
	v_and_b32_e32 v19, v19, v17
	v_lshlrev_b32_e32 v17, 29, v18
	v_cmp_gt_i64_e32 vcc, 0, v[16:17]
	v_not_b32_e32 v17, v17
	v_ashrrev_i32_e32 v17, 31, v17
	v_and_b32_e32 v20, v20, v21
	v_xor_b32_e32 v21, vcc_hi, v17
	v_xor_b32_e32 v17, vcc_lo, v17
	v_and_b32_e32 v19, v19, v17
	v_lshlrev_b32_e32 v17, 28, v18
	v_cmp_gt_i64_e32 vcc, 0, v[16:17]
	v_not_b32_e32 v17, v17
	v_ashrrev_i32_e32 v17, 31, v17
	v_and_b32_e32 v20, v20, v21
	;; [unrolled: 8-line block ×5, first 2 shown]
	v_xor_b32_e32 v21, vcc_hi, v17
	v_xor_b32_e32 v17, vcc_lo, v17
	v_and_b32_e32 v19, v19, v17
	v_lshlrev_b32_e32 v17, 24, v18
	v_cmp_gt_i64_e32 vcc, 0, v[16:17]
	v_not_b32_e32 v16, v17
	v_ashrrev_i32_e32 v16, 31, v16
	v_xor_b32_e32 v17, vcc_hi, v16
	v_xor_b32_e32 v16, vcc_lo, v16
	; wave barrier
	ds_read_b32 v66, v67 offset:16
	v_and_b32_e32 v20, v20, v21
	v_and_b32_e32 v16, v19, v16
	;; [unrolled: 1-line block ×3, first 2 shown]
	v_mbcnt_lo_u32_b32 v18, v16, 0
	v_mbcnt_hi_u32_b32 v68, v17, v18
	v_cmp_eq_u32_e32 vcc, 0, v68
	v_cmp_ne_u64_e64 s[4:5], 0, v[16:17]
	s_and_b64 s[18:19], s[4:5], vcc
	; wave barrier
	s_and_saveexec_b64 s[4:5], s[18:19]
	s_cbranch_execz .LBB256_105
; %bb.104:
	v_bcnt_u32_b32 v16, v16, 0
	v_bcnt_u32_b32 v16, v17, v16
	s_waitcnt lgkmcnt(0)
	v_add_u32_e32 v16, v66, v16
	ds_write_b32 v67, v16 offset:16
.LBB256_105:
	s_or_b64 exec, exec, s[4:5]
	v_mov_b32_e32 v20, 0x7fff
	v_cmp_ne_u16_e32 vcc, s17, v29
	v_cndmask_b32_e32 v16, v20, v29, vcc
	v_and_b32_sdwa v18, s16, v16 dst_sel:DWORD dst_unused:UNUSED_PAD src0_sel:DWORD src1_sel:WORD_0
	v_and_b32_e32 v17, 1, v18
	v_add_co_u32_e32 v19, vcc, -1, v17
	v_addc_co_u32_e64 v21, s[4:5], 0, -1, vcc
	v_cmp_ne_u32_e32 vcc, 0, v17
	v_lshlrev_b32_e32 v16, 2, v18
	v_xor_b32_e32 v17, vcc_hi, v21
	v_add_lshl_u32 v70, v24, v16, 2
	v_mov_b32_e32 v16, 0
	v_and_b32_e32 v21, exec_hi, v17
	v_lshlrev_b32_e32 v17, 30, v18
	v_xor_b32_e32 v19, vcc_lo, v19
	v_cmp_gt_i64_e32 vcc, 0, v[16:17]
	v_not_b32_e32 v17, v17
	v_ashrrev_i32_e32 v17, 31, v17
	v_and_b32_e32 v19, exec_lo, v19
	v_xor_b32_e32 v22, vcc_hi, v17
	v_xor_b32_e32 v17, vcc_lo, v17
	v_and_b32_e32 v19, v19, v17
	v_lshlrev_b32_e32 v17, 29, v18
	v_cmp_gt_i64_e32 vcc, 0, v[16:17]
	v_not_b32_e32 v17, v17
	v_ashrrev_i32_e32 v17, 31, v17
	v_and_b32_e32 v21, v21, v22
	v_xor_b32_e32 v22, vcc_hi, v17
	v_xor_b32_e32 v17, vcc_lo, v17
	v_and_b32_e32 v19, v19, v17
	v_lshlrev_b32_e32 v17, 28, v18
	v_cmp_gt_i64_e32 vcc, 0, v[16:17]
	v_not_b32_e32 v17, v17
	v_ashrrev_i32_e32 v17, 31, v17
	v_and_b32_e32 v21, v21, v22
	;; [unrolled: 8-line block ×5, first 2 shown]
	v_xor_b32_e32 v22, vcc_hi, v17
	v_xor_b32_e32 v17, vcc_lo, v17
	v_and_b32_e32 v21, v21, v22
	v_and_b32_e32 v22, v19, v17
	v_lshlrev_b32_e32 v17, 24, v18
	v_cmp_gt_i64_e32 vcc, 0, v[16:17]
	v_not_b32_e32 v17, v17
	v_ashrrev_i32_e32 v17, 31, v17
	v_xor_b32_e32 v18, vcc_hi, v17
	v_xor_b32_e32 v17, vcc_lo, v17
	; wave barrier
	ds_read_b32 v69, v70 offset:16
	v_and_b32_e32 v19, v21, v18
	v_and_b32_e32 v18, v22, v17
	v_mbcnt_lo_u32_b32 v17, v18, 0
	v_mbcnt_hi_u32_b32 v71, v19, v17
	v_cmp_eq_u32_e32 vcc, 0, v71
	v_cmp_ne_u64_e64 s[4:5], 0, v[18:19]
	s_and_b64 s[18:19], s[4:5], vcc
	; wave barrier
	s_and_saveexec_b64 s[4:5], s[18:19]
	s_cbranch_execz .LBB256_107
; %bb.106:
	v_bcnt_u32_b32 v17, v18, 0
	v_bcnt_u32_b32 v17, v19, v17
	s_waitcnt lgkmcnt(0)
	v_add_u32_e32 v17, v69, v17
	ds_write_b32 v70, v17 offset:16
.LBB256_107:
	s_or_b64 exec, exec, s[4:5]
	v_cmp_ne_u16_e32 vcc, s17, v28
	v_cndmask_b32_e32 v17, v20, v28, vcc
	v_and_b32_sdwa v18, s16, v17 dst_sel:DWORD dst_unused:UNUSED_PAD src0_sel:DWORD src1_sel:WORD_0
	v_lshlrev_b32_e32 v17, 2, v18
	v_add_lshl_u32 v73, v24, v17, 2
	v_and_b32_e32 v17, 1, v18
	v_add_co_u32_e32 v19, vcc, -1, v17
	v_addc_co_u32_e64 v20, s[4:5], 0, -1, vcc
	v_cmp_ne_u32_e32 vcc, 0, v17
	v_xor_b32_e32 v17, vcc_hi, v20
	v_and_b32_e32 v20, exec_hi, v17
	v_lshlrev_b32_e32 v17, 30, v18
	v_xor_b32_e32 v19, vcc_lo, v19
	v_cmp_gt_i64_e32 vcc, 0, v[16:17]
	v_not_b32_e32 v17, v17
	v_ashrrev_i32_e32 v17, 31, v17
	v_and_b32_e32 v19, exec_lo, v19
	v_xor_b32_e32 v21, vcc_hi, v17
	v_xor_b32_e32 v17, vcc_lo, v17
	v_and_b32_e32 v19, v19, v17
	v_lshlrev_b32_e32 v17, 29, v18
	v_cmp_gt_i64_e32 vcc, 0, v[16:17]
	v_not_b32_e32 v17, v17
	v_ashrrev_i32_e32 v17, 31, v17
	v_and_b32_e32 v20, v20, v21
	v_xor_b32_e32 v21, vcc_hi, v17
	v_xor_b32_e32 v17, vcc_lo, v17
	v_and_b32_e32 v19, v19, v17
	v_lshlrev_b32_e32 v17, 28, v18
	v_cmp_gt_i64_e32 vcc, 0, v[16:17]
	v_not_b32_e32 v17, v17
	v_ashrrev_i32_e32 v17, 31, v17
	v_and_b32_e32 v20, v20, v21
	;; [unrolled: 8-line block ×5, first 2 shown]
	v_xor_b32_e32 v21, vcc_hi, v17
	v_xor_b32_e32 v17, vcc_lo, v17
	v_and_b32_e32 v19, v19, v17
	v_lshlrev_b32_e32 v17, 24, v18
	v_cmp_gt_i64_e32 vcc, 0, v[16:17]
	v_not_b32_e32 v16, v17
	v_ashrrev_i32_e32 v16, 31, v16
	v_xor_b32_e32 v17, vcc_hi, v16
	v_xor_b32_e32 v16, vcc_lo, v16
	; wave barrier
	ds_read_b32 v72, v73 offset:16
	v_and_b32_e32 v20, v20, v21
	v_and_b32_e32 v16, v19, v16
	;; [unrolled: 1-line block ×3, first 2 shown]
	v_mbcnt_lo_u32_b32 v18, v16, 0
	v_mbcnt_hi_u32_b32 v74, v17, v18
	v_cmp_eq_u32_e32 vcc, 0, v74
	v_cmp_ne_u64_e64 s[4:5], 0, v[16:17]
	s_and_b64 s[18:19], s[4:5], vcc
	; wave barrier
	s_and_saveexec_b64 s[4:5], s[18:19]
	s_cbranch_execz .LBB256_109
; %bb.108:
	v_bcnt_u32_b32 v16, v16, 0
	v_bcnt_u32_b32 v16, v17, v16
	s_waitcnt lgkmcnt(0)
	v_add_u32_e32 v16, v72, v16
	ds_write_b32 v73, v16 offset:16
.LBB256_109:
	s_or_b64 exec, exec, s[4:5]
	v_mov_b32_e32 v20, 0x7fff
	v_cmp_ne_u16_e32 vcc, s17, v27
	v_cndmask_b32_e32 v16, v20, v27, vcc
	v_and_b32_sdwa v18, s16, v16 dst_sel:DWORD dst_unused:UNUSED_PAD src0_sel:DWORD src1_sel:WORD_0
	v_and_b32_e32 v17, 1, v18
	v_add_co_u32_e32 v19, vcc, -1, v17
	v_addc_co_u32_e64 v21, s[4:5], 0, -1, vcc
	v_cmp_ne_u32_e32 vcc, 0, v17
	v_lshlrev_b32_e32 v16, 2, v18
	v_xor_b32_e32 v17, vcc_hi, v21
	v_add_lshl_u32 v76, v24, v16, 2
	v_mov_b32_e32 v16, 0
	v_and_b32_e32 v21, exec_hi, v17
	v_lshlrev_b32_e32 v17, 30, v18
	v_xor_b32_e32 v19, vcc_lo, v19
	v_cmp_gt_i64_e32 vcc, 0, v[16:17]
	v_not_b32_e32 v17, v17
	v_ashrrev_i32_e32 v17, 31, v17
	v_and_b32_e32 v19, exec_lo, v19
	v_xor_b32_e32 v22, vcc_hi, v17
	v_xor_b32_e32 v17, vcc_lo, v17
	v_and_b32_e32 v19, v19, v17
	v_lshlrev_b32_e32 v17, 29, v18
	v_cmp_gt_i64_e32 vcc, 0, v[16:17]
	v_not_b32_e32 v17, v17
	v_ashrrev_i32_e32 v17, 31, v17
	v_and_b32_e32 v21, v21, v22
	v_xor_b32_e32 v22, vcc_hi, v17
	v_xor_b32_e32 v17, vcc_lo, v17
	v_and_b32_e32 v19, v19, v17
	v_lshlrev_b32_e32 v17, 28, v18
	v_cmp_gt_i64_e32 vcc, 0, v[16:17]
	v_not_b32_e32 v17, v17
	v_ashrrev_i32_e32 v17, 31, v17
	v_and_b32_e32 v21, v21, v22
	;; [unrolled: 8-line block ×5, first 2 shown]
	v_xor_b32_e32 v22, vcc_hi, v17
	v_xor_b32_e32 v17, vcc_lo, v17
	v_and_b32_e32 v21, v21, v22
	v_and_b32_e32 v22, v19, v17
	v_lshlrev_b32_e32 v17, 24, v18
	v_cmp_gt_i64_e32 vcc, 0, v[16:17]
	v_not_b32_e32 v17, v17
	v_ashrrev_i32_e32 v17, 31, v17
	v_xor_b32_e32 v18, vcc_hi, v17
	v_xor_b32_e32 v17, vcc_lo, v17
	; wave barrier
	ds_read_b32 v75, v76 offset:16
	v_and_b32_e32 v19, v21, v18
	v_and_b32_e32 v18, v22, v17
	v_mbcnt_lo_u32_b32 v17, v18, 0
	v_mbcnt_hi_u32_b32 v77, v19, v17
	v_cmp_eq_u32_e32 vcc, 0, v77
	v_cmp_ne_u64_e64 s[4:5], 0, v[18:19]
	s_and_b64 s[18:19], s[4:5], vcc
	; wave barrier
	s_and_saveexec_b64 s[4:5], s[18:19]
	s_cbranch_execz .LBB256_111
; %bb.110:
	v_bcnt_u32_b32 v17, v18, 0
	v_bcnt_u32_b32 v17, v19, v17
	s_waitcnt lgkmcnt(0)
	v_add_u32_e32 v17, v75, v17
	ds_write_b32 v76, v17 offset:16
.LBB256_111:
	s_or_b64 exec, exec, s[4:5]
	v_cmp_ne_u16_e32 vcc, s17, v25
	v_cndmask_b32_e32 v17, v20, v25, vcc
	v_and_b32_sdwa v18, s16, v17 dst_sel:DWORD dst_unused:UNUSED_PAD src0_sel:DWORD src1_sel:WORD_0
	v_lshlrev_b32_e32 v17, 2, v18
	v_add_lshl_u32 v79, v24, v17, 2
	v_and_b32_e32 v17, 1, v18
	v_add_co_u32_e32 v19, vcc, -1, v17
	v_addc_co_u32_e64 v20, s[4:5], 0, -1, vcc
	v_cmp_ne_u32_e32 vcc, 0, v17
	v_xor_b32_e32 v17, vcc_hi, v20
	v_and_b32_e32 v20, exec_hi, v17
	v_lshlrev_b32_e32 v17, 30, v18
	v_xor_b32_e32 v19, vcc_lo, v19
	v_cmp_gt_i64_e32 vcc, 0, v[16:17]
	v_not_b32_e32 v17, v17
	v_ashrrev_i32_e32 v17, 31, v17
	v_and_b32_e32 v19, exec_lo, v19
	v_xor_b32_e32 v21, vcc_hi, v17
	v_xor_b32_e32 v17, vcc_lo, v17
	v_and_b32_e32 v19, v19, v17
	v_lshlrev_b32_e32 v17, 29, v18
	v_cmp_gt_i64_e32 vcc, 0, v[16:17]
	v_not_b32_e32 v17, v17
	v_ashrrev_i32_e32 v17, 31, v17
	v_and_b32_e32 v20, v20, v21
	v_xor_b32_e32 v21, vcc_hi, v17
	v_xor_b32_e32 v17, vcc_lo, v17
	v_and_b32_e32 v19, v19, v17
	v_lshlrev_b32_e32 v17, 28, v18
	v_cmp_gt_i64_e32 vcc, 0, v[16:17]
	v_not_b32_e32 v17, v17
	v_ashrrev_i32_e32 v17, 31, v17
	v_and_b32_e32 v20, v20, v21
	;; [unrolled: 8-line block ×5, first 2 shown]
	v_xor_b32_e32 v21, vcc_hi, v17
	v_xor_b32_e32 v17, vcc_lo, v17
	v_and_b32_e32 v19, v19, v17
	v_lshlrev_b32_e32 v17, 24, v18
	v_cmp_gt_i64_e32 vcc, 0, v[16:17]
	v_not_b32_e32 v16, v17
	v_ashrrev_i32_e32 v16, 31, v16
	v_xor_b32_e32 v17, vcc_hi, v16
	v_xor_b32_e32 v16, vcc_lo, v16
	; wave barrier
	ds_read_b32 v78, v79 offset:16
	v_and_b32_e32 v20, v20, v21
	v_and_b32_e32 v16, v19, v16
	;; [unrolled: 1-line block ×3, first 2 shown]
	v_mbcnt_lo_u32_b32 v18, v16, 0
	v_mbcnt_hi_u32_b32 v80, v17, v18
	v_cmp_eq_u32_e32 vcc, 0, v80
	v_cmp_ne_u64_e64 s[4:5], 0, v[16:17]
	v_add_u32_e32 v22, 16, v62
	v_lshrrev_b32_e32 v23, 6, v42
	v_min_u32_e32 v34, 0xc0, v34
	s_and_b64 s[16:17], s[4:5], vcc
	; wave barrier
	s_and_saveexec_b64 s[4:5], s[16:17]
	s_cbranch_execz .LBB256_113
; %bb.112:
	v_bcnt_u32_b32 v16, v16, 0
	v_bcnt_u32_b32 v16, v17, v16
	s_waitcnt lgkmcnt(0)
	v_add_u32_e32 v16, v78, v16
	ds_write_b32 v79, v16 offset:16
.LBB256_113:
	s_or_b64 exec, exec, s[4:5]
	; wave barrier
	s_waitcnt lgkmcnt(0)
	s_barrier
	ds_read2_b32 v[18:19], v62 offset0:4 offset1:5
	ds_read2_b32 v[20:21], v22 offset0:2 offset1:3
	v_and_b32_e32 v17, 16, v26
	v_cmp_eq_u32_e32 vcc, 0, v17
	v_or_b32_e32 v17, 63, v34
	v_cmp_eq_u32_e64 s[16:17], v17, v42
	s_waitcnt lgkmcnt(1)
	v_add_u32_e32 v17, v19, v18
	v_and_b32_e32 v16, 15, v26
	s_waitcnt lgkmcnt(0)
	v_add3_u32 v17, v17, v20, v21
	v_cmp_eq_u32_e64 s[22:23], 0, v16
	v_cmp_lt_u32_e64 s[24:25], 1, v16
	v_mov_b32_dpp v21, v17 row_shr:1 row_mask:0xf bank_mask:0xf
	v_cndmask_b32_e64 v21, v21, 0, s[22:23]
	v_add_u32_e32 v17, v21, v17
	v_cmp_lt_u32_e64 s[28:29], 3, v16
	v_cmp_lt_u32_e64 s[30:31], 7, v16
	v_mov_b32_dpp v21, v17 row_shr:2 row_mask:0xf bank_mask:0xf
	v_cndmask_b32_e64 v21, 0, v21, s[24:25]
	v_add_u32_e32 v17, v17, v21
	v_bfe_i32 v35, v26, 4, 1
	v_cmp_lt_u32_e64 s[34:35], 31, v26
	v_mov_b32_dpp v21, v17 row_shr:4 row_mask:0xf bank_mask:0xf
	v_cndmask_b32_e64 v21, 0, v21, s[28:29]
	v_add_u32_e32 v17, v17, v21
	v_lshlrev_b32_e32 v23, 2, v23
	s_nop 0
	v_mov_b32_dpp v21, v17 row_shr:8 row_mask:0xf bank_mask:0xf
	v_cndmask_b32_e64 v16, 0, v21, s[30:31]
	v_add_u32_e32 v16, v17, v16
	s_nop 1
	v_mov_b32_dpp v17, v16 row_bcast:15 row_mask:0xf bank_mask:0xf
	v_and_b32_e32 v17, v35, v17
	v_add_u32_e32 v16, v16, v17
	s_nop 1
	v_mov_b32_dpp v17, v16 row_bcast:31 row_mask:0xf bank_mask:0xf
	v_cndmask_b32_e64 v17, 0, v17, s[34:35]
	v_add_u32_e32 v17, v16, v17
	s_and_saveexec_b64 s[4:5], s[16:17]
	s_cbranch_execz .LBB256_115
; %bb.114:
	ds_write_b32 v23, v17
.LBB256_115:
	s_or_b64 exec, exec, s[4:5]
	v_and_b32_e32 v16, 3, v26
	v_cmp_gt_u32_e64 s[26:27], 4, v42
	v_lshlrev_b32_e32 v21, 2, v42
	v_cmp_eq_u32_e64 s[20:21], 0, v16
	v_cmp_lt_u32_e64 s[18:19], 1, v16
	s_waitcnt lgkmcnt(0)
	s_barrier
	s_and_saveexec_b64 s[4:5], s[26:27]
	s_cbranch_execz .LBB256_117
; %bb.116:
	ds_read_b32 v16, v21
	s_waitcnt lgkmcnt(0)
	s_nop 0
	v_mov_b32_dpp v34, v16 row_shr:1 row_mask:0xf bank_mask:0xf
	v_cndmask_b32_e64 v34, v34, 0, s[20:21]
	v_add_u32_e32 v16, v34, v16
	s_nop 1
	v_mov_b32_dpp v34, v16 row_shr:2 row_mask:0xf bank_mask:0xf
	v_cndmask_b32_e64 v34, 0, v34, s[18:19]
	v_add_u32_e32 v16, v16, v34
	ds_write_b32 v21, v16
.LBB256_117:
	s_or_b64 exec, exec, s[4:5]
	v_cmp_lt_u32_e64 s[36:37], 63, v42
	v_add_u32_e32 v34, -4, v23
	v_mov_b32_e32 v16, 0
	v_mov_b32_e32 v81, 0
	s_waitcnt lgkmcnt(0)
	s_barrier
	s_and_saveexec_b64 s[4:5], s[36:37]
	s_cbranch_execz .LBB256_119
; %bb.118:
	ds_read_b32 v81, v34
.LBB256_119:
	s_or_b64 exec, exec, s[4:5]
	v_add_u32_e32 v35, -1, v26
	v_and_b32_e32 v82, 64, v26
	v_cmp_lt_i32_e64 s[4:5], v35, v82
	v_cndmask_b32_e64 v35, v35, v26, s[4:5]
	v_lshlrev_b32_e32 v35, 2, v35
	s_waitcnt lgkmcnt(0)
	v_add_u32_e32 v17, v81, v17
	ds_bpermute_b32 v17, v35, v17
	v_cmp_eq_u32_e64 s[38:39], 0, v26
	v_cmp_eq_u32_e64 s[40:41], 0, v42
	v_and_or_b32 v36, v26, 63, v36
	v_lshlrev_b32_e32 v82, 1, v36
	s_waitcnt lgkmcnt(0)
	v_cndmask_b32_e64 v17, v17, v81, s[38:39]
	v_cndmask_b32_e64 v17, v17, 0, s[40:41]
	v_add_u32_e32 v18, v17, v18
	v_add_u32_e32 v19, v18, v19
	;; [unrolled: 1-line block ×3, first 2 shown]
	ds_write2_b32 v62, v17, v18 offset0:4 offset1:5
	ds_write2_b32 v22, v19, v20 offset0:2 offset1:3
	s_waitcnt lgkmcnt(0)
	s_barrier
	ds_read_b32 v17, v37 offset:16
	ds_read_b32 v18, v40 offset:16
	;; [unrolled: 1-line block ×8, first 2 shown]
	s_waitcnt lgkmcnt(7)
	v_add_u32_e32 v17, v17, v38
	s_waitcnt lgkmcnt(6)
	v_add3_u32 v18, v41, v39, v18
	s_waitcnt lgkmcnt(4)
	v_add3_u32 v38, v68, v66, v20
	v_lshlrev_b32_e32 v20, 1, v17
	v_add3_u32 v19, v65, v63, v19
	s_waitcnt lgkmcnt(0)
	s_barrier
	ds_write_b16 v20, v33
	v_lshlrev_b32_e32 v20, 1, v18
	ds_write_b16 v20, v32
	v_lshlrev_b32_e32 v20, 1, v19
	v_add3_u32 v39, v71, v69, v26
	ds_write_b16 v20, v31
	v_lshlrev_b32_e32 v20, 1, v38
	v_add3_u32 v37, v74, v72, v37
	ds_write_b16 v20, v30
	v_lshlrev_b32_e32 v20, 1, v39
	v_add3_u32 v40, v77, v75, v40
	ds_write_b16 v20, v29
	v_lshlrev_b32_e32 v20, 1, v37
	v_add3_u32 v41, v80, v78, v64
	ds_write_b16 v20, v28
	v_lshlrev_b32_e32 v20, 1, v40
	ds_write_b16 v20, v27
	v_lshlrev_b32_e32 v20, 1, v41
	v_lshlrev_b32_e32 v17, 3, v17
	s_min_u32 s4, s44, 8
	ds_write_b16 v20, v25
	s_waitcnt lgkmcnt(0)
	s_barrier
	ds_read_u16 v31, v82
	ds_read_u16 v30, v82 offset:128
	ds_read_u16 v29, v82 offset:256
	;; [unrolled: 1-line block ×7, first 2 shown]
	s_waitcnt lgkmcnt(0)
	s_barrier
	ds_write_b64 v17, v[12:13]
	v_lshlrev_b32_e32 v12, 3, v18
	s_lshl_b32 s4, -1, s4
	s_movk_i32 s51, 0x8000
	ds_write_b64 v12, v[14:15]
	v_lshlrev_b32_e32 v12, 3, v19
	s_not_b32 s50, s4
	v_lshrrev_b16_e32 v17, 8, v31
	v_mov_b32_e32 v18, 0x7f
	v_cmp_ne_u16_e64 s[4:5], s51, v31
	ds_write_b64 v12, v[8:9]
	v_lshlrev_b32_e32 v8, 3, v38
	v_cndmask_b32_e64 v17, v18, v17, s[4:5]
	ds_write_b64 v8, v[10:11]
	v_lshlrev_b32_e32 v8, 3, v39
	v_and_b32_sdwa v19, v17, s50 dst_sel:DWORD dst_unused:UNUSED_PAD src0_sel:WORD_0 src1_sel:DWORD
	ds_write_b64 v8, v[4:5]
	v_lshlrev_b32_e32 v4, 3, v37
	v_lshlrev_b32_e32 v17, 2, v19
	ds_write_b64 v4, v[6:7]
	v_lshlrev_b32_e32 v4, 3, v40
	v_add_lshl_u32 v32, v17, v24, 2
	v_and_b32_e32 v17, 1, v19
	v_lshlrev_b32_e32 v36, 3, v36
	ds_write_b64 v4, v[0:1]
	v_lshlrev_b32_e32 v0, 3, v41
	v_add_co_u32_e64 v33, s[4:5], -1, v17
	ds_write_b64 v0, v[2:3]
	s_waitcnt lgkmcnt(0)
	s_barrier
	ds_read2st64_b64 v[12:15], v36 offset1:1
	ds_read2st64_b64 v[8:11], v36 offset0:2 offset1:3
	ds_read2st64_b64 v[4:7], v36 offset0:4 offset1:5
	;; [unrolled: 1-line block ×3, first 2 shown]
	v_addc_co_u32_e64 v36, s[4:5], 0, -1, s[4:5]
	v_cmp_ne_u32_e64 s[4:5], 0, v17
	v_xor_b32_e32 v17, s5, v36
	v_and_b32_e32 v36, exec_hi, v17
	v_lshlrev_b32_e32 v17, 30, v19
	v_xor_b32_e32 v33, s4, v33
	v_cmp_gt_i64_e64 s[4:5], 0, v[16:17]
	v_not_b32_e32 v17, v17
	v_ashrrev_i32_e32 v17, 31, v17
	v_and_b32_e32 v33, exec_lo, v33
	v_xor_b32_e32 v37, s5, v17
	v_xor_b32_e32 v17, s4, v17
	v_and_b32_e32 v33, v33, v17
	v_lshlrev_b32_e32 v17, 29, v19
	v_cmp_gt_i64_e64 s[4:5], 0, v[16:17]
	v_not_b32_e32 v17, v17
	v_ashrrev_i32_e32 v17, 31, v17
	v_and_b32_e32 v36, v36, v37
	v_xor_b32_e32 v37, s5, v17
	v_xor_b32_e32 v17, s4, v17
	v_and_b32_e32 v33, v33, v17
	v_lshlrev_b32_e32 v17, 28, v19
	v_cmp_gt_i64_e64 s[4:5], 0, v[16:17]
	v_not_b32_e32 v17, v17
	v_ashrrev_i32_e32 v17, 31, v17
	v_and_b32_e32 v36, v36, v37
	;; [unrolled: 8-line block ×5, first 2 shown]
	v_xor_b32_e32 v37, s5, v17
	v_xor_b32_e32 v17, s4, v17
	v_and_b32_e32 v33, v33, v17
	v_lshlrev_b32_e32 v17, 24, v19
	s_waitcnt lgkmcnt(0)
	s_barrier
	ds_write2_b32 v62, v16, v16 offset0:4 offset1:5
	ds_write2_b32 v22, v16, v16 offset0:2 offset1:3
	v_cmp_gt_i64_e64 s[4:5], 0, v[16:17]
	v_not_b32_e32 v16, v17
	v_ashrrev_i32_e32 v16, 31, v16
	v_xor_b32_e32 v17, s5, v16
	v_xor_b32_e32 v16, s4, v16
	v_and_b32_e32 v36, v36, v37
	v_and_b32_e32 v16, v33, v16
	;; [unrolled: 1-line block ×3, first 2 shown]
	v_mbcnt_lo_u32_b32 v19, v16, 0
	v_mbcnt_hi_u32_b32 v33, v17, v19
	v_cmp_eq_u32_e64 s[4:5], 0, v33
	v_cmp_ne_u64_e64 s[44:45], 0, v[16:17]
	s_and_b64 s[44:45], s[44:45], s[4:5]
	s_waitcnt lgkmcnt(0)
	s_barrier
	s_waitcnt lgkmcnt(0)
	; wave barrier
	s_and_saveexec_b64 s[4:5], s[44:45]
	s_cbranch_execz .LBB256_121
; %bb.120:
	v_bcnt_u32_b32 v16, v16, 0
	v_bcnt_u32_b32 v16, v17, v16
	ds_write_b32 v32, v16 offset:16
.LBB256_121:
	s_or_b64 exec, exec, s[4:5]
	v_lshrrev_b16_e32 v16, 8, v30
	v_cmp_ne_u16_e64 s[4:5], s51, v30
	v_cndmask_b32_e64 v16, v18, v16, s[4:5]
	v_and_b32_e32 v18, s50, v16
	v_and_b32_e32 v17, 1, v18
	v_add_co_u32_e64 v19, s[4:5], -1, v17
	v_addc_co_u32_e64 v38, s[4:5], 0, -1, s[4:5]
	v_cmp_ne_u32_e64 s[4:5], 0, v17
	v_lshlrev_b32_e32 v16, 2, v18
	v_xor_b32_e32 v17, s5, v38
	v_add_lshl_u32 v37, v16, v24, 2
	v_mov_b32_e32 v16, 0
	v_and_b32_e32 v38, exec_hi, v17
	v_lshlrev_b32_e32 v17, 30, v18
	v_xor_b32_e32 v19, s4, v19
	v_cmp_gt_i64_e64 s[4:5], 0, v[16:17]
	v_not_b32_e32 v17, v17
	v_ashrrev_i32_e32 v17, 31, v17
	v_and_b32_e32 v19, exec_lo, v19
	v_xor_b32_e32 v39, s5, v17
	v_xor_b32_e32 v17, s4, v17
	v_and_b32_e32 v19, v19, v17
	v_lshlrev_b32_e32 v17, 29, v18
	v_cmp_gt_i64_e64 s[4:5], 0, v[16:17]
	v_not_b32_e32 v17, v17
	v_ashrrev_i32_e32 v17, 31, v17
	v_and_b32_e32 v38, v38, v39
	v_xor_b32_e32 v39, s5, v17
	v_xor_b32_e32 v17, s4, v17
	v_and_b32_e32 v19, v19, v17
	v_lshlrev_b32_e32 v17, 28, v18
	v_cmp_gt_i64_e64 s[4:5], 0, v[16:17]
	v_not_b32_e32 v17, v17
	v_ashrrev_i32_e32 v17, 31, v17
	v_and_b32_e32 v38, v38, v39
	;; [unrolled: 8-line block ×5, first 2 shown]
	v_xor_b32_e32 v39, s5, v17
	v_xor_b32_e32 v17, s4, v17
	v_and_b32_e32 v38, v38, v39
	v_and_b32_e32 v39, v19, v17
	v_lshlrev_b32_e32 v17, 24, v18
	v_cmp_gt_i64_e64 s[4:5], 0, v[16:17]
	v_not_b32_e32 v17, v17
	v_ashrrev_i32_e32 v17, 31, v17
	v_xor_b32_e32 v18, s5, v17
	v_xor_b32_e32 v17, s4, v17
	; wave barrier
	ds_read_b32 v36, v37 offset:16
	v_and_b32_e32 v19, v38, v18
	v_and_b32_e32 v18, v39, v17
	v_mbcnt_lo_u32_b32 v17, v18, 0
	v_mbcnt_hi_u32_b32 v38, v19, v17
	v_cmp_eq_u32_e64 s[4:5], 0, v38
	v_cmp_ne_u64_e64 s[44:45], 0, v[18:19]
	s_and_b64 s[44:45], s[44:45], s[4:5]
	; wave barrier
	s_and_saveexec_b64 s[4:5], s[44:45]
	s_cbranch_execz .LBB256_123
; %bb.122:
	v_bcnt_u32_b32 v17, v18, 0
	v_bcnt_u32_b32 v17, v19, v17
	s_waitcnt lgkmcnt(0)
	v_add_u32_e32 v17, v36, v17
	ds_write_b32 v37, v17 offset:16
.LBB256_123:
	s_or_b64 exec, exec, s[4:5]
	v_lshrrev_b16_e32 v17, 8, v29
	v_mov_b32_e32 v18, 0x7f
	v_cmp_ne_u16_e64 s[4:5], s51, v29
	v_cndmask_b32_e64 v17, v18, v17, s[4:5]
	v_and_b32_e32 v19, s50, v17
	v_lshlrev_b32_e32 v17, 2, v19
	v_add_lshl_u32 v40, v17, v24, 2
	v_and_b32_e32 v17, 1, v19
	v_add_co_u32_e64 v41, s[4:5], -1, v17
	v_addc_co_u32_e64 v63, s[4:5], 0, -1, s[4:5]
	v_cmp_ne_u32_e64 s[4:5], 0, v17
	v_xor_b32_e32 v17, s5, v63
	v_and_b32_e32 v63, exec_hi, v17
	v_lshlrev_b32_e32 v17, 30, v19
	v_xor_b32_e32 v41, s4, v41
	v_cmp_gt_i64_e64 s[4:5], 0, v[16:17]
	v_not_b32_e32 v17, v17
	v_ashrrev_i32_e32 v17, 31, v17
	v_and_b32_e32 v41, exec_lo, v41
	v_xor_b32_e32 v64, s5, v17
	v_xor_b32_e32 v17, s4, v17
	v_and_b32_e32 v41, v41, v17
	v_lshlrev_b32_e32 v17, 29, v19
	v_cmp_gt_i64_e64 s[4:5], 0, v[16:17]
	v_not_b32_e32 v17, v17
	v_ashrrev_i32_e32 v17, 31, v17
	v_and_b32_e32 v63, v63, v64
	v_xor_b32_e32 v64, s5, v17
	v_xor_b32_e32 v17, s4, v17
	v_and_b32_e32 v41, v41, v17
	v_lshlrev_b32_e32 v17, 28, v19
	v_cmp_gt_i64_e64 s[4:5], 0, v[16:17]
	v_not_b32_e32 v17, v17
	v_ashrrev_i32_e32 v17, 31, v17
	v_and_b32_e32 v63, v63, v64
	;; [unrolled: 8-line block ×5, first 2 shown]
	v_xor_b32_e32 v64, s5, v17
	v_xor_b32_e32 v17, s4, v17
	v_and_b32_e32 v41, v41, v17
	v_lshlrev_b32_e32 v17, 24, v19
	v_cmp_gt_i64_e64 s[4:5], 0, v[16:17]
	v_not_b32_e32 v16, v17
	v_ashrrev_i32_e32 v16, 31, v16
	v_xor_b32_e32 v17, s5, v16
	v_xor_b32_e32 v16, s4, v16
	; wave barrier
	ds_read_b32 v39, v40 offset:16
	v_and_b32_e32 v63, v63, v64
	v_and_b32_e32 v16, v41, v16
	;; [unrolled: 1-line block ×3, first 2 shown]
	v_mbcnt_lo_u32_b32 v19, v16, 0
	v_mbcnt_hi_u32_b32 v41, v17, v19
	v_cmp_eq_u32_e64 s[4:5], 0, v41
	v_cmp_ne_u64_e64 s[44:45], 0, v[16:17]
	s_and_b64 s[44:45], s[44:45], s[4:5]
	; wave barrier
	s_and_saveexec_b64 s[4:5], s[44:45]
	s_cbranch_execz .LBB256_125
; %bb.124:
	v_bcnt_u32_b32 v16, v16, 0
	v_bcnt_u32_b32 v16, v17, v16
	s_waitcnt lgkmcnt(0)
	v_add_u32_e32 v16, v39, v16
	ds_write_b32 v40, v16 offset:16
.LBB256_125:
	s_or_b64 exec, exec, s[4:5]
	v_lshrrev_b16_e32 v16, 8, v28
	v_cmp_ne_u16_e64 s[4:5], s51, v28
	v_cndmask_b32_e64 v16, v18, v16, s[4:5]
	v_and_b32_e32 v18, s50, v16
	v_and_b32_e32 v17, 1, v18
	v_add_co_u32_e64 v19, s[4:5], -1, v17
	v_addc_co_u32_e64 v65, s[4:5], 0, -1, s[4:5]
	v_cmp_ne_u32_e64 s[4:5], 0, v17
	v_lshlrev_b32_e32 v16, 2, v18
	v_xor_b32_e32 v17, s5, v65
	v_add_lshl_u32 v64, v16, v24, 2
	v_mov_b32_e32 v16, 0
	v_and_b32_e32 v65, exec_hi, v17
	v_lshlrev_b32_e32 v17, 30, v18
	v_xor_b32_e32 v19, s4, v19
	v_cmp_gt_i64_e64 s[4:5], 0, v[16:17]
	v_not_b32_e32 v17, v17
	v_ashrrev_i32_e32 v17, 31, v17
	v_and_b32_e32 v19, exec_lo, v19
	v_xor_b32_e32 v66, s5, v17
	v_xor_b32_e32 v17, s4, v17
	v_and_b32_e32 v19, v19, v17
	v_lshlrev_b32_e32 v17, 29, v18
	v_cmp_gt_i64_e64 s[4:5], 0, v[16:17]
	v_not_b32_e32 v17, v17
	v_ashrrev_i32_e32 v17, 31, v17
	v_and_b32_e32 v65, v65, v66
	v_xor_b32_e32 v66, s5, v17
	v_xor_b32_e32 v17, s4, v17
	v_and_b32_e32 v19, v19, v17
	v_lshlrev_b32_e32 v17, 28, v18
	v_cmp_gt_i64_e64 s[4:5], 0, v[16:17]
	v_not_b32_e32 v17, v17
	v_ashrrev_i32_e32 v17, 31, v17
	v_and_b32_e32 v65, v65, v66
	;; [unrolled: 8-line block ×5, first 2 shown]
	v_xor_b32_e32 v66, s5, v17
	v_xor_b32_e32 v17, s4, v17
	v_and_b32_e32 v65, v65, v66
	v_and_b32_e32 v66, v19, v17
	v_lshlrev_b32_e32 v17, 24, v18
	v_cmp_gt_i64_e64 s[4:5], 0, v[16:17]
	v_not_b32_e32 v17, v17
	v_ashrrev_i32_e32 v17, 31, v17
	v_xor_b32_e32 v18, s5, v17
	v_xor_b32_e32 v17, s4, v17
	; wave barrier
	ds_read_b32 v63, v64 offset:16
	v_and_b32_e32 v19, v65, v18
	v_and_b32_e32 v18, v66, v17
	v_mbcnt_lo_u32_b32 v17, v18, 0
	v_mbcnt_hi_u32_b32 v65, v19, v17
	v_cmp_eq_u32_e64 s[4:5], 0, v65
	v_cmp_ne_u64_e64 s[44:45], 0, v[18:19]
	s_and_b64 s[44:45], s[44:45], s[4:5]
	; wave barrier
	s_and_saveexec_b64 s[4:5], s[44:45]
	s_cbranch_execz .LBB256_127
; %bb.126:
	v_bcnt_u32_b32 v17, v18, 0
	v_bcnt_u32_b32 v17, v19, v17
	s_waitcnt lgkmcnt(0)
	v_add_u32_e32 v17, v63, v17
	ds_write_b32 v64, v17 offset:16
.LBB256_127:
	s_or_b64 exec, exec, s[4:5]
	v_lshrrev_b16_e32 v17, 8, v27
	v_mov_b32_e32 v18, 0x7f
	v_cmp_ne_u16_e64 s[4:5], s51, v27
	v_cndmask_b32_e64 v17, v18, v17, s[4:5]
	v_and_b32_e32 v19, s50, v17
	v_lshlrev_b32_e32 v17, 2, v19
	v_add_lshl_u32 v67, v17, v24, 2
	v_and_b32_e32 v17, 1, v19
	v_add_co_u32_e64 v68, s[4:5], -1, v17
	v_addc_co_u32_e64 v69, s[4:5], 0, -1, s[4:5]
	v_cmp_ne_u32_e64 s[4:5], 0, v17
	v_xor_b32_e32 v17, s5, v69
	v_and_b32_e32 v69, exec_hi, v17
	v_lshlrev_b32_e32 v17, 30, v19
	v_xor_b32_e32 v68, s4, v68
	v_cmp_gt_i64_e64 s[4:5], 0, v[16:17]
	v_not_b32_e32 v17, v17
	v_ashrrev_i32_e32 v17, 31, v17
	v_and_b32_e32 v68, exec_lo, v68
	v_xor_b32_e32 v70, s5, v17
	v_xor_b32_e32 v17, s4, v17
	v_and_b32_e32 v68, v68, v17
	v_lshlrev_b32_e32 v17, 29, v19
	v_cmp_gt_i64_e64 s[4:5], 0, v[16:17]
	v_not_b32_e32 v17, v17
	v_ashrrev_i32_e32 v17, 31, v17
	v_and_b32_e32 v69, v69, v70
	v_xor_b32_e32 v70, s5, v17
	v_xor_b32_e32 v17, s4, v17
	v_and_b32_e32 v68, v68, v17
	v_lshlrev_b32_e32 v17, 28, v19
	v_cmp_gt_i64_e64 s[4:5], 0, v[16:17]
	v_not_b32_e32 v17, v17
	v_ashrrev_i32_e32 v17, 31, v17
	v_and_b32_e32 v69, v69, v70
	;; [unrolled: 8-line block ×5, first 2 shown]
	v_xor_b32_e32 v70, s5, v17
	v_xor_b32_e32 v17, s4, v17
	v_and_b32_e32 v68, v68, v17
	v_lshlrev_b32_e32 v17, 24, v19
	v_cmp_gt_i64_e64 s[4:5], 0, v[16:17]
	v_not_b32_e32 v16, v17
	v_ashrrev_i32_e32 v16, 31, v16
	v_xor_b32_e32 v17, s5, v16
	v_xor_b32_e32 v16, s4, v16
	; wave barrier
	ds_read_b32 v66, v67 offset:16
	v_and_b32_e32 v69, v69, v70
	v_and_b32_e32 v16, v68, v16
	;; [unrolled: 1-line block ×3, first 2 shown]
	v_mbcnt_lo_u32_b32 v19, v16, 0
	v_mbcnt_hi_u32_b32 v68, v17, v19
	v_cmp_eq_u32_e64 s[4:5], 0, v68
	v_cmp_ne_u64_e64 s[44:45], 0, v[16:17]
	s_and_b64 s[44:45], s[44:45], s[4:5]
	; wave barrier
	s_and_saveexec_b64 s[4:5], s[44:45]
	s_cbranch_execz .LBB256_129
; %bb.128:
	v_bcnt_u32_b32 v16, v16, 0
	v_bcnt_u32_b32 v16, v17, v16
	s_waitcnt lgkmcnt(0)
	v_add_u32_e32 v16, v66, v16
	ds_write_b32 v67, v16 offset:16
.LBB256_129:
	s_or_b64 exec, exec, s[4:5]
	v_lshrrev_b16_e32 v16, 8, v26
	v_cmp_ne_u16_e64 s[4:5], s51, v26
	v_cndmask_b32_e64 v16, v18, v16, s[4:5]
	v_and_b32_e32 v18, s50, v16
	v_and_b32_e32 v17, 1, v18
	v_add_co_u32_e64 v19, s[4:5], -1, v17
	v_addc_co_u32_e64 v71, s[4:5], 0, -1, s[4:5]
	v_cmp_ne_u32_e64 s[4:5], 0, v17
	v_lshlrev_b32_e32 v16, 2, v18
	v_xor_b32_e32 v17, s5, v71
	v_add_lshl_u32 v70, v16, v24, 2
	v_mov_b32_e32 v16, 0
	v_and_b32_e32 v71, exec_hi, v17
	v_lshlrev_b32_e32 v17, 30, v18
	v_xor_b32_e32 v19, s4, v19
	v_cmp_gt_i64_e64 s[4:5], 0, v[16:17]
	v_not_b32_e32 v17, v17
	v_ashrrev_i32_e32 v17, 31, v17
	v_and_b32_e32 v19, exec_lo, v19
	v_xor_b32_e32 v72, s5, v17
	v_xor_b32_e32 v17, s4, v17
	v_and_b32_e32 v19, v19, v17
	v_lshlrev_b32_e32 v17, 29, v18
	v_cmp_gt_i64_e64 s[4:5], 0, v[16:17]
	v_not_b32_e32 v17, v17
	v_ashrrev_i32_e32 v17, 31, v17
	v_and_b32_e32 v71, v71, v72
	v_xor_b32_e32 v72, s5, v17
	v_xor_b32_e32 v17, s4, v17
	v_and_b32_e32 v19, v19, v17
	v_lshlrev_b32_e32 v17, 28, v18
	v_cmp_gt_i64_e64 s[4:5], 0, v[16:17]
	v_not_b32_e32 v17, v17
	v_ashrrev_i32_e32 v17, 31, v17
	v_and_b32_e32 v71, v71, v72
	;; [unrolled: 8-line block ×5, first 2 shown]
	v_xor_b32_e32 v72, s5, v17
	v_xor_b32_e32 v17, s4, v17
	v_and_b32_e32 v71, v71, v72
	v_and_b32_e32 v72, v19, v17
	v_lshlrev_b32_e32 v17, 24, v18
	v_cmp_gt_i64_e64 s[4:5], 0, v[16:17]
	v_not_b32_e32 v17, v17
	v_ashrrev_i32_e32 v17, 31, v17
	v_xor_b32_e32 v18, s5, v17
	v_xor_b32_e32 v17, s4, v17
	; wave barrier
	ds_read_b32 v69, v70 offset:16
	v_and_b32_e32 v19, v71, v18
	v_and_b32_e32 v18, v72, v17
	v_mbcnt_lo_u32_b32 v17, v18, 0
	v_mbcnt_hi_u32_b32 v71, v19, v17
	v_cmp_eq_u32_e64 s[4:5], 0, v71
	v_cmp_ne_u64_e64 s[44:45], 0, v[18:19]
	s_and_b64 s[44:45], s[44:45], s[4:5]
	; wave barrier
	s_and_saveexec_b64 s[4:5], s[44:45]
	s_cbranch_execz .LBB256_131
; %bb.130:
	v_bcnt_u32_b32 v17, v18, 0
	v_bcnt_u32_b32 v17, v19, v17
	s_waitcnt lgkmcnt(0)
	v_add_u32_e32 v17, v69, v17
	ds_write_b32 v70, v17 offset:16
.LBB256_131:
	s_or_b64 exec, exec, s[4:5]
	v_lshrrev_b16_e32 v17, 8, v25
	v_mov_b32_e32 v18, 0x7f
	v_cmp_ne_u16_e64 s[4:5], s51, v25
	v_cndmask_b32_e64 v17, v18, v17, s[4:5]
	v_and_b32_e32 v19, s50, v17
	v_lshlrev_b32_e32 v17, 2, v19
	v_add_lshl_u32 v73, v17, v24, 2
	v_and_b32_e32 v17, 1, v19
	v_add_co_u32_e64 v74, s[4:5], -1, v17
	v_addc_co_u32_e64 v75, s[4:5], 0, -1, s[4:5]
	v_cmp_ne_u32_e64 s[4:5], 0, v17
	v_xor_b32_e32 v17, s5, v75
	v_and_b32_e32 v75, exec_hi, v17
	v_lshlrev_b32_e32 v17, 30, v19
	v_xor_b32_e32 v74, s4, v74
	v_cmp_gt_i64_e64 s[4:5], 0, v[16:17]
	v_not_b32_e32 v17, v17
	v_ashrrev_i32_e32 v17, 31, v17
	v_and_b32_e32 v74, exec_lo, v74
	v_xor_b32_e32 v76, s5, v17
	v_xor_b32_e32 v17, s4, v17
	v_and_b32_e32 v74, v74, v17
	v_lshlrev_b32_e32 v17, 29, v19
	v_cmp_gt_i64_e64 s[4:5], 0, v[16:17]
	v_not_b32_e32 v17, v17
	v_ashrrev_i32_e32 v17, 31, v17
	v_and_b32_e32 v75, v75, v76
	v_xor_b32_e32 v76, s5, v17
	v_xor_b32_e32 v17, s4, v17
	v_and_b32_e32 v74, v74, v17
	v_lshlrev_b32_e32 v17, 28, v19
	v_cmp_gt_i64_e64 s[4:5], 0, v[16:17]
	v_not_b32_e32 v17, v17
	v_ashrrev_i32_e32 v17, 31, v17
	v_and_b32_e32 v75, v75, v76
	;; [unrolled: 8-line block ×5, first 2 shown]
	v_xor_b32_e32 v76, s5, v17
	v_xor_b32_e32 v17, s4, v17
	v_and_b32_e32 v74, v74, v17
	v_lshlrev_b32_e32 v17, 24, v19
	v_cmp_gt_i64_e64 s[4:5], 0, v[16:17]
	v_not_b32_e32 v16, v17
	v_ashrrev_i32_e32 v16, 31, v16
	v_xor_b32_e32 v17, s5, v16
	v_xor_b32_e32 v16, s4, v16
	; wave barrier
	ds_read_b32 v72, v73 offset:16
	v_and_b32_e32 v75, v75, v76
	v_and_b32_e32 v16, v74, v16
	;; [unrolled: 1-line block ×3, first 2 shown]
	v_mbcnt_lo_u32_b32 v19, v16, 0
	v_mbcnt_hi_u32_b32 v74, v17, v19
	v_cmp_eq_u32_e64 s[4:5], 0, v74
	v_cmp_ne_u64_e64 s[44:45], 0, v[16:17]
	s_and_b64 s[44:45], s[44:45], s[4:5]
	; wave barrier
	s_and_saveexec_b64 s[4:5], s[44:45]
	s_cbranch_execz .LBB256_133
; %bb.132:
	v_bcnt_u32_b32 v16, v16, 0
	v_bcnt_u32_b32 v16, v17, v16
	s_waitcnt lgkmcnt(0)
	v_add_u32_e32 v16, v72, v16
	ds_write_b32 v73, v16 offset:16
.LBB256_133:
	s_or_b64 exec, exec, s[4:5]
	v_lshrrev_b16_e32 v16, 8, v20
	v_cmp_ne_u16_e64 s[4:5], s51, v20
	v_cndmask_b32_e64 v16, v18, v16, s[4:5]
	v_and_b32_e32 v18, s50, v16
	v_and_b32_e32 v17, 1, v18
	v_add_co_u32_e64 v19, s[4:5], -1, v17
	v_addc_co_u32_e64 v76, s[4:5], 0, -1, s[4:5]
	v_cmp_ne_u32_e64 s[4:5], 0, v17
	v_lshlrev_b32_e32 v16, 2, v18
	v_xor_b32_e32 v17, s5, v76
	v_add_lshl_u32 v75, v16, v24, 2
	v_mov_b32_e32 v16, 0
	v_and_b32_e32 v76, exec_hi, v17
	v_lshlrev_b32_e32 v17, 30, v18
	v_xor_b32_e32 v19, s4, v19
	v_cmp_gt_i64_e64 s[4:5], 0, v[16:17]
	v_not_b32_e32 v17, v17
	v_ashrrev_i32_e32 v17, 31, v17
	v_and_b32_e32 v19, exec_lo, v19
	v_xor_b32_e32 v77, s5, v17
	v_xor_b32_e32 v17, s4, v17
	v_and_b32_e32 v19, v19, v17
	v_lshlrev_b32_e32 v17, 29, v18
	v_cmp_gt_i64_e64 s[4:5], 0, v[16:17]
	v_not_b32_e32 v17, v17
	v_ashrrev_i32_e32 v17, 31, v17
	v_and_b32_e32 v76, v76, v77
	v_xor_b32_e32 v77, s5, v17
	v_xor_b32_e32 v17, s4, v17
	v_and_b32_e32 v19, v19, v17
	v_lshlrev_b32_e32 v17, 28, v18
	v_cmp_gt_i64_e64 s[4:5], 0, v[16:17]
	v_not_b32_e32 v17, v17
	v_ashrrev_i32_e32 v17, 31, v17
	v_and_b32_e32 v76, v76, v77
	;; [unrolled: 8-line block ×5, first 2 shown]
	v_xor_b32_e32 v77, s5, v17
	v_xor_b32_e32 v17, s4, v17
	v_and_b32_e32 v19, v19, v17
	v_lshlrev_b32_e32 v17, 24, v18
	v_cmp_gt_i64_e64 s[4:5], 0, v[16:17]
	v_not_b32_e32 v16, v17
	v_ashrrev_i32_e32 v16, 31, v16
	v_xor_b32_e32 v17, s5, v16
	v_xor_b32_e32 v16, s4, v16
	; wave barrier
	ds_read_b32 v24, v75 offset:16
	v_and_b32_e32 v76, v76, v77
	v_and_b32_e32 v16, v19, v16
	;; [unrolled: 1-line block ×3, first 2 shown]
	v_mbcnt_lo_u32_b32 v18, v16, 0
	v_mbcnt_hi_u32_b32 v76, v17, v18
	v_cmp_eq_u32_e64 s[4:5], 0, v76
	v_cmp_ne_u64_e64 s[44:45], 0, v[16:17]
	s_and_b64 s[44:45], s[44:45], s[4:5]
	; wave barrier
	s_and_saveexec_b64 s[4:5], s[44:45]
	s_cbranch_execz .LBB256_135
; %bb.134:
	v_bcnt_u32_b32 v16, v16, 0
	v_bcnt_u32_b32 v16, v17, v16
	s_waitcnt lgkmcnt(0)
	v_add_u32_e32 v16, v24, v16
	ds_write_b32 v75, v16 offset:16
.LBB256_135:
	s_or_b64 exec, exec, s[4:5]
	; wave barrier
	s_waitcnt lgkmcnt(0)
	s_barrier
	ds_read2_b32 v[18:19], v62 offset0:4 offset1:5
	ds_read2_b32 v[16:17], v22 offset0:2 offset1:3
	s_waitcnt lgkmcnt(1)
	v_add_u32_e32 v77, v19, v18
	s_waitcnt lgkmcnt(0)
	v_add3_u32 v17, v77, v16, v17
	s_nop 1
	v_mov_b32_dpp v77, v17 row_shr:1 row_mask:0xf bank_mask:0xf
	v_cndmask_b32_e64 v77, v77, 0, s[22:23]
	v_add_u32_e32 v17, v77, v17
	s_nop 1
	v_mov_b32_dpp v77, v17 row_shr:2 row_mask:0xf bank_mask:0xf
	v_cndmask_b32_e64 v77, 0, v77, s[24:25]
	v_add_u32_e32 v17, v17, v77
	;; [unrolled: 4-line block ×4, first 2 shown]
	s_nop 1
	v_mov_b32_dpp v77, v17 row_bcast:15 row_mask:0xf bank_mask:0xf
	v_cndmask_b32_e64 v77, v77, 0, vcc
	v_add_u32_e32 v17, v17, v77
	s_nop 1
	v_mov_b32_dpp v77, v17 row_bcast:31 row_mask:0xf bank_mask:0xf
	v_cndmask_b32_e64 v77, 0, v77, s[34:35]
	v_add_u32_e32 v77, v17, v77
	s_and_saveexec_b64 s[4:5], s[16:17]
	s_cbranch_execz .LBB256_137
; %bb.136:
	ds_write_b32 v23, v77
.LBB256_137:
	s_or_b64 exec, exec, s[4:5]
	s_waitcnt lgkmcnt(0)
	s_barrier
	s_and_saveexec_b64 s[4:5], s[26:27]
	s_cbranch_execz .LBB256_139
; %bb.138:
	ds_read_b32 v17, v21
	s_waitcnt lgkmcnt(0)
	s_nop 0
	v_mov_b32_dpp v23, v17 row_shr:1 row_mask:0xf bank_mask:0xf
	v_cndmask_b32_e64 v23, v23, 0, s[20:21]
	v_add_u32_e32 v17, v23, v17
	s_nop 1
	v_mov_b32_dpp v23, v17 row_shr:2 row_mask:0xf bank_mask:0xf
	v_cndmask_b32_e64 v23, 0, v23, s[18:19]
	v_add_u32_e32 v17, v17, v23
	ds_write_b32 v21, v17
.LBB256_139:
	s_or_b64 exec, exec, s[4:5]
	v_mov_b32_e32 v17, 0
	v_mov_b32_e32 v21, 0
	s_waitcnt lgkmcnt(0)
	s_barrier
	s_and_saveexec_b64 s[4:5], s[36:37]
	s_cbranch_execz .LBB256_141
; %bb.140:
	ds_read_b32 v21, v34
.LBB256_141:
	s_or_b64 exec, exec, s[4:5]
	s_waitcnt lgkmcnt(0)
	v_add_u32_e32 v23, v21, v77
	ds_bpermute_b32 v23, v35, v23
	v_lshlrev_b32_e32 v34, 3, v60
	s_mov_b32 s16, 0x5040100
	s_waitcnt lgkmcnt(0)
	v_cndmask_b32_e64 v21, v23, v21, s[38:39]
	v_cndmask_b32_e64 v21, v21, 0, s[40:41]
	v_add_u32_e32 v18, v21, v18
	v_add_u32_e32 v19, v18, v19
	;; [unrolled: 1-line block ×3, first 2 shown]
	ds_write2_b32 v62, v21, v18 offset0:4 offset1:5
	ds_write2_b32 v22, v19, v16 offset0:2 offset1:3
	s_waitcnt lgkmcnt(0)
	s_barrier
	ds_read_b32 v16, v75 offset:16
	ds_read_b32 v18, v73 offset:16
	ds_read_b32 v19, v70 offset:16
	ds_read_b32 v21, v67 offset:16
	s_waitcnt lgkmcnt(3)
	v_add3_u32 v16, v76, v24, v16
	ds_read_b32 v22, v64 offset:16
	ds_read_b32 v23, v40 offset:16
	;; [unrolled: 1-line block ×4, first 2 shown]
	s_waitcnt lgkmcnt(0)
	s_barrier
	v_add3_u32 v23, v41, v39, v23
	v_add3_u32 v24, v38, v36, v24
	v_add_u32_e32 v32, v32, v33
	v_lshlrev_b32_e32 v33, 1, v32
	ds_write_b16 v33, v31
	v_lshlrev_b32_e32 v31, 1, v24
	v_add3_u32 v22, v65, v63, v22
	ds_write_b16 v31, v30
	v_lshlrev_b32_e32 v30, 1, v23
	v_add3_u32 v21, v68, v66, v21
	;; [unrolled: 3-line block ×4, first 2 shown]
	ds_write_b16 v28, v27
	v_lshlrev_b32_e32 v27, 1, v19
	ds_write_b16 v27, v26
	v_lshlrev_b32_e32 v26, 1, v18
	;; [unrolled: 2-line block ×4, first 2 shown]
	s_waitcnt lgkmcnt(0)
	s_barrier
	v_lshlrev_b32_e32 v26, 3, v21
	v_lshlrev_b32_e32 v27, 3, v19
	v_lshlrev_b32_e32 v28, 3, v18
	ds_read_b128 v[18:21], v20
	v_mov_b32_e32 v40, -1
	v_mov_b32_e32 v41, 0x7fff
	v_lshlrev_b32_e32 v25, 3, v32
	v_lshlrev_b32_e32 v24, 3, v24
	s_waitcnt lgkmcnt(0)
	v_cmp_gt_i16_sdwa vcc, v18, v40 src0_sel:WORD_1 src1_sel:DWORD
	v_cndmask_b32_e32 v29, 0, v41, vcc
	v_cmp_lt_i16_e32 vcc, -1, v18
	v_cndmask_b32_e32 v30, 0, v41, vcc
	v_cmp_lt_i16_sdwa s[4:5], v19, v17 src0_sel:WORD_1 src1_sel:DWORD
	v_cmp_gt_i16_e32 vcc, 0, v19
	v_cndmask_b32_e64 v31, v41, 0, s[4:5]
	v_cndmask_b32_e64 v32, v41, 0, vcc
	v_lshlrev_b32_e32 v23, 3, v23
	v_lshlrev_b32_e32 v22, 3, v22
	v_xor_b32_e32 v32, v32, v19
	v_xor_b32_sdwa v19, v31, v19 dst_sel:DWORD dst_unused:UNUSED_PAD src0_sel:DWORD src1_sel:WORD_1
	v_lshlrev_b32_e32 v16, 3, v16
	v_perm_b32 v39, v19, v32, s16
	v_xor_b32_e32 v19, v30, v18
	v_xor_b32_sdwa v18, v29, v18 dst_sel:DWORD dst_unused:UNUSED_PAD src0_sel:DWORD src1_sel:WORD_1
	s_barrier
	ds_write_b64 v25, v[12:13]
	ds_write_b64 v24, v[14:15]
	;; [unrolled: 1-line block ×8, first 2 shown]
	s_waitcnt lgkmcnt(0)
	s_barrier
	ds_read2_b64 v[22:25], v34 offset1:1
	ds_read2_b64 v[26:29], v34 offset0:2 offset1:3
	ds_read2_b64 v[30:33], v34 offset0:4 offset1:5
	;; [unrolled: 1-line block ×3, first 2 shown]
	v_cmp_gt_i16_sdwa vcc, v20, v40 src0_sel:WORD_1 src1_sel:DWORD
	v_cndmask_b32_e32 v0, 0, v41, vcc
	v_cmp_lt_i16_e32 vcc, -1, v20
	v_cndmask_b32_e32 v1, 0, v41, vcc
	v_cmp_lt_i16_sdwa s[4:5], v21, v17 src0_sel:WORD_1 src1_sel:DWORD
	v_cmp_gt_i16_e32 vcc, 0, v21
	v_cndmask_b32_e64 v2, v41, 0, s[4:5]
	v_cndmask_b32_e64 v3, v41, 0, vcc
	v_xor_b32_e32 v3, v3, v21
	v_xor_b32_sdwa v2, v2, v21 dst_sel:DWORD dst_unused:UNUSED_PAD src0_sel:DWORD src1_sel:WORD_1
	v_xor_b32_e32 v1, v1, v20
	v_xor_b32_sdwa v0, v0, v20 dst_sel:DWORD dst_unused:UNUSED_PAD src0_sel:DWORD src1_sel:WORD_1
	v_perm_b32 v38, v18, v19, s16
	v_perm_b32 v41, v2, v3, s16
	;; [unrolled: 1-line block ×3, first 2 shown]
.LBB256_142:
	s_waitcnt lgkmcnt(0)
	s_barrier
	ds_write_b128 v51, v[38:41]
	s_waitcnt lgkmcnt(0)
	s_barrier
	ds_read_u16 v8, v44 offset:512
	ds_read_u16 v7, v45 offset:1024
	;; [unrolled: 1-line block ×7, first 2 shown]
	v_mad_u64_u32 v[0:1], s[4:5], v42, s46, 0
	v_mov_b32_e32 v10, v1
	v_mad_u64_u32 v[10:11], s[4:5], v42, s47, v[10:11]
	v_mov_b32_e32 v1, v10
	v_lshlrev_b64 v[0:1], 1, v[0:1]
	v_mov_b32_e32 v9, s52
	v_add_co_u32_e32 v0, vcc, s33, v0
	v_addc_co_u32_e32 v1, vcc, v9, v1, vcc
	s_and_saveexec_b64 s[4:5], s[0:1]
	s_cbranch_execnz .LBB256_161
; %bb.143:
	s_or_b64 exec, exec, s[4:5]
	s_and_saveexec_b64 s[4:5], s[2:3]
	s_cbranch_execnz .LBB256_162
.LBB256_144:
	s_or_b64 exec, exec, s[4:5]
	s_and_saveexec_b64 s[4:5], s[42:43]
	s_cbranch_execnz .LBB256_163
.LBB256_145:
	s_or_b64 exec, exec, s[4:5]
	s_and_saveexec_b64 s[4:5], s[6:7]
	s_cbranch_execnz .LBB256_164
.LBB256_146:
	s_or_b64 exec, exec, s[4:5]
	s_and_saveexec_b64 s[4:5], s[8:9]
	s_cbranch_execnz .LBB256_165
.LBB256_147:
	s_or_b64 exec, exec, s[4:5]
	s_and_saveexec_b64 s[4:5], s[10:11]
	s_cbranch_execnz .LBB256_166
.LBB256_148:
	s_or_b64 exec, exec, s[4:5]
	s_and_saveexec_b64 s[4:5], s[12:13]
	s_cbranch_execnz .LBB256_167
.LBB256_149:
	s_or_b64 exec, exec, s[4:5]
	s_and_saveexec_b64 s[4:5], s[14:15]
	s_cbranch_execz .LBB256_151
.LBB256_150:
	s_waitcnt lgkmcnt(1)
	v_mov_b32_e32 v3, 0xe00
	v_mad_u64_u32 v[0:1], s[16:17], s46, v3, v[0:1]
	s_mul_i32 s16, s47, 0xe00
	v_add_u32_e32 v1, s16, v1
	s_waitcnt lgkmcnt(0)
	global_store_short v[0:1], v2, off
.LBB256_151:
	s_or_b64 exec, exec, s[4:5]
	s_waitcnt lgkmcnt(0)
	s_barrier
	ds_write2_b64 v61, v[22:23], v[24:25] offset1:1
	ds_write2_b64 v61, v[26:27], v[28:29] offset0:2 offset1:3
	ds_write2_b64 v61, v[30:31], v[32:33] offset0:4 offset1:5
	;; [unrolled: 1-line block ×3, first 2 shown]
	s_waitcnt lgkmcnt(0)
	s_barrier
	ds_read_b64 v[14:15], v53 offset:2048
	ds_read_b64 v[12:13], v54 offset:4096
	;; [unrolled: 1-line block ×7, first 2 shown]
	v_mad_u64_u32 v[4:5], s[4:5], v42, s48, 0
	v_mov_b32_e32 v16, v5
	v_mad_u64_u32 v[16:17], s[4:5], v42, s49, v[16:17]
	v_mov_b32_e32 v5, v16
	v_lshlrev_b64 v[4:5], 3, v[4:5]
	v_mov_b32_e32 v16, s54
	v_add_co_u32_e32 v4, vcc, s53, v4
	v_addc_co_u32_e32 v5, vcc, v16, v5, vcc
	s_and_saveexec_b64 s[4:5], s[0:1]
	s_cbranch_execnz .LBB256_168
; %bb.152:
	s_or_b64 exec, exec, s[4:5]
	s_and_saveexec_b64 s[0:1], s[2:3]
	s_cbranch_execnz .LBB256_169
.LBB256_153:
	s_or_b64 exec, exec, s[0:1]
	s_and_saveexec_b64 s[0:1], s[42:43]
	s_cbranch_execnz .LBB256_170
.LBB256_154:
	s_or_b64 exec, exec, s[0:1]
	s_and_saveexec_b64 s[0:1], s[6:7]
	s_cbranch_execnz .LBB256_171
.LBB256_155:
	s_or_b64 exec, exec, s[0:1]
	s_and_saveexec_b64 s[0:1], s[8:9]
	s_cbranch_execnz .LBB256_172
.LBB256_156:
	s_or_b64 exec, exec, s[0:1]
	s_and_saveexec_b64 s[0:1], s[10:11]
	s_cbranch_execnz .LBB256_173
.LBB256_157:
	s_or_b64 exec, exec, s[0:1]
	s_and_saveexec_b64 s[0:1], s[12:13]
	s_cbranch_execnz .LBB256_174
.LBB256_158:
	s_or_b64 exec, exec, s[0:1]
	s_and_saveexec_b64 s[0:1], s[14:15]
	s_cbranch_execz .LBB256_160
.LBB256_159:
	s_waitcnt lgkmcnt(1)
	v_mov_b32_e32 v2, 0x3800
	v_mad_u64_u32 v[2:3], s[0:1], s48, v2, v[4:5]
	s_mul_i32 s0, s49, 0x3800
	v_add_u32_e32 v3, s0, v3
	s_waitcnt lgkmcnt(0)
	global_store_dwordx2 v[2:3], v[0:1], off
.LBB256_160:
	s_endpgm
.LBB256_161:
	ds_read_u16 v9, v43
	s_waitcnt lgkmcnt(0)
	global_store_short v[0:1], v9, off
	s_or_b64 exec, exec, s[4:5]
	s_and_saveexec_b64 s[4:5], s[2:3]
	s_cbranch_execz .LBB256_144
.LBB256_162:
	s_lshl_b64 s[16:17], s[46:47], 9
	v_mov_b32_e32 v9, s17
	v_add_co_u32_e32 v10, vcc, s16, v0
	v_addc_co_u32_e32 v11, vcc, v1, v9, vcc
	s_waitcnt lgkmcnt(6)
	global_store_short v[10:11], v8, off
	s_or_b64 exec, exec, s[4:5]
	s_and_saveexec_b64 s[4:5], s[42:43]
	s_cbranch_execz .LBB256_145
.LBB256_163:
	s_lshl_b64 s[16:17], s[46:47], 10
	v_mov_b32_e32 v9, s17
	s_waitcnt lgkmcnt(6)
	v_add_co_u32_e32 v8, vcc, s16, v0
	v_addc_co_u32_e32 v9, vcc, v1, v9, vcc
	s_waitcnt lgkmcnt(5)
	global_store_short v[8:9], v7, off
	s_or_b64 exec, exec, s[4:5]
	s_and_saveexec_b64 s[4:5], s[6:7]
	s_cbranch_execz .LBB256_146
.LBB256_164:
	s_waitcnt lgkmcnt(5)
	v_mov_b32_e32 v7, 0x600
	v_mad_u64_u32 v[8:9], s[16:17], s46, v7, v[0:1]
	s_mul_i32 s16, s47, 0x600
	v_add_u32_e32 v9, s16, v9
	s_waitcnt lgkmcnt(4)
	global_store_short v[8:9], v6, off
	s_or_b64 exec, exec, s[4:5]
	s_and_saveexec_b64 s[4:5], s[8:9]
	s_cbranch_execz .LBB256_147
.LBB256_165:
	s_lshl_b64 s[16:17], s[46:47], 11
	s_waitcnt lgkmcnt(5)
	v_mov_b32_e32 v7, s17
	s_waitcnt lgkmcnt(4)
	v_add_co_u32_e32 v6, vcc, s16, v0
	v_addc_co_u32_e32 v7, vcc, v1, v7, vcc
	s_waitcnt lgkmcnt(3)
	global_store_short v[6:7], v5, off
	s_or_b64 exec, exec, s[4:5]
	s_and_saveexec_b64 s[4:5], s[10:11]
	s_cbranch_execz .LBB256_148
.LBB256_166:
	s_waitcnt lgkmcnt(3)
	v_mov_b32_e32 v5, 0xa00
	v_mad_u64_u32 v[6:7], s[16:17], s46, v5, v[0:1]
	s_mul_i32 s16, s47, 0xa00
	v_add_u32_e32 v7, s16, v7
	s_waitcnt lgkmcnt(2)
	global_store_short v[6:7], v4, off
	s_or_b64 exec, exec, s[4:5]
	s_and_saveexec_b64 s[4:5], s[12:13]
	s_cbranch_execz .LBB256_149
.LBB256_167:
	s_waitcnt lgkmcnt(2)
	v_mov_b32_e32 v4, 0xc00
	v_mad_u64_u32 v[4:5], s[16:17], s46, v4, v[0:1]
	s_mul_i32 s16, s47, 0xc00
	v_add_u32_e32 v5, s16, v5
	s_waitcnt lgkmcnt(1)
	global_store_short v[4:5], v3, off
	s_or_b64 exec, exec, s[4:5]
	s_and_saveexec_b64 s[4:5], s[14:15]
	s_cbranch_execnz .LBB256_150
	s_branch .LBB256_151
.LBB256_168:
	ds_read_b64 v[16:17], v52
	s_waitcnt lgkmcnt(0)
	global_store_dwordx2 v[4:5], v[16:17], off
	s_or_b64 exec, exec, s[4:5]
	s_and_saveexec_b64 s[0:1], s[2:3]
	s_cbranch_execz .LBB256_153
.LBB256_169:
	s_lshl_b64 s[2:3], s[48:49], 11
	v_mov_b32_e32 v17, s3
	v_add_co_u32_e32 v16, vcc, s2, v4
	v_addc_co_u32_e32 v17, vcc, v5, v17, vcc
	s_waitcnt lgkmcnt(6)
	global_store_dwordx2 v[16:17], v[14:15], off
	s_or_b64 exec, exec, s[0:1]
	s_and_saveexec_b64 s[0:1], s[42:43]
	s_cbranch_execz .LBB256_154
.LBB256_170:
	s_lshl_b64 s[2:3], s[48:49], 12
	s_waitcnt lgkmcnt(6)
	v_mov_b32_e32 v15, s3
	v_add_co_u32_e32 v14, vcc, s2, v4
	v_addc_co_u32_e32 v15, vcc, v5, v15, vcc
	s_waitcnt lgkmcnt(5)
	global_store_dwordx2 v[14:15], v[12:13], off
	s_or_b64 exec, exec, s[0:1]
	s_and_saveexec_b64 s[0:1], s[6:7]
	s_cbranch_execz .LBB256_155
.LBB256_171:
	s_waitcnt lgkmcnt(5)
	v_mov_b32_e32 v12, 0x1800
	v_mad_u64_u32 v[12:13], s[2:3], s48, v12, v[4:5]
	s_mul_i32 s2, s49, 0x1800
	v_add_u32_e32 v13, s2, v13
	s_waitcnt lgkmcnt(4)
	global_store_dwordx2 v[12:13], v[10:11], off
	s_or_b64 exec, exec, s[0:1]
	s_and_saveexec_b64 s[0:1], s[8:9]
	s_cbranch_execz .LBB256_156
.LBB256_172:
	s_lshl_b64 s[2:3], s[48:49], 13
	s_waitcnt lgkmcnt(4)
	v_mov_b32_e32 v11, s3
	v_add_co_u32_e32 v10, vcc, s2, v4
	v_addc_co_u32_e32 v11, vcc, v5, v11, vcc
	s_waitcnt lgkmcnt(3)
	global_store_dwordx2 v[10:11], v[8:9], off
	s_or_b64 exec, exec, s[0:1]
	s_and_saveexec_b64 s[0:1], s[10:11]
	s_cbranch_execz .LBB256_157
.LBB256_173:
	s_waitcnt lgkmcnt(3)
	v_mov_b32_e32 v8, 0x2800
	v_mad_u64_u32 v[8:9], s[2:3], s48, v8, v[4:5]
	s_mul_i32 s2, s49, 0x2800
	v_add_u32_e32 v9, s2, v9
	s_waitcnt lgkmcnt(2)
	global_store_dwordx2 v[8:9], v[6:7], off
	s_or_b64 exec, exec, s[0:1]
	s_and_saveexec_b64 s[0:1], s[12:13]
	s_cbranch_execz .LBB256_158
.LBB256_174:
	s_waitcnt lgkmcnt(2)
	v_mov_b32_e32 v6, 0x3000
	v_mad_u64_u32 v[6:7], s[2:3], s48, v6, v[4:5]
	s_mul_i32 s2, s49, 0x3000
	v_add_u32_e32 v7, s2, v7
	s_waitcnt lgkmcnt(1)
	global_store_dwordx2 v[6:7], v[2:3], off
	s_or_b64 exec, exec, s[0:1]
	s_and_saveexec_b64 s[0:1], s[14:15]
	s_cbranch_execnz .LBB256_159
	s_branch .LBB256_160
	.section	.rodata,"a",@progbits
	.p2align	6, 0x0
	.amdhsa_kernel _ZN2at6native18radixSortKVInPlaceILin1ELin1ELi256ELi8EN3c108BFloat16ElmEEvNS_4cuda6detail10TensorInfoIT3_T5_EES8_S8_S8_NS6_IT4_S8_EES8_b
		.amdhsa_group_segment_fixed_size 16896
		.amdhsa_private_segment_fixed_size 0
		.amdhsa_kernarg_size 1128
		.amdhsa_user_sgpr_count 6
		.amdhsa_user_sgpr_private_segment_buffer 1
		.amdhsa_user_sgpr_dispatch_ptr 0
		.amdhsa_user_sgpr_queue_ptr 0
		.amdhsa_user_sgpr_kernarg_segment_ptr 1
		.amdhsa_user_sgpr_dispatch_id 0
		.amdhsa_user_sgpr_flat_scratch_init 0
		.amdhsa_user_sgpr_kernarg_preload_length 0
		.amdhsa_user_sgpr_kernarg_preload_offset 0
		.amdhsa_user_sgpr_private_segment_size 0
		.amdhsa_uses_dynamic_stack 0
		.amdhsa_system_sgpr_private_segment_wavefront_offset 0
		.amdhsa_system_sgpr_workgroup_id_x 1
		.amdhsa_system_sgpr_workgroup_id_y 1
		.amdhsa_system_sgpr_workgroup_id_z 1
		.amdhsa_system_sgpr_workgroup_info 0
		.amdhsa_system_vgpr_workitem_id 2
		.amdhsa_next_free_vgpr 106
		.amdhsa_next_free_sgpr 57
		.amdhsa_accum_offset 108
		.amdhsa_reserve_vcc 1
		.amdhsa_reserve_flat_scratch 0
		.amdhsa_float_round_mode_32 0
		.amdhsa_float_round_mode_16_64 0
		.amdhsa_float_denorm_mode_32 3
		.amdhsa_float_denorm_mode_16_64 3
		.amdhsa_dx10_clamp 1
		.amdhsa_ieee_mode 1
		.amdhsa_fp16_overflow 0
		.amdhsa_tg_split 0
		.amdhsa_exception_fp_ieee_invalid_op 0
		.amdhsa_exception_fp_denorm_src 0
		.amdhsa_exception_fp_ieee_div_zero 0
		.amdhsa_exception_fp_ieee_overflow 0
		.amdhsa_exception_fp_ieee_underflow 0
		.amdhsa_exception_fp_ieee_inexact 0
		.amdhsa_exception_int_div_zero 0
	.end_amdhsa_kernel
	.section	.text._ZN2at6native18radixSortKVInPlaceILin1ELin1ELi256ELi8EN3c108BFloat16ElmEEvNS_4cuda6detail10TensorInfoIT3_T5_EES8_S8_S8_NS6_IT4_S8_EES8_b,"axG",@progbits,_ZN2at6native18radixSortKVInPlaceILin1ELin1ELi256ELi8EN3c108BFloat16ElmEEvNS_4cuda6detail10TensorInfoIT3_T5_EES8_S8_S8_NS6_IT4_S8_EES8_b,comdat
.Lfunc_end256:
	.size	_ZN2at6native18radixSortKVInPlaceILin1ELin1ELi256ELi8EN3c108BFloat16ElmEEvNS_4cuda6detail10TensorInfoIT3_T5_EES8_S8_S8_NS6_IT4_S8_EES8_b, .Lfunc_end256-_ZN2at6native18radixSortKVInPlaceILin1ELin1ELi256ELi8EN3c108BFloat16ElmEEvNS_4cuda6detail10TensorInfoIT3_T5_EES8_S8_S8_NS6_IT4_S8_EES8_b
                                        ; -- End function
	.section	.AMDGPU.csdata,"",@progbits
; Kernel info:
; codeLenInByte = 23016
; NumSgprs: 61
; NumVgprs: 106
; NumAgprs: 0
; TotalNumVgprs: 106
; ScratchSize: 0
; MemoryBound: 0
; FloatMode: 240
; IeeeMode: 1
; LDSByteSize: 16896 bytes/workgroup (compile time only)
; SGPRBlocks: 7
; VGPRBlocks: 13
; NumSGPRsForWavesPerEU: 61
; NumVGPRsForWavesPerEU: 106
; AccumOffset: 108
; Occupancy: 3
; WaveLimiterHint : 1
; COMPUTE_PGM_RSRC2:SCRATCH_EN: 0
; COMPUTE_PGM_RSRC2:USER_SGPR: 6
; COMPUTE_PGM_RSRC2:TRAP_HANDLER: 0
; COMPUTE_PGM_RSRC2:TGID_X_EN: 1
; COMPUTE_PGM_RSRC2:TGID_Y_EN: 1
; COMPUTE_PGM_RSRC2:TGID_Z_EN: 1
; COMPUTE_PGM_RSRC2:TIDIG_COMP_CNT: 2
; COMPUTE_PGM_RSRC3_GFX90A:ACCUM_OFFSET: 26
; COMPUTE_PGM_RSRC3_GFX90A:TG_SPLIT: 0
	.section	.text._ZN2at6native18radixSortKVInPlaceILin1ELin1ELi128ELi8EN3c108BFloat16ElmEEvNS_4cuda6detail10TensorInfoIT3_T5_EES8_S8_S8_NS6_IT4_S8_EES8_b,"axG",@progbits,_ZN2at6native18radixSortKVInPlaceILin1ELin1ELi128ELi8EN3c108BFloat16ElmEEvNS_4cuda6detail10TensorInfoIT3_T5_EES8_S8_S8_NS6_IT4_S8_EES8_b,comdat
	.protected	_ZN2at6native18radixSortKVInPlaceILin1ELin1ELi128ELi8EN3c108BFloat16ElmEEvNS_4cuda6detail10TensorInfoIT3_T5_EES8_S8_S8_NS6_IT4_S8_EES8_b ; -- Begin function _ZN2at6native18radixSortKVInPlaceILin1ELin1ELi128ELi8EN3c108BFloat16ElmEEvNS_4cuda6detail10TensorInfoIT3_T5_EES8_S8_S8_NS6_IT4_S8_EES8_b
	.globl	_ZN2at6native18radixSortKVInPlaceILin1ELin1ELi128ELi8EN3c108BFloat16ElmEEvNS_4cuda6detail10TensorInfoIT3_T5_EES8_S8_S8_NS6_IT4_S8_EES8_b
	.p2align	8
	.type	_ZN2at6native18radixSortKVInPlaceILin1ELin1ELi128ELi8EN3c108BFloat16ElmEEvNS_4cuda6detail10TensorInfoIT3_T5_EES8_S8_S8_NS6_IT4_S8_EES8_b,@function
_ZN2at6native18radixSortKVInPlaceILin1ELin1ELi128ELi8EN3c108BFloat16ElmEEvNS_4cuda6detail10TensorInfoIT3_T5_EES8_S8_S8_NS6_IT4_S8_EES8_b: ; @_ZN2at6native18radixSortKVInPlaceILin1ELin1ELi128ELi8EN3c108BFloat16ElmEEvNS_4cuda6detail10TensorInfoIT3_T5_EES8_S8_S8_NS6_IT4_S8_EES8_b
; %bb.0:
	s_load_dwordx4 s[12:15], s[4:5], 0x1a0
	s_load_dwordx2 s[0:1], s[4:5], 0x368
	s_add_u32 s48, s4, 0x368
	s_addc_u32 s49, s5, 0
	s_waitcnt lgkmcnt(0)
	v_mov_b32_e32 v2, s12
	s_mul_i32 s1, s1, s8
	s_add_i32 s1, s1, s7
	s_mul_i32 s0, s1, s0
	v_mov_b32_e32 v3, s13
	s_add_i32 s6, s0, s6
	s_mov_b32 s7, 0
	v_cmp_ge_u64_e32 vcc, s[6:7], v[2:3]
	s_cbranch_vccnz .LBB257_160
; %bb.1:
	s_load_dword s0, s[4:5], 0x198
	s_load_dwordx2 s[44:45], s[4:5], 0x1b0
	s_mov_b64 s[2:3], 0
	s_mov_b64 s[8:9], s[6:7]
	s_waitcnt lgkmcnt(0)
	s_cmp_lt_i32 s0, 2
	s_cbranch_scc1 .LBB257_9
; %bb.2:
	s_mov_b32 s10, 0
	s_add_i32 s15, s0, 1
	s_add_i32 s0, s0, -1
	s_mov_b32 s1, s10
	s_lshl_b64 s[0:1], s[0:1], 3
	s_add_u32 s0, s0, s4
	s_addc_u32 s1, s1, s5
	s_add_u32 s12, s0, 8
	s_addc_u32 s13, s1, 0
	s_mov_b64 s[16:17], s[6:7]
.LBB257_3:                              ; =>This Inner Loop Header: Depth=1
	s_load_dwordx2 s[18:19], s[12:13], 0x0
	s_waitcnt lgkmcnt(0)
	s_or_b64 s[0:1], s[16:17], s[18:19]
	s_mov_b32 s11, s1
	s_cmp_lg_u64 s[10:11], 0
	s_cbranch_scc0 .LBB257_8
; %bb.4:                                ;   in Loop: Header=BB257_3 Depth=1
	v_cvt_f32_u32_e32 v1, s18
	v_cvt_f32_u32_e32 v2, s19
	s_sub_u32 s0, 0, s18
	s_subb_u32 s1, 0, s19
	v_mac_f32_e32 v1, 0x4f800000, v2
	v_rcp_f32_e32 v1, v1
	v_mul_f32_e32 v1, 0x5f7ffffc, v1
	v_mul_f32_e32 v2, 0x2f800000, v1
	v_trunc_f32_e32 v2, v2
	v_mac_f32_e32 v1, 0xcf800000, v2
	v_cvt_u32_f32_e32 v2, v2
	v_cvt_u32_f32_e32 v1, v1
	v_readfirstlane_b32 s8, v2
	v_readfirstlane_b32 s9, v1
	s_mul_i32 s11, s0, s8
	s_mul_hi_u32 s21, s0, s9
	s_mul_i32 s20, s1, s9
	s_add_i32 s11, s21, s11
	s_mul_i32 s22, s0, s9
	s_add_i32 s11, s11, s20
	s_mul_hi_u32 s20, s9, s11
	s_mul_i32 s21, s9, s11
	s_mul_hi_u32 s9, s9, s22
	s_add_u32 s9, s9, s21
	s_addc_u32 s20, 0, s20
	s_mul_hi_u32 s23, s8, s22
	s_mul_i32 s22, s8, s22
	s_add_u32 s9, s9, s22
	s_mul_hi_u32 s21, s8, s11
	s_addc_u32 s9, s20, s23
	s_addc_u32 s20, s21, 0
	s_mul_i32 s11, s8, s11
	s_add_u32 s9, s9, s11
	s_addc_u32 s11, 0, s20
	v_add_co_u32_e32 v1, vcc, s9, v1
	s_cmp_lg_u64 vcc, 0
	s_addc_u32 s8, s8, s11
	v_readfirstlane_b32 s11, v1
	s_mul_i32 s9, s0, s8
	s_mul_hi_u32 s20, s0, s11
	s_add_i32 s9, s20, s9
	s_mul_i32 s1, s1, s11
	s_add_i32 s9, s9, s1
	s_mul_i32 s0, s0, s11
	s_mul_hi_u32 s20, s8, s0
	s_mul_i32 s21, s8, s0
	s_mul_i32 s23, s11, s9
	s_mul_hi_u32 s0, s11, s0
	s_mul_hi_u32 s22, s11, s9
	s_add_u32 s0, s0, s23
	s_addc_u32 s11, 0, s22
	s_add_u32 s0, s0, s21
	s_mul_hi_u32 s1, s8, s9
	s_addc_u32 s0, s11, s20
	s_addc_u32 s1, s1, 0
	s_mul_i32 s9, s8, s9
	s_add_u32 s0, s0, s9
	s_addc_u32 s1, 0, s1
	v_add_co_u32_e32 v1, vcc, s0, v1
	s_cmp_lg_u64 vcc, 0
	s_addc_u32 s0, s8, s1
	v_readfirstlane_b32 s9, v1
	s_mul_i32 s8, s16, s0
	s_mul_hi_u32 s11, s16, s9
	s_mul_hi_u32 s1, s16, s0
	s_add_u32 s8, s11, s8
	s_addc_u32 s1, 0, s1
	s_mul_hi_u32 s20, s17, s9
	s_mul_i32 s9, s17, s9
	s_add_u32 s8, s8, s9
	s_mul_hi_u32 s11, s17, s0
	s_addc_u32 s1, s1, s20
	s_addc_u32 s8, s11, 0
	s_mul_i32 s0, s17, s0
	s_add_u32 s11, s1, s0
	s_addc_u32 s8, 0, s8
	s_mul_i32 s0, s18, s8
	s_mul_hi_u32 s1, s18, s11
	s_add_i32 s0, s1, s0
	s_mul_i32 s1, s19, s11
	s_add_i32 s9, s0, s1
	s_mul_i32 s1, s18, s11
	v_mov_b32_e32 v1, s1
	s_sub_i32 s0, s17, s9
	v_sub_co_u32_e32 v1, vcc, s16, v1
	s_cmp_lg_u64 vcc, 0
	s_subb_u32 s20, s0, s19
	v_subrev_co_u32_e64 v2, s[0:1], s18, v1
	s_cmp_lg_u64 s[0:1], 0
	s_subb_u32 s0, s20, 0
	s_cmp_ge_u32 s0, s19
	v_readfirstlane_b32 s20, v2
	s_cselect_b32 s1, -1, 0
	s_cmp_ge_u32 s20, s18
	s_cselect_b32 s20, -1, 0
	s_cmp_eq_u32 s0, s19
	s_cselect_b32 s0, s20, s1
	s_add_u32 s1, s11, 1
	s_addc_u32 s20, s8, 0
	s_add_u32 s21, s11, 2
	s_addc_u32 s22, s8, 0
	s_cmp_lg_u32 s0, 0
	s_cselect_b32 s0, s21, s1
	s_cselect_b32 s1, s22, s20
	s_cmp_lg_u64 vcc, 0
	s_subb_u32 s9, s17, s9
	s_cmp_ge_u32 s9, s19
	v_readfirstlane_b32 s21, v1
	s_cselect_b32 s20, -1, 0
	s_cmp_ge_u32 s21, s18
	s_cselect_b32 s21, -1, 0
	s_cmp_eq_u32 s9, s19
	s_cselect_b32 s9, s21, s20
	s_cmp_lg_u32 s9, 0
	s_cselect_b32 s9, s1, s8
	s_cselect_b32 s8, s0, s11
	s_cbranch_execnz .LBB257_6
.LBB257_5:                              ;   in Loop: Header=BB257_3 Depth=1
	v_cvt_f32_u32_e32 v1, s18
	s_sub_i32 s0, 0, s18
	v_rcp_iflag_f32_e32 v1, v1
	v_mul_f32_e32 v1, 0x4f7ffffe, v1
	v_cvt_u32_f32_e32 v1, v1
	v_readfirstlane_b32 s1, v1
	s_mul_i32 s0, s0, s1
	s_mul_hi_u32 s0, s1, s0
	s_add_i32 s1, s1, s0
	s_mul_hi_u32 s0, s16, s1
	s_mul_i32 s8, s0, s18
	s_sub_i32 s8, s16, s8
	s_add_i32 s1, s0, 1
	s_sub_i32 s9, s8, s18
	s_cmp_ge_u32 s8, s18
	s_cselect_b32 s0, s1, s0
	s_cselect_b32 s8, s9, s8
	s_add_i32 s1, s0, 1
	s_cmp_ge_u32 s8, s18
	s_cselect_b32 s8, s1, s0
	s_mov_b32 s9, s10
.LBB257_6:                              ;   in Loop: Header=BB257_3 Depth=1
	s_mul_i32 s0, s8, s19
	s_mul_hi_u32 s1, s8, s18
	s_add_i32 s11, s1, s0
	s_load_dwordx2 s[0:1], s[12:13], 0xc8
	s_mul_i32 s19, s9, s18
	s_add_i32 s11, s11, s19
	s_mul_i32 s18, s8, s18
	s_sub_u32 s16, s16, s18
	s_subb_u32 s11, s17, s11
	s_waitcnt lgkmcnt(0)
	s_mul_i32 s11, s0, s11
	s_mul_hi_u32 s17, s0, s16
	s_add_i32 s11, s17, s11
	s_mul_i32 s1, s1, s16
	s_add_i32 s11, s11, s1
	s_mul_i32 s0, s0, s16
	s_add_u32 s2, s0, s2
	s_addc_u32 s3, s11, s3
	s_add_i32 s15, s15, -1
	s_add_u32 s12, s12, -8
	s_addc_u32 s13, s13, -1
	s_cmp_gt_u32 s15, 2
	s_cbranch_scc0 .LBB257_9
; %bb.7:                                ;   in Loop: Header=BB257_3 Depth=1
	s_mov_b64 s[16:17], s[8:9]
	s_branch .LBB257_3
.LBB257_8:                              ;   in Loop: Header=BB257_3 Depth=1
                                        ; implicit-def: $sgpr8_sgpr9
	s_branch .LBB257_5
.LBB257_9:
	s_load_dword s0, s[4:5], 0x350
	s_load_dwordx2 s[10:11], s[4:5], 0xd0
	s_mov_b64 s[16:17], 0
	s_waitcnt lgkmcnt(0)
	s_cmp_lt_i32 s0, 2
	s_cbranch_scc1 .LBB257_17
; %bb.10:
	s_mov_b32 s12, 0
	s_add_i32 s15, s0, 1
	s_add_i32 s0, s0, -1
	s_mov_b32 s1, s12
	s_lshl_b64 s[0:1], s[0:1], 3
	s_add_u32 s0, s0, s4
	s_addc_u32 s1, s1, s5
	s_add_u32 s20, s0, 0x1c0
	s_addc_u32 s21, s1, 0
.LBB257_11:                             ; =>This Inner Loop Header: Depth=1
	s_load_dwordx2 s[22:23], s[20:21], 0x0
	s_waitcnt lgkmcnt(0)
	s_or_b64 s[0:1], s[6:7], s[22:23]
	s_mov_b32 s13, s1
	s_cmp_lg_u64 s[12:13], 0
	s_cbranch_scc0 .LBB257_16
; %bb.12:                               ;   in Loop: Header=BB257_11 Depth=1
	v_cvt_f32_u32_e32 v1, s22
	v_cvt_f32_u32_e32 v2, s23
	s_sub_u32 s0, 0, s22
	s_subb_u32 s1, 0, s23
	v_mac_f32_e32 v1, 0x4f800000, v2
	v_rcp_f32_e32 v1, v1
	v_mul_f32_e32 v1, 0x5f7ffffc, v1
	v_mul_f32_e32 v2, 0x2f800000, v1
	v_trunc_f32_e32 v2, v2
	v_mac_f32_e32 v1, 0xcf800000, v2
	v_cvt_u32_f32_e32 v2, v2
	v_cvt_u32_f32_e32 v1, v1
	v_readfirstlane_b32 s13, v2
	v_readfirstlane_b32 s18, v1
	s_mul_i32 s19, s0, s13
	s_mul_hi_u32 s25, s0, s18
	s_mul_i32 s24, s1, s18
	s_add_i32 s19, s25, s19
	s_mul_i32 s26, s0, s18
	s_add_i32 s19, s19, s24
	s_mul_hi_u32 s24, s18, s19
	s_mul_i32 s25, s18, s19
	s_mul_hi_u32 s18, s18, s26
	s_add_u32 s18, s18, s25
	s_addc_u32 s24, 0, s24
	s_mul_hi_u32 s27, s13, s26
	s_mul_i32 s26, s13, s26
	s_add_u32 s18, s18, s26
	s_mul_hi_u32 s25, s13, s19
	s_addc_u32 s18, s24, s27
	s_addc_u32 s24, s25, 0
	s_mul_i32 s19, s13, s19
	s_add_u32 s18, s18, s19
	s_addc_u32 s19, 0, s24
	v_add_co_u32_e32 v1, vcc, s18, v1
	s_cmp_lg_u64 vcc, 0
	s_addc_u32 s13, s13, s19
	v_readfirstlane_b32 s19, v1
	s_mul_i32 s18, s0, s13
	s_mul_hi_u32 s24, s0, s19
	s_add_i32 s18, s24, s18
	s_mul_i32 s1, s1, s19
	s_add_i32 s18, s18, s1
	s_mul_i32 s0, s0, s19
	s_mul_hi_u32 s24, s13, s0
	s_mul_i32 s25, s13, s0
	s_mul_i32 s27, s19, s18
	s_mul_hi_u32 s0, s19, s0
	s_mul_hi_u32 s26, s19, s18
	s_add_u32 s0, s0, s27
	s_addc_u32 s19, 0, s26
	s_add_u32 s0, s0, s25
	s_mul_hi_u32 s1, s13, s18
	s_addc_u32 s0, s19, s24
	s_addc_u32 s1, s1, 0
	s_mul_i32 s18, s13, s18
	s_add_u32 s0, s0, s18
	s_addc_u32 s1, 0, s1
	v_add_co_u32_e32 v1, vcc, s0, v1
	s_cmp_lg_u64 vcc, 0
	s_addc_u32 s0, s13, s1
	v_readfirstlane_b32 s18, v1
	s_mul_i32 s13, s6, s0
	s_mul_hi_u32 s19, s6, s18
	s_mul_hi_u32 s1, s6, s0
	s_add_u32 s13, s19, s13
	s_addc_u32 s1, 0, s1
	s_mul_hi_u32 s24, s7, s18
	s_mul_i32 s18, s7, s18
	s_add_u32 s13, s13, s18
	s_mul_hi_u32 s19, s7, s0
	s_addc_u32 s1, s1, s24
	s_addc_u32 s13, s19, 0
	s_mul_i32 s0, s7, s0
	s_add_u32 s18, s1, s0
	s_addc_u32 s13, 0, s13
	s_mul_i32 s0, s22, s13
	s_mul_hi_u32 s1, s22, s18
	s_add_i32 s0, s1, s0
	s_mul_i32 s1, s23, s18
	s_add_i32 s19, s0, s1
	s_mul_i32 s1, s22, s18
	v_mov_b32_e32 v1, s1
	s_sub_i32 s0, s7, s19
	v_sub_co_u32_e32 v1, vcc, s6, v1
	s_cmp_lg_u64 vcc, 0
	s_subb_u32 s24, s0, s23
	v_subrev_co_u32_e64 v2, s[0:1], s22, v1
	s_cmp_lg_u64 s[0:1], 0
	s_subb_u32 s0, s24, 0
	s_cmp_ge_u32 s0, s23
	v_readfirstlane_b32 s24, v2
	s_cselect_b32 s1, -1, 0
	s_cmp_ge_u32 s24, s22
	s_cselect_b32 s24, -1, 0
	s_cmp_eq_u32 s0, s23
	s_cselect_b32 s0, s24, s1
	s_add_u32 s1, s18, 1
	s_addc_u32 s24, s13, 0
	s_add_u32 s25, s18, 2
	s_addc_u32 s26, s13, 0
	s_cmp_lg_u32 s0, 0
	s_cselect_b32 s0, s25, s1
	s_cselect_b32 s1, s26, s24
	s_cmp_lg_u64 vcc, 0
	s_subb_u32 s19, s7, s19
	s_cmp_ge_u32 s19, s23
	v_readfirstlane_b32 s25, v1
	s_cselect_b32 s24, -1, 0
	s_cmp_ge_u32 s25, s22
	s_cselect_b32 s25, -1, 0
	s_cmp_eq_u32 s19, s23
	s_cselect_b32 s19, s25, s24
	s_cmp_lg_u32 s19, 0
	s_cselect_b32 s19, s1, s13
	s_cselect_b32 s18, s0, s18
	s_cbranch_execnz .LBB257_14
.LBB257_13:                             ;   in Loop: Header=BB257_11 Depth=1
	v_cvt_f32_u32_e32 v1, s22
	s_sub_i32 s0, 0, s22
	s_mov_b32 s19, s12
	v_rcp_iflag_f32_e32 v1, v1
	v_mul_f32_e32 v1, 0x4f7ffffe, v1
	v_cvt_u32_f32_e32 v1, v1
	v_readfirstlane_b32 s1, v1
	s_mul_i32 s0, s0, s1
	s_mul_hi_u32 s0, s1, s0
	s_add_i32 s1, s1, s0
	s_mul_hi_u32 s0, s6, s1
	s_mul_i32 s13, s0, s22
	s_sub_i32 s13, s6, s13
	s_add_i32 s1, s0, 1
	s_sub_i32 s18, s13, s22
	s_cmp_ge_u32 s13, s22
	s_cselect_b32 s0, s1, s0
	s_cselect_b32 s13, s18, s13
	s_add_i32 s1, s0, 1
	s_cmp_ge_u32 s13, s22
	s_cselect_b32 s18, s1, s0
.LBB257_14:                             ;   in Loop: Header=BB257_11 Depth=1
	s_mul_i32 s0, s18, s23
	s_mul_hi_u32 s1, s18, s22
	s_add_i32 s13, s1, s0
	s_load_dwordx2 s[0:1], s[20:21], 0xc8
	s_mul_i32 s23, s19, s22
	s_add_i32 s13, s13, s23
	s_mul_i32 s22, s18, s22
	s_sub_u32 s6, s6, s22
	s_subb_u32 s7, s7, s13
	s_waitcnt lgkmcnt(0)
	s_mul_i32 s7, s0, s7
	s_mul_hi_u32 s13, s0, s6
	s_add_i32 s7, s13, s7
	s_mul_i32 s1, s1, s6
	s_add_i32 s7, s7, s1
	s_mul_i32 s0, s0, s6
	s_add_u32 s16, s0, s16
	s_addc_u32 s17, s7, s17
	s_add_i32 s15, s15, -1
	s_add_u32 s20, s20, -8
	s_addc_u32 s21, s21, -1
	s_cmp_gt_u32 s15, 2
	s_cbranch_scc0 .LBB257_18
; %bb.15:                               ;   in Loop: Header=BB257_11 Depth=1
	s_mov_b64 s[6:7], s[18:19]
	s_branch .LBB257_11
.LBB257_16:                             ;   in Loop: Header=BB257_11 Depth=1
                                        ; implicit-def: $sgpr18_sgpr19
	s_branch .LBB257_13
.LBB257_17:
	s_mov_b64 s[18:19], s[6:7]
.LBB257_18:
	s_mul_i32 s0, s10, s9
	s_load_dword s9, s[4:5], 0x360
	s_load_dwordx2 s[6:7], s[4:5], 0x0
	s_mul_hi_u32 s1, s10, s8
	s_add_i32 s0, s1, s0
	s_mul_i32 s1, s11, s8
	s_add_i32 s1, s0, s1
	s_waitcnt lgkmcnt(0)
	s_bitcmp1_b32 s9, 0
	s_cselect_b64 s[34:35], -1, 0
	s_mul_i32 s0, s10, s8
	s_mov_b32 s10, 0xffff
	s_and_b64 s[8:9], s[34:35], exec
	s_cselect_b32 s26, s10, 0x7fff
	s_lshl_b64 s[0:1], s[0:1], 1
	s_add_u32 s6, s6, s0
	s_addc_u32 s7, s7, s1
	s_lshl_b64 s[0:1], s[2:3], 1
	s_add_u32 s33, s6, s0
	v_and_b32_e32 v42, 0x3ff, v0
	s_addc_u32 s50, s7, s1
	v_cmp_gt_u32_e64 s[0:1], s14, v42
	v_mov_b32_e32 v2, s26
	s_and_saveexec_b64 s[2:3], s[0:1]
	s_cbranch_execz .LBB257_20
; %bb.19:
	v_mad_u64_u32 v[2:3], s[6:7], v42, s44, 0
	v_mov_b32_e32 v4, v3
	v_mad_u64_u32 v[4:5], s[6:7], v42, s45, v[4:5]
	v_mov_b32_e32 v3, v4
	v_lshlrev_b64 v[2:3], 1, v[2:3]
	v_mov_b32_e32 v1, s50
	v_add_co_u32_e32 v2, vcc, s33, v2
	v_addc_co_u32_e32 v3, vcc, v1, v3, vcc
	global_load_ushort v2, v[2:3], off
.LBB257_20:
	s_or_b64 exec, exec, s[2:3]
	v_add_u32_e32 v33, 0x80, v42
	v_cmp_gt_u32_e64 s[2:3], s14, v33
	v_mov_b32_e32 v3, s26
	s_and_saveexec_b64 s[6:7], s[2:3]
	s_cbranch_execz .LBB257_22
; %bb.21:
	v_mad_u64_u32 v[4:5], s[8:9], v33, s44, 0
	v_mov_b32_e32 v6, v5
	v_mad_u64_u32 v[6:7], s[8:9], v33, s45, v[6:7]
	v_mov_b32_e32 v5, v6
	v_lshlrev_b64 v[4:5], 1, v[4:5]
	v_mov_b32_e32 v1, s50
	v_add_co_u32_e32 v4, vcc, s33, v4
	v_addc_co_u32_e32 v5, vcc, v1, v5, vcc
	global_load_ushort v3, v[4:5], off
.LBB257_22:
	s_or_b64 exec, exec, s[6:7]
	v_add_u32_e32 v31, 0x100, v42
	v_cmp_gt_u32_e64 s[40:41], s14, v31
	v_mov_b32_e32 v4, s26
	s_and_saveexec_b64 s[6:7], s[40:41]
	s_cbranch_execz .LBB257_24
; %bb.23:
	v_mad_u64_u32 v[4:5], s[8:9], v31, s44, 0
	v_mov_b32_e32 v6, v5
	v_mad_u64_u32 v[6:7], s[8:9], v31, s45, v[6:7]
	v_mov_b32_e32 v5, v6
	v_lshlrev_b64 v[4:5], 1, v[4:5]
	v_mov_b32_e32 v1, s50
	v_add_co_u32_e32 v4, vcc, s33, v4
	v_addc_co_u32_e32 v5, vcc, v1, v5, vcc
	global_load_ushort v4, v[4:5], off
.LBB257_24:
	s_or_b64 exec, exec, s[6:7]
	v_add_u32_e32 v28, 0x180, v42
	v_cmp_gt_u32_e64 s[6:7], s14, v28
	v_mov_b32_e32 v5, s26
	s_and_saveexec_b64 s[8:9], s[6:7]
	s_cbranch_execz .LBB257_26
; %bb.25:
	v_mad_u64_u32 v[6:7], s[10:11], v28, s44, 0
	v_mov_b32_e32 v8, v7
	v_mad_u64_u32 v[8:9], s[10:11], v28, s45, v[8:9]
	v_mov_b32_e32 v7, v8
	v_lshlrev_b64 v[6:7], 1, v[6:7]
	v_mov_b32_e32 v1, s50
	v_add_co_u32_e32 v6, vcc, s33, v6
	v_addc_co_u32_e32 v7, vcc, v1, v7, vcc
	global_load_ushort v5, v[6:7], off
.LBB257_26:
	s_or_b64 exec, exec, s[8:9]
	v_add_u32_e32 v25, 0x200, v42
	v_cmp_gt_u32_e64 s[8:9], s14, v25
	v_mov_b32_e32 v6, s26
	s_and_saveexec_b64 s[10:11], s[8:9]
	s_cbranch_execz .LBB257_28
; %bb.27:
	v_mad_u64_u32 v[6:7], s[12:13], v25, s44, 0
	v_mov_b32_e32 v8, v7
	v_mad_u64_u32 v[8:9], s[12:13], v25, s45, v[8:9]
	v_mov_b32_e32 v7, v8
	v_lshlrev_b64 v[6:7], 1, v[6:7]
	v_mov_b32_e32 v1, s50
	v_add_co_u32_e32 v6, vcc, s33, v6
	v_addc_co_u32_e32 v7, vcc, v1, v7, vcc
	global_load_ushort v6, v[6:7], off
.LBB257_28:
	s_or_b64 exec, exec, s[10:11]
	v_add_u32_e32 v23, 0x280, v42
	v_cmp_gt_u32_e64 s[10:11], s14, v23
	v_mov_b32_e32 v7, s26
	s_and_saveexec_b64 s[12:13], s[10:11]
	s_cbranch_execz .LBB257_30
; %bb.29:
	v_mad_u64_u32 v[8:9], s[20:21], v23, s44, 0
	v_mov_b32_e32 v10, v9
	v_mad_u64_u32 v[10:11], s[20:21], v23, s45, v[10:11]
	v_mov_b32_e32 v9, v10
	v_lshlrev_b64 v[8:9], 1, v[8:9]
	v_mov_b32_e32 v1, s50
	v_add_co_u32_e32 v8, vcc, s33, v8
	v_addc_co_u32_e32 v9, vcc, v1, v9, vcc
	global_load_ushort v7, v[8:9], off
.LBB257_30:
	s_or_b64 exec, exec, s[12:13]
	s_load_dwordx2 s[22:23], s[4:5], 0x288
	s_load_dwordx2 s[20:21], s[4:5], 0x1b8
	v_add_u32_e32 v22, 0x300, v42
	v_cmp_gt_u32_e64 s[12:13], s14, v22
	v_mov_b32_e32 v8, s26
	s_and_saveexec_b64 s[24:25], s[12:13]
	s_cbranch_execz .LBB257_32
; %bb.31:
	v_mad_u64_u32 v[8:9], s[28:29], v22, s44, 0
	v_mov_b32_e32 v10, v9
	v_mad_u64_u32 v[10:11], s[28:29], v22, s45, v[10:11]
	v_mov_b32_e32 v9, v10
	v_lshlrev_b64 v[8:9], 1, v[8:9]
	v_mov_b32_e32 v1, s50
	v_add_co_u32_e32 v8, vcc, s33, v8
	v_addc_co_u32_e32 v9, vcc, v1, v9, vcc
	global_load_ushort v8, v[8:9], off
.LBB257_32:
	s_or_b64 exec, exec, s[24:25]
	v_add_u32_e32 v1, 0x380, v42
	v_cmp_gt_u32_e64 s[14:15], s14, v1
	v_mov_b32_e32 v9, s26
	s_and_saveexec_b64 s[24:25], s[14:15]
	s_cbranch_execz .LBB257_34
; %bb.33:
	v_mad_u64_u32 v[10:11], s[26:27], v1, s44, 0
	v_mov_b32_e32 v12, v11
	v_mad_u64_u32 v[12:13], s[26:27], v1, s45, v[12:13]
	v_mov_b32_e32 v11, v12
	v_lshlrev_b64 v[10:11], 1, v[10:11]
	v_mov_b32_e32 v9, s50
	v_add_co_u32_e32 v10, vcc, s33, v10
	v_addc_co_u32_e32 v11, vcc, v9, v11, vcc
	global_load_ushort v9, v[10:11], off
.LBB257_34:
	s_or_b64 exec, exec, s[24:25]
	v_lshrrev_b32_e32 v36, 5, v42
	v_and_b32_e32 v10, 30, v36
	v_add_lshl_u32 v43, v10, v42, 1
	v_lshrrev_b32_e32 v35, 5, v33
	s_waitcnt vmcnt(0)
	ds_write_b16 v43, v2
	v_and_b32_e32 v2, 62, v35
	v_lshrrev_b32_e32 v34, 5, v31
	v_add_lshl_u32 v44, v2, v42, 1
	v_and_b32_e32 v2, 62, v34
	v_lshrrev_b32_e32 v32, 5, v28
	v_add_lshl_u32 v45, v2, v42, 1
	;; [unrolled: 3-line block ×3, first 2 shown]
	v_and_b32_e32 v2, 62, v30
	v_lshrrev_b32_e32 v29, 5, v23
	s_waitcnt lgkmcnt(0)
	s_mul_i32 s19, s22, s19
	s_mul_hi_u32 s24, s22, s18
	v_add_lshl_u32 v47, v2, v42, 1
	v_and_b32_e32 v2, 62, v29
	v_lshrrev_b32_e32 v26, 5, v22
	s_add_i32 s19, s24, s19
	s_mul_i32 s23, s23, s18
	v_add_lshl_u32 v48, v2, v42, 1
	v_and_b32_e32 v2, 62, v26
	v_lshrrev_b32_e32 v24, 5, v1
	s_add_i32 s19, s19, s23
	s_mul_i32 s18, s22, s18
	v_add_lshl_u32 v49, v2, v42, 1
	v_and_b32_e32 v2, 62, v24
	v_lshrrev_b32_e32 v27, 2, v42
	s_lshl_b64 s[18:19], s[18:19], 3
	v_add_lshl_u32 v50, v2, v42, 1
	v_lshlrev_b32_e32 v60, 3, v42
	v_and_b32_e32 v2, 0xfe, v27
	s_add_u32 s18, s20, s18
	v_add_lshl_u32 v51, v2, v60, 1
	s_addc_u32 s19, s21, s19
	s_lshl_b64 s[16:17], s[16:17], 3
	s_load_dwordx2 s[46:47], s[4:5], 0x358
	ds_write_b16 v44, v3 offset:256
	ds_write_b16 v45, v4 offset:512
	;; [unrolled: 1-line block ×7, first 2 shown]
	s_waitcnt lgkmcnt(0)
	s_barrier
	ds_read_b128 v[18:21], v51
	s_add_u32 s51, s18, s16
	s_mov_b32 s16, 0
	s_addc_u32 s52, s19, s17
	s_mov_b32 s17, s16
	s_mov_b32 s18, s16
	;; [unrolled: 1-line block ×15, first 2 shown]
	v_pk_mov_b32 v[2:3], s[16:17], s[16:17] op_sel:[0,1]
	v_pk_mov_b32 v[4:5], s[18:19], s[18:19] op_sel:[0,1]
	v_pk_mov_b32 v[6:7], s[20:21], s[20:21] op_sel:[0,1]
	v_pk_mov_b32 v[8:9], s[22:23], s[22:23] op_sel:[0,1]
	v_pk_mov_b32 v[10:11], s[24:25], s[24:25] op_sel:[0,1]
	v_pk_mov_b32 v[12:13], s[26:27], s[26:27] op_sel:[0,1]
	v_pk_mov_b32 v[14:15], s[28:29], s[28:29] op_sel:[0,1]
	v_pk_mov_b32 v[16:17], s[30:31], s[30:31] op_sel:[0,1]
	v_pk_mov_b32 v[2:3], 0, 0
	s_waitcnt lgkmcnt(0)
	s_barrier
	s_and_saveexec_b64 s[4:5], s[0:1]
	s_cbranch_execnz .LBB257_89
; %bb.35:
	s_or_b64 exec, exec, s[4:5]
	s_and_saveexec_b64 s[4:5], s[2:3]
	s_cbranch_execnz .LBB257_90
.LBB257_36:
	s_or_b64 exec, exec, s[4:5]
	s_and_saveexec_b64 s[4:5], s[40:41]
	s_cbranch_execnz .LBB257_91
.LBB257_37:
	s_or_b64 exec, exec, s[4:5]
	s_and_saveexec_b64 s[4:5], s[6:7]
	s_cbranch_execnz .LBB257_92
.LBB257_38:
	s_or_b64 exec, exec, s[4:5]
	s_and_saveexec_b64 s[4:5], s[8:9]
	s_cbranch_execnz .LBB257_93
.LBB257_39:
	s_or_b64 exec, exec, s[4:5]
	s_and_saveexec_b64 s[4:5], s[10:11]
	s_cbranch_execnz .LBB257_94
.LBB257_40:
	s_or_b64 exec, exec, s[4:5]
	s_and_saveexec_b64 s[4:5], s[12:13]
	s_cbranch_execnz .LBB257_95
.LBB257_41:
	s_or_b64 exec, exec, s[4:5]
	s_xor_b64 s[4:5], s[34:35], -1
	s_and_saveexec_b64 s[16:17], s[14:15]
	s_cbranch_execz .LBB257_43
.LBB257_42:
	v_mad_u64_u32 v[16:17], s[18:19], v1, s46, 0
	v_mov_b32_e32 v22, v17
	v_mad_u64_u32 v[22:23], s[18:19], v1, s47, v[22:23]
	v_mov_b32_e32 v17, v22
	v_lshlrev_b64 v[16:17], 3, v[16:17]
	v_mov_b32_e32 v1, s52
	v_add_co_u32_e32 v16, vcc, s51, v16
	v_addc_co_u32_e32 v17, vcc, v1, v17, vcc
	global_load_dwordx2 v[16:17], v[16:17], off
.LBB257_43:
	s_or_b64 exec, exec, s[16:17]
	v_add_lshl_u32 v52, v36, v42, 3
	v_add_lshl_u32 v53, v35, v42, 3
	;; [unrolled: 1-line block ×9, first 2 shown]
	s_waitcnt vmcnt(0)
	ds_write_b64 v52, v[2:3]
	ds_write_b64 v53, v[4:5] offset:1024
	ds_write_b64 v54, v[6:7] offset:2048
	;; [unrolled: 1-line block ×7, first 2 shown]
	s_waitcnt lgkmcnt(0)
	s_barrier
	ds_read2_b64 v[14:17], v61 offset1:1
	ds_read2_b64 v[10:13], v61 offset0:2 offset1:3
	ds_read2_b64 v[6:9], v61 offset0:4 offset1:5
	;; [unrolled: 1-line block ×3, first 2 shown]
	s_and_b64 vcc, exec, s[4:5]
	v_bfe_u32 v63, v0, 10, 10
	v_bfe_u32 v64, v0, 20, 10
	v_mbcnt_lo_u32_b32 v65, -1, 0
	v_lshlrev_b32_e32 v62, 4, v42
	s_waitcnt lgkmcnt(0)
	s_barrier
	s_cbranch_vccz .LBB257_96
; %bb.44:
	s_movk_i32 s4, 0x8000
	v_pk_ashrrev_i16 v24, 15, v18 op_sel_hi:[0,1]
	v_or_b32_e32 v25, 0xffff8000, v24
	v_or_b32_sdwa v24, v24, s4 dst_sel:DWORD dst_unused:UNUSED_PAD src0_sel:WORD_1 src1_sel:DWORD
	v_pk_ashrrev_i16 v22, 15, v19 op_sel_hi:[0,1]
	v_xor_b32_sdwa v26, v24, v18 dst_sel:DWORD dst_unused:UNUSED_PAD src0_sel:DWORD src1_sel:WORD_1
	v_pk_ashrrev_i16 v24, 15, v21 op_sel_hi:[0,1]
	v_pk_ashrrev_i16 v28, 15, v20 op_sel_hi:[0,1]
	v_mbcnt_hi_u32_b32 v74, -1, v65
	v_and_b32_e32 v40, 0x3c0, v42
	v_or_b32_e32 v23, 0xffff8000, v22
	v_or_b32_sdwa v22, v22, s4 dst_sel:DWORD dst_unused:UNUSED_PAD src0_sel:WORD_1 src1_sel:DWORD
	v_xor_b32_e32 v27, v25, v18
	v_or_b32_e32 v25, 0xffff8000, v24
	v_or_b32_e32 v29, 0xffff8000, v28
	v_or_b32_sdwa v24, v24, s4 dst_sel:DWORD dst_unused:UNUSED_PAD src0_sel:WORD_1 src1_sel:DWORD
	v_or_b32_sdwa v28, v28, s4 dst_sel:DWORD dst_unused:UNUSED_PAD src0_sel:WORD_1 src1_sel:DWORD
	v_add_u32_e32 v0, v74, v40
	v_xor_b32_sdwa v22, v22, v19 dst_sel:DWORD dst_unused:UNUSED_PAD src0_sel:DWORD src1_sel:WORD_1
	v_xor_b32_e32 v23, v23, v19
	v_xor_b32_sdwa v28, v28, v20 dst_sel:DWORD dst_unused:UNUSED_PAD src0_sel:DWORD src1_sel:WORD_1
	v_xor_b32_sdwa v24, v24, v21 dst_sel:DWORD dst_unused:UNUSED_PAD src0_sel:DWORD src1_sel:WORD_1
	v_xor_b32_e32 v29, v29, v20
	v_xor_b32_e32 v25, v25, v21
	s_mov_b32 s4, 0x5040100
	v_lshlrev_b32_e32 v1, 4, v0
	v_perm_b32 v25, v24, v25, s4
	v_perm_b32 v24, v28, v29, s4
	;; [unrolled: 1-line block ×4, first 2 shown]
	v_and_b32_e32 v80, 0x1e00, v60
	ds_write_b128 v1, v[22:25]
	v_or_b32_e32 v1, v74, v80
	v_lshlrev_b32_e32 v22, 1, v1
	v_lshlrev_b32_e32 v0, 6, v0
	; wave barrier
	ds_read_u16 v77, v22
	ds_read_u16 v76, v22 offset:128
	ds_read_u16 v75, v22 offset:256
	;; [unrolled: 1-line block ×7, first 2 shown]
	s_waitcnt lgkmcnt(0)
	s_barrier
	ds_write2_b64 v0, v[14:15], v[16:17] offset1:1
	ds_write2_b64 v0, v[10:11], v[12:13] offset0:2 offset1:3
	ds_write2_b64 v0, v[6:7], v[8:9] offset0:4 offset1:5
	;; [unrolled: 1-line block ×3, first 2 shown]
	v_lshlrev_b32_e32 v0, 3, v1
	; wave barrier
	ds_read2st64_b64 v[34:37], v0 offset1:1
	ds_read2st64_b64 v[30:33], v0 offset0:2 offset1:3
	ds_read2st64_b64 v[26:29], v0 offset0:4 offset1:5
	;; [unrolled: 1-line block ×3, first 2 shown]
	s_waitcnt lgkmcnt(0)
	s_barrier
	s_load_dword s16, s[48:49], 0xc
	s_getpc_b64 s[4:5]
	s_add_u32 s4, s4, _ZN7rocprim17ROCPRIM_400000_NS16block_radix_sortI12hip_bfloat16Lj128ELj8ElLj1ELj1ELj0ELNS0_26block_radix_rank_algorithmE1ELNS0_18block_padding_hintE2ELNS0_4arch9wavefront6targetE1EE19radix_bits_per_passE@rel32@lo+4
	s_addc_u32 s5, s5, _ZN7rocprim17ROCPRIM_400000_NS16block_radix_sortI12hip_bfloat16Lj128ELj8ElLj1ELj1ELj0ELNS0_26block_radix_rank_algorithmE1ELNS0_18block_padding_hintE2ELNS0_4arch9wavefront6targetE1EE19radix_bits_per_passE@rel32@hi+12
	s_load_dword s42, s[4:5], 0x0
	s_movk_i32 s17, 0x7fff
	v_mov_b32_e32 v41, 0xffff8000
	s_waitcnt lgkmcnt(0)
	s_lshr_b32 s4, s16, 16
	s_and_b32 s5, s16, 0xffff
	v_mad_u32_u24 v1, v64, s4, v63
	v_mad_u64_u32 v[38:39], s[4:5], v1, s5, v[42:43]
	s_min_u32 s4, s42, 16
	s_lshl_b32 s4, -1, s4
	v_cmp_ne_u16_e32 vcc, s17, v77
	s_not_b32 s16, s4
	v_cndmask_b32_e32 v1, v41, v77, vcc
	v_lshrrev_b32_e32 v66, 6, v38
	v_and_b32_sdwa v38, s16, v1 dst_sel:DWORD dst_unused:UNUSED_PAD src0_sel:DWORD src1_sel:WORD_0
	v_lshlrev_b32_e32 v1, 1, v38
	v_add_lshl_u32 v81, v66, v1, 2
	v_and_b32_e32 v1, 1, v38
	v_add_co_u32_e32 v39, vcc, -1, v1
	v_addc_co_u32_e64 v67, s[4:5], 0, -1, vcc
	v_cmp_ne_u32_e32 vcc, 0, v1
	v_xor_b32_e32 v1, vcc_hi, v67
	v_mov_b32_e32 v0, 0
	v_and_b32_e32 v67, exec_hi, v1
	v_lshlrev_b32_e32 v1, 30, v38
	v_xor_b32_e32 v39, vcc_lo, v39
	v_cmp_gt_i64_e32 vcc, 0, v[0:1]
	v_not_b32_e32 v1, v1
	v_ashrrev_i32_e32 v1, 31, v1
	v_and_b32_e32 v39, exec_lo, v39
	v_xor_b32_e32 v68, vcc_hi, v1
	v_xor_b32_e32 v1, vcc_lo, v1
	v_and_b32_e32 v39, v39, v1
	v_lshlrev_b32_e32 v1, 29, v38
	v_cmp_gt_i64_e32 vcc, 0, v[0:1]
	v_not_b32_e32 v1, v1
	v_ashrrev_i32_e32 v1, 31, v1
	v_and_b32_e32 v67, v67, v68
	v_xor_b32_e32 v68, vcc_hi, v1
	v_xor_b32_e32 v1, vcc_lo, v1
	v_and_b32_e32 v39, v39, v1
	v_lshlrev_b32_e32 v1, 28, v38
	v_cmp_gt_i64_e32 vcc, 0, v[0:1]
	v_not_b32_e32 v1, v1
	v_ashrrev_i32_e32 v1, 31, v1
	v_and_b32_e32 v67, v67, v68
	;; [unrolled: 8-line block ×5, first 2 shown]
	v_xor_b32_e32 v68, vcc_hi, v1
	v_xor_b32_e32 v1, vcc_lo, v1
	v_and_b32_e32 v67, v67, v68
	v_and_b32_e32 v68, v39, v1
	v_lshlrev_b32_e32 v1, 24, v38
	v_cmp_gt_i64_e32 vcc, 0, v[0:1]
	v_not_b32_e32 v1, v1
	v_ashrrev_i32_e32 v1, 31, v1
	v_xor_b32_e32 v38, vcc_hi, v1
	v_xor_b32_e32 v1, vcc_lo, v1
	v_and_b32_e32 v39, v67, v38
	v_and_b32_e32 v38, v68, v1
	v_mbcnt_lo_u32_b32 v1, v38, 0
	v_mbcnt_hi_u32_b32 v82, v39, v1
	v_cmp_eq_u32_e32 vcc, 0, v82
	v_cmp_ne_u64_e64 s[4:5], 0, v[38:39]
	s_and_b64 s[18:19], s[4:5], vcc
	ds_write2_b32 v62, v0, v0 offset0:2 offset1:3
	ds_write2_b32 v62, v0, v0 offset0:4 offset1:5
	s_waitcnt lgkmcnt(0)
	s_barrier
	s_waitcnt lgkmcnt(0)
	; wave barrier
	s_and_saveexec_b64 s[4:5], s[18:19]
	s_cbranch_execz .LBB257_46
; %bb.45:
	v_bcnt_u32_b32 v1, v38, 0
	v_bcnt_u32_b32 v1, v39, v1
	ds_write_b32 v81, v1 offset:8
.LBB257_46:
	s_or_b64 exec, exec, s[4:5]
	v_cmp_ne_u16_e32 vcc, s17, v76
	v_cndmask_b32_e32 v1, v41, v76, vcc
	v_and_b32_sdwa v38, s16, v1 dst_sel:DWORD dst_unused:UNUSED_PAD src0_sel:DWORD src1_sel:WORD_0
	v_lshlrev_b32_e32 v1, 1, v38
	v_add_lshl_u32 v84, v66, v1, 2
	v_and_b32_e32 v1, 1, v38
	v_add_co_u32_e32 v39, vcc, -1, v1
	v_addc_co_u32_e64 v41, s[4:5], 0, -1, vcc
	v_cmp_ne_u32_e32 vcc, 0, v1
	v_xor_b32_e32 v1, vcc_hi, v41
	v_and_b32_e32 v41, exec_hi, v1
	v_lshlrev_b32_e32 v1, 30, v38
	v_xor_b32_e32 v39, vcc_lo, v39
	v_cmp_gt_i64_e32 vcc, 0, v[0:1]
	v_not_b32_e32 v1, v1
	v_ashrrev_i32_e32 v1, 31, v1
	v_and_b32_e32 v39, exec_lo, v39
	v_xor_b32_e32 v67, vcc_hi, v1
	v_xor_b32_e32 v1, vcc_lo, v1
	v_and_b32_e32 v39, v39, v1
	v_lshlrev_b32_e32 v1, 29, v38
	v_cmp_gt_i64_e32 vcc, 0, v[0:1]
	v_not_b32_e32 v1, v1
	v_ashrrev_i32_e32 v1, 31, v1
	v_and_b32_e32 v41, v41, v67
	v_xor_b32_e32 v67, vcc_hi, v1
	v_xor_b32_e32 v1, vcc_lo, v1
	v_and_b32_e32 v39, v39, v1
	v_lshlrev_b32_e32 v1, 28, v38
	v_cmp_gt_i64_e32 vcc, 0, v[0:1]
	v_not_b32_e32 v1, v1
	v_ashrrev_i32_e32 v1, 31, v1
	v_and_b32_e32 v41, v41, v67
	;; [unrolled: 8-line block ×5, first 2 shown]
	v_xor_b32_e32 v67, vcc_hi, v1
	v_xor_b32_e32 v1, vcc_lo, v1
	v_and_b32_e32 v39, v39, v1
	v_lshlrev_b32_e32 v1, 24, v38
	v_cmp_gt_i64_e32 vcc, 0, v[0:1]
	v_not_b32_e32 v0, v1
	v_ashrrev_i32_e32 v0, 31, v0
	v_xor_b32_e32 v1, vcc_hi, v0
	v_xor_b32_e32 v0, vcc_lo, v0
	; wave barrier
	ds_read_b32 v83, v84 offset:8
	v_and_b32_e32 v41, v41, v67
	v_and_b32_e32 v0, v39, v0
	v_and_b32_e32 v1, v41, v1
	v_mbcnt_lo_u32_b32 v38, v0, 0
	v_mbcnt_hi_u32_b32 v85, v1, v38
	v_cmp_eq_u32_e32 vcc, 0, v85
	v_cmp_ne_u64_e64 s[4:5], 0, v[0:1]
	s_and_b64 s[18:19], s[4:5], vcc
	; wave barrier
	s_and_saveexec_b64 s[4:5], s[18:19]
	s_cbranch_execz .LBB257_48
; %bb.47:
	v_bcnt_u32_b32 v0, v0, 0
	v_bcnt_u32_b32 v0, v1, v0
	s_waitcnt lgkmcnt(0)
	v_add_u32_e32 v0, v83, v0
	ds_write_b32 v84, v0 offset:8
.LBB257_48:
	s_or_b64 exec, exec, s[4:5]
	v_mov_b32_e32 v41, 0xffff8000
	v_cmp_ne_u16_e32 vcc, s17, v75
	v_cndmask_b32_e32 v0, v41, v75, vcc
	v_and_b32_sdwa v38, s16, v0 dst_sel:DWORD dst_unused:UNUSED_PAD src0_sel:DWORD src1_sel:WORD_0
	v_and_b32_e32 v1, 1, v38
	v_add_co_u32_e32 v39, vcc, -1, v1
	v_addc_co_u32_e64 v67, s[4:5], 0, -1, vcc
	v_cmp_ne_u32_e32 vcc, 0, v1
	v_lshlrev_b32_e32 v0, 1, v38
	v_xor_b32_e32 v1, vcc_hi, v67
	v_add_lshl_u32 v87, v66, v0, 2
	v_mov_b32_e32 v0, 0
	v_and_b32_e32 v67, exec_hi, v1
	v_lshlrev_b32_e32 v1, 30, v38
	v_xor_b32_e32 v39, vcc_lo, v39
	v_cmp_gt_i64_e32 vcc, 0, v[0:1]
	v_not_b32_e32 v1, v1
	v_ashrrev_i32_e32 v1, 31, v1
	v_and_b32_e32 v39, exec_lo, v39
	v_xor_b32_e32 v68, vcc_hi, v1
	v_xor_b32_e32 v1, vcc_lo, v1
	v_and_b32_e32 v39, v39, v1
	v_lshlrev_b32_e32 v1, 29, v38
	v_cmp_gt_i64_e32 vcc, 0, v[0:1]
	v_not_b32_e32 v1, v1
	v_ashrrev_i32_e32 v1, 31, v1
	v_and_b32_e32 v67, v67, v68
	v_xor_b32_e32 v68, vcc_hi, v1
	v_xor_b32_e32 v1, vcc_lo, v1
	v_and_b32_e32 v39, v39, v1
	v_lshlrev_b32_e32 v1, 28, v38
	v_cmp_gt_i64_e32 vcc, 0, v[0:1]
	v_not_b32_e32 v1, v1
	v_ashrrev_i32_e32 v1, 31, v1
	v_and_b32_e32 v67, v67, v68
	;; [unrolled: 8-line block ×5, first 2 shown]
	v_xor_b32_e32 v68, vcc_hi, v1
	v_xor_b32_e32 v1, vcc_lo, v1
	v_and_b32_e32 v67, v67, v68
	v_and_b32_e32 v68, v39, v1
	v_lshlrev_b32_e32 v1, 24, v38
	v_cmp_gt_i64_e32 vcc, 0, v[0:1]
	v_not_b32_e32 v1, v1
	v_ashrrev_i32_e32 v1, 31, v1
	v_xor_b32_e32 v38, vcc_hi, v1
	v_xor_b32_e32 v1, vcc_lo, v1
	; wave barrier
	ds_read_b32 v86, v87 offset:8
	v_and_b32_e32 v39, v67, v38
	v_and_b32_e32 v38, v68, v1
	v_mbcnt_lo_u32_b32 v1, v38, 0
	v_mbcnt_hi_u32_b32 v88, v39, v1
	v_cmp_eq_u32_e32 vcc, 0, v88
	v_cmp_ne_u64_e64 s[4:5], 0, v[38:39]
	s_and_b64 s[18:19], s[4:5], vcc
	; wave barrier
	s_and_saveexec_b64 s[4:5], s[18:19]
	s_cbranch_execz .LBB257_50
; %bb.49:
	v_bcnt_u32_b32 v1, v38, 0
	v_bcnt_u32_b32 v1, v39, v1
	s_waitcnt lgkmcnt(0)
	v_add_u32_e32 v1, v86, v1
	ds_write_b32 v87, v1 offset:8
.LBB257_50:
	s_or_b64 exec, exec, s[4:5]
	v_cmp_ne_u16_e32 vcc, s17, v73
	v_cndmask_b32_e32 v1, v41, v73, vcc
	v_and_b32_sdwa v38, s16, v1 dst_sel:DWORD dst_unused:UNUSED_PAD src0_sel:DWORD src1_sel:WORD_0
	v_lshlrev_b32_e32 v1, 1, v38
	v_add_lshl_u32 v90, v66, v1, 2
	v_and_b32_e32 v1, 1, v38
	v_add_co_u32_e32 v39, vcc, -1, v1
	v_addc_co_u32_e64 v41, s[4:5], 0, -1, vcc
	v_cmp_ne_u32_e32 vcc, 0, v1
	v_xor_b32_e32 v1, vcc_hi, v41
	v_and_b32_e32 v41, exec_hi, v1
	v_lshlrev_b32_e32 v1, 30, v38
	v_xor_b32_e32 v39, vcc_lo, v39
	v_cmp_gt_i64_e32 vcc, 0, v[0:1]
	v_not_b32_e32 v1, v1
	v_ashrrev_i32_e32 v1, 31, v1
	v_and_b32_e32 v39, exec_lo, v39
	v_xor_b32_e32 v67, vcc_hi, v1
	v_xor_b32_e32 v1, vcc_lo, v1
	v_and_b32_e32 v39, v39, v1
	v_lshlrev_b32_e32 v1, 29, v38
	v_cmp_gt_i64_e32 vcc, 0, v[0:1]
	v_not_b32_e32 v1, v1
	v_ashrrev_i32_e32 v1, 31, v1
	v_and_b32_e32 v41, v41, v67
	v_xor_b32_e32 v67, vcc_hi, v1
	v_xor_b32_e32 v1, vcc_lo, v1
	v_and_b32_e32 v39, v39, v1
	v_lshlrev_b32_e32 v1, 28, v38
	v_cmp_gt_i64_e32 vcc, 0, v[0:1]
	v_not_b32_e32 v1, v1
	v_ashrrev_i32_e32 v1, 31, v1
	v_and_b32_e32 v41, v41, v67
	;; [unrolled: 8-line block ×5, first 2 shown]
	v_xor_b32_e32 v67, vcc_hi, v1
	v_xor_b32_e32 v1, vcc_lo, v1
	v_and_b32_e32 v39, v39, v1
	v_lshlrev_b32_e32 v1, 24, v38
	v_cmp_gt_i64_e32 vcc, 0, v[0:1]
	v_not_b32_e32 v0, v1
	v_ashrrev_i32_e32 v0, 31, v0
	v_xor_b32_e32 v1, vcc_hi, v0
	v_xor_b32_e32 v0, vcc_lo, v0
	; wave barrier
	ds_read_b32 v89, v90 offset:8
	v_and_b32_e32 v41, v41, v67
	v_and_b32_e32 v0, v39, v0
	;; [unrolled: 1-line block ×3, first 2 shown]
	v_mbcnt_lo_u32_b32 v38, v0, 0
	v_mbcnt_hi_u32_b32 v91, v1, v38
	v_cmp_eq_u32_e32 vcc, 0, v91
	v_cmp_ne_u64_e64 s[4:5], 0, v[0:1]
	s_and_b64 s[18:19], s[4:5], vcc
	; wave barrier
	s_and_saveexec_b64 s[4:5], s[18:19]
	s_cbranch_execz .LBB257_52
; %bb.51:
	v_bcnt_u32_b32 v0, v0, 0
	v_bcnt_u32_b32 v0, v1, v0
	s_waitcnt lgkmcnt(0)
	v_add_u32_e32 v0, v89, v0
	ds_write_b32 v90, v0 offset:8
.LBB257_52:
	s_or_b64 exec, exec, s[4:5]
	v_mov_b32_e32 v41, 0xffff8000
	v_cmp_ne_u16_e32 vcc, s17, v72
	v_cndmask_b32_e32 v0, v41, v72, vcc
	v_and_b32_sdwa v38, s16, v0 dst_sel:DWORD dst_unused:UNUSED_PAD src0_sel:DWORD src1_sel:WORD_0
	v_and_b32_e32 v1, 1, v38
	v_add_co_u32_e32 v39, vcc, -1, v1
	v_addc_co_u32_e64 v67, s[4:5], 0, -1, vcc
	v_cmp_ne_u32_e32 vcc, 0, v1
	v_lshlrev_b32_e32 v0, 1, v38
	v_xor_b32_e32 v1, vcc_hi, v67
	v_add_lshl_u32 v93, v66, v0, 2
	v_mov_b32_e32 v0, 0
	v_and_b32_e32 v67, exec_hi, v1
	v_lshlrev_b32_e32 v1, 30, v38
	v_xor_b32_e32 v39, vcc_lo, v39
	v_cmp_gt_i64_e32 vcc, 0, v[0:1]
	v_not_b32_e32 v1, v1
	v_ashrrev_i32_e32 v1, 31, v1
	v_and_b32_e32 v39, exec_lo, v39
	v_xor_b32_e32 v68, vcc_hi, v1
	v_xor_b32_e32 v1, vcc_lo, v1
	v_and_b32_e32 v39, v39, v1
	v_lshlrev_b32_e32 v1, 29, v38
	v_cmp_gt_i64_e32 vcc, 0, v[0:1]
	v_not_b32_e32 v1, v1
	v_ashrrev_i32_e32 v1, 31, v1
	v_and_b32_e32 v67, v67, v68
	v_xor_b32_e32 v68, vcc_hi, v1
	v_xor_b32_e32 v1, vcc_lo, v1
	v_and_b32_e32 v39, v39, v1
	v_lshlrev_b32_e32 v1, 28, v38
	v_cmp_gt_i64_e32 vcc, 0, v[0:1]
	v_not_b32_e32 v1, v1
	v_ashrrev_i32_e32 v1, 31, v1
	v_and_b32_e32 v67, v67, v68
	;; [unrolled: 8-line block ×5, first 2 shown]
	v_xor_b32_e32 v68, vcc_hi, v1
	v_xor_b32_e32 v1, vcc_lo, v1
	v_and_b32_e32 v67, v67, v68
	v_and_b32_e32 v68, v39, v1
	v_lshlrev_b32_e32 v1, 24, v38
	v_cmp_gt_i64_e32 vcc, 0, v[0:1]
	v_not_b32_e32 v1, v1
	v_ashrrev_i32_e32 v1, 31, v1
	v_xor_b32_e32 v38, vcc_hi, v1
	v_xor_b32_e32 v1, vcc_lo, v1
	; wave barrier
	ds_read_b32 v92, v93 offset:8
	v_and_b32_e32 v39, v67, v38
	v_and_b32_e32 v38, v68, v1
	v_mbcnt_lo_u32_b32 v1, v38, 0
	v_mbcnt_hi_u32_b32 v94, v39, v1
	v_cmp_eq_u32_e32 vcc, 0, v94
	v_cmp_ne_u64_e64 s[4:5], 0, v[38:39]
	s_and_b64 s[18:19], s[4:5], vcc
	; wave barrier
	s_and_saveexec_b64 s[4:5], s[18:19]
	s_cbranch_execz .LBB257_54
; %bb.53:
	v_bcnt_u32_b32 v1, v38, 0
	v_bcnt_u32_b32 v1, v39, v1
	s_waitcnt lgkmcnt(0)
	v_add_u32_e32 v1, v92, v1
	ds_write_b32 v93, v1 offset:8
.LBB257_54:
	s_or_b64 exec, exec, s[4:5]
	v_cmp_ne_u16_e32 vcc, s17, v71
	v_cndmask_b32_e32 v1, v41, v71, vcc
	v_and_b32_sdwa v38, s16, v1 dst_sel:DWORD dst_unused:UNUSED_PAD src0_sel:DWORD src1_sel:WORD_0
	v_lshlrev_b32_e32 v1, 1, v38
	v_add_lshl_u32 v96, v66, v1, 2
	v_and_b32_e32 v1, 1, v38
	v_add_co_u32_e32 v39, vcc, -1, v1
	v_addc_co_u32_e64 v41, s[4:5], 0, -1, vcc
	v_cmp_ne_u32_e32 vcc, 0, v1
	v_xor_b32_e32 v1, vcc_hi, v41
	v_and_b32_e32 v41, exec_hi, v1
	v_lshlrev_b32_e32 v1, 30, v38
	v_xor_b32_e32 v39, vcc_lo, v39
	v_cmp_gt_i64_e32 vcc, 0, v[0:1]
	v_not_b32_e32 v1, v1
	v_ashrrev_i32_e32 v1, 31, v1
	v_and_b32_e32 v39, exec_lo, v39
	v_xor_b32_e32 v67, vcc_hi, v1
	v_xor_b32_e32 v1, vcc_lo, v1
	v_and_b32_e32 v39, v39, v1
	v_lshlrev_b32_e32 v1, 29, v38
	v_cmp_gt_i64_e32 vcc, 0, v[0:1]
	v_not_b32_e32 v1, v1
	v_ashrrev_i32_e32 v1, 31, v1
	v_and_b32_e32 v41, v41, v67
	v_xor_b32_e32 v67, vcc_hi, v1
	v_xor_b32_e32 v1, vcc_lo, v1
	v_and_b32_e32 v39, v39, v1
	v_lshlrev_b32_e32 v1, 28, v38
	v_cmp_gt_i64_e32 vcc, 0, v[0:1]
	v_not_b32_e32 v1, v1
	v_ashrrev_i32_e32 v1, 31, v1
	v_and_b32_e32 v41, v41, v67
	;; [unrolled: 8-line block ×5, first 2 shown]
	v_xor_b32_e32 v67, vcc_hi, v1
	v_xor_b32_e32 v1, vcc_lo, v1
	v_and_b32_e32 v39, v39, v1
	v_lshlrev_b32_e32 v1, 24, v38
	v_cmp_gt_i64_e32 vcc, 0, v[0:1]
	v_not_b32_e32 v0, v1
	v_ashrrev_i32_e32 v0, 31, v0
	v_xor_b32_e32 v1, vcc_hi, v0
	v_xor_b32_e32 v0, vcc_lo, v0
	; wave barrier
	ds_read_b32 v95, v96 offset:8
	v_and_b32_e32 v41, v41, v67
	v_and_b32_e32 v0, v39, v0
	;; [unrolled: 1-line block ×3, first 2 shown]
	v_mbcnt_lo_u32_b32 v38, v0, 0
	v_mbcnt_hi_u32_b32 v97, v1, v38
	v_cmp_eq_u32_e32 vcc, 0, v97
	v_cmp_ne_u64_e64 s[4:5], 0, v[0:1]
	s_and_b64 s[18:19], s[4:5], vcc
	; wave barrier
	s_and_saveexec_b64 s[4:5], s[18:19]
	s_cbranch_execz .LBB257_56
; %bb.55:
	v_bcnt_u32_b32 v0, v0, 0
	v_bcnt_u32_b32 v0, v1, v0
	s_waitcnt lgkmcnt(0)
	v_add_u32_e32 v0, v95, v0
	ds_write_b32 v96, v0 offset:8
.LBB257_56:
	s_or_b64 exec, exec, s[4:5]
	v_mov_b32_e32 v41, 0xffff8000
	v_cmp_ne_u16_e32 vcc, s17, v70
	v_cndmask_b32_e32 v0, v41, v70, vcc
	v_and_b32_sdwa v38, s16, v0 dst_sel:DWORD dst_unused:UNUSED_PAD src0_sel:DWORD src1_sel:WORD_0
	v_and_b32_e32 v1, 1, v38
	v_add_co_u32_e32 v39, vcc, -1, v1
	v_addc_co_u32_e64 v67, s[4:5], 0, -1, vcc
	v_cmp_ne_u32_e32 vcc, 0, v1
	v_lshlrev_b32_e32 v0, 1, v38
	v_xor_b32_e32 v1, vcc_hi, v67
	v_add_lshl_u32 v99, v66, v0, 2
	v_mov_b32_e32 v0, 0
	v_and_b32_e32 v67, exec_hi, v1
	v_lshlrev_b32_e32 v1, 30, v38
	v_xor_b32_e32 v39, vcc_lo, v39
	v_cmp_gt_i64_e32 vcc, 0, v[0:1]
	v_not_b32_e32 v1, v1
	v_ashrrev_i32_e32 v1, 31, v1
	v_and_b32_e32 v39, exec_lo, v39
	v_xor_b32_e32 v68, vcc_hi, v1
	v_xor_b32_e32 v1, vcc_lo, v1
	v_and_b32_e32 v39, v39, v1
	v_lshlrev_b32_e32 v1, 29, v38
	v_cmp_gt_i64_e32 vcc, 0, v[0:1]
	v_not_b32_e32 v1, v1
	v_ashrrev_i32_e32 v1, 31, v1
	v_and_b32_e32 v67, v67, v68
	v_xor_b32_e32 v68, vcc_hi, v1
	v_xor_b32_e32 v1, vcc_lo, v1
	v_and_b32_e32 v39, v39, v1
	v_lshlrev_b32_e32 v1, 28, v38
	v_cmp_gt_i64_e32 vcc, 0, v[0:1]
	v_not_b32_e32 v1, v1
	v_ashrrev_i32_e32 v1, 31, v1
	v_and_b32_e32 v67, v67, v68
	;; [unrolled: 8-line block ×5, first 2 shown]
	v_xor_b32_e32 v68, vcc_hi, v1
	v_xor_b32_e32 v1, vcc_lo, v1
	v_and_b32_e32 v67, v67, v68
	v_and_b32_e32 v68, v39, v1
	v_lshlrev_b32_e32 v1, 24, v38
	v_cmp_gt_i64_e32 vcc, 0, v[0:1]
	v_not_b32_e32 v1, v1
	v_ashrrev_i32_e32 v1, 31, v1
	v_xor_b32_e32 v38, vcc_hi, v1
	v_xor_b32_e32 v1, vcc_lo, v1
	; wave barrier
	ds_read_b32 v98, v99 offset:8
	v_and_b32_e32 v39, v67, v38
	v_and_b32_e32 v38, v68, v1
	v_mbcnt_lo_u32_b32 v1, v38, 0
	v_mbcnt_hi_u32_b32 v100, v39, v1
	v_cmp_eq_u32_e32 vcc, 0, v100
	v_cmp_ne_u64_e64 s[4:5], 0, v[38:39]
	s_and_b64 s[18:19], s[4:5], vcc
	; wave barrier
	s_and_saveexec_b64 s[4:5], s[18:19]
	s_cbranch_execz .LBB257_58
; %bb.57:
	v_bcnt_u32_b32 v1, v38, 0
	v_bcnt_u32_b32 v1, v39, v1
	s_waitcnt lgkmcnt(0)
	v_add_u32_e32 v1, v98, v1
	ds_write_b32 v99, v1 offset:8
.LBB257_58:
	s_or_b64 exec, exec, s[4:5]
	v_cmp_ne_u16_e32 vcc, s17, v69
	v_cndmask_b32_e32 v1, v41, v69, vcc
	v_and_b32_sdwa v38, s16, v1 dst_sel:DWORD dst_unused:UNUSED_PAD src0_sel:DWORD src1_sel:WORD_0
	v_lshlrev_b32_e32 v1, 1, v38
	v_add_lshl_u32 v102, v66, v1, 2
	v_and_b32_e32 v1, 1, v38
	v_add_co_u32_e32 v39, vcc, -1, v1
	v_min_u32_e32 v78, 64, v40
	v_addc_co_u32_e64 v40, s[4:5], 0, -1, vcc
	v_cmp_ne_u32_e32 vcc, 0, v1
	v_xor_b32_e32 v1, vcc_hi, v40
	v_and_b32_e32 v40, exec_hi, v1
	v_lshlrev_b32_e32 v1, 30, v38
	v_xor_b32_e32 v39, vcc_lo, v39
	v_cmp_gt_i64_e32 vcc, 0, v[0:1]
	v_not_b32_e32 v1, v1
	v_ashrrev_i32_e32 v1, 31, v1
	v_and_b32_e32 v39, exec_lo, v39
	v_xor_b32_e32 v41, vcc_hi, v1
	v_xor_b32_e32 v1, vcc_lo, v1
	v_and_b32_e32 v39, v39, v1
	v_lshlrev_b32_e32 v1, 29, v38
	v_cmp_gt_i64_e32 vcc, 0, v[0:1]
	v_not_b32_e32 v1, v1
	v_ashrrev_i32_e32 v1, 31, v1
	v_and_b32_e32 v40, v40, v41
	v_xor_b32_e32 v41, vcc_hi, v1
	v_xor_b32_e32 v1, vcc_lo, v1
	v_and_b32_e32 v39, v39, v1
	v_lshlrev_b32_e32 v1, 28, v38
	v_cmp_gt_i64_e32 vcc, 0, v[0:1]
	v_not_b32_e32 v1, v1
	v_ashrrev_i32_e32 v1, 31, v1
	v_and_b32_e32 v40, v40, v41
	;; [unrolled: 8-line block ×5, first 2 shown]
	v_xor_b32_e32 v41, vcc_hi, v1
	v_xor_b32_e32 v1, vcc_lo, v1
	v_and_b32_e32 v39, v39, v1
	v_lshlrev_b32_e32 v1, 24, v38
	v_cmp_gt_i64_e32 vcc, 0, v[0:1]
	v_not_b32_e32 v0, v1
	v_ashrrev_i32_e32 v0, 31, v0
	v_xor_b32_e32 v1, vcc_hi, v0
	v_xor_b32_e32 v0, vcc_lo, v0
	; wave barrier
	ds_read_b32 v101, v102 offset:8
	v_and_b32_e32 v40, v40, v41
	v_and_b32_e32 v0, v39, v0
	;; [unrolled: 1-line block ×3, first 2 shown]
	v_mbcnt_lo_u32_b32 v38, v0, 0
	v_mbcnt_hi_u32_b32 v103, v1, v38
	v_cmp_eq_u32_e32 vcc, 0, v103
	v_cmp_ne_u64_e64 s[4:5], 0, v[0:1]
	v_or_b32_e32 v67, 8, v62
	v_lshrrev_b32_e32 v68, 6, v42
	s_and_b64 s[16:17], s[4:5], vcc
	; wave barrier
	s_and_saveexec_b64 s[4:5], s[16:17]
	s_cbranch_execz .LBB257_60
; %bb.59:
	v_bcnt_u32_b32 v0, v0, 0
	v_bcnt_u32_b32 v0, v1, v0
	s_waitcnt lgkmcnt(0)
	v_add_u32_e32 v0, v101, v0
	ds_write_b32 v102, v0 offset:8
.LBB257_60:
	s_or_b64 exec, exec, s[4:5]
	; wave barrier
	s_waitcnt lgkmcnt(0)
	s_barrier
	ds_read2_b32 v[38:39], v62 offset0:2 offset1:3
	ds_read2_b32 v[40:41], v67 offset0:2 offset1:3
	v_and_b32_e32 v1, 16, v74
	v_cmp_eq_u32_e32 vcc, 0, v1
	v_or_b32_e32 v1, 63, v78
	v_cmp_eq_u32_e64 s[16:17], v1, v42
	s_waitcnt lgkmcnt(1)
	v_add_u32_e32 v1, v39, v38
	v_and_b32_e32 v0, 15, v74
	s_waitcnt lgkmcnt(0)
	v_add3_u32 v1, v1, v40, v41
	v_cmp_eq_u32_e64 s[20:21], 0, v0
	v_cmp_lt_u32_e64 s[22:23], 1, v0
	v_mov_b32_dpp v41, v1 row_shr:1 row_mask:0xf bank_mask:0xf
	v_cndmask_b32_e64 v41, v41, 0, s[20:21]
	v_add_u32_e32 v1, v41, v1
	v_cmp_lt_u32_e64 s[26:27], 3, v0
	v_cmp_lt_u32_e64 s[28:29], 7, v0
	v_mov_b32_dpp v41, v1 row_shr:2 row_mask:0xf bank_mask:0xf
	v_cndmask_b32_e64 v41, 0, v41, s[22:23]
	v_add_u32_e32 v1, v1, v41
	v_bfe_i32 v79, v74, 4, 1
	v_cmp_lt_u32_e64 s[34:35], 31, v74
	v_mov_b32_dpp v41, v1 row_shr:4 row_mask:0xf bank_mask:0xf
	v_cndmask_b32_e64 v41, 0, v41, s[26:27]
	v_add_u32_e32 v1, v1, v41
	v_lshlrev_b32_e32 v68, 2, v68
	s_nop 0
	v_mov_b32_dpp v41, v1 row_shr:8 row_mask:0xf bank_mask:0xf
	v_cndmask_b32_e64 v0, 0, v41, s[28:29]
	v_add_u32_e32 v0, v1, v0
	s_nop 1
	v_mov_b32_dpp v1, v0 row_bcast:15 row_mask:0xf bank_mask:0xf
	v_and_b32_e32 v1, v79, v1
	v_add_u32_e32 v0, v0, v1
	s_nop 1
	v_mov_b32_dpp v1, v0 row_bcast:31 row_mask:0xf bank_mask:0xf
	v_cndmask_b32_e64 v1, 0, v1, s[34:35]
	v_add_u32_e32 v1, v0, v1
	s_and_saveexec_b64 s[4:5], s[16:17]
	s_cbranch_execz .LBB257_62
; %bb.61:
	ds_write_b32 v68, v1
.LBB257_62:
	s_or_b64 exec, exec, s[4:5]
	v_and_b32_e32 v0, 1, v74
	v_cmp_gt_u32_e64 s[24:25], 2, v42
	v_lshlrev_b32_e32 v41, 2, v42
	v_cmp_eq_u32_e64 s[18:19], 0, v0
	s_waitcnt lgkmcnt(0)
	s_barrier
	s_and_saveexec_b64 s[4:5], s[24:25]
	s_cbranch_execz .LBB257_64
; %bb.63:
	ds_read_b32 v0, v41
	s_waitcnt lgkmcnt(0)
	s_nop 0
	v_mov_b32_dpp v78, v0 row_shr:1 row_mask:0xf bank_mask:0xf
	v_cndmask_b32_e64 v78, v78, 0, s[18:19]
	v_add_u32_e32 v0, v78, v0
	ds_write_b32 v41, v0
.LBB257_64:
	s_or_b64 exec, exec, s[4:5]
	v_cmp_lt_u32_e64 s[30:31], 63, v42
	v_add_u32_e32 v78, -4, v68
	v_mov_b32_e32 v0, 0
	v_mov_b32_e32 v104, 0
	s_waitcnt lgkmcnt(0)
	s_barrier
	s_and_saveexec_b64 s[4:5], s[30:31]
	s_cbranch_execz .LBB257_66
; %bb.65:
	ds_read_b32 v104, v78
.LBB257_66:
	s_or_b64 exec, exec, s[4:5]
	v_add_u32_e32 v79, -1, v74
	v_and_b32_e32 v105, 64, v74
	v_cmp_lt_i32_e64 s[4:5], v79, v105
	v_cndmask_b32_e64 v79, v79, v74, s[4:5]
	v_lshlrev_b32_e32 v79, 2, v79
	s_waitcnt lgkmcnt(0)
	v_add_u32_e32 v1, v104, v1
	ds_bpermute_b32 v1, v79, v1
	v_cmp_eq_u32_e64 s[36:37], 0, v74
	v_cmp_eq_u32_e64 s[38:39], 0, v42
	v_and_or_b32 v80, v74, 63, v80
	v_lshlrev_b32_e32 v105, 1, v80
	s_waitcnt lgkmcnt(0)
	v_cndmask_b32_e64 v1, v1, v104, s[36:37]
	v_cndmask_b32_e64 v1, v1, 0, s[38:39]
	v_add_u32_e32 v38, v1, v38
	v_add_u32_e32 v39, v38, v39
	;; [unrolled: 1-line block ×3, first 2 shown]
	ds_write2_b32 v62, v1, v38 offset0:2 offset1:3
	ds_write2_b32 v67, v39, v40 offset0:2 offset1:3
	s_waitcnt lgkmcnt(0)
	s_barrier
	ds_read_b32 v1, v81 offset:8
	ds_read_b32 v38, v84 offset:8
	;; [unrolled: 1-line block ×8, first 2 shown]
	s_waitcnt lgkmcnt(7)
	v_add_u32_e32 v1, v1, v82
	s_waitcnt lgkmcnt(6)
	v_add3_u32 v38, v85, v83, v38
	s_waitcnt lgkmcnt(4)
	v_add3_u32 v82, v91, v89, v40
	v_lshlrev_b32_e32 v40, 1, v1
	v_add3_u32 v39, v88, v86, v39
	s_waitcnt lgkmcnt(0)
	s_barrier
	ds_write_b16 v40, v77
	v_lshlrev_b32_e32 v40, 1, v38
	ds_write_b16 v40, v76
	v_lshlrev_b32_e32 v40, 1, v39
	v_add3_u32 v83, v94, v92, v74
	ds_write_b16 v40, v75
	v_lshlrev_b32_e32 v40, 1, v82
	v_add3_u32 v81, v97, v95, v81
	;; [unrolled: 3-line block ×4, first 2 shown]
	ds_write_b16 v40, v71
	v_lshlrev_b32_e32 v40, 1, v84
	ds_write_b16 v40, v70
	v_lshlrev_b32_e32 v40, 1, v85
	v_lshlrev_b32_e32 v1, 3, v1
	ds_write_b16 v40, v69
	s_waitcnt lgkmcnt(0)
	s_barrier
	ds_read_u16 v75, v105
	ds_read_u16 v74, v105 offset:128
	ds_read_u16 v73, v105 offset:256
	;; [unrolled: 1-line block ×7, first 2 shown]
	s_waitcnt lgkmcnt(0)
	s_barrier
	ds_write_b64 v1, v[34:35]
	v_lshlrev_b32_e32 v1, 3, v38
	ds_write_b64 v1, v[36:37]
	v_lshlrev_b32_e32 v1, 3, v39
	;; [unrolled: 2-line block ×6, first 2 shown]
	s_min_u32 s4, s42, 8
	ds_write_b64 v1, v[22:23]
	v_lshlrev_b32_e32 v1, 3, v85
	s_lshl_b32 s4, -1, s4
	s_movk_i32 s54, 0x7fff
	ds_write_b64 v1, v[24:25]
	s_not_b32 s53, s4
	v_lshrrev_b16_e32 v1, 8, v75
	v_mov_b32_e32 v38, 0x80
	v_cmp_ne_u16_e64 s[4:5], s54, v75
	v_cndmask_b32_e64 v1, v38, v1, s[4:5]
	v_and_b32_sdwa v39, v1, s53 dst_sel:DWORD dst_unused:UNUSED_PAD src0_sel:WORD_0 src1_sel:DWORD
	v_lshlrev_b32_e32 v1, 1, v39
	v_add_lshl_u32 v76, v1, v66, 2
	v_and_b32_e32 v1, 1, v39
	v_lshlrev_b32_e32 v80, 3, v80
	v_add_co_u32_e64 v77, s[4:5], -1, v1
	s_waitcnt lgkmcnt(0)
	s_barrier
	ds_read2st64_b64 v[34:37], v80 offset1:1
	ds_read2st64_b64 v[30:33], v80 offset0:2 offset1:3
	ds_read2st64_b64 v[26:29], v80 offset0:4 offset1:5
	;; [unrolled: 1-line block ×3, first 2 shown]
	v_addc_co_u32_e64 v80, s[4:5], 0, -1, s[4:5]
	v_cmp_ne_u32_e64 s[4:5], 0, v1
	v_xor_b32_e32 v1, s5, v80
	v_and_b32_e32 v80, exec_hi, v1
	v_lshlrev_b32_e32 v1, 30, v39
	v_xor_b32_e32 v77, s4, v77
	v_cmp_gt_i64_e64 s[4:5], 0, v[0:1]
	v_not_b32_e32 v1, v1
	v_ashrrev_i32_e32 v1, 31, v1
	v_and_b32_e32 v77, exec_lo, v77
	v_xor_b32_e32 v81, s5, v1
	v_xor_b32_e32 v1, s4, v1
	v_and_b32_e32 v77, v77, v1
	v_lshlrev_b32_e32 v1, 29, v39
	v_cmp_gt_i64_e64 s[4:5], 0, v[0:1]
	v_not_b32_e32 v1, v1
	v_ashrrev_i32_e32 v1, 31, v1
	v_and_b32_e32 v80, v80, v81
	v_xor_b32_e32 v81, s5, v1
	v_xor_b32_e32 v1, s4, v1
	v_and_b32_e32 v77, v77, v1
	v_lshlrev_b32_e32 v1, 28, v39
	v_cmp_gt_i64_e64 s[4:5], 0, v[0:1]
	v_not_b32_e32 v1, v1
	v_ashrrev_i32_e32 v1, 31, v1
	v_and_b32_e32 v80, v80, v81
	;; [unrolled: 8-line block ×5, first 2 shown]
	v_xor_b32_e32 v81, s5, v1
	v_xor_b32_e32 v1, s4, v1
	v_and_b32_e32 v77, v77, v1
	v_lshlrev_b32_e32 v1, 24, v39
	s_waitcnt lgkmcnt(0)
	s_barrier
	ds_write2_b32 v62, v0, v0 offset0:2 offset1:3
	ds_write2_b32 v67, v0, v0 offset0:2 offset1:3
	v_cmp_gt_i64_e64 s[4:5], 0, v[0:1]
	v_not_b32_e32 v0, v1
	v_ashrrev_i32_e32 v0, 31, v0
	v_xor_b32_e32 v1, s5, v0
	v_xor_b32_e32 v0, s4, v0
	v_and_b32_e32 v80, v80, v81
	v_and_b32_e32 v0, v77, v0
	;; [unrolled: 1-line block ×3, first 2 shown]
	v_mbcnt_lo_u32_b32 v39, v0, 0
	v_mbcnt_hi_u32_b32 v77, v1, v39
	v_cmp_eq_u32_e64 s[4:5], 0, v77
	v_cmp_ne_u64_e64 s[42:43], 0, v[0:1]
	s_and_b64 s[42:43], s[42:43], s[4:5]
	s_waitcnt lgkmcnt(0)
	s_barrier
	s_waitcnt lgkmcnt(0)
	; wave barrier
	s_and_saveexec_b64 s[4:5], s[42:43]
	s_cbranch_execz .LBB257_68
; %bb.67:
	v_bcnt_u32_b32 v0, v0, 0
	v_bcnt_u32_b32 v0, v1, v0
	ds_write_b32 v76, v0 offset:8
.LBB257_68:
	s_or_b64 exec, exec, s[4:5]
	v_lshrrev_b16_e32 v0, 8, v74
	v_cmp_ne_u16_e64 s[4:5], s54, v74
	v_cndmask_b32_e64 v0, v38, v0, s[4:5]
	v_and_b32_e32 v38, s53, v0
	v_and_b32_e32 v1, 1, v38
	v_add_co_u32_e64 v39, s[4:5], -1, v1
	v_addc_co_u32_e64 v82, s[4:5], 0, -1, s[4:5]
	v_cmp_ne_u32_e64 s[4:5], 0, v1
	v_lshlrev_b32_e32 v0, 1, v38
	v_xor_b32_e32 v1, s5, v82
	v_add_lshl_u32 v81, v0, v66, 2
	v_mov_b32_e32 v0, 0
	v_and_b32_e32 v82, exec_hi, v1
	v_lshlrev_b32_e32 v1, 30, v38
	v_xor_b32_e32 v39, s4, v39
	v_cmp_gt_i64_e64 s[4:5], 0, v[0:1]
	v_not_b32_e32 v1, v1
	v_ashrrev_i32_e32 v1, 31, v1
	v_and_b32_e32 v39, exec_lo, v39
	v_xor_b32_e32 v83, s5, v1
	v_xor_b32_e32 v1, s4, v1
	v_and_b32_e32 v39, v39, v1
	v_lshlrev_b32_e32 v1, 29, v38
	v_cmp_gt_i64_e64 s[4:5], 0, v[0:1]
	v_not_b32_e32 v1, v1
	v_ashrrev_i32_e32 v1, 31, v1
	v_and_b32_e32 v82, v82, v83
	v_xor_b32_e32 v83, s5, v1
	v_xor_b32_e32 v1, s4, v1
	v_and_b32_e32 v39, v39, v1
	v_lshlrev_b32_e32 v1, 28, v38
	v_cmp_gt_i64_e64 s[4:5], 0, v[0:1]
	v_not_b32_e32 v1, v1
	v_ashrrev_i32_e32 v1, 31, v1
	v_and_b32_e32 v82, v82, v83
	;; [unrolled: 8-line block ×5, first 2 shown]
	v_xor_b32_e32 v83, s5, v1
	v_xor_b32_e32 v1, s4, v1
	v_and_b32_e32 v82, v82, v83
	v_and_b32_e32 v83, v39, v1
	v_lshlrev_b32_e32 v1, 24, v38
	v_cmp_gt_i64_e64 s[4:5], 0, v[0:1]
	v_not_b32_e32 v1, v1
	v_ashrrev_i32_e32 v1, 31, v1
	v_xor_b32_e32 v38, s5, v1
	v_xor_b32_e32 v1, s4, v1
	; wave barrier
	ds_read_b32 v80, v81 offset:8
	v_and_b32_e32 v39, v82, v38
	v_and_b32_e32 v38, v83, v1
	v_mbcnt_lo_u32_b32 v1, v38, 0
	v_mbcnt_hi_u32_b32 v82, v39, v1
	v_cmp_eq_u32_e64 s[4:5], 0, v82
	v_cmp_ne_u64_e64 s[42:43], 0, v[38:39]
	s_and_b64 s[42:43], s[42:43], s[4:5]
	; wave barrier
	s_and_saveexec_b64 s[4:5], s[42:43]
	s_cbranch_execz .LBB257_70
; %bb.69:
	v_bcnt_u32_b32 v1, v38, 0
	v_bcnt_u32_b32 v1, v39, v1
	s_waitcnt lgkmcnt(0)
	v_add_u32_e32 v1, v80, v1
	ds_write_b32 v81, v1 offset:8
.LBB257_70:
	s_or_b64 exec, exec, s[4:5]
	v_lshrrev_b16_e32 v1, 8, v73
	v_mov_b32_e32 v38, 0x80
	v_cmp_ne_u16_e64 s[4:5], s54, v73
	v_cndmask_b32_e64 v1, v38, v1, s[4:5]
	v_and_b32_e32 v39, s53, v1
	v_lshlrev_b32_e32 v1, 1, v39
	v_add_lshl_u32 v84, v1, v66, 2
	v_and_b32_e32 v1, 1, v39
	v_add_co_u32_e64 v85, s[4:5], -1, v1
	v_addc_co_u32_e64 v86, s[4:5], 0, -1, s[4:5]
	v_cmp_ne_u32_e64 s[4:5], 0, v1
	v_xor_b32_e32 v1, s5, v86
	v_and_b32_e32 v86, exec_hi, v1
	v_lshlrev_b32_e32 v1, 30, v39
	v_xor_b32_e32 v85, s4, v85
	v_cmp_gt_i64_e64 s[4:5], 0, v[0:1]
	v_not_b32_e32 v1, v1
	v_ashrrev_i32_e32 v1, 31, v1
	v_and_b32_e32 v85, exec_lo, v85
	v_xor_b32_e32 v87, s5, v1
	v_xor_b32_e32 v1, s4, v1
	v_and_b32_e32 v85, v85, v1
	v_lshlrev_b32_e32 v1, 29, v39
	v_cmp_gt_i64_e64 s[4:5], 0, v[0:1]
	v_not_b32_e32 v1, v1
	v_ashrrev_i32_e32 v1, 31, v1
	v_and_b32_e32 v86, v86, v87
	v_xor_b32_e32 v87, s5, v1
	v_xor_b32_e32 v1, s4, v1
	v_and_b32_e32 v85, v85, v1
	v_lshlrev_b32_e32 v1, 28, v39
	v_cmp_gt_i64_e64 s[4:5], 0, v[0:1]
	v_not_b32_e32 v1, v1
	v_ashrrev_i32_e32 v1, 31, v1
	v_and_b32_e32 v86, v86, v87
	;; [unrolled: 8-line block ×5, first 2 shown]
	v_xor_b32_e32 v87, s5, v1
	v_xor_b32_e32 v1, s4, v1
	v_and_b32_e32 v85, v85, v1
	v_lshlrev_b32_e32 v1, 24, v39
	v_cmp_gt_i64_e64 s[4:5], 0, v[0:1]
	v_not_b32_e32 v0, v1
	v_ashrrev_i32_e32 v0, 31, v0
	v_xor_b32_e32 v1, s5, v0
	v_xor_b32_e32 v0, s4, v0
	; wave barrier
	ds_read_b32 v83, v84 offset:8
	v_and_b32_e32 v86, v86, v87
	v_and_b32_e32 v0, v85, v0
	;; [unrolled: 1-line block ×3, first 2 shown]
	v_mbcnt_lo_u32_b32 v39, v0, 0
	v_mbcnt_hi_u32_b32 v85, v1, v39
	v_cmp_eq_u32_e64 s[4:5], 0, v85
	v_cmp_ne_u64_e64 s[42:43], 0, v[0:1]
	s_and_b64 s[42:43], s[42:43], s[4:5]
	; wave barrier
	s_and_saveexec_b64 s[4:5], s[42:43]
	s_cbranch_execz .LBB257_72
; %bb.71:
	v_bcnt_u32_b32 v0, v0, 0
	v_bcnt_u32_b32 v0, v1, v0
	s_waitcnt lgkmcnt(0)
	v_add_u32_e32 v0, v83, v0
	ds_write_b32 v84, v0 offset:8
.LBB257_72:
	s_or_b64 exec, exec, s[4:5]
	v_lshrrev_b16_e32 v0, 8, v72
	v_cmp_ne_u16_e64 s[4:5], s54, v72
	v_cndmask_b32_e64 v0, v38, v0, s[4:5]
	v_and_b32_e32 v38, s53, v0
	v_and_b32_e32 v1, 1, v38
	v_add_co_u32_e64 v39, s[4:5], -1, v1
	v_addc_co_u32_e64 v88, s[4:5], 0, -1, s[4:5]
	v_cmp_ne_u32_e64 s[4:5], 0, v1
	v_lshlrev_b32_e32 v0, 1, v38
	v_xor_b32_e32 v1, s5, v88
	v_add_lshl_u32 v87, v0, v66, 2
	v_mov_b32_e32 v0, 0
	v_and_b32_e32 v88, exec_hi, v1
	v_lshlrev_b32_e32 v1, 30, v38
	v_xor_b32_e32 v39, s4, v39
	v_cmp_gt_i64_e64 s[4:5], 0, v[0:1]
	v_not_b32_e32 v1, v1
	v_ashrrev_i32_e32 v1, 31, v1
	v_and_b32_e32 v39, exec_lo, v39
	v_xor_b32_e32 v89, s5, v1
	v_xor_b32_e32 v1, s4, v1
	v_and_b32_e32 v39, v39, v1
	v_lshlrev_b32_e32 v1, 29, v38
	v_cmp_gt_i64_e64 s[4:5], 0, v[0:1]
	v_not_b32_e32 v1, v1
	v_ashrrev_i32_e32 v1, 31, v1
	v_and_b32_e32 v88, v88, v89
	v_xor_b32_e32 v89, s5, v1
	v_xor_b32_e32 v1, s4, v1
	v_and_b32_e32 v39, v39, v1
	v_lshlrev_b32_e32 v1, 28, v38
	v_cmp_gt_i64_e64 s[4:5], 0, v[0:1]
	v_not_b32_e32 v1, v1
	v_ashrrev_i32_e32 v1, 31, v1
	v_and_b32_e32 v88, v88, v89
	;; [unrolled: 8-line block ×5, first 2 shown]
	v_xor_b32_e32 v89, s5, v1
	v_xor_b32_e32 v1, s4, v1
	v_and_b32_e32 v88, v88, v89
	v_and_b32_e32 v89, v39, v1
	v_lshlrev_b32_e32 v1, 24, v38
	v_cmp_gt_i64_e64 s[4:5], 0, v[0:1]
	v_not_b32_e32 v1, v1
	v_ashrrev_i32_e32 v1, 31, v1
	v_xor_b32_e32 v38, s5, v1
	v_xor_b32_e32 v1, s4, v1
	; wave barrier
	ds_read_b32 v86, v87 offset:8
	v_and_b32_e32 v39, v88, v38
	v_and_b32_e32 v38, v89, v1
	v_mbcnt_lo_u32_b32 v1, v38, 0
	v_mbcnt_hi_u32_b32 v88, v39, v1
	v_cmp_eq_u32_e64 s[4:5], 0, v88
	v_cmp_ne_u64_e64 s[42:43], 0, v[38:39]
	s_and_b64 s[42:43], s[42:43], s[4:5]
	; wave barrier
	s_and_saveexec_b64 s[4:5], s[42:43]
	s_cbranch_execz .LBB257_74
; %bb.73:
	v_bcnt_u32_b32 v1, v38, 0
	v_bcnt_u32_b32 v1, v39, v1
	s_waitcnt lgkmcnt(0)
	v_add_u32_e32 v1, v86, v1
	ds_write_b32 v87, v1 offset:8
.LBB257_74:
	s_or_b64 exec, exec, s[4:5]
	v_lshrrev_b16_e32 v1, 8, v71
	v_mov_b32_e32 v38, 0x80
	v_cmp_ne_u16_e64 s[4:5], s54, v71
	v_cndmask_b32_e64 v1, v38, v1, s[4:5]
	v_and_b32_e32 v39, s53, v1
	v_lshlrev_b32_e32 v1, 1, v39
	v_add_lshl_u32 v90, v1, v66, 2
	v_and_b32_e32 v1, 1, v39
	v_add_co_u32_e64 v91, s[4:5], -1, v1
	v_addc_co_u32_e64 v92, s[4:5], 0, -1, s[4:5]
	v_cmp_ne_u32_e64 s[4:5], 0, v1
	v_xor_b32_e32 v1, s5, v92
	v_and_b32_e32 v92, exec_hi, v1
	v_lshlrev_b32_e32 v1, 30, v39
	v_xor_b32_e32 v91, s4, v91
	v_cmp_gt_i64_e64 s[4:5], 0, v[0:1]
	v_not_b32_e32 v1, v1
	v_ashrrev_i32_e32 v1, 31, v1
	v_and_b32_e32 v91, exec_lo, v91
	v_xor_b32_e32 v93, s5, v1
	v_xor_b32_e32 v1, s4, v1
	v_and_b32_e32 v91, v91, v1
	v_lshlrev_b32_e32 v1, 29, v39
	v_cmp_gt_i64_e64 s[4:5], 0, v[0:1]
	v_not_b32_e32 v1, v1
	v_ashrrev_i32_e32 v1, 31, v1
	v_and_b32_e32 v92, v92, v93
	v_xor_b32_e32 v93, s5, v1
	v_xor_b32_e32 v1, s4, v1
	v_and_b32_e32 v91, v91, v1
	v_lshlrev_b32_e32 v1, 28, v39
	v_cmp_gt_i64_e64 s[4:5], 0, v[0:1]
	v_not_b32_e32 v1, v1
	v_ashrrev_i32_e32 v1, 31, v1
	v_and_b32_e32 v92, v92, v93
	v_xor_b32_e32 v93, s5, v1
	v_xor_b32_e32 v1, s4, v1
	v_and_b32_e32 v91, v91, v1
	v_lshlrev_b32_e32 v1, 27, v39
	v_cmp_gt_i64_e64 s[4:5], 0, v[0:1]
	v_not_b32_e32 v1, v1
	v_ashrrev_i32_e32 v1, 31, v1
	v_and_b32_e32 v92, v92, v93
	v_xor_b32_e32 v93, s5, v1
	v_xor_b32_e32 v1, s4, v1
	v_and_b32_e32 v91, v91, v1
	v_lshlrev_b32_e32 v1, 26, v39
	v_cmp_gt_i64_e64 s[4:5], 0, v[0:1]
	v_not_b32_e32 v1, v1
	v_ashrrev_i32_e32 v1, 31, v1
	v_and_b32_e32 v92, v92, v93
	v_xor_b32_e32 v93, s5, v1
	v_xor_b32_e32 v1, s4, v1
	v_and_b32_e32 v91, v91, v1
	v_lshlrev_b32_e32 v1, 25, v39
	v_cmp_gt_i64_e64 s[4:5], 0, v[0:1]
	v_not_b32_e32 v1, v1
	v_ashrrev_i32_e32 v1, 31, v1
	v_and_b32_e32 v92, v92, v93
	v_xor_b32_e32 v93, s5, v1
	v_xor_b32_e32 v1, s4, v1
	v_and_b32_e32 v91, v91, v1
	v_lshlrev_b32_e32 v1, 24, v39
	v_cmp_gt_i64_e64 s[4:5], 0, v[0:1]
	v_not_b32_e32 v0, v1
	v_ashrrev_i32_e32 v0, 31, v0
	v_xor_b32_e32 v1, s5, v0
	v_xor_b32_e32 v0, s4, v0
	; wave barrier
	ds_read_b32 v89, v90 offset:8
	v_and_b32_e32 v92, v92, v93
	v_and_b32_e32 v0, v91, v0
	;; [unrolled: 1-line block ×3, first 2 shown]
	v_mbcnt_lo_u32_b32 v39, v0, 0
	v_mbcnt_hi_u32_b32 v91, v1, v39
	v_cmp_eq_u32_e64 s[4:5], 0, v91
	v_cmp_ne_u64_e64 s[42:43], 0, v[0:1]
	s_and_b64 s[42:43], s[42:43], s[4:5]
	; wave barrier
	s_and_saveexec_b64 s[4:5], s[42:43]
	s_cbranch_execz .LBB257_76
; %bb.75:
	v_bcnt_u32_b32 v0, v0, 0
	v_bcnt_u32_b32 v0, v1, v0
	s_waitcnt lgkmcnt(0)
	v_add_u32_e32 v0, v89, v0
	ds_write_b32 v90, v0 offset:8
.LBB257_76:
	s_or_b64 exec, exec, s[4:5]
	v_lshrrev_b16_e32 v0, 8, v70
	v_cmp_ne_u16_e64 s[4:5], s54, v70
	v_cndmask_b32_e64 v0, v38, v0, s[4:5]
	v_and_b32_e32 v38, s53, v0
	v_and_b32_e32 v1, 1, v38
	v_add_co_u32_e64 v39, s[4:5], -1, v1
	v_addc_co_u32_e64 v94, s[4:5], 0, -1, s[4:5]
	v_cmp_ne_u32_e64 s[4:5], 0, v1
	v_lshlrev_b32_e32 v0, 1, v38
	v_xor_b32_e32 v1, s5, v94
	v_add_lshl_u32 v93, v0, v66, 2
	v_mov_b32_e32 v0, 0
	v_and_b32_e32 v94, exec_hi, v1
	v_lshlrev_b32_e32 v1, 30, v38
	v_xor_b32_e32 v39, s4, v39
	v_cmp_gt_i64_e64 s[4:5], 0, v[0:1]
	v_not_b32_e32 v1, v1
	v_ashrrev_i32_e32 v1, 31, v1
	v_and_b32_e32 v39, exec_lo, v39
	v_xor_b32_e32 v95, s5, v1
	v_xor_b32_e32 v1, s4, v1
	v_and_b32_e32 v39, v39, v1
	v_lshlrev_b32_e32 v1, 29, v38
	v_cmp_gt_i64_e64 s[4:5], 0, v[0:1]
	v_not_b32_e32 v1, v1
	v_ashrrev_i32_e32 v1, 31, v1
	v_and_b32_e32 v94, v94, v95
	v_xor_b32_e32 v95, s5, v1
	v_xor_b32_e32 v1, s4, v1
	v_and_b32_e32 v39, v39, v1
	v_lshlrev_b32_e32 v1, 28, v38
	v_cmp_gt_i64_e64 s[4:5], 0, v[0:1]
	v_not_b32_e32 v1, v1
	v_ashrrev_i32_e32 v1, 31, v1
	v_and_b32_e32 v94, v94, v95
	;; [unrolled: 8-line block ×5, first 2 shown]
	v_xor_b32_e32 v95, s5, v1
	v_xor_b32_e32 v1, s4, v1
	v_and_b32_e32 v94, v94, v95
	v_and_b32_e32 v95, v39, v1
	v_lshlrev_b32_e32 v1, 24, v38
	v_cmp_gt_i64_e64 s[4:5], 0, v[0:1]
	v_not_b32_e32 v1, v1
	v_ashrrev_i32_e32 v1, 31, v1
	v_xor_b32_e32 v38, s5, v1
	v_xor_b32_e32 v1, s4, v1
	; wave barrier
	ds_read_b32 v92, v93 offset:8
	v_and_b32_e32 v39, v94, v38
	v_and_b32_e32 v38, v95, v1
	v_mbcnt_lo_u32_b32 v1, v38, 0
	v_mbcnt_hi_u32_b32 v94, v39, v1
	v_cmp_eq_u32_e64 s[4:5], 0, v94
	v_cmp_ne_u64_e64 s[42:43], 0, v[38:39]
	s_and_b64 s[42:43], s[42:43], s[4:5]
	; wave barrier
	s_and_saveexec_b64 s[4:5], s[42:43]
	s_cbranch_execz .LBB257_78
; %bb.77:
	v_bcnt_u32_b32 v1, v38, 0
	v_bcnt_u32_b32 v1, v39, v1
	s_waitcnt lgkmcnt(0)
	v_add_u32_e32 v1, v92, v1
	ds_write_b32 v93, v1 offset:8
.LBB257_78:
	s_or_b64 exec, exec, s[4:5]
	v_lshrrev_b16_e32 v1, 8, v69
	v_mov_b32_e32 v38, 0x80
	v_cmp_ne_u16_e64 s[4:5], s54, v69
	v_cndmask_b32_e64 v1, v38, v1, s[4:5]
	v_and_b32_e32 v39, s53, v1
	v_lshlrev_b32_e32 v1, 1, v39
	v_add_lshl_u32 v96, v1, v66, 2
	v_and_b32_e32 v1, 1, v39
	v_add_co_u32_e64 v97, s[4:5], -1, v1
	v_addc_co_u32_e64 v98, s[4:5], 0, -1, s[4:5]
	v_cmp_ne_u32_e64 s[4:5], 0, v1
	v_xor_b32_e32 v1, s5, v98
	v_and_b32_e32 v98, exec_hi, v1
	v_lshlrev_b32_e32 v1, 30, v39
	v_xor_b32_e32 v97, s4, v97
	v_cmp_gt_i64_e64 s[4:5], 0, v[0:1]
	v_not_b32_e32 v1, v1
	v_ashrrev_i32_e32 v1, 31, v1
	v_and_b32_e32 v97, exec_lo, v97
	v_xor_b32_e32 v99, s5, v1
	v_xor_b32_e32 v1, s4, v1
	v_and_b32_e32 v97, v97, v1
	v_lshlrev_b32_e32 v1, 29, v39
	v_cmp_gt_i64_e64 s[4:5], 0, v[0:1]
	v_not_b32_e32 v1, v1
	v_ashrrev_i32_e32 v1, 31, v1
	v_and_b32_e32 v98, v98, v99
	v_xor_b32_e32 v99, s5, v1
	v_xor_b32_e32 v1, s4, v1
	v_and_b32_e32 v97, v97, v1
	v_lshlrev_b32_e32 v1, 28, v39
	v_cmp_gt_i64_e64 s[4:5], 0, v[0:1]
	v_not_b32_e32 v1, v1
	v_ashrrev_i32_e32 v1, 31, v1
	v_and_b32_e32 v98, v98, v99
	;; [unrolled: 8-line block ×5, first 2 shown]
	v_xor_b32_e32 v99, s5, v1
	v_xor_b32_e32 v1, s4, v1
	v_and_b32_e32 v97, v97, v1
	v_lshlrev_b32_e32 v1, 24, v39
	v_cmp_gt_i64_e64 s[4:5], 0, v[0:1]
	v_not_b32_e32 v0, v1
	v_ashrrev_i32_e32 v0, 31, v0
	v_xor_b32_e32 v1, s5, v0
	v_xor_b32_e32 v0, s4, v0
	; wave barrier
	ds_read_b32 v95, v96 offset:8
	v_and_b32_e32 v98, v98, v99
	v_and_b32_e32 v0, v97, v0
	;; [unrolled: 1-line block ×3, first 2 shown]
	v_mbcnt_lo_u32_b32 v39, v0, 0
	v_mbcnt_hi_u32_b32 v97, v1, v39
	v_cmp_eq_u32_e64 s[4:5], 0, v97
	v_cmp_ne_u64_e64 s[42:43], 0, v[0:1]
	s_and_b64 s[42:43], s[42:43], s[4:5]
	; wave barrier
	s_and_saveexec_b64 s[4:5], s[42:43]
	s_cbranch_execz .LBB257_80
; %bb.79:
	v_bcnt_u32_b32 v0, v0, 0
	v_bcnt_u32_b32 v0, v1, v0
	s_waitcnt lgkmcnt(0)
	v_add_u32_e32 v0, v95, v0
	ds_write_b32 v96, v0 offset:8
.LBB257_80:
	s_or_b64 exec, exec, s[4:5]
	v_lshrrev_b16_e32 v0, 8, v40
	v_cmp_ne_u16_e64 s[4:5], s54, v40
	v_cndmask_b32_e64 v0, v38, v0, s[4:5]
	v_and_b32_e32 v38, s53, v0
	v_and_b32_e32 v1, 1, v38
	v_add_co_u32_e64 v39, s[4:5], -1, v1
	v_addc_co_u32_e64 v99, s[4:5], 0, -1, s[4:5]
	v_cmp_ne_u32_e64 s[4:5], 0, v1
	v_lshlrev_b32_e32 v0, 1, v38
	v_xor_b32_e32 v1, s5, v99
	v_add_lshl_u32 v98, v0, v66, 2
	v_mov_b32_e32 v0, 0
	v_and_b32_e32 v99, exec_hi, v1
	v_lshlrev_b32_e32 v1, 30, v38
	v_xor_b32_e32 v39, s4, v39
	v_cmp_gt_i64_e64 s[4:5], 0, v[0:1]
	v_not_b32_e32 v1, v1
	v_ashrrev_i32_e32 v1, 31, v1
	v_and_b32_e32 v39, exec_lo, v39
	v_xor_b32_e32 v100, s5, v1
	v_xor_b32_e32 v1, s4, v1
	v_and_b32_e32 v39, v39, v1
	v_lshlrev_b32_e32 v1, 29, v38
	v_cmp_gt_i64_e64 s[4:5], 0, v[0:1]
	v_not_b32_e32 v1, v1
	v_ashrrev_i32_e32 v1, 31, v1
	v_and_b32_e32 v99, v99, v100
	v_xor_b32_e32 v100, s5, v1
	v_xor_b32_e32 v1, s4, v1
	v_and_b32_e32 v39, v39, v1
	v_lshlrev_b32_e32 v1, 28, v38
	v_cmp_gt_i64_e64 s[4:5], 0, v[0:1]
	v_not_b32_e32 v1, v1
	v_ashrrev_i32_e32 v1, 31, v1
	v_and_b32_e32 v99, v99, v100
	;; [unrolled: 8-line block ×5, first 2 shown]
	v_xor_b32_e32 v100, s5, v1
	v_xor_b32_e32 v1, s4, v1
	v_and_b32_e32 v39, v39, v1
	v_lshlrev_b32_e32 v1, 24, v38
	v_cmp_gt_i64_e64 s[4:5], 0, v[0:1]
	v_not_b32_e32 v0, v1
	v_ashrrev_i32_e32 v0, 31, v0
	v_xor_b32_e32 v1, s5, v0
	v_xor_b32_e32 v0, s4, v0
	; wave barrier
	ds_read_b32 v66, v98 offset:8
	v_and_b32_e32 v99, v99, v100
	v_and_b32_e32 v0, v39, v0
	;; [unrolled: 1-line block ×3, first 2 shown]
	v_mbcnt_lo_u32_b32 v38, v0, 0
	v_mbcnt_hi_u32_b32 v99, v1, v38
	v_cmp_eq_u32_e64 s[4:5], 0, v99
	v_cmp_ne_u64_e64 s[42:43], 0, v[0:1]
	s_and_b64 s[42:43], s[42:43], s[4:5]
	; wave barrier
	s_and_saveexec_b64 s[4:5], s[42:43]
	s_cbranch_execz .LBB257_82
; %bb.81:
	v_bcnt_u32_b32 v0, v0, 0
	v_bcnt_u32_b32 v0, v1, v0
	s_waitcnt lgkmcnt(0)
	v_add_u32_e32 v0, v66, v0
	ds_write_b32 v98, v0 offset:8
.LBB257_82:
	s_or_b64 exec, exec, s[4:5]
	; wave barrier
	s_waitcnt lgkmcnt(0)
	s_barrier
	ds_read2_b32 v[38:39], v62 offset0:2 offset1:3
	ds_read2_b32 v[0:1], v67 offset0:2 offset1:3
	s_waitcnt lgkmcnt(1)
	v_add_u32_e32 v100, v39, v38
	s_waitcnt lgkmcnt(0)
	v_add3_u32 v1, v100, v0, v1
	s_nop 1
	v_mov_b32_dpp v100, v1 row_shr:1 row_mask:0xf bank_mask:0xf
	v_cndmask_b32_e64 v100, v100, 0, s[20:21]
	v_add_u32_e32 v1, v100, v1
	s_nop 1
	v_mov_b32_dpp v100, v1 row_shr:2 row_mask:0xf bank_mask:0xf
	v_cndmask_b32_e64 v100, 0, v100, s[22:23]
	v_add_u32_e32 v1, v1, v100
	s_nop 1
	v_mov_b32_dpp v100, v1 row_shr:4 row_mask:0xf bank_mask:0xf
	v_cndmask_b32_e64 v100, 0, v100, s[26:27]
	v_add_u32_e32 v1, v1, v100
	s_nop 1
	v_mov_b32_dpp v100, v1 row_shr:8 row_mask:0xf bank_mask:0xf
	v_cndmask_b32_e64 v100, 0, v100, s[28:29]
	v_add_u32_e32 v1, v1, v100
	s_nop 1
	v_mov_b32_dpp v100, v1 row_bcast:15 row_mask:0xf bank_mask:0xf
	v_cndmask_b32_e64 v100, v100, 0, vcc
	v_add_u32_e32 v1, v1, v100
	s_nop 1
	v_mov_b32_dpp v100, v1 row_bcast:31 row_mask:0xf bank_mask:0xf
	v_cndmask_b32_e64 v100, 0, v100, s[34:35]
	v_add_u32_e32 v100, v1, v100
	s_and_saveexec_b64 s[4:5], s[16:17]
	s_cbranch_execz .LBB257_84
; %bb.83:
	ds_write_b32 v68, v100
.LBB257_84:
	s_or_b64 exec, exec, s[4:5]
	s_waitcnt lgkmcnt(0)
	s_barrier
	s_and_saveexec_b64 s[4:5], s[24:25]
	s_cbranch_execz .LBB257_86
; %bb.85:
	ds_read_b32 v1, v41
	s_waitcnt lgkmcnt(0)
	s_nop 0
	v_mov_b32_dpp v68, v1 row_shr:1 row_mask:0xf bank_mask:0xf
	v_cndmask_b32_e64 v68, v68, 0, s[18:19]
	v_add_u32_e32 v1, v68, v1
	ds_write_b32 v41, v1
.LBB257_86:
	s_or_b64 exec, exec, s[4:5]
	v_mov_b32_e32 v1, 0
	v_mov_b32_e32 v41, 0
	s_waitcnt lgkmcnt(0)
	s_barrier
	s_and_saveexec_b64 s[4:5], s[30:31]
	s_cbranch_execz .LBB257_88
; %bb.87:
	ds_read_b32 v41, v78
.LBB257_88:
	s_or_b64 exec, exec, s[4:5]
	s_waitcnt lgkmcnt(0)
	v_add_u32_e32 v68, v41, v100
	ds_bpermute_b32 v68, v79, v68
	s_mov_b32 s16, 0x5040100
	s_waitcnt lgkmcnt(0)
	v_cndmask_b32_e64 v41, v68, v41, s[36:37]
	v_cndmask_b32_e64 v41, v41, 0, s[38:39]
	v_add_u32_e32 v38, v41, v38
	v_add_u32_e32 v39, v38, v39
	v_add_u32_e32 v0, v39, v0
	ds_write2_b32 v62, v41, v38 offset0:2 offset1:3
	ds_write2_b32 v67, v39, v0 offset0:2 offset1:3
	s_waitcnt lgkmcnt(0)
	s_barrier
	ds_read_b32 v0, v98 offset:8
	ds_read_b32 v38, v96 offset:8
	ds_read_b32 v39, v93 offset:8
	ds_read_b32 v41, v90 offset:8
	s_waitcnt lgkmcnt(3)
	v_add3_u32 v0, v99, v66, v0
	ds_read_b32 v66, v87 offset:8
	ds_read_b32 v67, v84 offset:8
	;; [unrolled: 1-line block ×4, first 2 shown]
	s_waitcnt lgkmcnt(0)
	s_barrier
	v_add3_u32 v67, v85, v83, v67
	v_add3_u32 v68, v82, v80, v68
	v_add_u32_e32 v76, v76, v77
	v_lshlrev_b32_e32 v77, 1, v76
	ds_write_b16 v77, v75
	v_lshlrev_b32_e32 v75, 1, v68
	v_add3_u32 v66, v88, v86, v66
	ds_write_b16 v75, v74
	v_lshlrev_b32_e32 v74, 1, v67
	v_add3_u32 v41, v91, v89, v41
	;; [unrolled: 3-line block ×4, first 2 shown]
	ds_write_b16 v72, v71
	v_lshlrev_b32_e32 v71, 1, v39
	ds_write_b16 v71, v70
	v_lshlrev_b32_e32 v70, 1, v38
	;; [unrolled: 2-line block ×4, first 2 shown]
	s_waitcnt lgkmcnt(0)
	s_barrier
	v_lshlrev_b32_e32 v70, 3, v41
	v_lshlrev_b32_e32 v71, 3, v39
	;; [unrolled: 1-line block ×3, first 2 shown]
	ds_read_b128 v[38:41], v40
	v_mov_b32_e32 v75, 0xffff8000
	v_lshlrev_b32_e32 v69, 3, v76
	v_lshlrev_b32_e32 v73, 3, v60
	;; [unrolled: 1-line block ×3, first 2 shown]
	s_waitcnt lgkmcnt(0)
	v_cmp_lt_i16_sdwa vcc, v38, v1 src0_sel:WORD_1 src1_sel:DWORD
	v_cndmask_b32_e32 v76, -1, v75, vcc
	v_cmp_gt_i16_e32 vcc, 0, v38
	v_lshlrev_b32_e32 v67, 3, v67
	v_lshlrev_b32_e32 v66, 3, v66
	;; [unrolled: 1-line block ×3, first 2 shown]
	v_cndmask_b32_e32 v77, -1, v75, vcc
	v_cmp_lt_i16_e32 vcc, -1, v39
	s_barrier
	ds_write_b64 v69, v[34:35]
	ds_write_b64 v68, v[36:37]
	;; [unrolled: 1-line block ×8, first 2 shown]
	s_waitcnt lgkmcnt(0)
	s_barrier
	ds_read2_b64 v[22:25], v73 offset1:1
	ds_read2_b64 v[26:29], v73 offset0:2 offset1:3
	ds_read2_b64 v[30:33], v73 offset0:4 offset1:5
	;; [unrolled: 1-line block ×3, first 2 shown]
	v_mov_b32_e32 v74, -1
	v_cndmask_b32_e64 v79, v75, -1, vcc
	v_cmp_lt_i16_sdwa vcc, v40, v1 src0_sel:WORD_1 src1_sel:DWORD
	v_cmp_gt_i16_sdwa s[4:5], v39, v74 src0_sel:WORD_1 src1_sel:DWORD
	v_cndmask_b32_e32 v0, -1, v75, vcc
	v_cmp_gt_i16_e32 vcc, 0, v40
	v_cndmask_b32_e64 v78, v75, -1, s[4:5]
	v_cndmask_b32_e32 v1, -1, v75, vcc
	v_cmp_gt_i16_sdwa s[4:5], v41, v74 src0_sel:WORD_1 src1_sel:DWORD
	v_cmp_lt_i16_e32 vcc, -1, v41
	v_cndmask_b32_e64 v66, v75, -1, s[4:5]
	v_cndmask_b32_e64 v67, v75, -1, vcc
	v_xor_b32_e32 v79, v79, v39
	v_xor_b32_sdwa v39, v78, v39 dst_sel:DWORD dst_unused:UNUSED_PAD src0_sel:DWORD src1_sel:WORD_1
	v_xor_b32_e32 v77, v77, v38
	v_xor_b32_sdwa v38, v76, v38 dst_sel:DWORD dst_unused:UNUSED_PAD src0_sel:DWORD src1_sel:WORD_1
	v_xor_b32_e32 v67, v67, v41
	v_xor_b32_sdwa v41, v66, v41 dst_sel:DWORD dst_unused:UNUSED_PAD src0_sel:DWORD src1_sel:WORD_1
	v_xor_b32_e32 v1, v1, v40
	v_xor_b32_sdwa v0, v0, v40 dst_sel:DWORD dst_unused:UNUSED_PAD src0_sel:DWORD src1_sel:WORD_1
	v_perm_b32 v39, v39, v79, s16
	v_perm_b32 v38, v38, v77, s16
	;; [unrolled: 1-line block ×4, first 2 shown]
	s_branch .LBB257_142
.LBB257_89:
	v_mad_u64_u32 v[2:3], s[16:17], v42, s46, 0
	v_mov_b32_e32 v4, v3
	v_mad_u64_u32 v[4:5], s[16:17], v42, s47, v[4:5]
	v_mov_b32_e32 v3, v4
	v_lshlrev_b64 v[2:3], 3, v[2:3]
	v_mov_b32_e32 v4, s52
	v_add_co_u32_e32 v2, vcc, s51, v2
	v_addc_co_u32_e32 v3, vcc, v4, v3, vcc
	global_load_dwordx2 v[2:3], v[2:3], off
	v_mov_b32_e32 v4, 0
	v_mov_b32_e32 v5, v4
	v_mov_b32_e32 v6, v4
	v_mov_b32_e32 v7, v4
	v_mov_b32_e32 v8, v4
	v_mov_b32_e32 v9, v4
	v_mov_b32_e32 v10, v4
	v_mov_b32_e32 v11, v4
	v_mov_b32_e32 v12, v4
	v_mov_b32_e32 v13, v4
	v_mov_b32_e32 v14, v4
	v_mov_b32_e32 v15, v4
	v_mov_b32_e32 v16, v4
	v_mov_b32_e32 v17, v4
	s_or_b64 exec, exec, s[4:5]
	s_and_saveexec_b64 s[4:5], s[2:3]
	s_cbranch_execz .LBB257_36
.LBB257_90:
	v_mad_u64_u32 v[4:5], s[16:17], v33, s46, 0
	v_mov_b32_e32 v38, v5
	v_mad_u64_u32 v[38:39], s[16:17], v33, s47, v[38:39]
	v_mov_b32_e32 v5, v38
	v_lshlrev_b64 v[4:5], 3, v[4:5]
	v_mov_b32_e32 v33, s52
	v_add_co_u32_e32 v4, vcc, s51, v4
	v_addc_co_u32_e32 v5, vcc, v33, v5, vcc
	global_load_dwordx2 v[4:5], v[4:5], off
	s_or_b64 exec, exec, s[4:5]
	s_and_saveexec_b64 s[4:5], s[40:41]
	s_cbranch_execz .LBB257_37
.LBB257_91:
	v_mad_u64_u32 v[6:7], s[16:17], v31, s46, 0
	v_mov_b32_e32 v38, v7
	v_mad_u64_u32 v[38:39], s[16:17], v31, s47, v[38:39]
	v_mov_b32_e32 v7, v38
	v_lshlrev_b64 v[6:7], 3, v[6:7]
	v_mov_b32_e32 v31, s52
	v_add_co_u32_e32 v6, vcc, s51, v6
	v_addc_co_u32_e32 v7, vcc, v31, v7, vcc
	global_load_dwordx2 v[6:7], v[6:7], off
	s_or_b64 exec, exec, s[4:5]
	s_and_saveexec_b64 s[4:5], s[6:7]
	s_cbranch_execz .LBB257_38
.LBB257_92:
	v_mad_u64_u32 v[8:9], s[16:17], v28, s46, 0
	v_mov_b32_e32 v38, v9
	v_mad_u64_u32 v[38:39], s[16:17], v28, s47, v[38:39]
	v_mov_b32_e32 v9, v38
	v_lshlrev_b64 v[8:9], 3, v[8:9]
	v_mov_b32_e32 v28, s52
	v_add_co_u32_e32 v8, vcc, s51, v8
	v_addc_co_u32_e32 v9, vcc, v28, v9, vcc
	global_load_dwordx2 v[8:9], v[8:9], off
	s_or_b64 exec, exec, s[4:5]
	s_and_saveexec_b64 s[4:5], s[8:9]
	s_cbranch_execz .LBB257_39
.LBB257_93:
	v_mad_u64_u32 v[10:11], s[16:17], v25, s46, 0
	v_mov_b32_e32 v28, v11
	v_mad_u64_u32 v[38:39], s[16:17], v25, s47, v[28:29]
	v_mov_b32_e32 v11, v38
	v_lshlrev_b64 v[10:11], 3, v[10:11]
	v_mov_b32_e32 v25, s52
	v_add_co_u32_e32 v10, vcc, s51, v10
	v_addc_co_u32_e32 v11, vcc, v25, v11, vcc
	global_load_dwordx2 v[10:11], v[10:11], off
	s_or_b64 exec, exec, s[4:5]
	s_and_saveexec_b64 s[4:5], s[10:11]
	s_cbranch_execz .LBB257_40
.LBB257_94:
	v_mad_u64_u32 v[12:13], s[16:17], v23, s46, 0
	v_mov_b32_e32 v28, v13
	v_mad_u64_u32 v[38:39], s[16:17], v23, s47, v[28:29]
	v_mov_b32_e32 v13, v38
	v_lshlrev_b64 v[12:13], 3, v[12:13]
	v_mov_b32_e32 v23, s52
	v_add_co_u32_e32 v12, vcc, s51, v12
	v_addc_co_u32_e32 v13, vcc, v23, v13, vcc
	global_load_dwordx2 v[12:13], v[12:13], off
	s_or_b64 exec, exec, s[4:5]
	s_and_saveexec_b64 s[4:5], s[12:13]
	s_cbranch_execz .LBB257_41
.LBB257_95:
	v_mad_u64_u32 v[14:15], s[16:17], v22, s46, 0
	v_mov_b32_e32 v28, v15
	v_mad_u64_u32 v[22:23], s[16:17], v22, s47, v[28:29]
	v_mov_b32_e32 v15, v22
	v_lshlrev_b64 v[14:15], 3, v[14:15]
	v_mov_b32_e32 v22, s52
	v_add_co_u32_e32 v14, vcc, s51, v14
	v_addc_co_u32_e32 v15, vcc, v22, v15, vcc
	global_load_dwordx2 v[14:15], v[14:15], off
	s_or_b64 exec, exec, s[4:5]
	s_xor_b64 s[4:5], s[34:35], -1
	s_and_saveexec_b64 s[16:17], s[14:15]
	s_cbranch_execnz .LBB257_42
	s_branch .LBB257_43
.LBB257_96:
                                        ; implicit-def: $vgpr36_vgpr37
                                        ; implicit-def: $vgpr32_vgpr33
                                        ; implicit-def: $vgpr28_vgpr29
                                        ; implicit-def: $vgpr24_vgpr25
                                        ; implicit-def: $vgpr40_vgpr41
	s_cbranch_execz .LBB257_142
; %bb.97:
	s_waitcnt lgkmcnt(3)
	v_mov_b32_e32 v22, 0
	s_waitcnt lgkmcnt(0)
	v_mov_b32_e32 v35, 0x7fff
	v_cmp_gt_i16_e32 vcc, 0, v19
	v_cmp_lt_i16_sdwa s[4:5], v19, v22 src0_sel:WORD_1 src1_sel:DWORD
	v_cndmask_b32_e64 v23, v35, 0, vcc
	v_cmp_gt_i16_e32 vcc, 0, v18
	v_cndmask_b32_e64 v25, v35, 0, s[4:5]
	v_cmp_lt_i16_sdwa s[4:5], v18, v22 src0_sel:WORD_1 src1_sel:DWORD
	v_cndmask_b32_e64 v24, v35, 0, vcc
	v_cndmask_b32_e64 v27, v35, 0, s[4:5]
	v_cmp_gt_i16_e32 vcc, 0, v21
	v_cmp_lt_i16_sdwa s[4:5], v21, v22 src0_sel:WORD_1 src1_sel:DWORD
	v_xor_b32_sdwa v25, v25, v19 dst_sel:DWORD dst_unused:UNUSED_PAD src0_sel:DWORD src1_sel:WORD_1
	v_xor_b32_e32 v19, v23, v19
	v_cndmask_b32_e64 v23, v35, 0, vcc
	v_cmp_gt_i16_e32 vcc, 0, v20
	v_cndmask_b32_e64 v28, v35, 0, s[4:5]
	v_cmp_lt_i16_sdwa s[4:5], v20, v22 src0_sel:WORD_1 src1_sel:DWORD
	v_mbcnt_hi_u32_b32 v26, -1, v65
	v_and_b32_e32 v34, 0x3c0, v42
	v_xor_b32_sdwa v27, v27, v18 dst_sel:DWORD dst_unused:UNUSED_PAD src0_sel:DWORD src1_sel:WORD_1
	v_xor_b32_e32 v18, v24, v18
	v_cndmask_b32_e64 v24, v35, 0, vcc
	v_cndmask_b32_e64 v29, v35, 0, s[4:5]
	v_add_u32_e32 v0, v26, v34
	v_xor_b32_sdwa v29, v29, v20 dst_sel:DWORD dst_unused:UNUSED_PAD src0_sel:DWORD src1_sel:WORD_1
	v_xor_b32_sdwa v28, v28, v21 dst_sel:DWORD dst_unused:UNUSED_PAD src0_sel:DWORD src1_sel:WORD_1
	v_xor_b32_e32 v20, v24, v20
	v_xor_b32_e32 v21, v23, v21
	s_mov_b32 s4, 0x5040100
	v_lshlrev_b32_e32 v1, 4, v0
	v_perm_b32 v21, v28, v21, s4
	v_perm_b32 v20, v29, v20, s4
	;; [unrolled: 1-line block ×4, first 2 shown]
	v_and_b32_e32 v36, 0x1e00, v60
	ds_write_b128 v1, v[18:21]
	v_or_b32_e32 v1, v26, v36
	v_lshlrev_b32_e32 v18, 1, v1
	v_lshlrev_b32_e32 v0, 6, v0
	; wave barrier
	ds_read_u16 v33, v18
	ds_read_u16 v32, v18 offset:128
	ds_read_u16 v31, v18 offset:256
	;; [unrolled: 1-line block ×7, first 2 shown]
	s_waitcnt lgkmcnt(0)
	s_barrier
	ds_write2_b64 v0, v[14:15], v[16:17] offset1:1
	ds_write2_b64 v0, v[10:11], v[12:13] offset0:2 offset1:3
	ds_write2_b64 v0, v[6:7], v[8:9] offset0:4 offset1:5
	;; [unrolled: 1-line block ×3, first 2 shown]
	v_lshlrev_b32_e32 v0, 3, v1
	; wave barrier
	ds_read2st64_b64 v[12:15], v0 offset1:1
	ds_read2st64_b64 v[8:11], v0 offset0:2 offset1:3
	ds_read2st64_b64 v[4:7], v0 offset0:4 offset1:5
	;; [unrolled: 1-line block ×3, first 2 shown]
	s_waitcnt lgkmcnt(0)
	s_barrier
	s_load_dword s16, s[48:49], 0xc
	s_getpc_b64 s[4:5]
	s_add_u32 s4, s4, _ZN7rocprim17ROCPRIM_400000_NS16block_radix_sortI12hip_bfloat16Lj128ELj8ElLj1ELj1ELj0ELNS0_26block_radix_rank_algorithmE1ELNS0_18block_padding_hintE2ELNS0_4arch9wavefront6targetE1EE19radix_bits_per_passE@rel32@lo+4
	s_addc_u32 s5, s5, _ZN7rocprim17ROCPRIM_400000_NS16block_radix_sortI12hip_bfloat16Lj128ELj8ElLj1ELj1ELj0ELNS0_26block_radix_rank_algorithmE1ELNS0_18block_padding_hintE2ELNS0_4arch9wavefront6targetE1EE19radix_bits_per_passE@rel32@hi+12
	s_load_dword s42, s[4:5], 0x0
	s_movk_i32 s17, 0x8000
	v_cmp_ne_u16_e32 vcc, s17, v33
	s_waitcnt lgkmcnt(0)
	s_lshr_b32 s4, s16, 16
	s_and_b32 s5, s16, 0xffff
	v_mad_u32_u24 v16, v64, s4, v63
	v_mad_u64_u32 v[16:17], s[4:5], v16, s5, v[42:43]
	s_min_u32 s4, s42, 16
	s_lshl_b32 s4, -1, s4
	v_lshrrev_b32_e32 v24, 6, v16
	s_not_b32 s16, s4
	v_cndmask_b32_e32 v16, v35, v33, vcc
	v_and_b32_sdwa v16, s16, v16 dst_sel:DWORD dst_unused:UNUSED_PAD src0_sel:DWORD src1_sel:WORD_0
	v_lshlrev_b32_e32 v17, 1, v16
	v_add_lshl_u32 v37, v24, v17, 2
	v_and_b32_e32 v17, 1, v16
	v_add_co_u32_e32 v18, vcc, -1, v17
	v_addc_co_u32_e64 v19, s[4:5], 0, -1, vcc
	v_cmp_ne_u32_e32 vcc, 0, v17
	v_lshlrev_b32_e32 v23, 30, v16
	v_xor_b32_e32 v17, vcc_hi, v19
	v_not_b32_e32 v19, v23
	v_xor_b32_e32 v18, vcc_lo, v18
	v_cmp_gt_i64_e32 vcc, 0, v[22:23]
	v_ashrrev_i32_e32 v19, 31, v19
	v_and_b32_e32 v18, exec_lo, v18
	v_xor_b32_e32 v20, vcc_hi, v19
	v_xor_b32_e32 v19, vcc_lo, v19
	v_lshlrev_b32_e32 v23, 29, v16
	v_and_b32_e32 v18, v18, v19
	v_not_b32_e32 v19, v23
	v_and_b32_e32 v17, exec_hi, v17
	v_cmp_gt_i64_e32 vcc, 0, v[22:23]
	v_ashrrev_i32_e32 v19, 31, v19
	v_and_b32_e32 v17, v17, v20
	v_xor_b32_e32 v20, vcc_hi, v19
	v_xor_b32_e32 v19, vcc_lo, v19
	v_lshlrev_b32_e32 v23, 28, v16
	v_and_b32_e32 v18, v18, v19
	v_not_b32_e32 v19, v23
	v_cmp_gt_i64_e32 vcc, 0, v[22:23]
	v_ashrrev_i32_e32 v19, 31, v19
	v_and_b32_e32 v17, v17, v20
	v_xor_b32_e32 v20, vcc_hi, v19
	v_xor_b32_e32 v19, vcc_lo, v19
	v_lshlrev_b32_e32 v23, 27, v16
	v_and_b32_e32 v18, v18, v19
	v_not_b32_e32 v19, v23
	;; [unrolled: 8-line block ×3, first 2 shown]
	v_cmp_gt_i64_e32 vcc, 0, v[22:23]
	v_ashrrev_i32_e32 v19, 31, v19
	v_and_b32_e32 v17, v17, v20
	v_xor_b32_e32 v20, vcc_hi, v19
	v_xor_b32_e32 v19, vcc_lo, v19
	v_lshlrev_b32_e32 v23, 25, v16
	v_and_b32_e32 v18, v18, v19
	v_cmp_gt_i64_e32 vcc, 0, v[22:23]
	v_not_b32_e32 v19, v23
	v_lshlrev_b32_e32 v23, 24, v16
	v_ashrrev_i32_e32 v19, 31, v19
	v_not_b32_e32 v16, v23
	v_and_b32_e32 v17, v17, v20
	v_xor_b32_e32 v20, vcc_hi, v19
	v_xor_b32_e32 v19, vcc_lo, v19
	v_cmp_gt_i64_e32 vcc, 0, v[22:23]
	v_ashrrev_i32_e32 v16, 31, v16
	v_and_b32_e32 v18, v18, v19
	v_xor_b32_e32 v19, vcc_hi, v16
	v_xor_b32_e32 v16, vcc_lo, v16
	v_and_b32_e32 v17, v17, v20
	v_and_b32_e32 v16, v18, v16
	v_and_b32_e32 v17, v17, v19
	v_mbcnt_lo_u32_b32 v18, v16, 0
	v_mbcnt_hi_u32_b32 v38, v17, v18
	v_cmp_eq_u32_e32 vcc, 0, v38
	v_cmp_ne_u64_e64 s[4:5], 0, v[16:17]
	s_and_b64 s[18:19], s[4:5], vcc
	ds_write2_b32 v62, v22, v22 offset0:2 offset1:3
	ds_write2_b32 v62, v22, v22 offset0:4 offset1:5
	s_waitcnt lgkmcnt(0)
	s_barrier
	s_waitcnt lgkmcnt(0)
	; wave barrier
	s_and_saveexec_b64 s[4:5], s[18:19]
	s_cbranch_execz .LBB257_99
; %bb.98:
	v_bcnt_u32_b32 v16, v16, 0
	v_bcnt_u32_b32 v16, v17, v16
	ds_write_b32 v37, v16 offset:8
.LBB257_99:
	s_or_b64 exec, exec, s[4:5]
	v_cmp_ne_u16_e32 vcc, s17, v32
	v_cndmask_b32_e32 v16, v35, v32, vcc
	v_and_b32_sdwa v16, s16, v16 dst_sel:DWORD dst_unused:UNUSED_PAD src0_sel:DWORD src1_sel:WORD_0
	v_lshlrev_b32_e32 v17, 1, v16
	v_add_lshl_u32 v40, v24, v17, 2
	v_and_b32_e32 v17, 1, v16
	v_add_co_u32_e32 v18, vcc, -1, v17
	v_addc_co_u32_e64 v19, s[4:5], 0, -1, vcc
	v_cmp_ne_u32_e32 vcc, 0, v17
	v_lshlrev_b32_e32 v23, 30, v16
	v_xor_b32_e32 v17, vcc_hi, v19
	v_not_b32_e32 v19, v23
	v_xor_b32_e32 v18, vcc_lo, v18
	v_cmp_gt_i64_e32 vcc, 0, v[22:23]
	v_ashrrev_i32_e32 v19, 31, v19
	v_and_b32_e32 v18, exec_lo, v18
	v_xor_b32_e32 v20, vcc_hi, v19
	v_xor_b32_e32 v19, vcc_lo, v19
	v_lshlrev_b32_e32 v23, 29, v16
	v_and_b32_e32 v18, v18, v19
	v_not_b32_e32 v19, v23
	v_and_b32_e32 v17, exec_hi, v17
	v_cmp_gt_i64_e32 vcc, 0, v[22:23]
	v_ashrrev_i32_e32 v19, 31, v19
	v_and_b32_e32 v17, v17, v20
	v_xor_b32_e32 v20, vcc_hi, v19
	v_xor_b32_e32 v19, vcc_lo, v19
	v_lshlrev_b32_e32 v23, 28, v16
	v_and_b32_e32 v18, v18, v19
	v_not_b32_e32 v19, v23
	v_cmp_gt_i64_e32 vcc, 0, v[22:23]
	v_ashrrev_i32_e32 v19, 31, v19
	v_and_b32_e32 v17, v17, v20
	v_xor_b32_e32 v20, vcc_hi, v19
	v_xor_b32_e32 v19, vcc_lo, v19
	v_lshlrev_b32_e32 v23, 27, v16
	v_and_b32_e32 v18, v18, v19
	v_not_b32_e32 v19, v23
	;; [unrolled: 8-line block ×3, first 2 shown]
	v_cmp_gt_i64_e32 vcc, 0, v[22:23]
	v_ashrrev_i32_e32 v19, 31, v19
	v_and_b32_e32 v17, v17, v20
	v_xor_b32_e32 v20, vcc_hi, v19
	v_xor_b32_e32 v19, vcc_lo, v19
	v_lshlrev_b32_e32 v23, 25, v16
	v_and_b32_e32 v18, v18, v19
	v_cmp_gt_i64_e32 vcc, 0, v[22:23]
	v_not_b32_e32 v19, v23
	v_lshlrev_b32_e32 v23, 24, v16
	v_ashrrev_i32_e32 v19, 31, v19
	v_not_b32_e32 v16, v23
	v_and_b32_e32 v17, v17, v20
	v_xor_b32_e32 v20, vcc_hi, v19
	v_xor_b32_e32 v19, vcc_lo, v19
	v_cmp_gt_i64_e32 vcc, 0, v[22:23]
	v_ashrrev_i32_e32 v16, 31, v16
	v_and_b32_e32 v18, v18, v19
	v_xor_b32_e32 v19, vcc_hi, v16
	v_xor_b32_e32 v16, vcc_lo, v16
	; wave barrier
	ds_read_b32 v39, v40 offset:8
	v_and_b32_e32 v17, v17, v20
	v_and_b32_e32 v16, v18, v16
	;; [unrolled: 1-line block ×3, first 2 shown]
	v_mbcnt_lo_u32_b32 v18, v16, 0
	v_mbcnt_hi_u32_b32 v41, v17, v18
	v_cmp_eq_u32_e32 vcc, 0, v41
	v_cmp_ne_u64_e64 s[4:5], 0, v[16:17]
	s_and_b64 s[18:19], s[4:5], vcc
	; wave barrier
	s_and_saveexec_b64 s[4:5], s[18:19]
	s_cbranch_execz .LBB257_101
; %bb.100:
	v_bcnt_u32_b32 v16, v16, 0
	v_bcnt_u32_b32 v16, v17, v16
	s_waitcnt lgkmcnt(0)
	v_add_u32_e32 v16, v39, v16
	ds_write_b32 v40, v16 offset:8
.LBB257_101:
	s_or_b64 exec, exec, s[4:5]
	v_mov_b32_e32 v20, 0x7fff
	v_cmp_ne_u16_e32 vcc, s17, v31
	v_cndmask_b32_e32 v16, v20, v31, vcc
	v_and_b32_sdwa v18, s16, v16 dst_sel:DWORD dst_unused:UNUSED_PAD src0_sel:DWORD src1_sel:WORD_0
	v_and_b32_e32 v17, 1, v18
	v_add_co_u32_e32 v19, vcc, -1, v17
	v_addc_co_u32_e64 v21, s[4:5], 0, -1, vcc
	v_cmp_ne_u32_e32 vcc, 0, v17
	v_lshlrev_b32_e32 v16, 1, v18
	v_xor_b32_e32 v17, vcc_hi, v21
	v_add_lshl_u32 v64, v24, v16, 2
	v_mov_b32_e32 v16, 0
	v_and_b32_e32 v21, exec_hi, v17
	v_lshlrev_b32_e32 v17, 30, v18
	v_xor_b32_e32 v19, vcc_lo, v19
	v_cmp_gt_i64_e32 vcc, 0, v[16:17]
	v_not_b32_e32 v17, v17
	v_ashrrev_i32_e32 v17, 31, v17
	v_and_b32_e32 v19, exec_lo, v19
	v_xor_b32_e32 v22, vcc_hi, v17
	v_xor_b32_e32 v17, vcc_lo, v17
	v_and_b32_e32 v19, v19, v17
	v_lshlrev_b32_e32 v17, 29, v18
	v_cmp_gt_i64_e32 vcc, 0, v[16:17]
	v_not_b32_e32 v17, v17
	v_ashrrev_i32_e32 v17, 31, v17
	v_and_b32_e32 v21, v21, v22
	v_xor_b32_e32 v22, vcc_hi, v17
	v_xor_b32_e32 v17, vcc_lo, v17
	v_and_b32_e32 v19, v19, v17
	v_lshlrev_b32_e32 v17, 28, v18
	v_cmp_gt_i64_e32 vcc, 0, v[16:17]
	v_not_b32_e32 v17, v17
	v_ashrrev_i32_e32 v17, 31, v17
	v_and_b32_e32 v21, v21, v22
	v_xor_b32_e32 v22, vcc_hi, v17
	v_xor_b32_e32 v17, vcc_lo, v17
	v_and_b32_e32 v19, v19, v17
	v_lshlrev_b32_e32 v17, 27, v18
	v_cmp_gt_i64_e32 vcc, 0, v[16:17]
	v_not_b32_e32 v17, v17
	v_ashrrev_i32_e32 v17, 31, v17
	v_and_b32_e32 v21, v21, v22
	v_xor_b32_e32 v22, vcc_hi, v17
	v_xor_b32_e32 v17, vcc_lo, v17
	v_and_b32_e32 v19, v19, v17
	v_lshlrev_b32_e32 v17, 26, v18
	v_cmp_gt_i64_e32 vcc, 0, v[16:17]
	v_not_b32_e32 v17, v17
	v_ashrrev_i32_e32 v17, 31, v17
	v_and_b32_e32 v21, v21, v22
	v_xor_b32_e32 v22, vcc_hi, v17
	v_xor_b32_e32 v17, vcc_lo, v17
	v_and_b32_e32 v19, v19, v17
	v_lshlrev_b32_e32 v17, 25, v18
	v_cmp_gt_i64_e32 vcc, 0, v[16:17]
	v_not_b32_e32 v17, v17
	v_ashrrev_i32_e32 v17, 31, v17
	v_and_b32_e32 v21, v21, v22
	v_xor_b32_e32 v22, vcc_hi, v17
	v_xor_b32_e32 v17, vcc_lo, v17
	v_and_b32_e32 v21, v21, v22
	v_and_b32_e32 v22, v19, v17
	v_lshlrev_b32_e32 v17, 24, v18
	v_cmp_gt_i64_e32 vcc, 0, v[16:17]
	v_not_b32_e32 v17, v17
	v_ashrrev_i32_e32 v17, 31, v17
	v_xor_b32_e32 v18, vcc_hi, v17
	v_xor_b32_e32 v17, vcc_lo, v17
	; wave barrier
	ds_read_b32 v63, v64 offset:8
	v_and_b32_e32 v19, v21, v18
	v_and_b32_e32 v18, v22, v17
	v_mbcnt_lo_u32_b32 v17, v18, 0
	v_mbcnt_hi_u32_b32 v65, v19, v17
	v_cmp_eq_u32_e32 vcc, 0, v65
	v_cmp_ne_u64_e64 s[4:5], 0, v[18:19]
	s_and_b64 s[18:19], s[4:5], vcc
	; wave barrier
	s_and_saveexec_b64 s[4:5], s[18:19]
	s_cbranch_execz .LBB257_103
; %bb.102:
	v_bcnt_u32_b32 v17, v18, 0
	v_bcnt_u32_b32 v17, v19, v17
	s_waitcnt lgkmcnt(0)
	v_add_u32_e32 v17, v63, v17
	ds_write_b32 v64, v17 offset:8
.LBB257_103:
	s_or_b64 exec, exec, s[4:5]
	v_cmp_ne_u16_e32 vcc, s17, v30
	v_cndmask_b32_e32 v17, v20, v30, vcc
	v_and_b32_sdwa v18, s16, v17 dst_sel:DWORD dst_unused:UNUSED_PAD src0_sel:DWORD src1_sel:WORD_0
	v_lshlrev_b32_e32 v17, 1, v18
	v_add_lshl_u32 v67, v24, v17, 2
	v_and_b32_e32 v17, 1, v18
	v_add_co_u32_e32 v19, vcc, -1, v17
	v_addc_co_u32_e64 v20, s[4:5], 0, -1, vcc
	v_cmp_ne_u32_e32 vcc, 0, v17
	v_xor_b32_e32 v17, vcc_hi, v20
	v_and_b32_e32 v20, exec_hi, v17
	v_lshlrev_b32_e32 v17, 30, v18
	v_xor_b32_e32 v19, vcc_lo, v19
	v_cmp_gt_i64_e32 vcc, 0, v[16:17]
	v_not_b32_e32 v17, v17
	v_ashrrev_i32_e32 v17, 31, v17
	v_and_b32_e32 v19, exec_lo, v19
	v_xor_b32_e32 v21, vcc_hi, v17
	v_xor_b32_e32 v17, vcc_lo, v17
	v_and_b32_e32 v19, v19, v17
	v_lshlrev_b32_e32 v17, 29, v18
	v_cmp_gt_i64_e32 vcc, 0, v[16:17]
	v_not_b32_e32 v17, v17
	v_ashrrev_i32_e32 v17, 31, v17
	v_and_b32_e32 v20, v20, v21
	v_xor_b32_e32 v21, vcc_hi, v17
	v_xor_b32_e32 v17, vcc_lo, v17
	v_and_b32_e32 v19, v19, v17
	v_lshlrev_b32_e32 v17, 28, v18
	v_cmp_gt_i64_e32 vcc, 0, v[16:17]
	v_not_b32_e32 v17, v17
	v_ashrrev_i32_e32 v17, 31, v17
	v_and_b32_e32 v20, v20, v21
	;; [unrolled: 8-line block ×5, first 2 shown]
	v_xor_b32_e32 v21, vcc_hi, v17
	v_xor_b32_e32 v17, vcc_lo, v17
	v_and_b32_e32 v19, v19, v17
	v_lshlrev_b32_e32 v17, 24, v18
	v_cmp_gt_i64_e32 vcc, 0, v[16:17]
	v_not_b32_e32 v16, v17
	v_ashrrev_i32_e32 v16, 31, v16
	v_xor_b32_e32 v17, vcc_hi, v16
	v_xor_b32_e32 v16, vcc_lo, v16
	; wave barrier
	ds_read_b32 v66, v67 offset:8
	v_and_b32_e32 v20, v20, v21
	v_and_b32_e32 v16, v19, v16
	;; [unrolled: 1-line block ×3, first 2 shown]
	v_mbcnt_lo_u32_b32 v18, v16, 0
	v_mbcnt_hi_u32_b32 v68, v17, v18
	v_cmp_eq_u32_e32 vcc, 0, v68
	v_cmp_ne_u64_e64 s[4:5], 0, v[16:17]
	s_and_b64 s[18:19], s[4:5], vcc
	; wave barrier
	s_and_saveexec_b64 s[4:5], s[18:19]
	s_cbranch_execz .LBB257_105
; %bb.104:
	v_bcnt_u32_b32 v16, v16, 0
	v_bcnt_u32_b32 v16, v17, v16
	s_waitcnt lgkmcnt(0)
	v_add_u32_e32 v16, v66, v16
	ds_write_b32 v67, v16 offset:8
.LBB257_105:
	s_or_b64 exec, exec, s[4:5]
	v_mov_b32_e32 v20, 0x7fff
	v_cmp_ne_u16_e32 vcc, s17, v29
	v_cndmask_b32_e32 v16, v20, v29, vcc
	v_and_b32_sdwa v18, s16, v16 dst_sel:DWORD dst_unused:UNUSED_PAD src0_sel:DWORD src1_sel:WORD_0
	v_and_b32_e32 v17, 1, v18
	v_add_co_u32_e32 v19, vcc, -1, v17
	v_addc_co_u32_e64 v21, s[4:5], 0, -1, vcc
	v_cmp_ne_u32_e32 vcc, 0, v17
	v_lshlrev_b32_e32 v16, 1, v18
	v_xor_b32_e32 v17, vcc_hi, v21
	v_add_lshl_u32 v70, v24, v16, 2
	v_mov_b32_e32 v16, 0
	v_and_b32_e32 v21, exec_hi, v17
	v_lshlrev_b32_e32 v17, 30, v18
	v_xor_b32_e32 v19, vcc_lo, v19
	v_cmp_gt_i64_e32 vcc, 0, v[16:17]
	v_not_b32_e32 v17, v17
	v_ashrrev_i32_e32 v17, 31, v17
	v_and_b32_e32 v19, exec_lo, v19
	v_xor_b32_e32 v22, vcc_hi, v17
	v_xor_b32_e32 v17, vcc_lo, v17
	v_and_b32_e32 v19, v19, v17
	v_lshlrev_b32_e32 v17, 29, v18
	v_cmp_gt_i64_e32 vcc, 0, v[16:17]
	v_not_b32_e32 v17, v17
	v_ashrrev_i32_e32 v17, 31, v17
	v_and_b32_e32 v21, v21, v22
	v_xor_b32_e32 v22, vcc_hi, v17
	v_xor_b32_e32 v17, vcc_lo, v17
	v_and_b32_e32 v19, v19, v17
	v_lshlrev_b32_e32 v17, 28, v18
	v_cmp_gt_i64_e32 vcc, 0, v[16:17]
	v_not_b32_e32 v17, v17
	v_ashrrev_i32_e32 v17, 31, v17
	v_and_b32_e32 v21, v21, v22
	;; [unrolled: 8-line block ×5, first 2 shown]
	v_xor_b32_e32 v22, vcc_hi, v17
	v_xor_b32_e32 v17, vcc_lo, v17
	v_and_b32_e32 v21, v21, v22
	v_and_b32_e32 v22, v19, v17
	v_lshlrev_b32_e32 v17, 24, v18
	v_cmp_gt_i64_e32 vcc, 0, v[16:17]
	v_not_b32_e32 v17, v17
	v_ashrrev_i32_e32 v17, 31, v17
	v_xor_b32_e32 v18, vcc_hi, v17
	v_xor_b32_e32 v17, vcc_lo, v17
	; wave barrier
	ds_read_b32 v69, v70 offset:8
	v_and_b32_e32 v19, v21, v18
	v_and_b32_e32 v18, v22, v17
	v_mbcnt_lo_u32_b32 v17, v18, 0
	v_mbcnt_hi_u32_b32 v71, v19, v17
	v_cmp_eq_u32_e32 vcc, 0, v71
	v_cmp_ne_u64_e64 s[4:5], 0, v[18:19]
	s_and_b64 s[18:19], s[4:5], vcc
	; wave barrier
	s_and_saveexec_b64 s[4:5], s[18:19]
	s_cbranch_execz .LBB257_107
; %bb.106:
	v_bcnt_u32_b32 v17, v18, 0
	v_bcnt_u32_b32 v17, v19, v17
	s_waitcnt lgkmcnt(0)
	v_add_u32_e32 v17, v69, v17
	ds_write_b32 v70, v17 offset:8
.LBB257_107:
	s_or_b64 exec, exec, s[4:5]
	v_cmp_ne_u16_e32 vcc, s17, v28
	v_cndmask_b32_e32 v17, v20, v28, vcc
	v_and_b32_sdwa v18, s16, v17 dst_sel:DWORD dst_unused:UNUSED_PAD src0_sel:DWORD src1_sel:WORD_0
	v_lshlrev_b32_e32 v17, 1, v18
	v_add_lshl_u32 v73, v24, v17, 2
	v_and_b32_e32 v17, 1, v18
	v_add_co_u32_e32 v19, vcc, -1, v17
	v_addc_co_u32_e64 v20, s[4:5], 0, -1, vcc
	v_cmp_ne_u32_e32 vcc, 0, v17
	v_xor_b32_e32 v17, vcc_hi, v20
	v_and_b32_e32 v20, exec_hi, v17
	v_lshlrev_b32_e32 v17, 30, v18
	v_xor_b32_e32 v19, vcc_lo, v19
	v_cmp_gt_i64_e32 vcc, 0, v[16:17]
	v_not_b32_e32 v17, v17
	v_ashrrev_i32_e32 v17, 31, v17
	v_and_b32_e32 v19, exec_lo, v19
	v_xor_b32_e32 v21, vcc_hi, v17
	v_xor_b32_e32 v17, vcc_lo, v17
	v_and_b32_e32 v19, v19, v17
	v_lshlrev_b32_e32 v17, 29, v18
	v_cmp_gt_i64_e32 vcc, 0, v[16:17]
	v_not_b32_e32 v17, v17
	v_ashrrev_i32_e32 v17, 31, v17
	v_and_b32_e32 v20, v20, v21
	v_xor_b32_e32 v21, vcc_hi, v17
	v_xor_b32_e32 v17, vcc_lo, v17
	v_and_b32_e32 v19, v19, v17
	v_lshlrev_b32_e32 v17, 28, v18
	v_cmp_gt_i64_e32 vcc, 0, v[16:17]
	v_not_b32_e32 v17, v17
	v_ashrrev_i32_e32 v17, 31, v17
	v_and_b32_e32 v20, v20, v21
	;; [unrolled: 8-line block ×5, first 2 shown]
	v_xor_b32_e32 v21, vcc_hi, v17
	v_xor_b32_e32 v17, vcc_lo, v17
	v_and_b32_e32 v19, v19, v17
	v_lshlrev_b32_e32 v17, 24, v18
	v_cmp_gt_i64_e32 vcc, 0, v[16:17]
	v_not_b32_e32 v16, v17
	v_ashrrev_i32_e32 v16, 31, v16
	v_xor_b32_e32 v17, vcc_hi, v16
	v_xor_b32_e32 v16, vcc_lo, v16
	; wave barrier
	ds_read_b32 v72, v73 offset:8
	v_and_b32_e32 v20, v20, v21
	v_and_b32_e32 v16, v19, v16
	;; [unrolled: 1-line block ×3, first 2 shown]
	v_mbcnt_lo_u32_b32 v18, v16, 0
	v_mbcnt_hi_u32_b32 v74, v17, v18
	v_cmp_eq_u32_e32 vcc, 0, v74
	v_cmp_ne_u64_e64 s[4:5], 0, v[16:17]
	s_and_b64 s[18:19], s[4:5], vcc
	; wave barrier
	s_and_saveexec_b64 s[4:5], s[18:19]
	s_cbranch_execz .LBB257_109
; %bb.108:
	v_bcnt_u32_b32 v16, v16, 0
	v_bcnt_u32_b32 v16, v17, v16
	s_waitcnt lgkmcnt(0)
	v_add_u32_e32 v16, v72, v16
	ds_write_b32 v73, v16 offset:8
.LBB257_109:
	s_or_b64 exec, exec, s[4:5]
	v_mov_b32_e32 v20, 0x7fff
	v_cmp_ne_u16_e32 vcc, s17, v27
	v_cndmask_b32_e32 v16, v20, v27, vcc
	v_and_b32_sdwa v18, s16, v16 dst_sel:DWORD dst_unused:UNUSED_PAD src0_sel:DWORD src1_sel:WORD_0
	v_and_b32_e32 v17, 1, v18
	v_add_co_u32_e32 v19, vcc, -1, v17
	v_addc_co_u32_e64 v21, s[4:5], 0, -1, vcc
	v_cmp_ne_u32_e32 vcc, 0, v17
	v_lshlrev_b32_e32 v16, 1, v18
	v_xor_b32_e32 v17, vcc_hi, v21
	v_add_lshl_u32 v76, v24, v16, 2
	v_mov_b32_e32 v16, 0
	v_and_b32_e32 v21, exec_hi, v17
	v_lshlrev_b32_e32 v17, 30, v18
	v_xor_b32_e32 v19, vcc_lo, v19
	v_cmp_gt_i64_e32 vcc, 0, v[16:17]
	v_not_b32_e32 v17, v17
	v_ashrrev_i32_e32 v17, 31, v17
	v_and_b32_e32 v19, exec_lo, v19
	v_xor_b32_e32 v22, vcc_hi, v17
	v_xor_b32_e32 v17, vcc_lo, v17
	v_and_b32_e32 v19, v19, v17
	v_lshlrev_b32_e32 v17, 29, v18
	v_cmp_gt_i64_e32 vcc, 0, v[16:17]
	v_not_b32_e32 v17, v17
	v_ashrrev_i32_e32 v17, 31, v17
	v_and_b32_e32 v21, v21, v22
	v_xor_b32_e32 v22, vcc_hi, v17
	v_xor_b32_e32 v17, vcc_lo, v17
	v_and_b32_e32 v19, v19, v17
	v_lshlrev_b32_e32 v17, 28, v18
	v_cmp_gt_i64_e32 vcc, 0, v[16:17]
	v_not_b32_e32 v17, v17
	v_ashrrev_i32_e32 v17, 31, v17
	v_and_b32_e32 v21, v21, v22
	;; [unrolled: 8-line block ×5, first 2 shown]
	v_xor_b32_e32 v22, vcc_hi, v17
	v_xor_b32_e32 v17, vcc_lo, v17
	v_and_b32_e32 v21, v21, v22
	v_and_b32_e32 v22, v19, v17
	v_lshlrev_b32_e32 v17, 24, v18
	v_cmp_gt_i64_e32 vcc, 0, v[16:17]
	v_not_b32_e32 v17, v17
	v_ashrrev_i32_e32 v17, 31, v17
	v_xor_b32_e32 v18, vcc_hi, v17
	v_xor_b32_e32 v17, vcc_lo, v17
	; wave barrier
	ds_read_b32 v75, v76 offset:8
	v_and_b32_e32 v19, v21, v18
	v_and_b32_e32 v18, v22, v17
	v_mbcnt_lo_u32_b32 v17, v18, 0
	v_mbcnt_hi_u32_b32 v77, v19, v17
	v_cmp_eq_u32_e32 vcc, 0, v77
	v_cmp_ne_u64_e64 s[4:5], 0, v[18:19]
	s_and_b64 s[18:19], s[4:5], vcc
	; wave barrier
	s_and_saveexec_b64 s[4:5], s[18:19]
	s_cbranch_execz .LBB257_111
; %bb.110:
	v_bcnt_u32_b32 v17, v18, 0
	v_bcnt_u32_b32 v17, v19, v17
	s_waitcnt lgkmcnt(0)
	v_add_u32_e32 v17, v75, v17
	ds_write_b32 v76, v17 offset:8
.LBB257_111:
	s_or_b64 exec, exec, s[4:5]
	v_cmp_ne_u16_e32 vcc, s17, v25
	v_cndmask_b32_e32 v17, v20, v25, vcc
	v_and_b32_sdwa v18, s16, v17 dst_sel:DWORD dst_unused:UNUSED_PAD src0_sel:DWORD src1_sel:WORD_0
	v_lshlrev_b32_e32 v17, 1, v18
	v_add_lshl_u32 v79, v24, v17, 2
	v_and_b32_e32 v17, 1, v18
	v_add_co_u32_e32 v19, vcc, -1, v17
	v_addc_co_u32_e64 v20, s[4:5], 0, -1, vcc
	v_cmp_ne_u32_e32 vcc, 0, v17
	v_xor_b32_e32 v17, vcc_hi, v20
	v_and_b32_e32 v20, exec_hi, v17
	v_lshlrev_b32_e32 v17, 30, v18
	v_xor_b32_e32 v19, vcc_lo, v19
	v_cmp_gt_i64_e32 vcc, 0, v[16:17]
	v_not_b32_e32 v17, v17
	v_ashrrev_i32_e32 v17, 31, v17
	v_and_b32_e32 v19, exec_lo, v19
	v_xor_b32_e32 v21, vcc_hi, v17
	v_xor_b32_e32 v17, vcc_lo, v17
	v_and_b32_e32 v19, v19, v17
	v_lshlrev_b32_e32 v17, 29, v18
	v_cmp_gt_i64_e32 vcc, 0, v[16:17]
	v_not_b32_e32 v17, v17
	v_ashrrev_i32_e32 v17, 31, v17
	v_and_b32_e32 v20, v20, v21
	v_xor_b32_e32 v21, vcc_hi, v17
	v_xor_b32_e32 v17, vcc_lo, v17
	v_and_b32_e32 v19, v19, v17
	v_lshlrev_b32_e32 v17, 28, v18
	v_cmp_gt_i64_e32 vcc, 0, v[16:17]
	v_not_b32_e32 v17, v17
	v_ashrrev_i32_e32 v17, 31, v17
	v_and_b32_e32 v20, v20, v21
	;; [unrolled: 8-line block ×5, first 2 shown]
	v_xor_b32_e32 v21, vcc_hi, v17
	v_xor_b32_e32 v17, vcc_lo, v17
	v_and_b32_e32 v19, v19, v17
	v_lshlrev_b32_e32 v17, 24, v18
	v_cmp_gt_i64_e32 vcc, 0, v[16:17]
	v_not_b32_e32 v16, v17
	v_ashrrev_i32_e32 v16, 31, v16
	v_xor_b32_e32 v17, vcc_hi, v16
	v_xor_b32_e32 v16, vcc_lo, v16
	; wave barrier
	ds_read_b32 v78, v79 offset:8
	v_and_b32_e32 v20, v20, v21
	v_and_b32_e32 v16, v19, v16
	;; [unrolled: 1-line block ×3, first 2 shown]
	v_mbcnt_lo_u32_b32 v18, v16, 0
	v_mbcnt_hi_u32_b32 v80, v17, v18
	v_cmp_eq_u32_e32 vcc, 0, v80
	v_cmp_ne_u64_e64 s[4:5], 0, v[16:17]
	v_or_b32_e32 v22, 8, v62
	v_lshrrev_b32_e32 v23, 6, v42
	v_min_u32_e32 v34, 64, v34
	s_and_b64 s[16:17], s[4:5], vcc
	; wave barrier
	s_and_saveexec_b64 s[4:5], s[16:17]
	s_cbranch_execz .LBB257_113
; %bb.112:
	v_bcnt_u32_b32 v16, v16, 0
	v_bcnt_u32_b32 v16, v17, v16
	s_waitcnt lgkmcnt(0)
	v_add_u32_e32 v16, v78, v16
	ds_write_b32 v79, v16 offset:8
.LBB257_113:
	s_or_b64 exec, exec, s[4:5]
	; wave barrier
	s_waitcnt lgkmcnt(0)
	s_barrier
	ds_read2_b32 v[18:19], v62 offset0:2 offset1:3
	ds_read2_b32 v[20:21], v22 offset0:2 offset1:3
	v_and_b32_e32 v17, 16, v26
	v_cmp_eq_u32_e32 vcc, 0, v17
	v_or_b32_e32 v17, 63, v34
	v_cmp_eq_u32_e64 s[16:17], v17, v42
	s_waitcnt lgkmcnt(1)
	v_add_u32_e32 v17, v19, v18
	v_and_b32_e32 v16, 15, v26
	s_waitcnt lgkmcnt(0)
	v_add3_u32 v17, v17, v20, v21
	v_cmp_eq_u32_e64 s[20:21], 0, v16
	v_cmp_lt_u32_e64 s[22:23], 1, v16
	v_mov_b32_dpp v21, v17 row_shr:1 row_mask:0xf bank_mask:0xf
	v_cndmask_b32_e64 v21, v21, 0, s[20:21]
	v_add_u32_e32 v17, v21, v17
	v_cmp_lt_u32_e64 s[26:27], 3, v16
	v_cmp_lt_u32_e64 s[28:29], 7, v16
	v_mov_b32_dpp v21, v17 row_shr:2 row_mask:0xf bank_mask:0xf
	v_cndmask_b32_e64 v21, 0, v21, s[22:23]
	v_add_u32_e32 v17, v17, v21
	v_bfe_i32 v35, v26, 4, 1
	v_cmp_lt_u32_e64 s[34:35], 31, v26
	v_mov_b32_dpp v21, v17 row_shr:4 row_mask:0xf bank_mask:0xf
	v_cndmask_b32_e64 v21, 0, v21, s[26:27]
	v_add_u32_e32 v17, v17, v21
	v_lshlrev_b32_e32 v23, 2, v23
	s_nop 0
	v_mov_b32_dpp v21, v17 row_shr:8 row_mask:0xf bank_mask:0xf
	v_cndmask_b32_e64 v16, 0, v21, s[28:29]
	v_add_u32_e32 v16, v17, v16
	s_nop 1
	v_mov_b32_dpp v17, v16 row_bcast:15 row_mask:0xf bank_mask:0xf
	v_and_b32_e32 v17, v35, v17
	v_add_u32_e32 v16, v16, v17
	s_nop 1
	v_mov_b32_dpp v17, v16 row_bcast:31 row_mask:0xf bank_mask:0xf
	v_cndmask_b32_e64 v17, 0, v17, s[34:35]
	v_add_u32_e32 v17, v16, v17
	s_and_saveexec_b64 s[4:5], s[16:17]
	s_cbranch_execz .LBB257_115
; %bb.114:
	ds_write_b32 v23, v17
.LBB257_115:
	s_or_b64 exec, exec, s[4:5]
	v_and_b32_e32 v16, 1, v26
	v_cmp_gt_u32_e64 s[24:25], 2, v42
	v_lshlrev_b32_e32 v21, 2, v42
	v_cmp_eq_u32_e64 s[18:19], 0, v16
	s_waitcnt lgkmcnt(0)
	s_barrier
	s_and_saveexec_b64 s[4:5], s[24:25]
	s_cbranch_execz .LBB257_117
; %bb.116:
	ds_read_b32 v16, v21
	s_waitcnt lgkmcnt(0)
	s_nop 0
	v_mov_b32_dpp v34, v16 row_shr:1 row_mask:0xf bank_mask:0xf
	v_cndmask_b32_e64 v34, v34, 0, s[18:19]
	v_add_u32_e32 v16, v34, v16
	ds_write_b32 v21, v16
.LBB257_117:
	s_or_b64 exec, exec, s[4:5]
	v_cmp_lt_u32_e64 s[30:31], 63, v42
	v_add_u32_e32 v34, -4, v23
	v_mov_b32_e32 v16, 0
	v_mov_b32_e32 v81, 0
	s_waitcnt lgkmcnt(0)
	s_barrier
	s_and_saveexec_b64 s[4:5], s[30:31]
	s_cbranch_execz .LBB257_119
; %bb.118:
	ds_read_b32 v81, v34
.LBB257_119:
	s_or_b64 exec, exec, s[4:5]
	v_add_u32_e32 v35, -1, v26
	v_and_b32_e32 v82, 64, v26
	v_cmp_lt_i32_e64 s[4:5], v35, v82
	v_cndmask_b32_e64 v35, v35, v26, s[4:5]
	v_lshlrev_b32_e32 v35, 2, v35
	s_waitcnt lgkmcnt(0)
	v_add_u32_e32 v17, v81, v17
	ds_bpermute_b32 v17, v35, v17
	v_cmp_eq_u32_e64 s[36:37], 0, v26
	v_cmp_eq_u32_e64 s[38:39], 0, v42
	v_and_or_b32 v36, v26, 63, v36
	v_lshlrev_b32_e32 v82, 1, v36
	s_waitcnt lgkmcnt(0)
	v_cndmask_b32_e64 v17, v17, v81, s[36:37]
	v_cndmask_b32_e64 v17, v17, 0, s[38:39]
	v_add_u32_e32 v18, v17, v18
	v_add_u32_e32 v19, v18, v19
	;; [unrolled: 1-line block ×3, first 2 shown]
	ds_write2_b32 v62, v17, v18 offset0:2 offset1:3
	ds_write2_b32 v22, v19, v20 offset0:2 offset1:3
	s_waitcnt lgkmcnt(0)
	s_barrier
	ds_read_b32 v17, v37 offset:8
	ds_read_b32 v18, v40 offset:8
	;; [unrolled: 1-line block ×8, first 2 shown]
	s_waitcnt lgkmcnt(7)
	v_add_u32_e32 v17, v17, v38
	s_waitcnt lgkmcnt(6)
	v_add3_u32 v18, v41, v39, v18
	s_waitcnt lgkmcnt(4)
	v_add3_u32 v38, v68, v66, v20
	v_lshlrev_b32_e32 v20, 1, v17
	v_add3_u32 v19, v65, v63, v19
	s_waitcnt lgkmcnt(0)
	s_barrier
	ds_write_b16 v20, v33
	v_lshlrev_b32_e32 v20, 1, v18
	ds_write_b16 v20, v32
	v_lshlrev_b32_e32 v20, 1, v19
	v_add3_u32 v39, v71, v69, v26
	ds_write_b16 v20, v31
	v_lshlrev_b32_e32 v20, 1, v38
	v_add3_u32 v37, v74, v72, v37
	;; [unrolled: 3-line block ×4, first 2 shown]
	ds_write_b16 v20, v28
	v_lshlrev_b32_e32 v20, 1, v40
	ds_write_b16 v20, v27
	v_lshlrev_b32_e32 v20, 1, v41
	v_lshlrev_b32_e32 v17, 3, v17
	s_min_u32 s4, s42, 8
	ds_write_b16 v20, v25
	s_waitcnt lgkmcnt(0)
	s_barrier
	ds_read_u16 v31, v82
	ds_read_u16 v30, v82 offset:128
	ds_read_u16 v29, v82 offset:256
	;; [unrolled: 1-line block ×7, first 2 shown]
	s_waitcnt lgkmcnt(0)
	s_barrier
	ds_write_b64 v17, v[12:13]
	v_lshlrev_b32_e32 v12, 3, v18
	s_lshl_b32 s4, -1, s4
	s_movk_i32 s49, 0x8000
	ds_write_b64 v12, v[14:15]
	v_lshlrev_b32_e32 v12, 3, v19
	s_not_b32 s48, s4
	v_lshrrev_b16_e32 v17, 8, v31
	v_mov_b32_e32 v18, 0x7f
	v_cmp_ne_u16_e64 s[4:5], s49, v31
	ds_write_b64 v12, v[8:9]
	v_lshlrev_b32_e32 v8, 3, v38
	v_cndmask_b32_e64 v17, v18, v17, s[4:5]
	ds_write_b64 v8, v[10:11]
	v_lshlrev_b32_e32 v8, 3, v39
	v_and_b32_sdwa v19, v17, s48 dst_sel:DWORD dst_unused:UNUSED_PAD src0_sel:WORD_0 src1_sel:DWORD
	ds_write_b64 v8, v[4:5]
	v_lshlrev_b32_e32 v4, 3, v37
	v_lshlrev_b32_e32 v17, 1, v19
	ds_write_b64 v4, v[6:7]
	v_lshlrev_b32_e32 v4, 3, v40
	v_add_lshl_u32 v32, v17, v24, 2
	v_and_b32_e32 v17, 1, v19
	v_lshlrev_b32_e32 v36, 3, v36
	ds_write_b64 v4, v[0:1]
	v_lshlrev_b32_e32 v0, 3, v41
	v_add_co_u32_e64 v33, s[4:5], -1, v17
	ds_write_b64 v0, v[2:3]
	s_waitcnt lgkmcnt(0)
	s_barrier
	ds_read2st64_b64 v[12:15], v36 offset1:1
	ds_read2st64_b64 v[8:11], v36 offset0:2 offset1:3
	ds_read2st64_b64 v[4:7], v36 offset0:4 offset1:5
	;; [unrolled: 1-line block ×3, first 2 shown]
	v_addc_co_u32_e64 v36, s[4:5], 0, -1, s[4:5]
	v_cmp_ne_u32_e64 s[4:5], 0, v17
	v_xor_b32_e32 v17, s5, v36
	v_and_b32_e32 v36, exec_hi, v17
	v_lshlrev_b32_e32 v17, 30, v19
	v_xor_b32_e32 v33, s4, v33
	v_cmp_gt_i64_e64 s[4:5], 0, v[16:17]
	v_not_b32_e32 v17, v17
	v_ashrrev_i32_e32 v17, 31, v17
	v_and_b32_e32 v33, exec_lo, v33
	v_xor_b32_e32 v37, s5, v17
	v_xor_b32_e32 v17, s4, v17
	v_and_b32_e32 v33, v33, v17
	v_lshlrev_b32_e32 v17, 29, v19
	v_cmp_gt_i64_e64 s[4:5], 0, v[16:17]
	v_not_b32_e32 v17, v17
	v_ashrrev_i32_e32 v17, 31, v17
	v_and_b32_e32 v36, v36, v37
	v_xor_b32_e32 v37, s5, v17
	v_xor_b32_e32 v17, s4, v17
	v_and_b32_e32 v33, v33, v17
	v_lshlrev_b32_e32 v17, 28, v19
	v_cmp_gt_i64_e64 s[4:5], 0, v[16:17]
	v_not_b32_e32 v17, v17
	v_ashrrev_i32_e32 v17, 31, v17
	v_and_b32_e32 v36, v36, v37
	;; [unrolled: 8-line block ×5, first 2 shown]
	v_xor_b32_e32 v37, s5, v17
	v_xor_b32_e32 v17, s4, v17
	v_and_b32_e32 v33, v33, v17
	v_lshlrev_b32_e32 v17, 24, v19
	s_waitcnt lgkmcnt(0)
	s_barrier
	ds_write2_b32 v62, v16, v16 offset0:2 offset1:3
	ds_write2_b32 v22, v16, v16 offset0:2 offset1:3
	v_cmp_gt_i64_e64 s[4:5], 0, v[16:17]
	v_not_b32_e32 v16, v17
	v_ashrrev_i32_e32 v16, 31, v16
	v_xor_b32_e32 v17, s5, v16
	v_xor_b32_e32 v16, s4, v16
	v_and_b32_e32 v36, v36, v37
	v_and_b32_e32 v16, v33, v16
	;; [unrolled: 1-line block ×3, first 2 shown]
	v_mbcnt_lo_u32_b32 v19, v16, 0
	v_mbcnt_hi_u32_b32 v33, v17, v19
	v_cmp_eq_u32_e64 s[4:5], 0, v33
	v_cmp_ne_u64_e64 s[42:43], 0, v[16:17]
	s_and_b64 s[42:43], s[42:43], s[4:5]
	s_waitcnt lgkmcnt(0)
	s_barrier
	s_waitcnt lgkmcnt(0)
	; wave barrier
	s_and_saveexec_b64 s[4:5], s[42:43]
	s_cbranch_execz .LBB257_121
; %bb.120:
	v_bcnt_u32_b32 v16, v16, 0
	v_bcnt_u32_b32 v16, v17, v16
	ds_write_b32 v32, v16 offset:8
.LBB257_121:
	s_or_b64 exec, exec, s[4:5]
	v_lshrrev_b16_e32 v16, 8, v30
	v_cmp_ne_u16_e64 s[4:5], s49, v30
	v_cndmask_b32_e64 v16, v18, v16, s[4:5]
	v_and_b32_e32 v18, s48, v16
	v_and_b32_e32 v17, 1, v18
	v_add_co_u32_e64 v19, s[4:5], -1, v17
	v_addc_co_u32_e64 v38, s[4:5], 0, -1, s[4:5]
	v_cmp_ne_u32_e64 s[4:5], 0, v17
	v_lshlrev_b32_e32 v16, 1, v18
	v_xor_b32_e32 v17, s5, v38
	v_add_lshl_u32 v37, v16, v24, 2
	v_mov_b32_e32 v16, 0
	v_and_b32_e32 v38, exec_hi, v17
	v_lshlrev_b32_e32 v17, 30, v18
	v_xor_b32_e32 v19, s4, v19
	v_cmp_gt_i64_e64 s[4:5], 0, v[16:17]
	v_not_b32_e32 v17, v17
	v_ashrrev_i32_e32 v17, 31, v17
	v_and_b32_e32 v19, exec_lo, v19
	v_xor_b32_e32 v39, s5, v17
	v_xor_b32_e32 v17, s4, v17
	v_and_b32_e32 v19, v19, v17
	v_lshlrev_b32_e32 v17, 29, v18
	v_cmp_gt_i64_e64 s[4:5], 0, v[16:17]
	v_not_b32_e32 v17, v17
	v_ashrrev_i32_e32 v17, 31, v17
	v_and_b32_e32 v38, v38, v39
	v_xor_b32_e32 v39, s5, v17
	v_xor_b32_e32 v17, s4, v17
	v_and_b32_e32 v19, v19, v17
	v_lshlrev_b32_e32 v17, 28, v18
	v_cmp_gt_i64_e64 s[4:5], 0, v[16:17]
	v_not_b32_e32 v17, v17
	v_ashrrev_i32_e32 v17, 31, v17
	v_and_b32_e32 v38, v38, v39
	;; [unrolled: 8-line block ×5, first 2 shown]
	v_xor_b32_e32 v39, s5, v17
	v_xor_b32_e32 v17, s4, v17
	v_and_b32_e32 v38, v38, v39
	v_and_b32_e32 v39, v19, v17
	v_lshlrev_b32_e32 v17, 24, v18
	v_cmp_gt_i64_e64 s[4:5], 0, v[16:17]
	v_not_b32_e32 v17, v17
	v_ashrrev_i32_e32 v17, 31, v17
	v_xor_b32_e32 v18, s5, v17
	v_xor_b32_e32 v17, s4, v17
	; wave barrier
	ds_read_b32 v36, v37 offset:8
	v_and_b32_e32 v19, v38, v18
	v_and_b32_e32 v18, v39, v17
	v_mbcnt_lo_u32_b32 v17, v18, 0
	v_mbcnt_hi_u32_b32 v38, v19, v17
	v_cmp_eq_u32_e64 s[4:5], 0, v38
	v_cmp_ne_u64_e64 s[42:43], 0, v[18:19]
	s_and_b64 s[42:43], s[42:43], s[4:5]
	; wave barrier
	s_and_saveexec_b64 s[4:5], s[42:43]
	s_cbranch_execz .LBB257_123
; %bb.122:
	v_bcnt_u32_b32 v17, v18, 0
	v_bcnt_u32_b32 v17, v19, v17
	s_waitcnt lgkmcnt(0)
	v_add_u32_e32 v17, v36, v17
	ds_write_b32 v37, v17 offset:8
.LBB257_123:
	s_or_b64 exec, exec, s[4:5]
	v_lshrrev_b16_e32 v17, 8, v29
	v_mov_b32_e32 v18, 0x7f
	v_cmp_ne_u16_e64 s[4:5], s49, v29
	v_cndmask_b32_e64 v17, v18, v17, s[4:5]
	v_and_b32_e32 v19, s48, v17
	v_lshlrev_b32_e32 v17, 1, v19
	v_add_lshl_u32 v40, v17, v24, 2
	v_and_b32_e32 v17, 1, v19
	v_add_co_u32_e64 v41, s[4:5], -1, v17
	v_addc_co_u32_e64 v63, s[4:5], 0, -1, s[4:5]
	v_cmp_ne_u32_e64 s[4:5], 0, v17
	v_xor_b32_e32 v17, s5, v63
	v_and_b32_e32 v63, exec_hi, v17
	v_lshlrev_b32_e32 v17, 30, v19
	v_xor_b32_e32 v41, s4, v41
	v_cmp_gt_i64_e64 s[4:5], 0, v[16:17]
	v_not_b32_e32 v17, v17
	v_ashrrev_i32_e32 v17, 31, v17
	v_and_b32_e32 v41, exec_lo, v41
	v_xor_b32_e32 v64, s5, v17
	v_xor_b32_e32 v17, s4, v17
	v_and_b32_e32 v41, v41, v17
	v_lshlrev_b32_e32 v17, 29, v19
	v_cmp_gt_i64_e64 s[4:5], 0, v[16:17]
	v_not_b32_e32 v17, v17
	v_ashrrev_i32_e32 v17, 31, v17
	v_and_b32_e32 v63, v63, v64
	v_xor_b32_e32 v64, s5, v17
	v_xor_b32_e32 v17, s4, v17
	v_and_b32_e32 v41, v41, v17
	v_lshlrev_b32_e32 v17, 28, v19
	v_cmp_gt_i64_e64 s[4:5], 0, v[16:17]
	v_not_b32_e32 v17, v17
	v_ashrrev_i32_e32 v17, 31, v17
	v_and_b32_e32 v63, v63, v64
	;; [unrolled: 8-line block ×5, first 2 shown]
	v_xor_b32_e32 v64, s5, v17
	v_xor_b32_e32 v17, s4, v17
	v_and_b32_e32 v41, v41, v17
	v_lshlrev_b32_e32 v17, 24, v19
	v_cmp_gt_i64_e64 s[4:5], 0, v[16:17]
	v_not_b32_e32 v16, v17
	v_ashrrev_i32_e32 v16, 31, v16
	v_xor_b32_e32 v17, s5, v16
	v_xor_b32_e32 v16, s4, v16
	; wave barrier
	ds_read_b32 v39, v40 offset:8
	v_and_b32_e32 v63, v63, v64
	v_and_b32_e32 v16, v41, v16
	;; [unrolled: 1-line block ×3, first 2 shown]
	v_mbcnt_lo_u32_b32 v19, v16, 0
	v_mbcnt_hi_u32_b32 v41, v17, v19
	v_cmp_eq_u32_e64 s[4:5], 0, v41
	v_cmp_ne_u64_e64 s[42:43], 0, v[16:17]
	s_and_b64 s[42:43], s[42:43], s[4:5]
	; wave barrier
	s_and_saveexec_b64 s[4:5], s[42:43]
	s_cbranch_execz .LBB257_125
; %bb.124:
	v_bcnt_u32_b32 v16, v16, 0
	v_bcnt_u32_b32 v16, v17, v16
	s_waitcnt lgkmcnt(0)
	v_add_u32_e32 v16, v39, v16
	ds_write_b32 v40, v16 offset:8
.LBB257_125:
	s_or_b64 exec, exec, s[4:5]
	v_lshrrev_b16_e32 v16, 8, v28
	v_cmp_ne_u16_e64 s[4:5], s49, v28
	v_cndmask_b32_e64 v16, v18, v16, s[4:5]
	v_and_b32_e32 v18, s48, v16
	v_and_b32_e32 v17, 1, v18
	v_add_co_u32_e64 v19, s[4:5], -1, v17
	v_addc_co_u32_e64 v65, s[4:5], 0, -1, s[4:5]
	v_cmp_ne_u32_e64 s[4:5], 0, v17
	v_lshlrev_b32_e32 v16, 1, v18
	v_xor_b32_e32 v17, s5, v65
	v_add_lshl_u32 v64, v16, v24, 2
	v_mov_b32_e32 v16, 0
	v_and_b32_e32 v65, exec_hi, v17
	v_lshlrev_b32_e32 v17, 30, v18
	v_xor_b32_e32 v19, s4, v19
	v_cmp_gt_i64_e64 s[4:5], 0, v[16:17]
	v_not_b32_e32 v17, v17
	v_ashrrev_i32_e32 v17, 31, v17
	v_and_b32_e32 v19, exec_lo, v19
	v_xor_b32_e32 v66, s5, v17
	v_xor_b32_e32 v17, s4, v17
	v_and_b32_e32 v19, v19, v17
	v_lshlrev_b32_e32 v17, 29, v18
	v_cmp_gt_i64_e64 s[4:5], 0, v[16:17]
	v_not_b32_e32 v17, v17
	v_ashrrev_i32_e32 v17, 31, v17
	v_and_b32_e32 v65, v65, v66
	v_xor_b32_e32 v66, s5, v17
	v_xor_b32_e32 v17, s4, v17
	v_and_b32_e32 v19, v19, v17
	v_lshlrev_b32_e32 v17, 28, v18
	v_cmp_gt_i64_e64 s[4:5], 0, v[16:17]
	v_not_b32_e32 v17, v17
	v_ashrrev_i32_e32 v17, 31, v17
	v_and_b32_e32 v65, v65, v66
	;; [unrolled: 8-line block ×5, first 2 shown]
	v_xor_b32_e32 v66, s5, v17
	v_xor_b32_e32 v17, s4, v17
	v_and_b32_e32 v65, v65, v66
	v_and_b32_e32 v66, v19, v17
	v_lshlrev_b32_e32 v17, 24, v18
	v_cmp_gt_i64_e64 s[4:5], 0, v[16:17]
	v_not_b32_e32 v17, v17
	v_ashrrev_i32_e32 v17, 31, v17
	v_xor_b32_e32 v18, s5, v17
	v_xor_b32_e32 v17, s4, v17
	; wave barrier
	ds_read_b32 v63, v64 offset:8
	v_and_b32_e32 v19, v65, v18
	v_and_b32_e32 v18, v66, v17
	v_mbcnt_lo_u32_b32 v17, v18, 0
	v_mbcnt_hi_u32_b32 v65, v19, v17
	v_cmp_eq_u32_e64 s[4:5], 0, v65
	v_cmp_ne_u64_e64 s[42:43], 0, v[18:19]
	s_and_b64 s[42:43], s[42:43], s[4:5]
	; wave barrier
	s_and_saveexec_b64 s[4:5], s[42:43]
	s_cbranch_execz .LBB257_127
; %bb.126:
	v_bcnt_u32_b32 v17, v18, 0
	v_bcnt_u32_b32 v17, v19, v17
	s_waitcnt lgkmcnt(0)
	v_add_u32_e32 v17, v63, v17
	ds_write_b32 v64, v17 offset:8
.LBB257_127:
	s_or_b64 exec, exec, s[4:5]
	v_lshrrev_b16_e32 v17, 8, v27
	v_mov_b32_e32 v18, 0x7f
	v_cmp_ne_u16_e64 s[4:5], s49, v27
	v_cndmask_b32_e64 v17, v18, v17, s[4:5]
	v_and_b32_e32 v19, s48, v17
	v_lshlrev_b32_e32 v17, 1, v19
	v_add_lshl_u32 v67, v17, v24, 2
	v_and_b32_e32 v17, 1, v19
	v_add_co_u32_e64 v68, s[4:5], -1, v17
	v_addc_co_u32_e64 v69, s[4:5], 0, -1, s[4:5]
	v_cmp_ne_u32_e64 s[4:5], 0, v17
	v_xor_b32_e32 v17, s5, v69
	v_and_b32_e32 v69, exec_hi, v17
	v_lshlrev_b32_e32 v17, 30, v19
	v_xor_b32_e32 v68, s4, v68
	v_cmp_gt_i64_e64 s[4:5], 0, v[16:17]
	v_not_b32_e32 v17, v17
	v_ashrrev_i32_e32 v17, 31, v17
	v_and_b32_e32 v68, exec_lo, v68
	v_xor_b32_e32 v70, s5, v17
	v_xor_b32_e32 v17, s4, v17
	v_and_b32_e32 v68, v68, v17
	v_lshlrev_b32_e32 v17, 29, v19
	v_cmp_gt_i64_e64 s[4:5], 0, v[16:17]
	v_not_b32_e32 v17, v17
	v_ashrrev_i32_e32 v17, 31, v17
	v_and_b32_e32 v69, v69, v70
	v_xor_b32_e32 v70, s5, v17
	v_xor_b32_e32 v17, s4, v17
	v_and_b32_e32 v68, v68, v17
	v_lshlrev_b32_e32 v17, 28, v19
	v_cmp_gt_i64_e64 s[4:5], 0, v[16:17]
	v_not_b32_e32 v17, v17
	v_ashrrev_i32_e32 v17, 31, v17
	v_and_b32_e32 v69, v69, v70
	;; [unrolled: 8-line block ×5, first 2 shown]
	v_xor_b32_e32 v70, s5, v17
	v_xor_b32_e32 v17, s4, v17
	v_and_b32_e32 v68, v68, v17
	v_lshlrev_b32_e32 v17, 24, v19
	v_cmp_gt_i64_e64 s[4:5], 0, v[16:17]
	v_not_b32_e32 v16, v17
	v_ashrrev_i32_e32 v16, 31, v16
	v_xor_b32_e32 v17, s5, v16
	v_xor_b32_e32 v16, s4, v16
	; wave barrier
	ds_read_b32 v66, v67 offset:8
	v_and_b32_e32 v69, v69, v70
	v_and_b32_e32 v16, v68, v16
	;; [unrolled: 1-line block ×3, first 2 shown]
	v_mbcnt_lo_u32_b32 v19, v16, 0
	v_mbcnt_hi_u32_b32 v68, v17, v19
	v_cmp_eq_u32_e64 s[4:5], 0, v68
	v_cmp_ne_u64_e64 s[42:43], 0, v[16:17]
	s_and_b64 s[42:43], s[42:43], s[4:5]
	; wave barrier
	s_and_saveexec_b64 s[4:5], s[42:43]
	s_cbranch_execz .LBB257_129
; %bb.128:
	v_bcnt_u32_b32 v16, v16, 0
	v_bcnt_u32_b32 v16, v17, v16
	s_waitcnt lgkmcnt(0)
	v_add_u32_e32 v16, v66, v16
	ds_write_b32 v67, v16 offset:8
.LBB257_129:
	s_or_b64 exec, exec, s[4:5]
	v_lshrrev_b16_e32 v16, 8, v26
	v_cmp_ne_u16_e64 s[4:5], s49, v26
	v_cndmask_b32_e64 v16, v18, v16, s[4:5]
	v_and_b32_e32 v18, s48, v16
	v_and_b32_e32 v17, 1, v18
	v_add_co_u32_e64 v19, s[4:5], -1, v17
	v_addc_co_u32_e64 v71, s[4:5], 0, -1, s[4:5]
	v_cmp_ne_u32_e64 s[4:5], 0, v17
	v_lshlrev_b32_e32 v16, 1, v18
	v_xor_b32_e32 v17, s5, v71
	v_add_lshl_u32 v70, v16, v24, 2
	v_mov_b32_e32 v16, 0
	v_and_b32_e32 v71, exec_hi, v17
	v_lshlrev_b32_e32 v17, 30, v18
	v_xor_b32_e32 v19, s4, v19
	v_cmp_gt_i64_e64 s[4:5], 0, v[16:17]
	v_not_b32_e32 v17, v17
	v_ashrrev_i32_e32 v17, 31, v17
	v_and_b32_e32 v19, exec_lo, v19
	v_xor_b32_e32 v72, s5, v17
	v_xor_b32_e32 v17, s4, v17
	v_and_b32_e32 v19, v19, v17
	v_lshlrev_b32_e32 v17, 29, v18
	v_cmp_gt_i64_e64 s[4:5], 0, v[16:17]
	v_not_b32_e32 v17, v17
	v_ashrrev_i32_e32 v17, 31, v17
	v_and_b32_e32 v71, v71, v72
	v_xor_b32_e32 v72, s5, v17
	v_xor_b32_e32 v17, s4, v17
	v_and_b32_e32 v19, v19, v17
	v_lshlrev_b32_e32 v17, 28, v18
	v_cmp_gt_i64_e64 s[4:5], 0, v[16:17]
	v_not_b32_e32 v17, v17
	v_ashrrev_i32_e32 v17, 31, v17
	v_and_b32_e32 v71, v71, v72
	;; [unrolled: 8-line block ×5, first 2 shown]
	v_xor_b32_e32 v72, s5, v17
	v_xor_b32_e32 v17, s4, v17
	v_and_b32_e32 v71, v71, v72
	v_and_b32_e32 v72, v19, v17
	v_lshlrev_b32_e32 v17, 24, v18
	v_cmp_gt_i64_e64 s[4:5], 0, v[16:17]
	v_not_b32_e32 v17, v17
	v_ashrrev_i32_e32 v17, 31, v17
	v_xor_b32_e32 v18, s5, v17
	v_xor_b32_e32 v17, s4, v17
	; wave barrier
	ds_read_b32 v69, v70 offset:8
	v_and_b32_e32 v19, v71, v18
	v_and_b32_e32 v18, v72, v17
	v_mbcnt_lo_u32_b32 v17, v18, 0
	v_mbcnt_hi_u32_b32 v71, v19, v17
	v_cmp_eq_u32_e64 s[4:5], 0, v71
	v_cmp_ne_u64_e64 s[42:43], 0, v[18:19]
	s_and_b64 s[42:43], s[42:43], s[4:5]
	; wave barrier
	s_and_saveexec_b64 s[4:5], s[42:43]
	s_cbranch_execz .LBB257_131
; %bb.130:
	v_bcnt_u32_b32 v17, v18, 0
	v_bcnt_u32_b32 v17, v19, v17
	s_waitcnt lgkmcnt(0)
	v_add_u32_e32 v17, v69, v17
	ds_write_b32 v70, v17 offset:8
.LBB257_131:
	s_or_b64 exec, exec, s[4:5]
	v_lshrrev_b16_e32 v17, 8, v25
	v_mov_b32_e32 v18, 0x7f
	v_cmp_ne_u16_e64 s[4:5], s49, v25
	v_cndmask_b32_e64 v17, v18, v17, s[4:5]
	v_and_b32_e32 v19, s48, v17
	v_lshlrev_b32_e32 v17, 1, v19
	v_add_lshl_u32 v73, v17, v24, 2
	v_and_b32_e32 v17, 1, v19
	v_add_co_u32_e64 v74, s[4:5], -1, v17
	v_addc_co_u32_e64 v75, s[4:5], 0, -1, s[4:5]
	v_cmp_ne_u32_e64 s[4:5], 0, v17
	v_xor_b32_e32 v17, s5, v75
	v_and_b32_e32 v75, exec_hi, v17
	v_lshlrev_b32_e32 v17, 30, v19
	v_xor_b32_e32 v74, s4, v74
	v_cmp_gt_i64_e64 s[4:5], 0, v[16:17]
	v_not_b32_e32 v17, v17
	v_ashrrev_i32_e32 v17, 31, v17
	v_and_b32_e32 v74, exec_lo, v74
	v_xor_b32_e32 v76, s5, v17
	v_xor_b32_e32 v17, s4, v17
	v_and_b32_e32 v74, v74, v17
	v_lshlrev_b32_e32 v17, 29, v19
	v_cmp_gt_i64_e64 s[4:5], 0, v[16:17]
	v_not_b32_e32 v17, v17
	v_ashrrev_i32_e32 v17, 31, v17
	v_and_b32_e32 v75, v75, v76
	v_xor_b32_e32 v76, s5, v17
	v_xor_b32_e32 v17, s4, v17
	v_and_b32_e32 v74, v74, v17
	v_lshlrev_b32_e32 v17, 28, v19
	v_cmp_gt_i64_e64 s[4:5], 0, v[16:17]
	v_not_b32_e32 v17, v17
	v_ashrrev_i32_e32 v17, 31, v17
	v_and_b32_e32 v75, v75, v76
	v_xor_b32_e32 v76, s5, v17
	v_xor_b32_e32 v17, s4, v17
	v_and_b32_e32 v74, v74, v17
	v_lshlrev_b32_e32 v17, 27, v19
	v_cmp_gt_i64_e64 s[4:5], 0, v[16:17]
	v_not_b32_e32 v17, v17
	v_ashrrev_i32_e32 v17, 31, v17
	v_and_b32_e32 v75, v75, v76
	v_xor_b32_e32 v76, s5, v17
	v_xor_b32_e32 v17, s4, v17
	v_and_b32_e32 v74, v74, v17
	v_lshlrev_b32_e32 v17, 26, v19
	v_cmp_gt_i64_e64 s[4:5], 0, v[16:17]
	v_not_b32_e32 v17, v17
	v_ashrrev_i32_e32 v17, 31, v17
	v_and_b32_e32 v75, v75, v76
	v_xor_b32_e32 v76, s5, v17
	v_xor_b32_e32 v17, s4, v17
	v_and_b32_e32 v74, v74, v17
	v_lshlrev_b32_e32 v17, 25, v19
	v_cmp_gt_i64_e64 s[4:5], 0, v[16:17]
	v_not_b32_e32 v17, v17
	v_ashrrev_i32_e32 v17, 31, v17
	v_and_b32_e32 v75, v75, v76
	v_xor_b32_e32 v76, s5, v17
	v_xor_b32_e32 v17, s4, v17
	v_and_b32_e32 v74, v74, v17
	v_lshlrev_b32_e32 v17, 24, v19
	v_cmp_gt_i64_e64 s[4:5], 0, v[16:17]
	v_not_b32_e32 v16, v17
	v_ashrrev_i32_e32 v16, 31, v16
	v_xor_b32_e32 v17, s5, v16
	v_xor_b32_e32 v16, s4, v16
	; wave barrier
	ds_read_b32 v72, v73 offset:8
	v_and_b32_e32 v75, v75, v76
	v_and_b32_e32 v16, v74, v16
	;; [unrolled: 1-line block ×3, first 2 shown]
	v_mbcnt_lo_u32_b32 v19, v16, 0
	v_mbcnt_hi_u32_b32 v74, v17, v19
	v_cmp_eq_u32_e64 s[4:5], 0, v74
	v_cmp_ne_u64_e64 s[42:43], 0, v[16:17]
	s_and_b64 s[42:43], s[42:43], s[4:5]
	; wave barrier
	s_and_saveexec_b64 s[4:5], s[42:43]
	s_cbranch_execz .LBB257_133
; %bb.132:
	v_bcnt_u32_b32 v16, v16, 0
	v_bcnt_u32_b32 v16, v17, v16
	s_waitcnt lgkmcnt(0)
	v_add_u32_e32 v16, v72, v16
	ds_write_b32 v73, v16 offset:8
.LBB257_133:
	s_or_b64 exec, exec, s[4:5]
	v_lshrrev_b16_e32 v16, 8, v20
	v_cmp_ne_u16_e64 s[4:5], s49, v20
	v_cndmask_b32_e64 v16, v18, v16, s[4:5]
	v_and_b32_e32 v18, s48, v16
	v_and_b32_e32 v17, 1, v18
	v_add_co_u32_e64 v19, s[4:5], -1, v17
	v_addc_co_u32_e64 v76, s[4:5], 0, -1, s[4:5]
	v_cmp_ne_u32_e64 s[4:5], 0, v17
	v_lshlrev_b32_e32 v16, 1, v18
	v_xor_b32_e32 v17, s5, v76
	v_add_lshl_u32 v75, v16, v24, 2
	v_mov_b32_e32 v16, 0
	v_and_b32_e32 v76, exec_hi, v17
	v_lshlrev_b32_e32 v17, 30, v18
	v_xor_b32_e32 v19, s4, v19
	v_cmp_gt_i64_e64 s[4:5], 0, v[16:17]
	v_not_b32_e32 v17, v17
	v_ashrrev_i32_e32 v17, 31, v17
	v_and_b32_e32 v19, exec_lo, v19
	v_xor_b32_e32 v77, s5, v17
	v_xor_b32_e32 v17, s4, v17
	v_and_b32_e32 v19, v19, v17
	v_lshlrev_b32_e32 v17, 29, v18
	v_cmp_gt_i64_e64 s[4:5], 0, v[16:17]
	v_not_b32_e32 v17, v17
	v_ashrrev_i32_e32 v17, 31, v17
	v_and_b32_e32 v76, v76, v77
	v_xor_b32_e32 v77, s5, v17
	v_xor_b32_e32 v17, s4, v17
	v_and_b32_e32 v19, v19, v17
	v_lshlrev_b32_e32 v17, 28, v18
	v_cmp_gt_i64_e64 s[4:5], 0, v[16:17]
	v_not_b32_e32 v17, v17
	v_ashrrev_i32_e32 v17, 31, v17
	v_and_b32_e32 v76, v76, v77
	v_xor_b32_e32 v77, s5, v17
	v_xor_b32_e32 v17, s4, v17
	v_and_b32_e32 v19, v19, v17
	v_lshlrev_b32_e32 v17, 27, v18
	v_cmp_gt_i64_e64 s[4:5], 0, v[16:17]
	v_not_b32_e32 v17, v17
	v_ashrrev_i32_e32 v17, 31, v17
	v_and_b32_e32 v76, v76, v77
	v_xor_b32_e32 v77, s5, v17
	v_xor_b32_e32 v17, s4, v17
	v_and_b32_e32 v19, v19, v17
	v_lshlrev_b32_e32 v17, 26, v18
	v_cmp_gt_i64_e64 s[4:5], 0, v[16:17]
	v_not_b32_e32 v17, v17
	v_ashrrev_i32_e32 v17, 31, v17
	v_and_b32_e32 v76, v76, v77
	v_xor_b32_e32 v77, s5, v17
	v_xor_b32_e32 v17, s4, v17
	v_and_b32_e32 v19, v19, v17
	v_lshlrev_b32_e32 v17, 25, v18
	v_cmp_gt_i64_e64 s[4:5], 0, v[16:17]
	v_not_b32_e32 v17, v17
	v_ashrrev_i32_e32 v17, 31, v17
	v_and_b32_e32 v76, v76, v77
	v_xor_b32_e32 v77, s5, v17
	v_xor_b32_e32 v17, s4, v17
	v_and_b32_e32 v19, v19, v17
	v_lshlrev_b32_e32 v17, 24, v18
	v_cmp_gt_i64_e64 s[4:5], 0, v[16:17]
	v_not_b32_e32 v16, v17
	v_ashrrev_i32_e32 v16, 31, v16
	v_xor_b32_e32 v17, s5, v16
	v_xor_b32_e32 v16, s4, v16
	; wave barrier
	ds_read_b32 v24, v75 offset:8
	v_and_b32_e32 v76, v76, v77
	v_and_b32_e32 v16, v19, v16
	;; [unrolled: 1-line block ×3, first 2 shown]
	v_mbcnt_lo_u32_b32 v18, v16, 0
	v_mbcnt_hi_u32_b32 v76, v17, v18
	v_cmp_eq_u32_e64 s[4:5], 0, v76
	v_cmp_ne_u64_e64 s[42:43], 0, v[16:17]
	s_and_b64 s[42:43], s[42:43], s[4:5]
	; wave barrier
	s_and_saveexec_b64 s[4:5], s[42:43]
	s_cbranch_execz .LBB257_135
; %bb.134:
	v_bcnt_u32_b32 v16, v16, 0
	v_bcnt_u32_b32 v16, v17, v16
	s_waitcnt lgkmcnt(0)
	v_add_u32_e32 v16, v24, v16
	ds_write_b32 v75, v16 offset:8
.LBB257_135:
	s_or_b64 exec, exec, s[4:5]
	; wave barrier
	s_waitcnt lgkmcnt(0)
	s_barrier
	ds_read2_b32 v[18:19], v62 offset0:2 offset1:3
	ds_read2_b32 v[16:17], v22 offset0:2 offset1:3
	s_waitcnt lgkmcnt(1)
	v_add_u32_e32 v77, v19, v18
	s_waitcnt lgkmcnt(0)
	v_add3_u32 v17, v77, v16, v17
	s_nop 1
	v_mov_b32_dpp v77, v17 row_shr:1 row_mask:0xf bank_mask:0xf
	v_cndmask_b32_e64 v77, v77, 0, s[20:21]
	v_add_u32_e32 v17, v77, v17
	s_nop 1
	v_mov_b32_dpp v77, v17 row_shr:2 row_mask:0xf bank_mask:0xf
	v_cndmask_b32_e64 v77, 0, v77, s[22:23]
	v_add_u32_e32 v17, v17, v77
	;; [unrolled: 4-line block ×4, first 2 shown]
	s_nop 1
	v_mov_b32_dpp v77, v17 row_bcast:15 row_mask:0xf bank_mask:0xf
	v_cndmask_b32_e64 v77, v77, 0, vcc
	v_add_u32_e32 v17, v17, v77
	s_nop 1
	v_mov_b32_dpp v77, v17 row_bcast:31 row_mask:0xf bank_mask:0xf
	v_cndmask_b32_e64 v77, 0, v77, s[34:35]
	v_add_u32_e32 v77, v17, v77
	s_and_saveexec_b64 s[4:5], s[16:17]
	s_cbranch_execz .LBB257_137
; %bb.136:
	ds_write_b32 v23, v77
.LBB257_137:
	s_or_b64 exec, exec, s[4:5]
	s_waitcnt lgkmcnt(0)
	s_barrier
	s_and_saveexec_b64 s[4:5], s[24:25]
	s_cbranch_execz .LBB257_139
; %bb.138:
	ds_read_b32 v17, v21
	s_waitcnt lgkmcnt(0)
	s_nop 0
	v_mov_b32_dpp v23, v17 row_shr:1 row_mask:0xf bank_mask:0xf
	v_cndmask_b32_e64 v23, v23, 0, s[18:19]
	v_add_u32_e32 v17, v23, v17
	ds_write_b32 v21, v17
.LBB257_139:
	s_or_b64 exec, exec, s[4:5]
	v_mov_b32_e32 v17, 0
	v_mov_b32_e32 v21, 0
	s_waitcnt lgkmcnt(0)
	s_barrier
	s_and_saveexec_b64 s[4:5], s[30:31]
	s_cbranch_execz .LBB257_141
; %bb.140:
	ds_read_b32 v21, v34
.LBB257_141:
	s_or_b64 exec, exec, s[4:5]
	s_waitcnt lgkmcnt(0)
	v_add_u32_e32 v23, v21, v77
	ds_bpermute_b32 v23, v35, v23
	v_lshlrev_b32_e32 v34, 3, v60
	s_mov_b32 s16, 0x5040100
	s_waitcnt lgkmcnt(0)
	v_cndmask_b32_e64 v21, v23, v21, s[36:37]
	v_cndmask_b32_e64 v21, v21, 0, s[38:39]
	v_add_u32_e32 v18, v21, v18
	v_add_u32_e32 v19, v18, v19
	;; [unrolled: 1-line block ×3, first 2 shown]
	ds_write2_b32 v62, v21, v18 offset0:2 offset1:3
	ds_write2_b32 v22, v19, v16 offset0:2 offset1:3
	s_waitcnt lgkmcnt(0)
	s_barrier
	ds_read_b32 v16, v75 offset:8
	ds_read_b32 v18, v73 offset:8
	;; [unrolled: 1-line block ×4, first 2 shown]
	s_waitcnt lgkmcnt(3)
	v_add3_u32 v16, v76, v24, v16
	ds_read_b32 v22, v64 offset:8
	ds_read_b32 v23, v40 offset:8
	;; [unrolled: 1-line block ×4, first 2 shown]
	s_waitcnt lgkmcnt(0)
	s_barrier
	v_add3_u32 v23, v41, v39, v23
	v_add3_u32 v24, v38, v36, v24
	v_add_u32_e32 v32, v32, v33
	v_lshlrev_b32_e32 v33, 1, v32
	ds_write_b16 v33, v31
	v_lshlrev_b32_e32 v31, 1, v24
	v_add3_u32 v22, v65, v63, v22
	ds_write_b16 v31, v30
	v_lshlrev_b32_e32 v30, 1, v23
	v_add3_u32 v21, v68, v66, v21
	;; [unrolled: 3-line block ×4, first 2 shown]
	ds_write_b16 v28, v27
	v_lshlrev_b32_e32 v27, 1, v19
	ds_write_b16 v27, v26
	v_lshlrev_b32_e32 v26, 1, v18
	;; [unrolled: 2-line block ×4, first 2 shown]
	s_waitcnt lgkmcnt(0)
	s_barrier
	v_lshlrev_b32_e32 v26, 3, v21
	v_lshlrev_b32_e32 v27, 3, v19
	;; [unrolled: 1-line block ×3, first 2 shown]
	ds_read_b128 v[18:21], v20
	v_mov_b32_e32 v40, -1
	v_mov_b32_e32 v41, 0x7fff
	v_lshlrev_b32_e32 v25, 3, v32
	v_lshlrev_b32_e32 v24, 3, v24
	s_waitcnt lgkmcnt(0)
	v_cmp_gt_i16_sdwa vcc, v18, v40 src0_sel:WORD_1 src1_sel:DWORD
	v_cndmask_b32_e32 v29, 0, v41, vcc
	v_cmp_lt_i16_e32 vcc, -1, v18
	v_cndmask_b32_e32 v30, 0, v41, vcc
	v_cmp_lt_i16_sdwa s[4:5], v19, v17 src0_sel:WORD_1 src1_sel:DWORD
	v_cmp_gt_i16_e32 vcc, 0, v19
	v_cndmask_b32_e64 v31, v41, 0, s[4:5]
	v_cndmask_b32_e64 v32, v41, 0, vcc
	v_lshlrev_b32_e32 v23, 3, v23
	v_lshlrev_b32_e32 v22, 3, v22
	v_xor_b32_e32 v32, v32, v19
	v_xor_b32_sdwa v19, v31, v19 dst_sel:DWORD dst_unused:UNUSED_PAD src0_sel:DWORD src1_sel:WORD_1
	v_lshlrev_b32_e32 v16, 3, v16
	v_perm_b32 v39, v19, v32, s16
	v_xor_b32_e32 v19, v30, v18
	v_xor_b32_sdwa v18, v29, v18 dst_sel:DWORD dst_unused:UNUSED_PAD src0_sel:DWORD src1_sel:WORD_1
	s_barrier
	ds_write_b64 v25, v[12:13]
	ds_write_b64 v24, v[14:15]
	;; [unrolled: 1-line block ×8, first 2 shown]
	s_waitcnt lgkmcnt(0)
	s_barrier
	ds_read2_b64 v[22:25], v34 offset1:1
	ds_read2_b64 v[26:29], v34 offset0:2 offset1:3
	ds_read2_b64 v[30:33], v34 offset0:4 offset1:5
	;; [unrolled: 1-line block ×3, first 2 shown]
	v_cmp_gt_i16_sdwa vcc, v20, v40 src0_sel:WORD_1 src1_sel:DWORD
	v_cndmask_b32_e32 v0, 0, v41, vcc
	v_cmp_lt_i16_e32 vcc, -1, v20
	v_cndmask_b32_e32 v1, 0, v41, vcc
	v_cmp_lt_i16_sdwa s[4:5], v21, v17 src0_sel:WORD_1 src1_sel:DWORD
	v_cmp_gt_i16_e32 vcc, 0, v21
	v_cndmask_b32_e64 v2, v41, 0, s[4:5]
	v_cndmask_b32_e64 v3, v41, 0, vcc
	v_xor_b32_e32 v3, v3, v21
	v_xor_b32_sdwa v2, v2, v21 dst_sel:DWORD dst_unused:UNUSED_PAD src0_sel:DWORD src1_sel:WORD_1
	v_xor_b32_e32 v1, v1, v20
	v_xor_b32_sdwa v0, v0, v20 dst_sel:DWORD dst_unused:UNUSED_PAD src0_sel:DWORD src1_sel:WORD_1
	v_perm_b32 v38, v18, v19, s16
	v_perm_b32 v41, v2, v3, s16
	;; [unrolled: 1-line block ×3, first 2 shown]
.LBB257_142:
	s_waitcnt lgkmcnt(0)
	s_barrier
	ds_write_b128 v51, v[38:41]
	s_waitcnt lgkmcnt(0)
	s_barrier
	ds_read_u16 v8, v44 offset:256
	ds_read_u16 v7, v45 offset:512
	;; [unrolled: 1-line block ×7, first 2 shown]
	v_mad_u64_u32 v[0:1], s[4:5], v42, s44, 0
	v_mov_b32_e32 v10, v1
	v_mad_u64_u32 v[10:11], s[4:5], v42, s45, v[10:11]
	v_mov_b32_e32 v1, v10
	v_lshlrev_b64 v[0:1], 1, v[0:1]
	v_mov_b32_e32 v9, s50
	v_add_co_u32_e32 v0, vcc, s33, v0
	v_addc_co_u32_e32 v1, vcc, v9, v1, vcc
	s_and_saveexec_b64 s[4:5], s[0:1]
	s_cbranch_execnz .LBB257_161
; %bb.143:
	s_or_b64 exec, exec, s[4:5]
	s_and_saveexec_b64 s[4:5], s[2:3]
	s_cbranch_execnz .LBB257_162
.LBB257_144:
	s_or_b64 exec, exec, s[4:5]
	s_and_saveexec_b64 s[4:5], s[40:41]
	s_cbranch_execnz .LBB257_163
.LBB257_145:
	s_or_b64 exec, exec, s[4:5]
	s_and_saveexec_b64 s[4:5], s[6:7]
	s_cbranch_execnz .LBB257_164
.LBB257_146:
	s_or_b64 exec, exec, s[4:5]
	s_and_saveexec_b64 s[4:5], s[8:9]
	s_cbranch_execnz .LBB257_165
.LBB257_147:
	s_or_b64 exec, exec, s[4:5]
	s_and_saveexec_b64 s[4:5], s[10:11]
	s_cbranch_execnz .LBB257_166
.LBB257_148:
	s_or_b64 exec, exec, s[4:5]
	s_and_saveexec_b64 s[4:5], s[12:13]
	s_cbranch_execnz .LBB257_167
.LBB257_149:
	s_or_b64 exec, exec, s[4:5]
	s_and_saveexec_b64 s[4:5], s[14:15]
	s_cbranch_execz .LBB257_151
.LBB257_150:
	s_waitcnt lgkmcnt(1)
	v_mov_b32_e32 v3, 0x700
	v_mad_u64_u32 v[0:1], s[16:17], s44, v3, v[0:1]
	s_mul_i32 s16, s45, 0x700
	v_add_u32_e32 v1, s16, v1
	s_waitcnt lgkmcnt(0)
	global_store_short v[0:1], v2, off
.LBB257_151:
	s_or_b64 exec, exec, s[4:5]
	s_waitcnt lgkmcnt(0)
	s_barrier
	ds_write2_b64 v61, v[22:23], v[24:25] offset1:1
	ds_write2_b64 v61, v[26:27], v[28:29] offset0:2 offset1:3
	ds_write2_b64 v61, v[30:31], v[32:33] offset0:4 offset1:5
	;; [unrolled: 1-line block ×3, first 2 shown]
	s_waitcnt lgkmcnt(0)
	s_barrier
	ds_read_b64 v[14:15], v53 offset:1024
	ds_read_b64 v[12:13], v54 offset:2048
	;; [unrolled: 1-line block ×7, first 2 shown]
	v_mad_u64_u32 v[4:5], s[4:5], v42, s46, 0
	v_mov_b32_e32 v16, v5
	v_mad_u64_u32 v[16:17], s[4:5], v42, s47, v[16:17]
	v_mov_b32_e32 v5, v16
	v_lshlrev_b64 v[4:5], 3, v[4:5]
	v_mov_b32_e32 v16, s52
	v_add_co_u32_e32 v4, vcc, s51, v4
	v_addc_co_u32_e32 v5, vcc, v16, v5, vcc
	s_and_saveexec_b64 s[4:5], s[0:1]
	s_cbranch_execnz .LBB257_168
; %bb.152:
	s_or_b64 exec, exec, s[4:5]
	s_and_saveexec_b64 s[0:1], s[2:3]
	s_cbranch_execnz .LBB257_169
.LBB257_153:
	s_or_b64 exec, exec, s[0:1]
	s_and_saveexec_b64 s[0:1], s[40:41]
	s_cbranch_execnz .LBB257_170
.LBB257_154:
	s_or_b64 exec, exec, s[0:1]
	s_and_saveexec_b64 s[0:1], s[6:7]
	s_cbranch_execnz .LBB257_171
.LBB257_155:
	s_or_b64 exec, exec, s[0:1]
	s_and_saveexec_b64 s[0:1], s[8:9]
	s_cbranch_execnz .LBB257_172
.LBB257_156:
	s_or_b64 exec, exec, s[0:1]
	s_and_saveexec_b64 s[0:1], s[10:11]
	s_cbranch_execnz .LBB257_173
.LBB257_157:
	s_or_b64 exec, exec, s[0:1]
	s_and_saveexec_b64 s[0:1], s[12:13]
	s_cbranch_execnz .LBB257_174
.LBB257_158:
	s_or_b64 exec, exec, s[0:1]
	s_and_saveexec_b64 s[0:1], s[14:15]
	s_cbranch_execz .LBB257_160
.LBB257_159:
	s_waitcnt lgkmcnt(1)
	v_mov_b32_e32 v2, 0x1c00
	v_mad_u64_u32 v[2:3], s[0:1], s46, v2, v[4:5]
	s_mul_i32 s0, s47, 0x1c00
	v_add_u32_e32 v3, s0, v3
	s_waitcnt lgkmcnt(0)
	global_store_dwordx2 v[2:3], v[0:1], off
.LBB257_160:
	s_endpgm
.LBB257_161:
	ds_read_u16 v9, v43
	s_waitcnt lgkmcnt(0)
	global_store_short v[0:1], v9, off
	s_or_b64 exec, exec, s[4:5]
	s_and_saveexec_b64 s[4:5], s[2:3]
	s_cbranch_execz .LBB257_144
.LBB257_162:
	s_lshl_b64 s[16:17], s[44:45], 8
	v_mov_b32_e32 v9, s17
	v_add_co_u32_e32 v10, vcc, s16, v0
	v_addc_co_u32_e32 v11, vcc, v1, v9, vcc
	s_waitcnt lgkmcnt(6)
	global_store_short v[10:11], v8, off
	s_or_b64 exec, exec, s[4:5]
	s_and_saveexec_b64 s[4:5], s[40:41]
	s_cbranch_execz .LBB257_145
.LBB257_163:
	s_lshl_b64 s[16:17], s[44:45], 9
	v_mov_b32_e32 v9, s17
	s_waitcnt lgkmcnt(6)
	v_add_co_u32_e32 v8, vcc, s16, v0
	v_addc_co_u32_e32 v9, vcc, v1, v9, vcc
	s_waitcnt lgkmcnt(5)
	global_store_short v[8:9], v7, off
	s_or_b64 exec, exec, s[4:5]
	s_and_saveexec_b64 s[4:5], s[6:7]
	s_cbranch_execz .LBB257_146
.LBB257_164:
	s_waitcnt lgkmcnt(5)
	v_mov_b32_e32 v7, 0x300
	v_mad_u64_u32 v[8:9], s[16:17], s44, v7, v[0:1]
	s_mul_i32 s16, s45, 0x300
	v_add_u32_e32 v9, s16, v9
	s_waitcnt lgkmcnt(4)
	global_store_short v[8:9], v6, off
	s_or_b64 exec, exec, s[4:5]
	s_and_saveexec_b64 s[4:5], s[8:9]
	s_cbranch_execz .LBB257_147
.LBB257_165:
	s_lshl_b64 s[16:17], s[44:45], 10
	s_waitcnt lgkmcnt(5)
	v_mov_b32_e32 v7, s17
	s_waitcnt lgkmcnt(4)
	v_add_co_u32_e32 v6, vcc, s16, v0
	v_addc_co_u32_e32 v7, vcc, v1, v7, vcc
	s_waitcnt lgkmcnt(3)
	global_store_short v[6:7], v5, off
	s_or_b64 exec, exec, s[4:5]
	s_and_saveexec_b64 s[4:5], s[10:11]
	s_cbranch_execz .LBB257_148
.LBB257_166:
	s_waitcnt lgkmcnt(3)
	v_mov_b32_e32 v5, 0x500
	v_mad_u64_u32 v[6:7], s[16:17], s44, v5, v[0:1]
	s_mul_i32 s16, s45, 0x500
	v_add_u32_e32 v7, s16, v7
	s_waitcnt lgkmcnt(2)
	global_store_short v[6:7], v4, off
	s_or_b64 exec, exec, s[4:5]
	s_and_saveexec_b64 s[4:5], s[12:13]
	s_cbranch_execz .LBB257_149
.LBB257_167:
	s_waitcnt lgkmcnt(2)
	v_mov_b32_e32 v4, 0x600
	v_mad_u64_u32 v[4:5], s[16:17], s44, v4, v[0:1]
	s_mul_i32 s16, s45, 0x600
	v_add_u32_e32 v5, s16, v5
	s_waitcnt lgkmcnt(1)
	global_store_short v[4:5], v3, off
	s_or_b64 exec, exec, s[4:5]
	s_and_saveexec_b64 s[4:5], s[14:15]
	s_cbranch_execnz .LBB257_150
	s_branch .LBB257_151
.LBB257_168:
	ds_read_b64 v[16:17], v52
	s_waitcnt lgkmcnt(0)
	global_store_dwordx2 v[4:5], v[16:17], off
	s_or_b64 exec, exec, s[4:5]
	s_and_saveexec_b64 s[0:1], s[2:3]
	s_cbranch_execz .LBB257_153
.LBB257_169:
	s_lshl_b64 s[2:3], s[46:47], 10
	v_mov_b32_e32 v17, s3
	v_add_co_u32_e32 v16, vcc, s2, v4
	v_addc_co_u32_e32 v17, vcc, v5, v17, vcc
	s_waitcnt lgkmcnt(6)
	global_store_dwordx2 v[16:17], v[14:15], off
	s_or_b64 exec, exec, s[0:1]
	s_and_saveexec_b64 s[0:1], s[40:41]
	s_cbranch_execz .LBB257_154
.LBB257_170:
	s_lshl_b64 s[2:3], s[46:47], 11
	s_waitcnt lgkmcnt(6)
	v_mov_b32_e32 v15, s3
	v_add_co_u32_e32 v14, vcc, s2, v4
	v_addc_co_u32_e32 v15, vcc, v5, v15, vcc
	s_waitcnt lgkmcnt(5)
	global_store_dwordx2 v[14:15], v[12:13], off
	s_or_b64 exec, exec, s[0:1]
	s_and_saveexec_b64 s[0:1], s[6:7]
	s_cbranch_execz .LBB257_155
.LBB257_171:
	s_waitcnt lgkmcnt(5)
	v_mov_b32_e32 v12, 0xc00
	v_mad_u64_u32 v[12:13], s[2:3], s46, v12, v[4:5]
	s_mul_i32 s2, s47, 0xc00
	v_add_u32_e32 v13, s2, v13
	s_waitcnt lgkmcnt(4)
	global_store_dwordx2 v[12:13], v[10:11], off
	s_or_b64 exec, exec, s[0:1]
	s_and_saveexec_b64 s[0:1], s[8:9]
	s_cbranch_execz .LBB257_156
.LBB257_172:
	s_lshl_b64 s[2:3], s[46:47], 12
	s_waitcnt lgkmcnt(4)
	v_mov_b32_e32 v11, s3
	v_add_co_u32_e32 v10, vcc, s2, v4
	v_addc_co_u32_e32 v11, vcc, v5, v11, vcc
	s_waitcnt lgkmcnt(3)
	global_store_dwordx2 v[10:11], v[8:9], off
	s_or_b64 exec, exec, s[0:1]
	s_and_saveexec_b64 s[0:1], s[10:11]
	s_cbranch_execz .LBB257_157
.LBB257_173:
	s_waitcnt lgkmcnt(3)
	v_mov_b32_e32 v8, 0x1400
	v_mad_u64_u32 v[8:9], s[2:3], s46, v8, v[4:5]
	s_mul_i32 s2, s47, 0x1400
	v_add_u32_e32 v9, s2, v9
	s_waitcnt lgkmcnt(2)
	global_store_dwordx2 v[8:9], v[6:7], off
	s_or_b64 exec, exec, s[0:1]
	s_and_saveexec_b64 s[0:1], s[12:13]
	s_cbranch_execz .LBB257_158
.LBB257_174:
	s_waitcnt lgkmcnt(2)
	v_mov_b32_e32 v6, 0x1800
	v_mad_u64_u32 v[6:7], s[2:3], s46, v6, v[4:5]
	s_mul_i32 s2, s47, 0x1800
	v_add_u32_e32 v7, s2, v7
	s_waitcnt lgkmcnt(1)
	global_store_dwordx2 v[6:7], v[2:3], off
	s_or_b64 exec, exec, s[0:1]
	s_and_saveexec_b64 s[0:1], s[14:15]
	s_cbranch_execnz .LBB257_159
	s_branch .LBB257_160
	.section	.rodata,"a",@progbits
	.p2align	6, 0x0
	.amdhsa_kernel _ZN2at6native18radixSortKVInPlaceILin1ELin1ELi128ELi8EN3c108BFloat16ElmEEvNS_4cuda6detail10TensorInfoIT3_T5_EES8_S8_S8_NS6_IT4_S8_EES8_b
		.amdhsa_group_segment_fixed_size 8448
		.amdhsa_private_segment_fixed_size 0
		.amdhsa_kernarg_size 1128
		.amdhsa_user_sgpr_count 6
		.amdhsa_user_sgpr_private_segment_buffer 1
		.amdhsa_user_sgpr_dispatch_ptr 0
		.amdhsa_user_sgpr_queue_ptr 0
		.amdhsa_user_sgpr_kernarg_segment_ptr 1
		.amdhsa_user_sgpr_dispatch_id 0
		.amdhsa_user_sgpr_flat_scratch_init 0
		.amdhsa_user_sgpr_kernarg_preload_length 0
		.amdhsa_user_sgpr_kernarg_preload_offset 0
		.amdhsa_user_sgpr_private_segment_size 0
		.amdhsa_uses_dynamic_stack 0
		.amdhsa_system_sgpr_private_segment_wavefront_offset 0
		.amdhsa_system_sgpr_workgroup_id_x 1
		.amdhsa_system_sgpr_workgroup_id_y 1
		.amdhsa_system_sgpr_workgroup_id_z 1
		.amdhsa_system_sgpr_workgroup_info 0
		.amdhsa_system_vgpr_workitem_id 2
		.amdhsa_next_free_vgpr 106
		.amdhsa_next_free_sgpr 55
		.amdhsa_accum_offset 108
		.amdhsa_reserve_vcc 1
		.amdhsa_reserve_flat_scratch 0
		.amdhsa_float_round_mode_32 0
		.amdhsa_float_round_mode_16_64 0
		.amdhsa_float_denorm_mode_32 3
		.amdhsa_float_denorm_mode_16_64 3
		.amdhsa_dx10_clamp 1
		.amdhsa_ieee_mode 1
		.amdhsa_fp16_overflow 0
		.amdhsa_tg_split 0
		.amdhsa_exception_fp_ieee_invalid_op 0
		.amdhsa_exception_fp_denorm_src 0
		.amdhsa_exception_fp_ieee_div_zero 0
		.amdhsa_exception_fp_ieee_overflow 0
		.amdhsa_exception_fp_ieee_underflow 0
		.amdhsa_exception_fp_ieee_inexact 0
		.amdhsa_exception_int_div_zero 0
	.end_amdhsa_kernel
	.section	.text._ZN2at6native18radixSortKVInPlaceILin1ELin1ELi128ELi8EN3c108BFloat16ElmEEvNS_4cuda6detail10TensorInfoIT3_T5_EES8_S8_S8_NS6_IT4_S8_EES8_b,"axG",@progbits,_ZN2at6native18radixSortKVInPlaceILin1ELin1ELi128ELi8EN3c108BFloat16ElmEEvNS_4cuda6detail10TensorInfoIT3_T5_EES8_S8_S8_NS6_IT4_S8_EES8_b,comdat
.Lfunc_end257:
	.size	_ZN2at6native18radixSortKVInPlaceILin1ELin1ELi128ELi8EN3c108BFloat16ElmEEvNS_4cuda6detail10TensorInfoIT3_T5_EES8_S8_S8_NS6_IT4_S8_EES8_b, .Lfunc_end257-_ZN2at6native18radixSortKVInPlaceILin1ELin1ELi128ELi8EN3c108BFloat16ElmEEvNS_4cuda6detail10TensorInfoIT3_T5_EES8_S8_S8_NS6_IT4_S8_EES8_b
                                        ; -- End function
	.section	.AMDGPU.csdata,"",@progbits
; Kernel info:
; codeLenInByte = 22884
; NumSgprs: 59
; NumVgprs: 106
; NumAgprs: 0
; TotalNumVgprs: 106
; ScratchSize: 0
; MemoryBound: 0
; FloatMode: 240
; IeeeMode: 1
; LDSByteSize: 8448 bytes/workgroup (compile time only)
; SGPRBlocks: 7
; VGPRBlocks: 13
; NumSGPRsForWavesPerEU: 59
; NumVGPRsForWavesPerEU: 106
; AccumOffset: 108
; Occupancy: 4
; WaveLimiterHint : 1
; COMPUTE_PGM_RSRC2:SCRATCH_EN: 0
; COMPUTE_PGM_RSRC2:USER_SGPR: 6
; COMPUTE_PGM_RSRC2:TRAP_HANDLER: 0
; COMPUTE_PGM_RSRC2:TGID_X_EN: 1
; COMPUTE_PGM_RSRC2:TGID_Y_EN: 1
; COMPUTE_PGM_RSRC2:TGID_Z_EN: 1
; COMPUTE_PGM_RSRC2:TIDIG_COMP_CNT: 2
; COMPUTE_PGM_RSRC3_GFX90A:ACCUM_OFFSET: 26
; COMPUTE_PGM_RSRC3_GFX90A:TG_SPLIT: 0
	.section	.text._ZN2at6native18radixSortKVInPlaceILin1ELin1ELi32ELi4EN3c108BFloat16ElmEEvNS_4cuda6detail10TensorInfoIT3_T5_EES8_S8_S8_NS6_IT4_S8_EES8_b,"axG",@progbits,_ZN2at6native18radixSortKVInPlaceILin1ELin1ELi32ELi4EN3c108BFloat16ElmEEvNS_4cuda6detail10TensorInfoIT3_T5_EES8_S8_S8_NS6_IT4_S8_EES8_b,comdat
	.protected	_ZN2at6native18radixSortKVInPlaceILin1ELin1ELi32ELi4EN3c108BFloat16ElmEEvNS_4cuda6detail10TensorInfoIT3_T5_EES8_S8_S8_NS6_IT4_S8_EES8_b ; -- Begin function _ZN2at6native18radixSortKVInPlaceILin1ELin1ELi32ELi4EN3c108BFloat16ElmEEvNS_4cuda6detail10TensorInfoIT3_T5_EES8_S8_S8_NS6_IT4_S8_EES8_b
	.globl	_ZN2at6native18radixSortKVInPlaceILin1ELin1ELi32ELi4EN3c108BFloat16ElmEEvNS_4cuda6detail10TensorInfoIT3_T5_EES8_S8_S8_NS6_IT4_S8_EES8_b
	.p2align	8
	.type	_ZN2at6native18radixSortKVInPlaceILin1ELin1ELi32ELi4EN3c108BFloat16ElmEEvNS_4cuda6detail10TensorInfoIT3_T5_EES8_S8_S8_NS6_IT4_S8_EES8_b,@function
_ZN2at6native18radixSortKVInPlaceILin1ELin1ELi32ELi4EN3c108BFloat16ElmEEvNS_4cuda6detail10TensorInfoIT3_T5_EES8_S8_S8_NS6_IT4_S8_EES8_b: ; @_ZN2at6native18radixSortKVInPlaceILin1ELin1ELi32ELi4EN3c108BFloat16ElmEEvNS_4cuda6detail10TensorInfoIT3_T5_EES8_S8_S8_NS6_IT4_S8_EES8_b
; %bb.0:
	s_load_dwordx4 s[12:15], s[4:5], 0x1a0
	s_load_dwordx2 s[0:1], s[4:5], 0x368
	s_waitcnt lgkmcnt(0)
	v_mov_b32_e32 v2, s12
	s_mul_i32 s1, s1, s8
	s_add_i32 s1, s1, s7
	s_mul_i32 s0, s1, s0
	v_mov_b32_e32 v3, s13
	s_add_i32 s6, s0, s6
	s_mov_b32 s7, 0
	v_cmp_ge_u64_e32 vcc, s[6:7], v[2:3]
	s_cbranch_vccnz .LBB258_74
; %bb.1:
	s_load_dword s0, s[4:5], 0x198
	s_load_dwordx2 s[26:27], s[4:5], 0x1b0
	s_mov_b64 s[2:3], 0
	s_mov_b64 s[10:11], s[6:7]
	s_waitcnt lgkmcnt(0)
	s_cmp_lt_i32 s0, 2
	s_cbranch_scc1 .LBB258_9
; %bb.2:
	s_mov_b32 s8, 0
	s_add_i32 s15, s0, 1
	s_add_i32 s0, s0, -1
	s_mov_b32 s1, s8
	s_lshl_b64 s[0:1], s[0:1], 3
	s_add_u32 s0, s0, s4
	s_addc_u32 s1, s1, s5
	s_add_u32 s12, s0, 8
	s_addc_u32 s13, s1, 0
	s_mov_b64 s[16:17], s[6:7]
.LBB258_3:                              ; =>This Inner Loop Header: Depth=1
	s_load_dwordx2 s[18:19], s[12:13], 0x0
	s_waitcnt lgkmcnt(0)
	s_or_b64 s[0:1], s[16:17], s[18:19]
	s_mov_b32 s9, s1
	s_cmp_lg_u64 s[8:9], 0
	s_cbranch_scc0 .LBB258_8
; %bb.4:                                ;   in Loop: Header=BB258_3 Depth=1
	v_cvt_f32_u32_e32 v1, s18
	v_cvt_f32_u32_e32 v2, s19
	s_sub_u32 s0, 0, s18
	s_subb_u32 s1, 0, s19
	v_mac_f32_e32 v1, 0x4f800000, v2
	v_rcp_f32_e32 v1, v1
	v_mul_f32_e32 v1, 0x5f7ffffc, v1
	v_mul_f32_e32 v2, 0x2f800000, v1
	v_trunc_f32_e32 v2, v2
	v_mac_f32_e32 v1, 0xcf800000, v2
	v_cvt_u32_f32_e32 v2, v2
	v_cvt_u32_f32_e32 v1, v1
	v_readfirstlane_b32 s9, v2
	v_readfirstlane_b32 s10, v1
	s_mul_i32 s11, s0, s9
	s_mul_hi_u32 s21, s0, s10
	s_mul_i32 s20, s1, s10
	s_add_i32 s11, s21, s11
	s_mul_i32 s22, s0, s10
	s_add_i32 s11, s11, s20
	s_mul_hi_u32 s20, s10, s11
	s_mul_i32 s21, s10, s11
	s_mul_hi_u32 s10, s10, s22
	s_add_u32 s10, s10, s21
	s_addc_u32 s20, 0, s20
	s_mul_hi_u32 s23, s9, s22
	s_mul_i32 s22, s9, s22
	s_add_u32 s10, s10, s22
	s_mul_hi_u32 s21, s9, s11
	s_addc_u32 s10, s20, s23
	s_addc_u32 s20, s21, 0
	s_mul_i32 s11, s9, s11
	s_add_u32 s10, s10, s11
	s_addc_u32 s11, 0, s20
	v_add_co_u32_e32 v1, vcc, s10, v1
	s_cmp_lg_u64 vcc, 0
	s_addc_u32 s9, s9, s11
	v_readfirstlane_b32 s11, v1
	s_mul_i32 s10, s0, s9
	s_mul_hi_u32 s20, s0, s11
	s_add_i32 s10, s20, s10
	s_mul_i32 s1, s1, s11
	s_add_i32 s10, s10, s1
	s_mul_i32 s0, s0, s11
	s_mul_hi_u32 s20, s9, s0
	s_mul_i32 s21, s9, s0
	s_mul_i32 s23, s11, s10
	s_mul_hi_u32 s0, s11, s0
	s_mul_hi_u32 s22, s11, s10
	s_add_u32 s0, s0, s23
	s_addc_u32 s11, 0, s22
	s_add_u32 s0, s0, s21
	s_mul_hi_u32 s1, s9, s10
	s_addc_u32 s0, s11, s20
	s_addc_u32 s1, s1, 0
	s_mul_i32 s10, s9, s10
	s_add_u32 s0, s0, s10
	s_addc_u32 s1, 0, s1
	v_add_co_u32_e32 v1, vcc, s0, v1
	s_cmp_lg_u64 vcc, 0
	s_addc_u32 s0, s9, s1
	v_readfirstlane_b32 s10, v1
	s_mul_i32 s9, s16, s0
	s_mul_hi_u32 s11, s16, s10
	s_mul_hi_u32 s1, s16, s0
	s_add_u32 s9, s11, s9
	s_addc_u32 s1, 0, s1
	s_mul_hi_u32 s20, s17, s10
	s_mul_i32 s10, s17, s10
	s_add_u32 s9, s9, s10
	s_mul_hi_u32 s11, s17, s0
	s_addc_u32 s1, s1, s20
	s_addc_u32 s9, s11, 0
	s_mul_i32 s0, s17, s0
	s_add_u32 s10, s1, s0
	s_addc_u32 s9, 0, s9
	s_mul_i32 s0, s18, s9
	s_mul_hi_u32 s1, s18, s10
	s_add_i32 s0, s1, s0
	s_mul_i32 s1, s19, s10
	s_add_i32 s11, s0, s1
	s_mul_i32 s1, s18, s10
	v_mov_b32_e32 v1, s1
	s_sub_i32 s0, s17, s11
	v_sub_co_u32_e32 v1, vcc, s16, v1
	s_cmp_lg_u64 vcc, 0
	s_subb_u32 s20, s0, s19
	v_subrev_co_u32_e64 v2, s[0:1], s18, v1
	s_cmp_lg_u64 s[0:1], 0
	s_subb_u32 s0, s20, 0
	s_cmp_ge_u32 s0, s19
	v_readfirstlane_b32 s20, v2
	s_cselect_b32 s1, -1, 0
	s_cmp_ge_u32 s20, s18
	s_cselect_b32 s20, -1, 0
	s_cmp_eq_u32 s0, s19
	s_cselect_b32 s0, s20, s1
	s_add_u32 s1, s10, 1
	s_addc_u32 s20, s9, 0
	s_add_u32 s21, s10, 2
	s_addc_u32 s22, s9, 0
	s_cmp_lg_u32 s0, 0
	s_cselect_b32 s0, s21, s1
	s_cselect_b32 s1, s22, s20
	s_cmp_lg_u64 vcc, 0
	s_subb_u32 s11, s17, s11
	s_cmp_ge_u32 s11, s19
	v_readfirstlane_b32 s21, v1
	s_cselect_b32 s20, -1, 0
	s_cmp_ge_u32 s21, s18
	s_cselect_b32 s21, -1, 0
	s_cmp_eq_u32 s11, s19
	s_cselect_b32 s11, s21, s20
	s_cmp_lg_u32 s11, 0
	s_cselect_b32 s11, s1, s9
	s_cselect_b32 s10, s0, s10
	s_cbranch_execnz .LBB258_6
.LBB258_5:                              ;   in Loop: Header=BB258_3 Depth=1
	v_cvt_f32_u32_e32 v1, s18
	s_sub_i32 s0, 0, s18
	s_mov_b32 s11, s8
	v_rcp_iflag_f32_e32 v1, v1
	v_mul_f32_e32 v1, 0x4f7ffffe, v1
	v_cvt_u32_f32_e32 v1, v1
	v_readfirstlane_b32 s1, v1
	s_mul_i32 s0, s0, s1
	s_mul_hi_u32 s0, s1, s0
	s_add_i32 s1, s1, s0
	s_mul_hi_u32 s0, s16, s1
	s_mul_i32 s9, s0, s18
	s_sub_i32 s9, s16, s9
	s_add_i32 s1, s0, 1
	s_sub_i32 s10, s9, s18
	s_cmp_ge_u32 s9, s18
	s_cselect_b32 s0, s1, s0
	s_cselect_b32 s9, s10, s9
	s_add_i32 s1, s0, 1
	s_cmp_ge_u32 s9, s18
	s_cselect_b32 s10, s1, s0
.LBB258_6:                              ;   in Loop: Header=BB258_3 Depth=1
	s_mul_i32 s0, s10, s19
	s_mul_hi_u32 s1, s10, s18
	s_add_i32 s9, s1, s0
	s_load_dwordx2 s[0:1], s[12:13], 0xc8
	s_mul_i32 s19, s11, s18
	s_add_i32 s9, s9, s19
	s_mul_i32 s18, s10, s18
	s_sub_u32 s16, s16, s18
	s_subb_u32 s9, s17, s9
	s_waitcnt lgkmcnt(0)
	s_mul_i32 s9, s0, s9
	s_mul_hi_u32 s17, s0, s16
	s_add_i32 s9, s17, s9
	s_mul_i32 s1, s1, s16
	s_add_i32 s9, s9, s1
	s_mul_i32 s0, s0, s16
	s_add_u32 s2, s0, s2
	s_addc_u32 s3, s9, s3
	s_add_i32 s15, s15, -1
	s_add_u32 s12, s12, -8
	s_addc_u32 s13, s13, -1
	s_cmp_gt_u32 s15, 2
	s_cbranch_scc0 .LBB258_9
; %bb.7:                                ;   in Loop: Header=BB258_3 Depth=1
	s_mov_b64 s[16:17], s[10:11]
	s_branch .LBB258_3
.LBB258_8:                              ;   in Loop: Header=BB258_3 Depth=1
                                        ; implicit-def: $sgpr10_sgpr11
	s_branch .LBB258_5
.LBB258_9:
	s_load_dword s0, s[4:5], 0x350
	s_load_dwordx2 s[12:13], s[4:5], 0xd0
	s_mov_b64 s[8:9], 0
	s_waitcnt lgkmcnt(0)
	s_cmp_lt_i32 s0, 2
	s_cbranch_scc1 .LBB258_17
; %bb.10:
	s_mov_b32 s16, 0
	s_add_i32 s15, s0, 1
	s_add_i32 s0, s0, -1
	s_mov_b32 s1, s16
	s_lshl_b64 s[0:1], s[0:1], 3
	s_add_u32 s0, s0, s4
	s_addc_u32 s1, s1, s5
	s_add_u32 s18, s0, 0x1c0
	s_addc_u32 s19, s1, 0
.LBB258_11:                             ; =>This Inner Loop Header: Depth=1
	s_load_dwordx2 s[22:23], s[18:19], 0x0
	s_waitcnt lgkmcnt(0)
	s_or_b64 s[0:1], s[6:7], s[22:23]
	s_mov_b32 s17, s1
	s_cmp_lg_u64 s[16:17], 0
	s_cbranch_scc0 .LBB258_16
; %bb.12:                               ;   in Loop: Header=BB258_11 Depth=1
	v_cvt_f32_u32_e32 v1, s22
	v_cvt_f32_u32_e32 v2, s23
	s_sub_u32 s0, 0, s22
	s_subb_u32 s1, 0, s23
	v_mac_f32_e32 v1, 0x4f800000, v2
	v_rcp_f32_e32 v1, v1
	v_mul_f32_e32 v1, 0x5f7ffffc, v1
	v_mul_f32_e32 v2, 0x2f800000, v1
	v_trunc_f32_e32 v2, v2
	v_mac_f32_e32 v1, 0xcf800000, v2
	v_cvt_u32_f32_e32 v2, v2
	v_cvt_u32_f32_e32 v1, v1
	v_readfirstlane_b32 s17, v2
	v_readfirstlane_b32 s20, v1
	s_mul_i32 s21, s0, s17
	s_mul_hi_u32 s25, s0, s20
	s_mul_i32 s24, s1, s20
	s_add_i32 s21, s25, s21
	s_mul_i32 s28, s0, s20
	s_add_i32 s21, s21, s24
	s_mul_hi_u32 s24, s20, s21
	s_mul_i32 s25, s20, s21
	s_mul_hi_u32 s20, s20, s28
	s_add_u32 s20, s20, s25
	s_addc_u32 s24, 0, s24
	s_mul_hi_u32 s29, s17, s28
	s_mul_i32 s28, s17, s28
	s_add_u32 s20, s20, s28
	s_mul_hi_u32 s25, s17, s21
	s_addc_u32 s20, s24, s29
	s_addc_u32 s24, s25, 0
	s_mul_i32 s21, s17, s21
	s_add_u32 s20, s20, s21
	s_addc_u32 s21, 0, s24
	v_add_co_u32_e32 v1, vcc, s20, v1
	s_cmp_lg_u64 vcc, 0
	s_addc_u32 s17, s17, s21
	v_readfirstlane_b32 s21, v1
	s_mul_i32 s20, s0, s17
	s_mul_hi_u32 s24, s0, s21
	s_add_i32 s20, s24, s20
	s_mul_i32 s1, s1, s21
	s_add_i32 s20, s20, s1
	s_mul_i32 s0, s0, s21
	s_mul_hi_u32 s24, s17, s0
	s_mul_i32 s25, s17, s0
	s_mul_i32 s29, s21, s20
	s_mul_hi_u32 s0, s21, s0
	s_mul_hi_u32 s28, s21, s20
	s_add_u32 s0, s0, s29
	s_addc_u32 s21, 0, s28
	s_add_u32 s0, s0, s25
	s_mul_hi_u32 s1, s17, s20
	s_addc_u32 s0, s21, s24
	s_addc_u32 s1, s1, 0
	s_mul_i32 s20, s17, s20
	s_add_u32 s0, s0, s20
	s_addc_u32 s1, 0, s1
	v_add_co_u32_e32 v1, vcc, s0, v1
	s_cmp_lg_u64 vcc, 0
	s_addc_u32 s0, s17, s1
	v_readfirstlane_b32 s20, v1
	s_mul_i32 s17, s6, s0
	s_mul_hi_u32 s21, s6, s20
	s_mul_hi_u32 s1, s6, s0
	s_add_u32 s17, s21, s17
	s_addc_u32 s1, 0, s1
	s_mul_hi_u32 s24, s7, s20
	s_mul_i32 s20, s7, s20
	s_add_u32 s17, s17, s20
	s_mul_hi_u32 s21, s7, s0
	s_addc_u32 s1, s1, s24
	s_addc_u32 s17, s21, 0
	s_mul_i32 s0, s7, s0
	s_add_u32 s20, s1, s0
	s_addc_u32 s17, 0, s17
	s_mul_i32 s0, s22, s17
	s_mul_hi_u32 s1, s22, s20
	s_add_i32 s0, s1, s0
	s_mul_i32 s1, s23, s20
	s_add_i32 s21, s0, s1
	s_mul_i32 s1, s22, s20
	v_mov_b32_e32 v1, s1
	s_sub_i32 s0, s7, s21
	v_sub_co_u32_e32 v1, vcc, s6, v1
	s_cmp_lg_u64 vcc, 0
	s_subb_u32 s24, s0, s23
	v_subrev_co_u32_e64 v2, s[0:1], s22, v1
	s_cmp_lg_u64 s[0:1], 0
	s_subb_u32 s0, s24, 0
	s_cmp_ge_u32 s0, s23
	v_readfirstlane_b32 s24, v2
	s_cselect_b32 s1, -1, 0
	s_cmp_ge_u32 s24, s22
	s_cselect_b32 s24, -1, 0
	s_cmp_eq_u32 s0, s23
	s_cselect_b32 s0, s24, s1
	s_add_u32 s1, s20, 1
	s_addc_u32 s24, s17, 0
	s_add_u32 s25, s20, 2
	s_addc_u32 s28, s17, 0
	s_cmp_lg_u32 s0, 0
	s_cselect_b32 s0, s25, s1
	s_cselect_b32 s1, s28, s24
	s_cmp_lg_u64 vcc, 0
	s_subb_u32 s21, s7, s21
	s_cmp_ge_u32 s21, s23
	v_readfirstlane_b32 s25, v1
	s_cselect_b32 s24, -1, 0
	s_cmp_ge_u32 s25, s22
	s_cselect_b32 s25, -1, 0
	s_cmp_eq_u32 s21, s23
	s_cselect_b32 s21, s25, s24
	s_cmp_lg_u32 s21, 0
	s_cselect_b32 s21, s1, s17
	s_cselect_b32 s20, s0, s20
	s_cbranch_execnz .LBB258_14
.LBB258_13:                             ;   in Loop: Header=BB258_11 Depth=1
	v_cvt_f32_u32_e32 v1, s22
	s_sub_i32 s0, 0, s22
	s_mov_b32 s21, s16
	v_rcp_iflag_f32_e32 v1, v1
	v_mul_f32_e32 v1, 0x4f7ffffe, v1
	v_cvt_u32_f32_e32 v1, v1
	v_readfirstlane_b32 s1, v1
	s_mul_i32 s0, s0, s1
	s_mul_hi_u32 s0, s1, s0
	s_add_i32 s1, s1, s0
	s_mul_hi_u32 s0, s6, s1
	s_mul_i32 s17, s0, s22
	s_sub_i32 s17, s6, s17
	s_add_i32 s1, s0, 1
	s_sub_i32 s20, s17, s22
	s_cmp_ge_u32 s17, s22
	s_cselect_b32 s0, s1, s0
	s_cselect_b32 s17, s20, s17
	s_add_i32 s1, s0, 1
	s_cmp_ge_u32 s17, s22
	s_cselect_b32 s20, s1, s0
.LBB258_14:                             ;   in Loop: Header=BB258_11 Depth=1
	s_mul_i32 s0, s20, s23
	s_mul_hi_u32 s1, s20, s22
	s_add_i32 s17, s1, s0
	s_load_dwordx2 s[0:1], s[18:19], 0xc8
	s_mul_i32 s23, s21, s22
	s_add_i32 s17, s17, s23
	s_mul_i32 s22, s20, s22
	s_sub_u32 s6, s6, s22
	s_subb_u32 s7, s7, s17
	s_waitcnt lgkmcnt(0)
	s_mul_i32 s7, s0, s7
	s_mul_hi_u32 s17, s0, s6
	s_add_i32 s7, s17, s7
	s_mul_i32 s1, s1, s6
	s_add_i32 s7, s7, s1
	s_mul_i32 s0, s0, s6
	s_add_u32 s8, s0, s8
	s_addc_u32 s9, s7, s9
	s_add_i32 s15, s15, -1
	s_add_u32 s18, s18, -8
	s_addc_u32 s19, s19, -1
	s_cmp_gt_u32 s15, 2
	s_cbranch_scc0 .LBB258_18
; %bb.15:                               ;   in Loop: Header=BB258_11 Depth=1
	s_mov_b64 s[6:7], s[20:21]
	s_branch .LBB258_11
.LBB258_16:                             ;   in Loop: Header=BB258_11 Depth=1
                                        ; implicit-def: $sgpr20_sgpr21
	s_branch .LBB258_13
.LBB258_17:
	s_mov_b64 s[20:21], s[6:7]
.LBB258_18:
	s_mul_i32 s0, s12, s11
	s_load_dword s11, s[4:5], 0x360
	s_load_dwordx2 s[6:7], s[4:5], 0x0
	s_mul_hi_u32 s1, s12, s10
	s_add_i32 s0, s1, s0
	s_mul_i32 s1, s13, s10
	s_add_i32 s1, s0, s1
	s_waitcnt lgkmcnt(0)
	s_bitcmp1_b32 s11, 0
	s_mul_i32 s0, s12, s10
	s_cselect_b64 s[10:11], -1, 0
	s_mov_b32 s15, 0xffff
	s_and_b64 s[12:13], s[10:11], exec
	s_cselect_b32 s15, s15, 0x7fff
	s_lshl_b64 s[0:1], s[0:1], 1
	s_add_u32 s6, s6, s0
	s_addc_u32 s7, s7, s1
	s_lshl_b64 s[0:1], s[2:3], 1
	s_add_u32 s33, s6, s0
	s_addc_u32 s38, s7, s1
	v_cmp_gt_u32_e64 s[0:1], s14, v0
	v_mov_b32_e32 v2, s15
	s_and_saveexec_b64 s[2:3], s[0:1]
	s_cbranch_execz .LBB258_20
; %bb.19:
	v_mad_u64_u32 v[2:3], s[6:7], v0, s26, 0
	v_mov_b32_e32 v4, v3
	v_mad_u64_u32 v[4:5], s[6:7], v0, s27, v[4:5]
	v_mov_b32_e32 v3, v4
	v_lshlrev_b64 v[2:3], 1, v[2:3]
	v_mov_b32_e32 v1, s38
	v_add_co_u32_e32 v2, vcc, s33, v2
	v_addc_co_u32_e32 v3, vcc, v1, v3, vcc
	global_load_ushort v2, v[2:3], off
.LBB258_20:
	s_or_b64 exec, exec, s[2:3]
	v_or_b32_e32 v1, 32, v0
	v_cmp_gt_u32_e64 s[2:3], s14, v1
	v_mov_b32_e32 v3, s15
	s_and_saveexec_b64 s[6:7], s[2:3]
	s_cbranch_execz .LBB258_22
; %bb.21:
	v_mad_u64_u32 v[4:5], s[12:13], v1, s26, 0
	v_mov_b32_e32 v6, v5
	v_mad_u64_u32 v[6:7], s[12:13], v1, s27, v[6:7]
	v_mov_b32_e32 v5, v6
	v_lshlrev_b64 v[4:5], 1, v[4:5]
	v_mov_b32_e32 v3, s38
	v_add_co_u32_e32 v4, vcc, s33, v4
	v_addc_co_u32_e32 v5, vcc, v3, v5, vcc
	global_load_ushort v3, v[4:5], off
.LBB258_22:
	s_or_b64 exec, exec, s[6:7]
	s_load_dwordx2 s[16:17], s[4:5], 0x288
	s_load_dwordx2 s[12:13], s[4:5], 0x1b8
	v_or_b32_e32 v12, 64, v0
	v_cmp_gt_u32_e64 s[24:25], s14, v12
	v_mov_b32_e32 v4, s15
	s_and_saveexec_b64 s[6:7], s[24:25]
	s_cbranch_execz .LBB258_24
; %bb.23:
	v_mad_u64_u32 v[4:5], s[18:19], v12, s26, 0
	v_mov_b32_e32 v6, v5
	v_mad_u64_u32 v[6:7], s[18:19], v12, s27, v[6:7]
	v_mov_b32_e32 v5, v6
	v_lshlrev_b64 v[4:5], 1, v[4:5]
	v_mov_b32_e32 v6, s38
	v_add_co_u32_e32 v4, vcc, s33, v4
	v_addc_co_u32_e32 v5, vcc, v6, v5, vcc
	global_load_ushort v4, v[4:5], off
.LBB258_24:
	s_or_b64 exec, exec, s[6:7]
	v_or_b32_e32 v11, 0x60, v0
	v_cmp_gt_u32_e64 s[6:7], s14, v11
	v_mov_b32_e32 v5, s15
	s_and_saveexec_b64 s[14:15], s[6:7]
	s_cbranch_execz .LBB258_26
; %bb.25:
	v_mad_u64_u32 v[6:7], s[18:19], v11, s26, 0
	v_mov_b32_e32 v8, v7
	v_mad_u64_u32 v[8:9], s[18:19], v11, s27, v[8:9]
	v_mov_b32_e32 v7, v8
	v_lshlrev_b64 v[6:7], 1, v[6:7]
	v_mov_b32_e32 v5, s38
	v_add_co_u32_e32 v6, vcc, s33, v6
	v_addc_co_u32_e32 v7, vcc, v5, v7, vcc
	global_load_ushort v5, v[6:7], off
.LBB258_26:
	s_or_b64 exec, exec, s[14:15]
	s_waitcnt lgkmcnt(0)
	s_mul_i32 s14, s16, s21
	s_mul_hi_u32 s15, s16, s20
	v_lshlrev_b32_e32 v30, 1, v0
	v_lshrrev_b32_e32 v14, 5, v12
	s_add_i32 s14, s15, s14
	s_mul_i32 s15, s17, s20
	s_waitcnt vmcnt(0)
	ds_write_b16 v30, v2
	ds_write_b16 v30, v3 offset:64
	v_and_b32_e32 v2, 2, v14
	v_lshrrev_b32_e32 v13, 5, v11
	s_add_i32 s15, s14, s15
	s_mul_i32 s14, s16, s20
	v_add_lshl_u32 v31, v2, v0, 1
	v_and_b32_e32 v2, 2, v13
	v_lshlrev_b32_e32 v10, 2, v0
	v_lshrrev_b32_e32 v15, 3, v0
	s_lshl_b64 s[14:15], s[14:15], 3
	v_add_lshl_u32 v32, v2, v0, 1
	v_and_or_b32 v2, v15, 2, v10
	s_add_u32 s12, s12, s14
	v_lshlrev_b32_e32 v33, 1, v2
	s_addc_u32 s13, s13, s15
	s_lshl_b64 s[8:9], s[8:9], 3
	s_load_dwordx2 s[4:5], s[4:5], 0x358
	ds_write_b16 v31, v4 offset:128
	ds_write_b16 v32, v5 offset:192
	s_waitcnt lgkmcnt(0)
	; wave barrier
	s_waitcnt lgkmcnt(0)
	ds_read_b64 v[18:19], v33
	s_add_u32 s39, s12, s8
	s_mov_b32 s12, 0
	s_addc_u32 s40, s13, s9
	s_mov_b32 s13, s12
	s_mov_b32 s14, s12
	;; [unrolled: 1-line block ×7, first 2 shown]
	v_pk_mov_b32 v[2:3], s[12:13], s[12:13] op_sel:[0,1]
	v_pk_mov_b32 v[4:5], s[14:15], s[14:15] op_sel:[0,1]
	;; [unrolled: 1-line block ×4, first 2 shown]
	v_pk_mov_b32 v[2:3], 0, 0
	s_waitcnt lgkmcnt(0)
	; wave barrier
	s_waitcnt lgkmcnt(0)
	s_and_saveexec_b64 s[8:9], s[0:1]
	s_cbranch_execnz .LBB258_47
; %bb.27:
	s_or_b64 exec, exec, s[8:9]
	s_and_saveexec_b64 s[8:9], s[2:3]
	s_cbranch_execnz .LBB258_48
.LBB258_28:
	s_or_b64 exec, exec, s[8:9]
	s_and_saveexec_b64 s[8:9], s[24:25]
	s_cbranch_execz .LBB258_30
.LBB258_29:
	v_mad_u64_u32 v[6:7], s[12:13], v12, s4, 0
	v_mov_b32_e32 v16, v7
	v_mad_u64_u32 v[16:17], s[12:13], v12, s5, v[16:17]
	v_mov_b32_e32 v7, v16
	v_lshlrev_b64 v[6:7], 3, v[6:7]
	v_mov_b32_e32 v12, s40
	v_add_co_u32_e32 v6, vcc, s39, v6
	v_addc_co_u32_e32 v7, vcc, v12, v7, vcc
	global_load_dwordx2 v[6:7], v[6:7], off
.LBB258_30:
	s_or_b64 exec, exec, s[8:9]
	s_xor_b64 s[28:29], s[10:11], -1
	v_lshrrev_b32_e32 v12, 5, v1
	s_and_saveexec_b64 s[8:9], s[6:7]
	s_cbranch_execz .LBB258_32
; %bb.31:
	v_mad_u64_u32 v[8:9], s[10:11], v11, s4, 0
	v_mov_b32_e32 v16, v9
	v_mad_u64_u32 v[16:17], s[10:11], v11, s5, v[16:17]
	v_mov_b32_e32 v9, v16
	v_lshlrev_b64 v[8:9], 3, v[8:9]
	v_mov_b32_e32 v11, s40
	v_add_co_u32_e32 v8, vcc, s39, v8
	v_addc_co_u32_e32 v9, vcc, v11, v9, vcc
	global_load_dwordx2 v[8:9], v[8:9], off
.LBB258_32:
	s_or_b64 exec, exec, s[8:9]
	v_mbcnt_lo_u32_b32 v11, -1, 0
	v_mbcnt_hi_u32_b32 v11, -1, v11
	v_lshlrev_b32_e32 v34, 3, v0
	v_add_lshl_u32 v35, v12, v0, 3
	v_add_lshl_u32 v36, v14, v0, 3
	;; [unrolled: 1-line block ×4, first 2 shown]
	s_getpc_b64 s[8:9]
	s_add_u32 s8, s8, _ZN7rocprim17ROCPRIM_400000_NS16block_radix_sortI12hip_bfloat16Lj32ELj4ElLj1ELj1ELj0ELNS0_26block_radix_rank_algorithmE1ELNS0_18block_padding_hintE2ELNS0_4arch9wavefront6targetE1EE19radix_bits_per_passE@rel32@lo+4
	s_addc_u32 s9, s9, _ZN7rocprim17ROCPRIM_400000_NS16block_radix_sortI12hip_bfloat16Lj32ELj4ElLj1ELj1ELj0ELNS0_26block_radix_rank_algorithmE1ELNS0_18block_padding_hintE2ELNS0_4arch9wavefront6targetE1EE19radix_bits_per_passE@rel32@hi+12
	v_and_b32_e32 v12, 15, v11
	s_waitcnt vmcnt(0)
	ds_write_b64 v34, v[2:3]
	ds_write_b64 v35, v[4:5] offset:256
	ds_write_b64 v36, v[6:7] offset:512
	;; [unrolled: 1-line block ×3, first 2 shown]
	s_waitcnt lgkmcnt(0)
	; wave barrier
	s_waitcnt lgkmcnt(0)
	ds_read2_b64 v[2:5], v38 offset1:1
	ds_read2_b64 v[6:9], v38 offset0:2 offset1:3
	s_load_dword s41, s[8:9], 0x0
	v_cmp_eq_u32_e64 s[10:11], 0, v12
	v_cmp_lt_u32_e64 s[12:13], 1, v12
	v_cmp_lt_u32_e64 s[14:15], 3, v12
	;; [unrolled: 1-line block ×3, first 2 shown]
	v_and_b32_e32 v12, 16, v11
	v_cmp_eq_u32_e64 s[18:19], 0, v12
	v_add_u32_e32 v12, -1, v11
	v_and_b32_e32 v13, 0x60, v11
	v_cmp_lt_i32_e32 vcc, v12, v13
	s_movk_i32 s8, 0x100
	v_cndmask_b32_e32 v12, v12, v11, vcc
	v_cmp_gt_u32_e64 s[8:9], s8, v0
	v_lshlrev_b32_e32 v41, 5, v0
	s_mov_b32 s42, 0
	v_cmp_eq_u32_e64 s[20:21], 31, v0
	v_lshlrev_b32_e32 v42, 2, v12
	v_cmp_eq_u32_e64 s[22:23], 0, v11
	v_lshlrev_b32_e32 v40, 1, v10
	v_lshlrev_b32_e32 v39, 3, v10
	s_and_b64 vcc, exec, s[28:29]
	v_add_u32_e64 v43, 7, 2
	s_waitcnt lgkmcnt(0)
	; wave barrier
	s_waitcnt lgkmcnt(0)
	s_cbranch_vccz .LBB258_49
; %bb.33:
	v_mov_b32_e32 v44, 0xffff8000
	v_cmp_lt_i16_e32 vcc, -1, v18
	v_cndmask_b32_e32 v10, -1, v44, vcc
	v_xor_b32_e32 v28, v10, v18
	v_mov_b32_e32 v10, -1
	v_cmp_gt_i16_sdwa vcc, v18, v10 src0_sel:WORD_1 src1_sel:DWORD
	v_cndmask_b32_e32 v11, -1, v44, vcc
	v_cmp_lt_i16_e32 vcc, -1, v19
	v_xor_b32_sdwa v55, v11, v18 dst_sel:DWORD dst_unused:UNUSED_PAD src0_sel:DWORD src1_sel:WORD_1
	v_cndmask_b32_e32 v11, -1, v44, vcc
	v_cmp_gt_i16_sdwa vcc, v19, v10 src0_sel:WORD_1 src1_sel:DWORD
	v_cndmask_b32_e32 v10, -1, v44, vcc
	v_xor_b32_e32 v29, v11, v19
	v_xor_b32_sdwa v56, v10, v19 dst_sel:DWORD dst_unused:UNUSED_PAD src0_sel:DWORD src1_sel:WORD_1
	v_and_b32_e32 v45, 14, v43
	v_mov_b32_e32 v46, 0
	s_movk_i32 s43, 0x7fff
	s_movk_i32 s44, 0xe0
	v_pk_mov_b32 v[10:11], v[2:3], v[2:3] op_sel:[0,1]
	v_pk_mov_b32 v[12:13], v[4:5], v[4:5] op_sel:[0,1]
	;; [unrolled: 1-line block ×4, first 2 shown]
	s_branch .LBB258_35
.LBB258_34:                             ;   in Loop: Header=BB258_35 Depth=1
	v_lshlrev_b32_e32 v10, 1, v51
	s_waitcnt lgkmcnt(0)
	; wave barrier
	ds_write_b16 v10, v50
	v_lshlrev_b32_e32 v10, 1, v52
	ds_write_b16 v10, v49
	v_lshlrev_b32_e32 v10, 1, v53
	;; [unrolled: 2-line block ×4, first 2 shown]
	s_waitcnt lgkmcnt(0)
	; wave barrier
	s_waitcnt lgkmcnt(0)
	ds_read_b64 v[28:29], v40
	s_waitcnt lgkmcnt(0)
	; wave barrier
	s_waitcnt lgkmcnt(0)
	ds_write_b64 v10, v[26:27]
	v_lshlrev_b32_e32 v10, 3, v52
	ds_write_b64 v10, v[24:25]
	v_lshlrev_b32_e32 v10, 3, v53
	ds_write_b64 v10, v[22:23]
	v_lshlrev_b32_e32 v10, 3, v54
	ds_write_b64 v10, v[20:21]
	s_waitcnt lgkmcnt(0)
	; wave barrier
	s_waitcnt lgkmcnt(0)
	ds_read2_b64 v[10:13], v39 offset1:1
	ds_read2_b64 v[14:17], v39 offset0:2 offset1:3
	s_add_i32 s42, s42, 4
	v_lshrrev_b32_e32 v55, 16, v28
	v_lshrrev_b32_e32 v56, 16, v29
	s_waitcnt lgkmcnt(0)
	; wave barrier
	s_waitcnt lgkmcnt(0)
	s_cbranch_execz .LBB258_46
.LBB258_35:                             ; =>This Loop Header: Depth=1
                                        ;     Child Loop BB258_38 Depth 2
	v_pk_mov_b32 v[20:21], v[16:17], v[16:17] op_sel:[0,1]
	v_pk_mov_b32 v[22:23], v[14:15], v[14:15] op_sel:[0,1]
	;; [unrolled: 1-line block ×4, first 2 shown]
	v_mov_b32_e32 v47, v56
	v_mov_b32_e32 v48, v29
	;; [unrolled: 1-line block ×4, first 2 shown]
	s_and_saveexec_b64 s[28:29], s[8:9]
	s_cbranch_execz .LBB258_42
; %bb.36:                               ;   in Loop: Header=BB258_35 Depth=1
	s_mov_b32 s45, 0
	s_mov_b64 s[30:31], 0
	v_pk_mov_b32 v[10:11], v[0:1], v[0:1] op_sel:[0,1]
	s_branch .LBB258_38
.LBB258_37:                             ;   in Loop: Header=BB258_38 Depth=2
	s_or_b64 exec, exec, s[36:37]
	s_add_i32 s45, s45, 2
	v_cmp_eq_u32_e32 vcc, s45, v45
	v_add_u32_e32 v11, 64, v11
	s_or_b64 s[30:31], vcc, s[30:31]
	v_add_u32_e32 v10, 64, v10
	s_andn2_b64 exec, exec, s[30:31]
	s_cbranch_execz .LBB258_42
.LBB258_38:                             ;   Parent Loop BB258_35 Depth=1
                                        ; =>  This Inner Loop Header: Depth=2
	s_or_b32 s34, s45, 1
	v_cmp_le_u32_e64 s[34:35], s34, 7
	v_cmp_le_u32_e64 s[46:47], s45, 7
	s_and_saveexec_b64 s[36:37], s[46:47]
	s_cbranch_execz .LBB258_40
; %bb.39:                               ;   in Loop: Header=BB258_38 Depth=2
	v_lshlrev_b32_e32 v12, 2, v10
	ds_write_b32 v12, v46
.LBB258_40:                             ;   in Loop: Header=BB258_38 Depth=2
	s_or_b64 exec, exec, s[36:37]
	s_and_saveexec_b64 s[36:37], s[34:35]
	s_cbranch_execz .LBB258_37
; %bb.41:                               ;   in Loop: Header=BB258_38 Depth=2
	v_lshlrev_b32_e32 v12, 2, v11
	ds_write_b32 v12, v46
	s_branch .LBB258_37
.LBB258_42:                             ;   in Loop: Header=BB258_35 Depth=1
	s_or_b64 exec, exec, s[28:29]
	s_sub_i32 s28, 16, s42
	s_min_u32 s28, s41, s28
	v_cmp_ne_u16_e32 vcc, s43, v50
	s_lshl_b32 s28, -1, s28
	v_cndmask_b32_e32 v10, v44, v50, vcc
	s_not_b32 s28, s28
	v_lshrrev_b32_sdwa v10, s42, v10 dst_sel:DWORD dst_unused:UNUSED_PAD src0_sel:DWORD src1_sel:WORD_0
	v_and_b32_e32 v10, s28, v10
	v_lshrrev_b32_e32 v11, 3, v10
	v_lshlrev_b32_e32 v10, 5, v10
	v_and_or_b32 v10, v10, s44, v0
	v_lshlrev_b32_e32 v10, 1, v10
	v_add_lshl_u32 v29, v10, v11, 1
	ds_read_u16 v28, v29
	v_cmp_ne_u16_e32 vcc, s43, v49
	s_waitcnt lgkmcnt(0)
	v_add_u16_e32 v10, 1, v28
	ds_write_b16 v29, v10
	v_cndmask_b32_e32 v10, v44, v49, vcc
	v_lshrrev_b32_sdwa v10, s42, v10 dst_sel:DWORD dst_unused:UNUSED_PAD src0_sel:DWORD src1_sel:WORD_0
	v_and_b32_e32 v10, s28, v10
	v_lshrrev_b32_e32 v11, 3, v10
	v_lshlrev_b32_e32 v10, 5, v10
	v_and_or_b32 v10, v10, s44, v0
	v_lshlrev_b32_e32 v10, 1, v10
	v_add_lshl_u32 v51, v10, v11, 1
	ds_read_u16 v52, v51
	v_cmp_ne_u16_e32 vcc, s43, v48
	s_waitcnt lgkmcnt(0)
	v_add_u16_e32 v10, 1, v52
	ds_write_b16 v51, v10
	v_cndmask_b32_e32 v10, v44, v48, vcc
	;; [unrolled: 13-line block ×3, first 2 shown]
	v_lshrrev_b32_sdwa v10, s42, v10 dst_sel:DWORD dst_unused:UNUSED_PAD src0_sel:DWORD src1_sel:WORD_0
	v_and_b32_e32 v10, s28, v10
	v_lshrrev_b32_e32 v11, 3, v10
	v_lshlrev_b32_e32 v10, 5, v10
	v_and_or_b32 v10, v10, s44, v0
	v_lshlrev_b32_e32 v10, 1, v10
	v_add_lshl_u32 v56, v10, v11, 1
	ds_read_u16 v55, v56
	s_waitcnt lgkmcnt(0)
	v_add_u16_e32 v10, 1, v55
	ds_write_b16 v56, v10
	s_waitcnt lgkmcnt(0)
	; wave barrier
	s_waitcnt lgkmcnt(0)
	ds_read2_b32 v[16:17], v41 offset1:1
	ds_read2_b32 v[14:15], v41 offset0:2 offset1:3
	ds_read2_b32 v[10:11], v41 offset0:4 offset1:5
	;; [unrolled: 1-line block ×3, first 2 shown]
	s_waitcnt lgkmcnt(3)
	v_add_u32_e32 v57, v17, v16
	s_waitcnt lgkmcnt(2)
	v_add3_u32 v57, v57, v14, v15
	s_waitcnt lgkmcnt(1)
	v_add3_u32 v57, v57, v10, v11
	;; [unrolled: 2-line block ×3, first 2 shown]
	s_nop 1
	v_mov_b32_dpp v57, v13 row_shr:1 row_mask:0xf bank_mask:0xf
	v_cndmask_b32_e64 v57, v57, 0, s[10:11]
	v_add_u32_e32 v13, v57, v13
	s_nop 1
	v_mov_b32_dpp v57, v13 row_shr:2 row_mask:0xf bank_mask:0xf
	v_cndmask_b32_e64 v57, 0, v57, s[12:13]
	v_add_u32_e32 v13, v13, v57
	;; [unrolled: 4-line block ×4, first 2 shown]
	s_nop 1
	v_mov_b32_dpp v57, v13 row_bcast:15 row_mask:0xf bank_mask:0xf
	v_cndmask_b32_e64 v57, v57, 0, s[18:19]
	v_add_u32_e32 v13, v13, v57
	s_and_saveexec_b64 s[28:29], s[20:21]
	s_cbranch_execz .LBB258_44
; %bb.43:                               ;   in Loop: Header=BB258_35 Depth=1
	ds_write_b32 v46, v13 offset:1024
.LBB258_44:                             ;   in Loop: Header=BB258_35 Depth=1
	s_or_b64 exec, exec, s[28:29]
	ds_bpermute_b32 v13, v42, v13
	s_waitcnt lgkmcnt(0)
	; wave barrier
	s_waitcnt lgkmcnt(0)
	ds_read_b32 v57, v46 offset:1024
	s_cmp_gt_u32 s42, 11
	v_cndmask_b32_e64 v13, v13, 0, s[22:23]
	s_waitcnt lgkmcnt(0)
	v_lshl_add_u32 v13, v57, 16, v13
	v_add_u32_e32 v16, v13, v16
	v_add_u32_e32 v17, v16, v17
	ds_write2_b32 v41, v13, v16 offset1:1
	v_add_u32_e32 v13, v17, v14
	v_add_u32_e32 v14, v13, v15
	;; [unrolled: 1-line block ×5, first 2 shown]
	ds_write2_b32 v41, v17, v13 offset0:2 offset1:3
	ds_write2_b32 v41, v14, v10 offset0:4 offset1:5
	;; [unrolled: 1-line block ×3, first 2 shown]
	s_waitcnt lgkmcnt(0)
	; wave barrier
	s_waitcnt lgkmcnt(0)
	ds_read_u16 v10, v29
	ds_read_u16 v11, v51
	ds_read_u16 v12, v54
	ds_read_u16 v13, v56
	s_waitcnt lgkmcnt(3)
	v_add_u32_sdwa v51, v10, v28 dst_sel:DWORD dst_unused:UNUSED_PAD src0_sel:DWORD src1_sel:WORD_0
	s_waitcnt lgkmcnt(2)
	v_add_u32_sdwa v52, v11, v52 dst_sel:DWORD dst_unused:UNUSED_PAD src0_sel:DWORD src1_sel:WORD_0
	;; [unrolled: 2-line block ×4, first 2 shown]
	s_cbranch_scc0 .LBB258_34
; %bb.45:
                                        ; implicit-def: $vgpr16_vgpr17
                                        ; implicit-def: $vgpr12_vgpr13
                                        ; implicit-def: $sgpr42
                                        ; implicit-def: $vgpr56
                                        ; implicit-def: $vgpr29
                                        ; implicit-def: $vgpr55
.LBB258_46:
	v_lshlrev_b32_e32 v10, 1, v51
	s_waitcnt lgkmcnt(0)
	; wave barrier
	ds_write_b16 v10, v50
	v_lshlrev_b32_e32 v10, 1, v52
	ds_write_b16 v10, v49
	v_lshlrev_b32_e32 v10, 1, v53
	;; [unrolled: 2-line block ×3, first 2 shown]
	ds_write_b16 v10, v47
	s_waitcnt lgkmcnt(0)
	; wave barrier
	s_waitcnt lgkmcnt(0)
	ds_read_b64 v[28:29], v40
	v_lshlrev_b32_e32 v10, 3, v51
	v_lshlrev_b32_e32 v11, 3, v52
	;; [unrolled: 1-line block ×4, first 2 shown]
	s_waitcnt lgkmcnt(0)
	; wave barrier
	s_waitcnt lgkmcnt(0)
	ds_write_b64 v10, v[26:27]
	ds_write_b64 v11, v[24:25]
	;; [unrolled: 1-line block ×4, first 2 shown]
	v_mov_b32_e32 v21, 0xffff8000
	v_cmp_gt_i16_e32 vcc, 0, v28
	v_mov_b32_e32 v23, 0
	s_waitcnt lgkmcnt(0)
	; wave barrier
	s_waitcnt lgkmcnt(0)
	ds_read2_b64 v[10:13], v39 offset1:1
	ds_read2_b64 v[14:17], v39 offset0:2 offset1:3
	v_mov_b32_e32 v20, -1
	v_cndmask_b32_e32 v22, -1, v21, vcc
	v_cmp_lt_i16_sdwa vcc, v28, v23 src0_sel:WORD_1 src1_sel:DWORD
	v_cndmask_b32_e32 v23, -1, v21, vcc
	v_cmp_lt_i16_e32 vcc, -1, v29
	v_cmp_gt_i16_sdwa s[28:29], v29, v20 src0_sel:WORD_1 src1_sel:DWORD
	v_cndmask_b32_e64 v24, v21, -1, vcc
	v_cndmask_b32_e64 v20, v21, -1, s[28:29]
	v_xor_b32_sdwa v20, v20, v29 dst_sel:DWORD dst_unused:UNUSED_PAD src0_sel:DWORD src1_sel:WORD_1
	v_xor_b32_e32 v21, v24, v29
	s_mov_b32 s28, 0x5040100
	v_perm_b32 v21, v20, v21, s28
	v_xor_b32_sdwa v20, v23, v28 dst_sel:DWORD dst_unused:UNUSED_PAD src0_sel:DWORD src1_sel:WORD_1
	v_xor_b32_e32 v22, v22, v28
	v_perm_b32 v20, v20, v22, s28
	s_branch .LBB258_64
.LBB258_47:
	v_mad_u64_u32 v[2:3], s[12:13], v0, s4, 0
	v_mov_b32_e32 v4, v3
	v_mad_u64_u32 v[4:5], s[12:13], v0, s5, v[4:5]
	v_mov_b32_e32 v3, v4
	v_lshlrev_b64 v[2:3], 3, v[2:3]
	v_mov_b32_e32 v4, s40
	v_add_co_u32_e32 v2, vcc, s39, v2
	v_addc_co_u32_e32 v3, vcc, v4, v3, vcc
	global_load_dwordx2 v[2:3], v[2:3], off
	v_mov_b32_e32 v4, 0
	v_mov_b32_e32 v5, v4
	;; [unrolled: 1-line block ×6, first 2 shown]
	s_or_b64 exec, exec, s[8:9]
	s_and_saveexec_b64 s[8:9], s[2:3]
	s_cbranch_execz .LBB258_28
.LBB258_48:
	v_mad_u64_u32 v[4:5], s[12:13], v1, s4, 0
	v_mov_b32_e32 v16, v5
	v_mad_u64_u32 v[16:17], s[12:13], v1, s5, v[16:17]
	v_mov_b32_e32 v5, v16
	v_lshlrev_b64 v[4:5], 3, v[4:5]
	v_mov_b32_e32 v16, s40
	v_add_co_u32_e32 v4, vcc, s39, v4
	v_addc_co_u32_e32 v5, vcc, v16, v5, vcc
	global_load_dwordx2 v[4:5], v[4:5], off
	s_or_b64 exec, exec, s[8:9]
	s_and_saveexec_b64 s[8:9], s[24:25]
	s_cbranch_execnz .LBB258_29
	s_branch .LBB258_30
.LBB258_49:
                                        ; implicit-def: $vgpr16_vgpr17
                                        ; implicit-def: $vgpr12_vgpr13
                                        ; implicit-def: $vgpr20_vgpr21
	s_cbranch_execz .LBB258_64
; %bb.50:
	v_mov_b32_e32 v22, 0x7fff
	v_cmp_gt_i16_e32 vcc, 0, v18
	v_mov_b32_e32 v23, 0
	s_waitcnt lgkmcnt(1)
	v_cndmask_b32_e64 v10, v22, 0, vcc
	v_cmp_lt_i16_sdwa s[28:29], v18, v23 src0_sel:WORD_1 src1_sel:DWORD
	v_xor_b32_e32 v20, v10, v18
	v_cndmask_b32_e64 v10, v22, 0, s[28:29]
	v_cmp_gt_i16_e32 vcc, 0, v19
	v_cmp_lt_i16_sdwa s[28:29], v19, v23 src0_sel:WORD_1 src1_sel:DWORD
	v_xor_b32_sdwa v44, v10, v18 dst_sel:DWORD dst_unused:UNUSED_PAD src0_sel:DWORD src1_sel:WORD_1
	v_cndmask_b32_e64 v10, v22, 0, vcc
	v_cndmask_b32_e64 v11, v22, 0, s[28:29]
	s_mov_b32 s28, 0x5040100
	v_perm_b32 v10, v11, v10, s28
	s_mov_b32 s42, 0
	v_xor_b32_e32 v21, v10, v19
	v_and_b32_e32 v18, 14, v43
	s_movk_i32 s43, 0x8000
	s_movk_i32 s44, 0xe0
	s_branch .LBB258_52
.LBB258_51:                             ;   in Loop: Header=BB258_52 Depth=1
	v_lshlrev_b32_e32 v2, 1, v26
	s_waitcnt lgkmcnt(0)
	; wave barrier
	ds_write_b16 v2, v24
	v_lshlrev_b32_e32 v2, 1, v27
	ds_write_b16 v2, v19
	v_lshlrev_b32_e32 v2, 1, v28
	;; [unrolled: 2-line block ×4, first 2 shown]
	s_waitcnt lgkmcnt(0)
	; wave barrier
	s_waitcnt lgkmcnt(0)
	ds_read_b64 v[20:21], v40
	s_waitcnt lgkmcnt(0)
	; wave barrier
	s_waitcnt lgkmcnt(0)
	ds_write_b64 v2, v[16:17]
	v_lshlrev_b32_e32 v2, 3, v27
	ds_write_b64 v2, v[14:15]
	v_lshlrev_b32_e32 v2, 3, v28
	;; [unrolled: 2-line block ×3, first 2 shown]
	ds_write_b64 v2, v[10:11]
	s_waitcnt lgkmcnt(0)
	; wave barrier
	s_waitcnt lgkmcnt(0)
	ds_read2_b64 v[2:5], v39 offset1:1
	ds_read2_b64 v[6:9], v39 offset0:2 offset1:3
	s_add_i32 s42, s42, 4
	v_lshrrev_b32_e32 v44, 16, v20
	s_waitcnt lgkmcnt(0)
	; wave barrier
	s_waitcnt lgkmcnt(0)
	s_cbranch_execz .LBB258_63
.LBB258_52:                             ; =>This Loop Header: Depth=1
                                        ;     Child Loop BB258_55 Depth 2
	v_pk_mov_b32 v[10:11], v[8:9], v[8:9] op_sel:[0,1]
	v_pk_mov_b32 v[12:13], v[6:7], v[6:7] op_sel:[0,1]
	s_waitcnt lgkmcnt(0)
	v_pk_mov_b32 v[14:15], v[4:5], v[4:5] op_sel:[0,1]
	v_pk_mov_b32 v[16:17], v[2:3], v[2:3] op_sel:[0,1]
	v_mov_b32_e32 v19, v44
	v_mov_b32_e32 v24, v20
	s_and_saveexec_b64 s[28:29], s[8:9]
	s_cbranch_execz .LBB258_59
; %bb.53:                               ;   in Loop: Header=BB258_52 Depth=1
	s_mov_b32 s45, 0
	s_mov_b64 s[30:31], 0
	v_pk_mov_b32 v[2:3], v[0:1], v[0:1] op_sel:[0,1]
	s_branch .LBB258_55
.LBB258_54:                             ;   in Loop: Header=BB258_55 Depth=2
	s_or_b64 exec, exec, s[36:37]
	s_add_i32 s45, s45, 2
	v_cmp_eq_u32_e32 vcc, s45, v18
	v_add_u32_e32 v3, 64, v3
	s_or_b64 s[30:31], vcc, s[30:31]
	v_add_u32_e32 v2, 64, v2
	s_andn2_b64 exec, exec, s[30:31]
	s_cbranch_execz .LBB258_59
.LBB258_55:                             ;   Parent Loop BB258_52 Depth=1
                                        ; =>  This Inner Loop Header: Depth=2
	s_or_b32 s34, s45, 1
	v_cmp_le_u32_e64 s[34:35], s34, 7
	v_cmp_le_u32_e64 s[46:47], s45, 7
	s_and_saveexec_b64 s[36:37], s[46:47]
	s_cbranch_execz .LBB258_57
; %bb.56:                               ;   in Loop: Header=BB258_55 Depth=2
	v_lshlrev_b32_e32 v4, 2, v2
	ds_write_b32 v4, v23
.LBB258_57:                             ;   in Loop: Header=BB258_55 Depth=2
	s_or_b64 exec, exec, s[36:37]
	s_and_saveexec_b64 s[36:37], s[34:35]
	s_cbranch_execz .LBB258_54
; %bb.58:                               ;   in Loop: Header=BB258_55 Depth=2
	v_lshlrev_b32_e32 v4, 2, v3
	ds_write_b32 v4, v23
	s_branch .LBB258_54
.LBB258_59:                             ;   in Loop: Header=BB258_52 Depth=1
	s_or_b64 exec, exec, s[28:29]
	s_sub_i32 s28, 16, s42
	s_min_u32 s28, s41, s28
	v_cmp_ne_u16_e32 vcc, s43, v24
	s_lshl_b32 s28, -1, s28
	v_cndmask_b32_e32 v2, v22, v24, vcc
	s_not_b32 s28, s28
	v_lshrrev_b32_sdwa v2, s42, v2 dst_sel:DWORD dst_unused:UNUSED_PAD src0_sel:DWORD src1_sel:WORD_0
	v_and_b32_e32 v2, s28, v2
	v_lshrrev_b32_e32 v3, 3, v2
	v_lshlrev_b32_e32 v2, 5, v2
	v_and_or_b32 v2, v2, s44, v0
	v_lshlrev_b32_e32 v2, 1, v2
	v_add_lshl_u32 v26, v2, v3, 1
	ds_read_u16 v20, v26
	v_cmp_ne_u16_e32 vcc, s43, v19
	v_lshrrev_b32_e32 v25, 16, v21
	s_waitcnt lgkmcnt(0)
	v_add_u16_e32 v2, 1, v20
	ds_write_b16 v26, v2
	v_cndmask_b32_e32 v2, v22, v19, vcc
	v_lshrrev_b32_sdwa v2, s42, v2 dst_sel:DWORD dst_unused:UNUSED_PAD src0_sel:DWORD src1_sel:WORD_0
	v_and_b32_e32 v2, s28, v2
	v_lshrrev_b32_e32 v3, 3, v2
	v_lshlrev_b32_e32 v2, 5, v2
	v_and_or_b32 v2, v2, s44, v0
	v_lshlrev_b32_e32 v2, 1, v2
	v_add_lshl_u32 v28, v2, v3, 1
	ds_read_u16 v27, v28
	v_cmp_ne_u16_e32 vcc, s43, v21
	s_waitcnt lgkmcnt(0)
	v_add_u16_e32 v2, 1, v27
	ds_write_b16 v28, v2
	v_cndmask_b32_e32 v2, v22, v21, vcc
	v_lshrrev_b32_sdwa v2, s42, v2 dst_sel:DWORD dst_unused:UNUSED_PAD src0_sel:DWORD src1_sel:WORD_0
	v_and_b32_e32 v2, s28, v2
	v_lshrrev_b32_e32 v3, 3, v2
	v_lshlrev_b32_e32 v2, 5, v2
	v_and_or_b32 v2, v2, s44, v0
	v_lshlrev_b32_e32 v2, 1, v2
	v_add_lshl_u32 v43, v2, v3, 1
	ds_read_u16 v29, v43
	v_cmp_ne_u16_e32 vcc, s43, v25
	s_waitcnt lgkmcnt(0)
	v_add_u16_e32 v2, 1, v29
	ds_write_b16 v43, v2
	v_cndmask_b32_e32 v2, v22, v25, vcc
	v_lshrrev_b32_sdwa v2, s42, v2 dst_sel:DWORD dst_unused:UNUSED_PAD src0_sel:DWORD src1_sel:WORD_0
	v_and_b32_e32 v2, s28, v2
	v_lshrrev_b32_e32 v3, 3, v2
	v_lshlrev_b32_e32 v2, 5, v2
	v_and_or_b32 v2, v2, s44, v0
	v_lshlrev_b32_e32 v2, 1, v2
	v_add_lshl_u32 v45, v2, v3, 1
	ds_read_u16 v44, v45
	s_waitcnt lgkmcnt(0)
	v_add_u16_e32 v2, 1, v44
	ds_write_b16 v45, v2
	s_waitcnt lgkmcnt(0)
	; wave barrier
	s_waitcnt lgkmcnt(0)
	ds_read2_b32 v[8:9], v41 offset1:1
	ds_read2_b32 v[6:7], v41 offset0:2 offset1:3
	ds_read2_b32 v[2:3], v41 offset0:4 offset1:5
	;; [unrolled: 1-line block ×3, first 2 shown]
	s_waitcnt lgkmcnt(3)
	v_add_u32_e32 v46, v9, v8
	s_waitcnt lgkmcnt(2)
	v_add3_u32 v46, v46, v6, v7
	s_waitcnt lgkmcnt(1)
	v_add3_u32 v46, v46, v2, v3
	s_waitcnt lgkmcnt(0)
	v_add3_u32 v5, v46, v4, v5
	s_nop 1
	v_mov_b32_dpp v46, v5 row_shr:1 row_mask:0xf bank_mask:0xf
	v_cndmask_b32_e64 v46, v46, 0, s[10:11]
	v_add_u32_e32 v5, v46, v5
	s_nop 1
	v_mov_b32_dpp v46, v5 row_shr:2 row_mask:0xf bank_mask:0xf
	v_cndmask_b32_e64 v46, 0, v46, s[12:13]
	v_add_u32_e32 v5, v5, v46
	s_nop 1
	v_mov_b32_dpp v46, v5 row_shr:4 row_mask:0xf bank_mask:0xf
	v_cndmask_b32_e64 v46, 0, v46, s[14:15]
	v_add_u32_e32 v5, v5, v46
	s_nop 1
	v_mov_b32_dpp v46, v5 row_shr:8 row_mask:0xf bank_mask:0xf
	v_cndmask_b32_e64 v46, 0, v46, s[16:17]
	v_add_u32_e32 v5, v5, v46
	s_nop 1
	v_mov_b32_dpp v46, v5 row_bcast:15 row_mask:0xf bank_mask:0xf
	v_cndmask_b32_e64 v46, v46, 0, s[18:19]
	v_add_u32_e32 v5, v5, v46
	s_and_saveexec_b64 s[28:29], s[20:21]
	s_cbranch_execz .LBB258_61
; %bb.60:                               ;   in Loop: Header=BB258_52 Depth=1
	ds_write_b32 v23, v5 offset:1024
.LBB258_61:                             ;   in Loop: Header=BB258_52 Depth=1
	s_or_b64 exec, exec, s[28:29]
	ds_bpermute_b32 v5, v42, v5
	s_waitcnt lgkmcnt(0)
	; wave barrier
	s_waitcnt lgkmcnt(0)
	ds_read_b32 v46, v23 offset:1024
	s_cmp_gt_u32 s42, 11
	v_cndmask_b32_e64 v5, v5, 0, s[22:23]
	s_waitcnt lgkmcnt(0)
	v_lshl_add_u32 v5, v46, 16, v5
	v_add_u32_e32 v8, v5, v8
	v_add_u32_e32 v9, v8, v9
	ds_write2_b32 v41, v5, v8 offset1:1
	v_add_u32_e32 v5, v9, v6
	v_add_u32_e32 v6, v5, v7
	;; [unrolled: 1-line block ×5, first 2 shown]
	ds_write2_b32 v41, v9, v5 offset0:2 offset1:3
	ds_write2_b32 v41, v6, v2 offset0:4 offset1:5
	;; [unrolled: 1-line block ×3, first 2 shown]
	s_waitcnt lgkmcnt(0)
	; wave barrier
	s_waitcnt lgkmcnt(0)
	ds_read_u16 v2, v26
	ds_read_u16 v3, v28
	ds_read_u16 v4, v43
	ds_read_u16 v5, v45
	v_mov_b32_e32 v43, v21
	s_waitcnt lgkmcnt(3)
	v_add_u32_sdwa v26, v2, v20 dst_sel:DWORD dst_unused:UNUSED_PAD src0_sel:DWORD src1_sel:WORD_0
	s_waitcnt lgkmcnt(2)
	v_add_u32_sdwa v27, v3, v27 dst_sel:DWORD dst_unused:UNUSED_PAD src0_sel:DWORD src1_sel:WORD_0
	;; [unrolled: 2-line block ×4, first 2 shown]
	s_cbranch_scc0 .LBB258_51
; %bb.62:
                                        ; implicit-def: $vgpr8_vgpr9
                                        ; implicit-def: $vgpr4_vgpr5
                                        ; implicit-def: $vgpr21
                                        ; implicit-def: $sgpr42
                                        ; implicit-def: $vgpr44
.LBB258_63:
	v_lshlrev_b32_e32 v1, 1, v26
	s_waitcnt lgkmcnt(0)
	; wave barrier
	ds_write_b16 v1, v24
	v_lshlrev_b32_e32 v1, 1, v27
	ds_write_b16 v1, v19
	v_lshlrev_b32_e32 v1, 1, v28
	;; [unrolled: 2-line block ×3, first 2 shown]
	ds_write_b16 v1, v25
	s_waitcnt lgkmcnt(0)
	; wave barrier
	s_waitcnt lgkmcnt(0)
	ds_read_b64 v[2:3], v40
	v_lshlrev_b32_e32 v1, 3, v26
	v_lshlrev_b32_e32 v4, 3, v27
	;; [unrolled: 1-line block ×4, first 2 shown]
	s_waitcnt lgkmcnt(0)
	; wave barrier
	s_waitcnt lgkmcnt(0)
	ds_write_b64 v1, v[16:17]
	ds_write_b64 v4, v[14:15]
	;; [unrolled: 1-line block ×4, first 2 shown]
	v_mov_b32_e32 v4, 0x7fff
	v_cmp_lt_i16_e32 vcc, -1, v2
	v_mov_b32_e32 v6, -1
	s_waitcnt lgkmcnt(0)
	; wave barrier
	s_waitcnt lgkmcnt(0)
	ds_read2_b64 v[10:13], v39 offset1:1
	ds_read2_b64 v[14:17], v39 offset0:2 offset1:3
	v_mov_b32_e32 v1, 0
	v_cndmask_b32_e32 v5, 0, v4, vcc
	v_cmp_gt_i16_sdwa vcc, v2, v6 src0_sel:WORD_1 src1_sel:DWORD
	v_cndmask_b32_e32 v6, 0, v4, vcc
	v_cmp_gt_i16_e32 vcc, 0, v3
	v_cmp_lt_i16_sdwa s[8:9], v3, v1 src0_sel:WORD_1 src1_sel:DWORD
	v_cndmask_b32_e64 v7, v4, 0, vcc
	v_cndmask_b32_e64 v1, v4, 0, s[8:9]
	v_xor_b32_sdwa v1, v1, v3 dst_sel:DWORD dst_unused:UNUSED_PAD src0_sel:DWORD src1_sel:WORD_1
	v_xor_b32_e32 v3, v7, v3
	s_mov_b32 s8, 0x5040100
	v_perm_b32 v21, v1, v3, s8
	v_xor_b32_sdwa v1, v6, v2 dst_sel:DWORD dst_unused:UNUSED_PAD src0_sel:DWORD src1_sel:WORD_1
	v_xor_b32_e32 v2, v5, v2
	v_perm_b32 v20, v1, v2, s8
.LBB258_64:
	v_mad_u64_u32 v[2:3], s[8:9], v0, s26, 0
	s_waitcnt lgkmcnt(0)
	; wave barrier
	s_waitcnt lgkmcnt(0)
	ds_write_b64 v33, v[20:21]
	s_waitcnt lgkmcnt(0)
	; wave barrier
	s_waitcnt lgkmcnt(0)
	ds_read_u16 v5, v30 offset:64
	ds_read_u16 v4, v31 offset:128
	;; [unrolled: 1-line block ×3, first 2 shown]
	v_mov_b32_e32 v6, v3
	v_mad_u64_u32 v[6:7], s[8:9], v0, s27, v[6:7]
	v_mov_b32_e32 v3, v6
	v_lshlrev_b64 v[2:3], 1, v[2:3]
	v_mov_b32_e32 v6, s38
	v_add_co_u32_e32 v2, vcc, s33, v2
	v_addc_co_u32_e32 v3, vcc, v6, v3, vcc
	s_and_saveexec_b64 s[8:9], s[0:1]
	s_cbranch_execnz .LBB258_75
; %bb.65:
	s_or_b64 exec, exec, s[8:9]
	s_and_saveexec_b64 s[8:9], s[2:3]
	s_cbranch_execnz .LBB258_76
.LBB258_66:
	s_or_b64 exec, exec, s[8:9]
	s_and_saveexec_b64 s[8:9], s[24:25]
	s_cbranch_execnz .LBB258_77
.LBB258_67:
	s_or_b64 exec, exec, s[8:9]
	s_and_saveexec_b64 s[8:9], s[6:7]
	s_cbranch_execz .LBB258_69
.LBB258_68:
	s_waitcnt lgkmcnt(1)
	v_mov_b32_e32 v4, 0xc0
	v_mad_u64_u32 v[2:3], s[10:11], s26, v4, v[2:3]
	s_mul_i32 s10, s27, 0xc0
	v_add_u32_e32 v3, s10, v3
	s_waitcnt lgkmcnt(0)
	global_store_short v[2:3], v1, off
.LBB258_69:
	s_or_b64 exec, exec, s[8:9]
	v_mad_u64_u32 v[8:9], s[8:9], v0, s4, 0
	s_waitcnt lgkmcnt(0)
	; wave barrier
	s_waitcnt lgkmcnt(0)
	ds_write2_b64 v38, v[10:11], v[12:13] offset1:1
	ds_write2_b64 v38, v[14:15], v[16:17] offset0:2 offset1:3
	s_waitcnt lgkmcnt(0)
	; wave barrier
	s_waitcnt lgkmcnt(0)
	ds_read_b64 v[6:7], v35 offset:256
	ds_read_b64 v[4:5], v36 offset:512
	;; [unrolled: 1-line block ×3, first 2 shown]
	v_mov_b32_e32 v10, v9
	v_mad_u64_u32 v[0:1], s[8:9], v0, s5, v[10:11]
	v_mov_b32_e32 v9, v0
	v_lshlrev_b64 v[0:1], 3, v[8:9]
	v_mov_b32_e32 v8, s40
	v_add_co_u32_e32 v0, vcc, s39, v0
	v_addc_co_u32_e32 v1, vcc, v8, v1, vcc
	s_and_saveexec_b64 s[8:9], s[0:1]
	s_cbranch_execnz .LBB258_78
; %bb.70:
	s_or_b64 exec, exec, s[8:9]
	s_and_saveexec_b64 s[0:1], s[2:3]
	s_cbranch_execnz .LBB258_79
.LBB258_71:
	s_or_b64 exec, exec, s[0:1]
	s_and_saveexec_b64 s[0:1], s[24:25]
	s_cbranch_execnz .LBB258_80
.LBB258_72:
	s_or_b64 exec, exec, s[0:1]
	s_and_saveexec_b64 s[0:1], s[6:7]
	s_cbranch_execz .LBB258_74
.LBB258_73:
	s_waitcnt lgkmcnt(1)
	v_mov_b32_e32 v4, 0x300
	v_mad_u64_u32 v[0:1], s[0:1], s4, v4, v[0:1]
	s_mul_i32 s0, s5, 0x300
	v_add_u32_e32 v1, s0, v1
	s_waitcnt lgkmcnt(0)
	global_store_dwordx2 v[0:1], v[2:3], off
.LBB258_74:
	s_endpgm
.LBB258_75:
	ds_read_u16 v6, v30
	s_waitcnt lgkmcnt(0)
	global_store_short v[2:3], v6, off
	s_or_b64 exec, exec, s[8:9]
	s_and_saveexec_b64 s[8:9], s[2:3]
	s_cbranch_execz .LBB258_66
.LBB258_76:
	s_lshl_b64 s[10:11], s[26:27], 6
	v_mov_b32_e32 v7, s11
	v_add_co_u32_e32 v6, vcc, s10, v2
	v_addc_co_u32_e32 v7, vcc, v3, v7, vcc
	s_waitcnt lgkmcnt(2)
	global_store_short v[6:7], v5, off
	s_or_b64 exec, exec, s[8:9]
	s_and_saveexec_b64 s[8:9], s[24:25]
	s_cbranch_execz .LBB258_67
.LBB258_77:
	s_lshl_b64 s[10:11], s[26:27], 7
	s_waitcnt lgkmcnt(2)
	v_mov_b32_e32 v5, s11
	v_add_co_u32_e32 v6, vcc, s10, v2
	v_addc_co_u32_e32 v7, vcc, v3, v5, vcc
	s_waitcnt lgkmcnt(1)
	global_store_short v[6:7], v4, off
	s_or_b64 exec, exec, s[8:9]
	s_and_saveexec_b64 s[8:9], s[6:7]
	s_cbranch_execnz .LBB258_68
	s_branch .LBB258_69
.LBB258_78:
	ds_read_b64 v[8:9], v34
	s_waitcnt lgkmcnt(0)
	global_store_dwordx2 v[0:1], v[8:9], off
	s_or_b64 exec, exec, s[8:9]
	s_and_saveexec_b64 s[0:1], s[2:3]
	s_cbranch_execz .LBB258_71
.LBB258_79:
	s_lshl_b64 s[2:3], s[4:5], 8
	v_mov_b32_e32 v9, s3
	v_add_co_u32_e32 v8, vcc, s2, v0
	v_addc_co_u32_e32 v9, vcc, v1, v9, vcc
	s_waitcnt lgkmcnt(2)
	global_store_dwordx2 v[8:9], v[6:7], off
	s_or_b64 exec, exec, s[0:1]
	s_and_saveexec_b64 s[0:1], s[24:25]
	s_cbranch_execz .LBB258_72
.LBB258_80:
	s_lshl_b64 s[2:3], s[4:5], 9
	s_waitcnt lgkmcnt(2)
	v_mov_b32_e32 v7, s3
	v_add_co_u32_e32 v6, vcc, s2, v0
	v_addc_co_u32_e32 v7, vcc, v1, v7, vcc
	s_waitcnt lgkmcnt(1)
	global_store_dwordx2 v[6:7], v[4:5], off
	s_or_b64 exec, exec, s[0:1]
	s_and_saveexec_b64 s[0:1], s[6:7]
	s_cbranch_execnz .LBB258_73
	s_branch .LBB258_74
	.section	.rodata,"a",@progbits
	.p2align	6, 0x0
	.amdhsa_kernel _ZN2at6native18radixSortKVInPlaceILin1ELin1ELi32ELi4EN3c108BFloat16ElmEEvNS_4cuda6detail10TensorInfoIT3_T5_EES8_S8_S8_NS6_IT4_S8_EES8_b
		.amdhsa_group_segment_fixed_size 1056
		.amdhsa_private_segment_fixed_size 0
		.amdhsa_kernarg_size 1128
		.amdhsa_user_sgpr_count 6
		.amdhsa_user_sgpr_private_segment_buffer 1
		.amdhsa_user_sgpr_dispatch_ptr 0
		.amdhsa_user_sgpr_queue_ptr 0
		.amdhsa_user_sgpr_kernarg_segment_ptr 1
		.amdhsa_user_sgpr_dispatch_id 0
		.amdhsa_user_sgpr_flat_scratch_init 0
		.amdhsa_user_sgpr_kernarg_preload_length 0
		.amdhsa_user_sgpr_kernarg_preload_offset 0
		.amdhsa_user_sgpr_private_segment_size 0
		.amdhsa_uses_dynamic_stack 0
		.amdhsa_system_sgpr_private_segment_wavefront_offset 0
		.amdhsa_system_sgpr_workgroup_id_x 1
		.amdhsa_system_sgpr_workgroup_id_y 1
		.amdhsa_system_sgpr_workgroup_id_z 1
		.amdhsa_system_sgpr_workgroup_info 0
		.amdhsa_system_vgpr_workitem_id 0
		.amdhsa_next_free_vgpr 58
		.amdhsa_next_free_sgpr 48
		.amdhsa_accum_offset 60
		.amdhsa_reserve_vcc 1
		.amdhsa_reserve_flat_scratch 0
		.amdhsa_float_round_mode_32 0
		.amdhsa_float_round_mode_16_64 0
		.amdhsa_float_denorm_mode_32 3
		.amdhsa_float_denorm_mode_16_64 3
		.amdhsa_dx10_clamp 1
		.amdhsa_ieee_mode 1
		.amdhsa_fp16_overflow 0
		.amdhsa_tg_split 0
		.amdhsa_exception_fp_ieee_invalid_op 0
		.amdhsa_exception_fp_denorm_src 0
		.amdhsa_exception_fp_ieee_div_zero 0
		.amdhsa_exception_fp_ieee_overflow 0
		.amdhsa_exception_fp_ieee_underflow 0
		.amdhsa_exception_fp_ieee_inexact 0
		.amdhsa_exception_int_div_zero 0
	.end_amdhsa_kernel
	.section	.text._ZN2at6native18radixSortKVInPlaceILin1ELin1ELi32ELi4EN3c108BFloat16ElmEEvNS_4cuda6detail10TensorInfoIT3_T5_EES8_S8_S8_NS6_IT4_S8_EES8_b,"axG",@progbits,_ZN2at6native18radixSortKVInPlaceILin1ELin1ELi32ELi4EN3c108BFloat16ElmEEvNS_4cuda6detail10TensorInfoIT3_T5_EES8_S8_S8_NS6_IT4_S8_EES8_b,comdat
.Lfunc_end258:
	.size	_ZN2at6native18radixSortKVInPlaceILin1ELin1ELi32ELi4EN3c108BFloat16ElmEEvNS_4cuda6detail10TensorInfoIT3_T5_EES8_S8_S8_NS6_IT4_S8_EES8_b, .Lfunc_end258-_ZN2at6native18radixSortKVInPlaceILin1ELin1ELi32ELi4EN3c108BFloat16ElmEEvNS_4cuda6detail10TensorInfoIT3_T5_EES8_S8_S8_NS6_IT4_S8_EES8_b
                                        ; -- End function
	.section	.AMDGPU.csdata,"",@progbits
; Kernel info:
; codeLenInByte = 6464
; NumSgprs: 52
; NumVgprs: 58
; NumAgprs: 0
; TotalNumVgprs: 58
; ScratchSize: 0
; MemoryBound: 0
; FloatMode: 240
; IeeeMode: 1
; LDSByteSize: 1056 bytes/workgroup (compile time only)
; SGPRBlocks: 6
; VGPRBlocks: 7
; NumSGPRsForWavesPerEU: 52
; NumVGPRsForWavesPerEU: 58
; AccumOffset: 60
; Occupancy: 8
; WaveLimiterHint : 1
; COMPUTE_PGM_RSRC2:SCRATCH_EN: 0
; COMPUTE_PGM_RSRC2:USER_SGPR: 6
; COMPUTE_PGM_RSRC2:TRAP_HANDLER: 0
; COMPUTE_PGM_RSRC2:TGID_X_EN: 1
; COMPUTE_PGM_RSRC2:TGID_Y_EN: 1
; COMPUTE_PGM_RSRC2:TGID_Z_EN: 1
; COMPUTE_PGM_RSRC2:TIDIG_COMP_CNT: 0
; COMPUTE_PGM_RSRC3_GFX90A:ACCUM_OFFSET: 14
; COMPUTE_PGM_RSRC3_GFX90A:TG_SPLIT: 0
	.section	.text._ZN2at6native18radixSortKVInPlaceILin1ELin1ELi16ELi2EN3c108BFloat16ElmEEvNS_4cuda6detail10TensorInfoIT3_T5_EES8_S8_S8_NS6_IT4_S8_EES8_b,"axG",@progbits,_ZN2at6native18radixSortKVInPlaceILin1ELin1ELi16ELi2EN3c108BFloat16ElmEEvNS_4cuda6detail10TensorInfoIT3_T5_EES8_S8_S8_NS6_IT4_S8_EES8_b,comdat
	.protected	_ZN2at6native18radixSortKVInPlaceILin1ELin1ELi16ELi2EN3c108BFloat16ElmEEvNS_4cuda6detail10TensorInfoIT3_T5_EES8_S8_S8_NS6_IT4_S8_EES8_b ; -- Begin function _ZN2at6native18radixSortKVInPlaceILin1ELin1ELi16ELi2EN3c108BFloat16ElmEEvNS_4cuda6detail10TensorInfoIT3_T5_EES8_S8_S8_NS6_IT4_S8_EES8_b
	.globl	_ZN2at6native18radixSortKVInPlaceILin1ELin1ELi16ELi2EN3c108BFloat16ElmEEvNS_4cuda6detail10TensorInfoIT3_T5_EES8_S8_S8_NS6_IT4_S8_EES8_b
	.p2align	8
	.type	_ZN2at6native18radixSortKVInPlaceILin1ELin1ELi16ELi2EN3c108BFloat16ElmEEvNS_4cuda6detail10TensorInfoIT3_T5_EES8_S8_S8_NS6_IT4_S8_EES8_b,@function
_ZN2at6native18radixSortKVInPlaceILin1ELin1ELi16ELi2EN3c108BFloat16ElmEEvNS_4cuda6detail10TensorInfoIT3_T5_EES8_S8_S8_NS6_IT4_S8_EES8_b: ; @_ZN2at6native18radixSortKVInPlaceILin1ELin1ELi16ELi2EN3c108BFloat16ElmEEvNS_4cuda6detail10TensorInfoIT3_T5_EES8_S8_S8_NS6_IT4_S8_EES8_b
; %bb.0:
	s_load_dwordx4 s[0:3], s[4:5], 0x1a0
	s_load_dwordx2 s[10:11], s[4:5], 0x368
	s_mov_b32 s9, 0
	s_waitcnt lgkmcnt(0)
	v_mov_b32_e32 v2, s0
	s_mul_i32 s0, s11, s8
	s_add_i32 s0, s0, s7
	s_mul_i32 s0, s0, s10
	v_mov_b32_e32 v3, s1
	s_add_i32 s8, s0, s6
	v_cmp_ge_u64_e32 vcc, s[8:9], v[2:3]
	s_cbranch_vccnz .LBB259_64
; %bb.1:
	s_load_dword s0, s[4:5], 0x198
	s_load_dwordx2 s[18:19], s[4:5], 0x1b0
	s_mov_b64 s[6:7], 0
	s_mov_b64 s[10:11], s[8:9]
	s_waitcnt lgkmcnt(0)
	s_cmp_lt_i32 s0, 2
	s_cbranch_scc1 .LBB259_9
; %bb.2:
	s_mov_b32 s12, 0
	s_add_i32 s3, s0, 1
	s_add_i32 s0, s0, -1
	s_mov_b32 s1, s12
	s_lshl_b64 s[0:1], s[0:1], 3
	s_add_u32 s0, s0, s4
	s_addc_u32 s1, s1, s5
	s_add_u32 s14, s0, 8
	s_addc_u32 s15, s1, 0
	s_mov_b64 s[16:17], s[8:9]
.LBB259_3:                              ; =>This Inner Loop Header: Depth=1
	s_load_dwordx2 s[20:21], s[14:15], 0x0
	s_waitcnt lgkmcnt(0)
	s_or_b64 s[0:1], s[16:17], s[20:21]
	s_mov_b32 s13, s1
	s_cmp_lg_u64 s[12:13], 0
	s_cbranch_scc0 .LBB259_8
; %bb.4:                                ;   in Loop: Header=BB259_3 Depth=1
	v_cvt_f32_u32_e32 v1, s20
	v_cvt_f32_u32_e32 v2, s21
	s_sub_u32 s0, 0, s20
	s_subb_u32 s1, 0, s21
	v_mac_f32_e32 v1, 0x4f800000, v2
	v_rcp_f32_e32 v1, v1
	v_mul_f32_e32 v1, 0x5f7ffffc, v1
	v_mul_f32_e32 v2, 0x2f800000, v1
	v_trunc_f32_e32 v2, v2
	v_mac_f32_e32 v1, 0xcf800000, v2
	v_cvt_u32_f32_e32 v2, v2
	v_cvt_u32_f32_e32 v1, v1
	v_readfirstlane_b32 s10, v2
	v_readfirstlane_b32 s11, v1
	s_mul_i32 s13, s0, s10
	s_mul_hi_u32 s23, s0, s11
	s_mul_i32 s22, s1, s11
	s_add_i32 s13, s23, s13
	s_mul_i32 s24, s0, s11
	s_add_i32 s13, s13, s22
	s_mul_hi_u32 s22, s11, s13
	s_mul_i32 s23, s11, s13
	s_mul_hi_u32 s11, s11, s24
	s_add_u32 s11, s11, s23
	s_addc_u32 s22, 0, s22
	s_mul_hi_u32 s25, s10, s24
	s_mul_i32 s24, s10, s24
	s_add_u32 s11, s11, s24
	s_mul_hi_u32 s23, s10, s13
	s_addc_u32 s11, s22, s25
	s_addc_u32 s22, s23, 0
	s_mul_i32 s13, s10, s13
	s_add_u32 s11, s11, s13
	s_addc_u32 s13, 0, s22
	v_add_co_u32_e32 v1, vcc, s11, v1
	s_cmp_lg_u64 vcc, 0
	s_addc_u32 s10, s10, s13
	v_readfirstlane_b32 s13, v1
	s_mul_i32 s11, s0, s10
	s_mul_hi_u32 s22, s0, s13
	s_add_i32 s11, s22, s11
	s_mul_i32 s1, s1, s13
	s_add_i32 s11, s11, s1
	s_mul_i32 s0, s0, s13
	s_mul_hi_u32 s22, s10, s0
	s_mul_i32 s23, s10, s0
	s_mul_i32 s25, s13, s11
	s_mul_hi_u32 s0, s13, s0
	s_mul_hi_u32 s24, s13, s11
	s_add_u32 s0, s0, s25
	s_addc_u32 s13, 0, s24
	s_add_u32 s0, s0, s23
	s_mul_hi_u32 s1, s10, s11
	s_addc_u32 s0, s13, s22
	s_addc_u32 s1, s1, 0
	s_mul_i32 s11, s10, s11
	s_add_u32 s0, s0, s11
	s_addc_u32 s1, 0, s1
	v_add_co_u32_e32 v1, vcc, s0, v1
	s_cmp_lg_u64 vcc, 0
	s_addc_u32 s0, s10, s1
	v_readfirstlane_b32 s11, v1
	s_mul_i32 s10, s16, s0
	s_mul_hi_u32 s13, s16, s11
	s_mul_hi_u32 s1, s16, s0
	s_add_u32 s10, s13, s10
	s_addc_u32 s1, 0, s1
	s_mul_hi_u32 s22, s17, s11
	s_mul_i32 s11, s17, s11
	s_add_u32 s10, s10, s11
	s_mul_hi_u32 s13, s17, s0
	s_addc_u32 s1, s1, s22
	s_addc_u32 s10, s13, 0
	s_mul_i32 s0, s17, s0
	s_add_u32 s13, s1, s0
	s_addc_u32 s10, 0, s10
	s_mul_i32 s0, s20, s10
	s_mul_hi_u32 s1, s20, s13
	s_add_i32 s0, s1, s0
	s_mul_i32 s1, s21, s13
	s_add_i32 s11, s0, s1
	s_mul_i32 s1, s20, s13
	v_mov_b32_e32 v1, s1
	s_sub_i32 s0, s17, s11
	v_sub_co_u32_e32 v1, vcc, s16, v1
	s_cmp_lg_u64 vcc, 0
	s_subb_u32 s22, s0, s21
	v_subrev_co_u32_e64 v2, s[0:1], s20, v1
	s_cmp_lg_u64 s[0:1], 0
	s_subb_u32 s0, s22, 0
	s_cmp_ge_u32 s0, s21
	v_readfirstlane_b32 s22, v2
	s_cselect_b32 s1, -1, 0
	s_cmp_ge_u32 s22, s20
	s_cselect_b32 s22, -1, 0
	s_cmp_eq_u32 s0, s21
	s_cselect_b32 s0, s22, s1
	s_add_u32 s1, s13, 1
	s_addc_u32 s22, s10, 0
	s_add_u32 s23, s13, 2
	s_addc_u32 s24, s10, 0
	s_cmp_lg_u32 s0, 0
	s_cselect_b32 s0, s23, s1
	s_cselect_b32 s1, s24, s22
	s_cmp_lg_u64 vcc, 0
	s_subb_u32 s11, s17, s11
	s_cmp_ge_u32 s11, s21
	v_readfirstlane_b32 s23, v1
	s_cselect_b32 s22, -1, 0
	s_cmp_ge_u32 s23, s20
	s_cselect_b32 s23, -1, 0
	s_cmp_eq_u32 s11, s21
	s_cselect_b32 s11, s23, s22
	s_cmp_lg_u32 s11, 0
	s_cselect_b32 s11, s1, s10
	s_cselect_b32 s10, s0, s13
	s_cbranch_execnz .LBB259_6
.LBB259_5:                              ;   in Loop: Header=BB259_3 Depth=1
	v_cvt_f32_u32_e32 v1, s20
	s_sub_i32 s0, 0, s20
	v_rcp_iflag_f32_e32 v1, v1
	v_mul_f32_e32 v1, 0x4f7ffffe, v1
	v_cvt_u32_f32_e32 v1, v1
	v_readfirstlane_b32 s1, v1
	s_mul_i32 s0, s0, s1
	s_mul_hi_u32 s0, s1, s0
	s_add_i32 s1, s1, s0
	s_mul_hi_u32 s0, s16, s1
	s_mul_i32 s10, s0, s20
	s_sub_i32 s10, s16, s10
	s_add_i32 s1, s0, 1
	s_sub_i32 s11, s10, s20
	s_cmp_ge_u32 s10, s20
	s_cselect_b32 s0, s1, s0
	s_cselect_b32 s10, s11, s10
	s_add_i32 s1, s0, 1
	s_cmp_ge_u32 s10, s20
	s_cselect_b32 s10, s1, s0
	s_mov_b32 s11, s12
.LBB259_6:                              ;   in Loop: Header=BB259_3 Depth=1
	s_mul_i32 s0, s10, s21
	s_mul_hi_u32 s1, s10, s20
	s_add_i32 s13, s1, s0
	s_load_dwordx2 s[0:1], s[14:15], 0xc8
	s_mul_i32 s21, s11, s20
	s_add_i32 s13, s13, s21
	s_mul_i32 s20, s10, s20
	s_sub_u32 s16, s16, s20
	s_subb_u32 s13, s17, s13
	s_waitcnt lgkmcnt(0)
	s_mul_i32 s13, s0, s13
	s_mul_hi_u32 s17, s0, s16
	s_add_i32 s13, s17, s13
	s_mul_i32 s1, s1, s16
	s_add_i32 s13, s13, s1
	s_mul_i32 s0, s0, s16
	s_add_u32 s6, s0, s6
	s_addc_u32 s7, s13, s7
	s_add_i32 s3, s3, -1
	s_add_u32 s14, s14, -8
	s_addc_u32 s15, s15, -1
	s_cmp_gt_u32 s3, 2
	s_cbranch_scc0 .LBB259_9
; %bb.7:                                ;   in Loop: Header=BB259_3 Depth=1
	s_mov_b64 s[16:17], s[10:11]
	s_branch .LBB259_3
.LBB259_8:                              ;   in Loop: Header=BB259_3 Depth=1
                                        ; implicit-def: $sgpr10_sgpr11
	s_branch .LBB259_5
.LBB259_9:
	s_load_dword s0, s[4:5], 0x350
	s_load_dwordx2 s[14:15], s[4:5], 0xd0
	s_mov_b64 s[12:13], 0
	s_waitcnt lgkmcnt(0)
	s_cmp_lt_i32 s0, 2
	s_cbranch_scc1 .LBB259_17
; %bb.10:
	s_mov_b32 s16, 0
	s_add_i32 s3, s0, 1
	s_add_i32 s0, s0, -1
	s_mov_b32 s1, s16
	s_lshl_b64 s[0:1], s[0:1], 3
	s_add_u32 s0, s0, s4
	s_addc_u32 s1, s1, s5
	s_add_u32 s20, s0, 0x1c0
	s_addc_u32 s21, s1, 0
.LBB259_11:                             ; =>This Inner Loop Header: Depth=1
	s_load_dwordx2 s[22:23], s[20:21], 0x0
	s_waitcnt lgkmcnt(0)
	s_or_b64 s[0:1], s[8:9], s[22:23]
	s_mov_b32 s17, s1
	s_cmp_lg_u64 s[16:17], 0
	s_cbranch_scc0 .LBB259_16
; %bb.12:                               ;   in Loop: Header=BB259_11 Depth=1
	v_cvt_f32_u32_e32 v1, s22
	v_cvt_f32_u32_e32 v2, s23
	s_sub_u32 s0, 0, s22
	s_subb_u32 s1, 0, s23
	v_mac_f32_e32 v1, 0x4f800000, v2
	v_rcp_f32_e32 v1, v1
	v_mul_f32_e32 v1, 0x5f7ffffc, v1
	v_mul_f32_e32 v2, 0x2f800000, v1
	v_trunc_f32_e32 v2, v2
	v_mac_f32_e32 v1, 0xcf800000, v2
	v_cvt_u32_f32_e32 v2, v2
	v_cvt_u32_f32_e32 v1, v1
	v_readfirstlane_b32 s17, v2
	v_readfirstlane_b32 s24, v1
	s_mul_i32 s25, s0, s17
	s_mul_hi_u32 s27, s0, s24
	s_mul_i32 s26, s1, s24
	s_add_i32 s25, s27, s25
	s_mul_i32 s28, s0, s24
	s_add_i32 s25, s25, s26
	s_mul_hi_u32 s26, s24, s25
	s_mul_i32 s27, s24, s25
	s_mul_hi_u32 s24, s24, s28
	s_add_u32 s24, s24, s27
	s_addc_u32 s26, 0, s26
	s_mul_hi_u32 s29, s17, s28
	s_mul_i32 s28, s17, s28
	s_add_u32 s24, s24, s28
	s_mul_hi_u32 s27, s17, s25
	s_addc_u32 s24, s26, s29
	s_addc_u32 s26, s27, 0
	s_mul_i32 s25, s17, s25
	s_add_u32 s24, s24, s25
	s_addc_u32 s25, 0, s26
	v_add_co_u32_e32 v1, vcc, s24, v1
	s_cmp_lg_u64 vcc, 0
	s_addc_u32 s17, s17, s25
	v_readfirstlane_b32 s25, v1
	s_mul_i32 s24, s0, s17
	s_mul_hi_u32 s26, s0, s25
	s_add_i32 s24, s26, s24
	s_mul_i32 s1, s1, s25
	s_add_i32 s24, s24, s1
	s_mul_i32 s0, s0, s25
	s_mul_hi_u32 s26, s17, s0
	s_mul_i32 s27, s17, s0
	s_mul_i32 s29, s25, s24
	s_mul_hi_u32 s0, s25, s0
	s_mul_hi_u32 s28, s25, s24
	s_add_u32 s0, s0, s29
	s_addc_u32 s25, 0, s28
	s_add_u32 s0, s0, s27
	s_mul_hi_u32 s1, s17, s24
	s_addc_u32 s0, s25, s26
	s_addc_u32 s1, s1, 0
	s_mul_i32 s24, s17, s24
	s_add_u32 s0, s0, s24
	s_addc_u32 s1, 0, s1
	v_add_co_u32_e32 v1, vcc, s0, v1
	s_cmp_lg_u64 vcc, 0
	s_addc_u32 s0, s17, s1
	v_readfirstlane_b32 s24, v1
	s_mul_i32 s17, s8, s0
	s_mul_hi_u32 s25, s8, s24
	s_mul_hi_u32 s1, s8, s0
	s_add_u32 s17, s25, s17
	s_addc_u32 s1, 0, s1
	s_mul_hi_u32 s26, s9, s24
	s_mul_i32 s24, s9, s24
	s_add_u32 s17, s17, s24
	s_mul_hi_u32 s25, s9, s0
	s_addc_u32 s1, s1, s26
	s_addc_u32 s17, s25, 0
	s_mul_i32 s0, s9, s0
	s_add_u32 s24, s1, s0
	s_addc_u32 s17, 0, s17
	s_mul_i32 s0, s22, s17
	s_mul_hi_u32 s1, s22, s24
	s_add_i32 s0, s1, s0
	s_mul_i32 s1, s23, s24
	s_add_i32 s25, s0, s1
	s_mul_i32 s1, s22, s24
	v_mov_b32_e32 v1, s1
	s_sub_i32 s0, s9, s25
	v_sub_co_u32_e32 v1, vcc, s8, v1
	s_cmp_lg_u64 vcc, 0
	s_subb_u32 s26, s0, s23
	v_subrev_co_u32_e64 v2, s[0:1], s22, v1
	s_cmp_lg_u64 s[0:1], 0
	s_subb_u32 s0, s26, 0
	s_cmp_ge_u32 s0, s23
	v_readfirstlane_b32 s26, v2
	s_cselect_b32 s1, -1, 0
	s_cmp_ge_u32 s26, s22
	s_cselect_b32 s26, -1, 0
	s_cmp_eq_u32 s0, s23
	s_cselect_b32 s0, s26, s1
	s_add_u32 s1, s24, 1
	s_addc_u32 s26, s17, 0
	s_add_u32 s27, s24, 2
	s_addc_u32 s28, s17, 0
	s_cmp_lg_u32 s0, 0
	s_cselect_b32 s0, s27, s1
	s_cselect_b32 s1, s28, s26
	s_cmp_lg_u64 vcc, 0
	s_subb_u32 s25, s9, s25
	s_cmp_ge_u32 s25, s23
	v_readfirstlane_b32 s27, v1
	s_cselect_b32 s26, -1, 0
	s_cmp_ge_u32 s27, s22
	s_cselect_b32 s27, -1, 0
	s_cmp_eq_u32 s25, s23
	s_cselect_b32 s25, s27, s26
	s_cmp_lg_u32 s25, 0
	s_cselect_b32 s25, s1, s17
	s_cselect_b32 s24, s0, s24
	s_cbranch_execnz .LBB259_14
.LBB259_13:                             ;   in Loop: Header=BB259_11 Depth=1
	v_cvt_f32_u32_e32 v1, s22
	s_sub_i32 s0, 0, s22
	s_mov_b32 s25, s16
	v_rcp_iflag_f32_e32 v1, v1
	v_mul_f32_e32 v1, 0x4f7ffffe, v1
	v_cvt_u32_f32_e32 v1, v1
	v_readfirstlane_b32 s1, v1
	s_mul_i32 s0, s0, s1
	s_mul_hi_u32 s0, s1, s0
	s_add_i32 s1, s1, s0
	s_mul_hi_u32 s0, s8, s1
	s_mul_i32 s17, s0, s22
	s_sub_i32 s17, s8, s17
	s_add_i32 s1, s0, 1
	s_sub_i32 s24, s17, s22
	s_cmp_ge_u32 s17, s22
	s_cselect_b32 s0, s1, s0
	s_cselect_b32 s17, s24, s17
	s_add_i32 s1, s0, 1
	s_cmp_ge_u32 s17, s22
	s_cselect_b32 s24, s1, s0
.LBB259_14:                             ;   in Loop: Header=BB259_11 Depth=1
	s_mul_i32 s0, s24, s23
	s_mul_hi_u32 s1, s24, s22
	s_add_i32 s17, s1, s0
	s_load_dwordx2 s[0:1], s[20:21], 0xc8
	s_mul_i32 s23, s25, s22
	s_add_i32 s17, s17, s23
	s_mul_i32 s22, s24, s22
	s_sub_u32 s8, s8, s22
	s_subb_u32 s9, s9, s17
	s_waitcnt lgkmcnt(0)
	s_mul_i32 s9, s0, s9
	s_mul_hi_u32 s17, s0, s8
	s_add_i32 s9, s17, s9
	s_mul_i32 s1, s1, s8
	s_add_i32 s9, s9, s1
	s_mul_i32 s0, s0, s8
	s_add_u32 s12, s0, s12
	s_addc_u32 s13, s9, s13
	s_add_i32 s3, s3, -1
	s_add_u32 s20, s20, -8
	s_addc_u32 s21, s21, -1
	s_cmp_gt_u32 s3, 2
	s_cbranch_scc0 .LBB259_18
; %bb.15:                               ;   in Loop: Header=BB259_11 Depth=1
	s_mov_b64 s[8:9], s[24:25]
	s_branch .LBB259_11
.LBB259_16:                             ;   in Loop: Header=BB259_11 Depth=1
                                        ; implicit-def: $sgpr24_sgpr25
	s_branch .LBB259_13
.LBB259_17:
	s_mov_b64 s[24:25], s[8:9]
.LBB259_18:
	s_load_dword s3, s[4:5], 0x360
	s_mul_i32 s0, s14, s11
	s_mul_hi_u32 s1, s14, s10
	s_add_i32 s0, s1, s0
	s_mul_i32 s1, s15, s10
	s_add_i32 s1, s0, s1
	s_load_dwordx2 s[20:21], s[4:5], 0x0
	s_mul_i32 s0, s14, s10
	s_load_dwordx2 s[10:11], s[4:5], 0x288
	s_waitcnt lgkmcnt(0)
	s_bitcmp1_b32 s3, 0
	s_cselect_b64 s[8:9], -1, 0
	s_mov_b32 s3, 0xffff
	s_and_b64 s[14:15], s[8:9], exec
	s_load_dwordx2 s[14:15], s[4:5], 0x1b8
	s_cselect_b32 s16, s3, 0x7fff
	s_lshl_b64 s[0:1], s[0:1], 1
	s_add_u32 s3, s20, s0
	s_addc_u32 s17, s21, s1
	s_lshl_b64 s[0:1], s[6:7], 1
	s_add_u32 s30, s3, s0
	s_addc_u32 s31, s17, s1
	v_cmp_gt_u32_e64 s[0:1], s2, v0
	v_mov_b32_e32 v2, s16
	s_and_saveexec_b64 s[6:7], s[0:1]
	s_cbranch_execz .LBB259_20
; %bb.19:
	v_mad_u64_u32 v[2:3], s[20:21], v0, s18, 0
	v_mov_b32_e32 v4, v3
	v_mad_u64_u32 v[4:5], s[20:21], v0, s19, v[4:5]
	v_mov_b32_e32 v3, v4
	v_lshlrev_b64 v[2:3], 1, v[2:3]
	v_mov_b32_e32 v1, s31
	v_add_co_u32_e32 v2, vcc, s30, v2
	v_addc_co_u32_e32 v3, vcc, v1, v3, vcc
	global_load_ushort v2, v[2:3], off
.LBB259_20:
	s_or_b64 exec, exec, s[6:7]
	v_or_b32_e32 v1, 16, v0
	v_cmp_gt_u32_e64 s[2:3], s2, v1
	v_mov_b32_e32 v3, s16
	s_and_saveexec_b64 s[6:7], s[2:3]
	s_cbranch_execz .LBB259_22
; %bb.21:
	v_mad_u64_u32 v[4:5], s[16:17], v1, s18, 0
	v_mov_b32_e32 v6, v5
	v_mad_u64_u32 v[6:7], s[16:17], v1, s19, v[6:7]
	v_mov_b32_e32 v5, v6
	v_lshlrev_b64 v[4:5], 1, v[4:5]
	v_mov_b32_e32 v3, s31
	v_add_co_u32_e32 v4, vcc, s30, v4
	v_addc_co_u32_e32 v5, vcc, v3, v5, vcc
	global_load_ushort v3, v[4:5], off
.LBB259_22:
	s_or_b64 exec, exec, s[6:7]
	s_mul_i32 s6, s10, s25
	s_mul_hi_u32 s7, s10, s24
	s_add_i32 s6, s7, s6
	s_mul_i32 s7, s11, s24
	s_add_i32 s7, s6, s7
	s_mul_i32 s6, s10, s24
	s_lshl_b64 s[6:7], s[6:7], 3
	v_lshlrev_b32_e32 v18, 1, v0
	v_lshlrev_b32_e32 v20, 2, v0
	s_waitcnt lgkmcnt(0)
	s_add_u32 s10, s14, s6
	s_load_dwordx2 s[20:21], s[4:5], 0x358
	s_waitcnt vmcnt(0)
	ds_write_b16 v18, v2
	ds_write_b16 v18, v3 offset:32
	s_waitcnt lgkmcnt(0)
	; wave barrier
	s_waitcnt lgkmcnt(0)
	ds_read_u16 v26, v20
	ds_read_u16 v25, v20 offset:2
	s_addc_u32 s11, s15, s7
	s_lshl_b64 s[6:7], s[12:13], 3
	s_mov_b32 s4, 0
	s_add_u32 s33, s10, s6
	s_mov_b32 s5, s4
	s_addc_u32 s34, s11, s7
	s_mov_b32 s6, s4
	s_mov_b32 s7, s4
	v_pk_mov_b32 v[2:3], s[4:5], s[4:5] op_sel:[0,1]
	v_pk_mov_b32 v[4:5], s[6:7], s[6:7] op_sel:[0,1]
	v_pk_mov_b32 v[2:3], 0, 0
	s_waitcnt lgkmcnt(0)
	; wave barrier
	s_waitcnt lgkmcnt(0)
	s_and_saveexec_b64 s[4:5], s[0:1]
	s_cbranch_execz .LBB259_24
; %bb.23:
	v_mad_u64_u32 v[2:3], s[6:7], v0, s20, 0
	v_mov_b32_e32 v4, v3
	v_mad_u64_u32 v[4:5], s[6:7], v0, s21, v[4:5]
	v_mov_b32_e32 v3, v4
	v_lshlrev_b64 v[2:3], 3, v[2:3]
	v_mov_b32_e32 v4, s34
	v_add_co_u32_e32 v2, vcc, s33, v2
	v_addc_co_u32_e32 v3, vcc, v4, v3, vcc
	global_load_dwordx2 v[2:3], v[2:3], off
	v_mov_b32_e32 v4, 0
	v_mov_b32_e32 v5, v4
.LBB259_24:
	s_or_b64 exec, exec, s[4:5]
	s_xor_b64 s[22:23], s[8:9], -1
	s_and_saveexec_b64 s[4:5], s[2:3]
	s_cbranch_execz .LBB259_26
; %bb.25:
	v_mad_u64_u32 v[4:5], s[6:7], v1, s20, 0
	v_mov_b32_e32 v6, v5
	v_mad_u64_u32 v[6:7], s[6:7], v1, s21, v[6:7]
	v_mov_b32_e32 v5, v6
	v_lshlrev_b64 v[4:5], 3, v[4:5]
	v_mov_b32_e32 v6, s34
	v_add_co_u32_e32 v4, vcc, s33, v4
	v_addc_co_u32_e32 v5, vcc, v6, v5, vcc
	global_load_dwordx2 v[4:5], v[4:5], off
.LBB259_26:
	s_or_b64 exec, exec, s[4:5]
	v_mbcnt_lo_u32_b32 v6, -1, 0
	v_lshlrev_b32_e32 v19, 3, v0
	v_lshlrev_b32_e32 v21, 3, v18
	s_getpc_b64 s[4:5]
	s_add_u32 s4, s4, _ZN7rocprim17ROCPRIM_400000_NS16block_radix_sortI12hip_bfloat16Lj16ELj2ElLj1ELj1ELj0ELNS0_26block_radix_rank_algorithmE1ELNS0_18block_padding_hintE2ELNS0_4arch9wavefront6targetE1EE19radix_bits_per_passE@rel32@lo+4
	s_addc_u32 s5, s5, _ZN7rocprim17ROCPRIM_400000_NS16block_radix_sortI12hip_bfloat16Lj16ELj2ElLj1ELj1ELj0ELNS0_26block_radix_rank_algorithmE1ELNS0_18block_padding_hintE2ELNS0_4arch9wavefront6targetE1EE19radix_bits_per_passE@rel32@hi+12
	v_mbcnt_hi_u32_b32 v6, -1, v6
	s_waitcnt vmcnt(0)
	ds_write2_b64 v19, v[2:3], v[4:5] offset1:16
	s_waitcnt lgkmcnt(0)
	; wave barrier
	s_waitcnt lgkmcnt(0)
	ds_read2_b64 v[2:5], v21 offset1:1
	s_load_dword s35, s[4:5], 0x0
	v_and_b32_e32 v7, 15, v6
	v_cmp_eq_u32_e64 s[6:7], 0, v7
	v_cmp_lt_u32_e64 s[8:9], 1, v7
	v_cmp_lt_u32_e64 s[10:11], 3, v7
	;; [unrolled: 1-line block ×3, first 2 shown]
	v_add_u32_e32 v7, -1, v6
	v_and_b32_e32 v8, 0x70, v6
	v_cmp_lt_i32_e32 vcc, v7, v8
	s_movk_i32 s4, 0x80
	v_cndmask_b32_e32 v7, v7, v6, vcc
	v_cmp_gt_u32_e64 s[4:5], s4, v0
	v_lshlrev_b32_e32 v22, 5, v0
	s_mov_b32 s36, 0
	v_cmp_eq_u32_e64 s[14:15], 15, v0
	s_movk_i32 s37, 0x70
	v_lshlrev_b32_e32 v24, 2, v7
	v_cmp_eq_u32_e64 s[16:17], 0, v6
	v_lshlrev_b32_e32 v23, 1, v18
	s_and_b64 vcc, exec, s[22:23]
	v_add_u32_e64 v27, 7, 2
	s_waitcnt lgkmcnt(0)
	; wave barrier
	s_waitcnt lgkmcnt(0)
	s_cbranch_vccz .LBB259_41
; %bb.27:
	v_mov_b32_e32 v28, 0xffff8000
	v_cmp_lt_i16_e32 vcc, -1, v26
	v_cndmask_b32_e32 v6, -1, v28, vcc
	v_cmp_lt_i16_e32 vcc, -1, v25
	v_xor_b32_e32 v16, v6, v26
	v_cndmask_b32_e32 v6, -1, v28, vcc
	v_xor_b32_e32 v17, v6, v25
	v_and_b32_e32 v29, 14, v27
	v_mov_b32_e32 v30, 0
	s_movk_i32 s38, 0x7fff
	v_pk_mov_b32 v[6:7], v[2:3], v[2:3] op_sel:[0,1]
	v_pk_mov_b32 v[8:9], v[4:5], v[4:5] op_sel:[0,1]
	s_branch .LBB259_29
.LBB259_28:                             ;   in Loop: Header=BB259_29 Depth=1
	v_lshlrev_b32_e32 v6, 1, v14
	s_waitcnt lgkmcnt(0)
	; wave barrier
	ds_write_b16 v6, v32
	v_lshlrev_b32_e32 v6, 1, v15
	ds_write_b16 v6, v31
	v_lshlrev_b32_e32 v6, 3, v14
	s_waitcnt lgkmcnt(0)
	; wave barrier
	s_waitcnt lgkmcnt(0)
	ds_read_u16 v16, v23
	ds_read_u16 v17, v23 offset:2
	s_waitcnt lgkmcnt(0)
	; wave barrier
	s_waitcnt lgkmcnt(0)
	ds_write_b64 v6, v[12:13]
	v_lshlrev_b32_e32 v6, 3, v15
	ds_write_b64 v6, v[10:11]
	s_waitcnt lgkmcnt(0)
	; wave barrier
	s_waitcnt lgkmcnt(0)
	ds_read2_b64 v[6:9], v21 offset1:1
	s_add_i32 s36, s36, 4
	s_waitcnt lgkmcnt(0)
	; wave barrier
	s_waitcnt lgkmcnt(0)
	s_cbranch_execz .LBB259_40
.LBB259_29:                             ; =>This Loop Header: Depth=1
                                        ;     Child Loop BB259_32 Depth 2
	v_pk_mov_b32 v[10:11], v[8:9], v[8:9] op_sel:[0,1]
	v_pk_mov_b32 v[12:13], v[6:7], v[6:7] op_sel:[0,1]
	v_mov_b32_e32 v31, v17
	v_mov_b32_e32 v32, v16
	s_and_saveexec_b64 s[22:23], s[4:5]
	s_cbranch_execz .LBB259_36
; %bb.30:                               ;   in Loop: Header=BB259_29 Depth=1
	s_mov_b32 s39, 0
	s_mov_b64 s[24:25], 0
	v_pk_mov_b32 v[6:7], v[0:1], v[0:1] op_sel:[0,1]
	s_branch .LBB259_32
.LBB259_31:                             ;   in Loop: Header=BB259_32 Depth=2
	s_or_b64 exec, exec, s[28:29]
	s_add_i32 s39, s39, 2
	v_cmp_eq_u32_e32 vcc, s39, v29
	v_add_u32_e32 v7, 32, v7
	s_or_b64 s[24:25], vcc, s[24:25]
	v_add_u32_e32 v6, 32, v6
	s_andn2_b64 exec, exec, s[24:25]
	s_cbranch_execz .LBB259_36
.LBB259_32:                             ;   Parent Loop BB259_29 Depth=1
                                        ; =>  This Inner Loop Header: Depth=2
	s_or_b32 s26, s39, 1
	v_cmp_le_u32_e64 s[26:27], s26, 7
	v_cmp_le_u32_e64 s[40:41], s39, 7
	s_and_saveexec_b64 s[28:29], s[40:41]
	s_cbranch_execz .LBB259_34
; %bb.33:                               ;   in Loop: Header=BB259_32 Depth=2
	v_lshlrev_b32_e32 v8, 2, v6
	ds_write_b32 v8, v30
.LBB259_34:                             ;   in Loop: Header=BB259_32 Depth=2
	s_or_b64 exec, exec, s[28:29]
	s_and_saveexec_b64 s[28:29], s[26:27]
	s_cbranch_execz .LBB259_31
; %bb.35:                               ;   in Loop: Header=BB259_32 Depth=2
	v_lshlrev_b32_e32 v8, 2, v7
	ds_write_b32 v8, v30
	s_branch .LBB259_31
.LBB259_36:                             ;   in Loop: Header=BB259_29 Depth=1
	s_or_b64 exec, exec, s[22:23]
	s_sub_i32 s22, 16, s36
	s_min_u32 s22, s35, s22
	v_cmp_ne_u16_e32 vcc, s38, v32
	s_lshl_b32 s22, -1, s22
	v_cndmask_b32_e32 v6, v28, v32, vcc
	s_not_b32 s22, s22
	v_lshrrev_b32_sdwa v6, s36, v6 dst_sel:DWORD dst_unused:UNUSED_PAD src0_sel:DWORD src1_sel:WORD_0
	v_and_b32_e32 v6, s22, v6
	v_lshrrev_b32_e32 v7, 3, v6
	v_lshlrev_b32_e32 v6, 4, v6
	v_and_or_b32 v6, v6, s37, v0
	v_lshlrev_b32_e32 v6, 1, v6
	v_add_lshl_u32 v34, v6, v7, 1
	ds_read_u16 v33, v34
	v_cmp_ne_u16_e32 vcc, s38, v31
	s_waitcnt lgkmcnt(0)
	v_add_u16_e32 v6, 1, v33
	ds_write_b16 v34, v6
	v_cndmask_b32_e32 v6, v28, v31, vcc
	v_lshrrev_b32_sdwa v6, s36, v6 dst_sel:DWORD dst_unused:UNUSED_PAD src0_sel:DWORD src1_sel:WORD_0
	v_and_b32_e32 v6, s22, v6
	v_lshrrev_b32_e32 v7, 3, v6
	v_lshlrev_b32_e32 v6, 4, v6
	v_and_or_b32 v6, v6, s37, v0
	v_lshlrev_b32_e32 v6, 1, v6
	v_add_lshl_u32 v36, v6, v7, 1
	ds_read_u16 v35, v36
	s_waitcnt lgkmcnt(0)
	v_add_u16_e32 v6, 1, v35
	ds_write_b16 v36, v6
	s_waitcnt lgkmcnt(0)
	; wave barrier
	s_waitcnt lgkmcnt(0)
	ds_read2_b32 v[16:17], v22 offset1:1
	ds_read2_b32 v[14:15], v22 offset0:2 offset1:3
	ds_read2_b32 v[6:7], v22 offset0:4 offset1:5
	;; [unrolled: 1-line block ×3, first 2 shown]
	s_waitcnt lgkmcnt(3)
	v_add_u32_e32 v37, v17, v16
	s_waitcnt lgkmcnt(2)
	v_add3_u32 v37, v37, v14, v15
	s_waitcnt lgkmcnt(1)
	v_add3_u32 v37, v37, v6, v7
	;; [unrolled: 2-line block ×3, first 2 shown]
	s_nop 1
	v_mov_b32_dpp v37, v9 row_shr:1 row_mask:0xf bank_mask:0xf
	v_cndmask_b32_e64 v37, v37, 0, s[6:7]
	v_add_u32_e32 v9, v37, v9
	s_nop 1
	v_mov_b32_dpp v37, v9 row_shr:2 row_mask:0xf bank_mask:0xf
	v_cndmask_b32_e64 v37, 0, v37, s[8:9]
	v_add_u32_e32 v9, v9, v37
	;; [unrolled: 4-line block ×4, first 2 shown]
	s_and_saveexec_b64 s[22:23], s[14:15]
	s_cbranch_execz .LBB259_38
; %bb.37:                               ;   in Loop: Header=BB259_29 Depth=1
	ds_write_b32 v30, v9 offset:512
.LBB259_38:                             ;   in Loop: Header=BB259_29 Depth=1
	s_or_b64 exec, exec, s[22:23]
	ds_bpermute_b32 v9, v24, v9
	s_waitcnt lgkmcnt(0)
	; wave barrier
	s_waitcnt lgkmcnt(0)
	ds_read_b32 v37, v30 offset:512
	s_cmp_gt_u32 s36, 11
	v_cndmask_b32_e64 v9, v9, 0, s[16:17]
	s_waitcnt lgkmcnt(0)
	v_lshl_add_u32 v9, v37, 16, v9
	v_add_u32_e32 v16, v9, v16
	v_add_u32_e32 v17, v16, v17
	ds_write2_b32 v22, v9, v16 offset1:1
	v_add_u32_e32 v9, v17, v14
	v_add_u32_e32 v14, v9, v15
	;; [unrolled: 1-line block ×5, first 2 shown]
	ds_write2_b32 v22, v17, v9 offset0:2 offset1:3
	ds_write2_b32 v22, v14, v6 offset0:4 offset1:5
	;; [unrolled: 1-line block ×3, first 2 shown]
	s_waitcnt lgkmcnt(0)
	; wave barrier
	s_waitcnt lgkmcnt(0)
	ds_read_u16 v6, v34
	ds_read_u16 v7, v36
	s_waitcnt lgkmcnt(1)
	v_add_u32_sdwa v14, v6, v33 dst_sel:DWORD dst_unused:UNUSED_PAD src0_sel:DWORD src1_sel:WORD_0
	s_waitcnt lgkmcnt(0)
	v_add_u32_sdwa v15, v7, v35 dst_sel:DWORD dst_unused:UNUSED_PAD src0_sel:DWORD src1_sel:WORD_0
	s_cbranch_scc0 .LBB259_28
; %bb.39:
                                        ; implicit-def: $vgpr8_vgpr9
                                        ; implicit-def: $sgpr36
                                        ; implicit-def: $vgpr17
                                        ; implicit-def: $vgpr16
.LBB259_40:
	v_lshlrev_b32_e32 v6, 1, v14
	s_waitcnt lgkmcnt(0)
	; wave barrier
	ds_write_b16 v6, v32
	v_lshlrev_b32_e32 v6, 1, v15
	ds_write_b16 v6, v31
	s_waitcnt lgkmcnt(0)
	; wave barrier
	s_waitcnt lgkmcnt(0)
	v_lshlrev_b32_e32 v6, 3, v14
	ds_read_b32 v14, v23
	v_lshlrev_b32_e32 v7, 3, v15
	s_waitcnt lgkmcnt(0)
	; wave barrier
	s_waitcnt lgkmcnt(0)
	ds_write_b64 v6, v[12:13]
	ds_write_b64 v7, v[10:11]
	s_waitcnt lgkmcnt(0)
	; wave barrier
	s_waitcnt lgkmcnt(0)
	ds_read2_b64 v[6:9], v21 offset1:1
	v_mov_b32_e32 v10, -1
	v_mov_b32_e32 v11, 0xffff8000
	v_cmp_lt_i16_e32 vcc, -1, v14
	v_cmp_gt_i16_sdwa s[22:23], v14, v10 src0_sel:WORD_1 src1_sel:DWORD
	v_cndmask_b32_e64 v12, v11, -1, vcc
	v_cndmask_b32_e64 v10, v11, -1, s[22:23]
	s_mov_b32 s22, 0x5040100
	v_perm_b32 v10, v10, v12, s22
	v_xor_b32_e32 v10, v10, v14
	s_branch .LBB259_56
.LBB259_41:
                                        ; implicit-def: $vgpr8_vgpr9
                                        ; implicit-def: $vgpr10
	s_cbranch_execz .LBB259_56
; %bb.42:
	v_mov_b32_e32 v14, 0x7fff
	v_cmp_gt_i16_e32 vcc, 0, v26
	s_waitcnt lgkmcnt(0)
	v_cndmask_b32_e64 v6, v14, 0, vcc
	v_cmp_gt_i16_e32 vcc, 0, v25
	v_xor_b32_e32 v12, v6, v26
	v_cndmask_b32_e64 v6, v14, 0, vcc
	s_mov_b32 s36, 0
	v_xor_b32_e32 v13, v6, v25
	v_and_b32_e32 v15, 14, v27
	v_mov_b32_e32 v16, 0
	s_movk_i32 s37, 0x8000
	s_movk_i32 s38, 0x70
	s_branch .LBB259_44
.LBB259_43:                             ;   in Loop: Header=BB259_44 Depth=1
	v_lshlrev_b32_e32 v2, 1, v10
	s_waitcnt lgkmcnt(0)
	; wave barrier
	ds_write_b16 v2, v25
	v_lshlrev_b32_e32 v2, 1, v11
	ds_write_b16 v2, v17
	v_lshlrev_b32_e32 v2, 3, v10
	s_waitcnt lgkmcnt(0)
	; wave barrier
	s_waitcnt lgkmcnt(0)
	ds_read_u16 v12, v23
	ds_read_u16 v13, v23 offset:2
	s_waitcnt lgkmcnt(0)
	; wave barrier
	s_waitcnt lgkmcnt(0)
	ds_write_b64 v2, v[8:9]
	v_lshlrev_b32_e32 v2, 3, v11
	ds_write_b64 v2, v[6:7]
	s_waitcnt lgkmcnt(0)
	; wave barrier
	s_waitcnt lgkmcnt(0)
	ds_read2_b64 v[2:5], v21 offset1:1
	s_add_i32 s36, s36, 4
	s_waitcnt lgkmcnt(0)
	; wave barrier
	s_waitcnt lgkmcnt(0)
	s_cbranch_execz .LBB259_55
.LBB259_44:                             ; =>This Loop Header: Depth=1
                                        ;     Child Loop BB259_47 Depth 2
	v_pk_mov_b32 v[6:7], v[4:5], v[4:5] op_sel:[0,1]
	v_pk_mov_b32 v[8:9], v[2:3], v[2:3] op_sel:[0,1]
	v_mov_b32_e32 v17, v13
	v_mov_b32_e32 v25, v12
	s_and_saveexec_b64 s[22:23], s[4:5]
	s_cbranch_execz .LBB259_51
; %bb.45:                               ;   in Loop: Header=BB259_44 Depth=1
	s_mov_b32 s39, 0
	s_mov_b64 s[24:25], 0
	v_pk_mov_b32 v[2:3], v[0:1], v[0:1] op_sel:[0,1]
	s_branch .LBB259_47
.LBB259_46:                             ;   in Loop: Header=BB259_47 Depth=2
	s_or_b64 exec, exec, s[28:29]
	s_add_i32 s39, s39, 2
	v_cmp_eq_u32_e32 vcc, s39, v15
	v_add_u32_e32 v3, 32, v3
	s_or_b64 s[24:25], vcc, s[24:25]
	v_add_u32_e32 v2, 32, v2
	s_andn2_b64 exec, exec, s[24:25]
	s_cbranch_execz .LBB259_51
.LBB259_47:                             ;   Parent Loop BB259_44 Depth=1
                                        ; =>  This Inner Loop Header: Depth=2
	s_or_b32 s26, s39, 1
	v_cmp_le_u32_e64 s[26:27], s26, 7
	v_cmp_le_u32_e64 s[40:41], s39, 7
	s_and_saveexec_b64 s[28:29], s[40:41]
	s_cbranch_execz .LBB259_49
; %bb.48:                               ;   in Loop: Header=BB259_47 Depth=2
	v_lshlrev_b32_e32 v4, 2, v2
	ds_write_b32 v4, v16
.LBB259_49:                             ;   in Loop: Header=BB259_47 Depth=2
	s_or_b64 exec, exec, s[28:29]
	s_and_saveexec_b64 s[28:29], s[26:27]
	s_cbranch_execz .LBB259_46
; %bb.50:                               ;   in Loop: Header=BB259_47 Depth=2
	v_lshlrev_b32_e32 v4, 2, v3
	ds_write_b32 v4, v16
	s_branch .LBB259_46
.LBB259_51:                             ;   in Loop: Header=BB259_44 Depth=1
	s_or_b64 exec, exec, s[22:23]
	s_sub_i32 s22, 16, s36
	s_min_u32 s22, s35, s22
	v_cmp_ne_u16_e32 vcc, s37, v25
	s_lshl_b32 s22, -1, s22
	v_cndmask_b32_e32 v2, v14, v25, vcc
	s_not_b32 s22, s22
	v_lshrrev_b32_sdwa v2, s36, v2 dst_sel:DWORD dst_unused:UNUSED_PAD src0_sel:DWORD src1_sel:WORD_0
	v_and_b32_e32 v2, s22, v2
	v_lshrrev_b32_e32 v3, 3, v2
	v_lshlrev_b32_e32 v2, 4, v2
	v_and_or_b32 v2, v2, s38, v0
	v_lshlrev_b32_e32 v2, 1, v2
	v_add_lshl_u32 v27, v2, v3, 1
	ds_read_u16 v26, v27
	v_cmp_ne_u16_e32 vcc, s37, v17
	s_waitcnt lgkmcnt(0)
	v_add_u16_e32 v2, 1, v26
	ds_write_b16 v27, v2
	v_cndmask_b32_e32 v2, v14, v17, vcc
	v_lshrrev_b32_sdwa v2, s36, v2 dst_sel:DWORD dst_unused:UNUSED_PAD src0_sel:DWORD src1_sel:WORD_0
	v_and_b32_e32 v2, s22, v2
	v_lshrrev_b32_e32 v3, 3, v2
	v_lshlrev_b32_e32 v2, 4, v2
	v_and_or_b32 v2, v2, s38, v0
	v_lshlrev_b32_e32 v2, 1, v2
	v_add_lshl_u32 v29, v2, v3, 1
	ds_read_u16 v28, v29
	s_waitcnt lgkmcnt(0)
	v_add_u16_e32 v2, 1, v28
	ds_write_b16 v29, v2
	s_waitcnt lgkmcnt(0)
	; wave barrier
	s_waitcnt lgkmcnt(0)
	ds_read2_b32 v[12:13], v22 offset1:1
	ds_read2_b32 v[10:11], v22 offset0:2 offset1:3
	ds_read2_b32 v[2:3], v22 offset0:4 offset1:5
	;; [unrolled: 1-line block ×3, first 2 shown]
	s_waitcnt lgkmcnt(3)
	v_add_u32_e32 v30, v13, v12
	s_waitcnt lgkmcnt(2)
	v_add3_u32 v30, v30, v10, v11
	s_waitcnt lgkmcnt(1)
	v_add3_u32 v30, v30, v2, v3
	;; [unrolled: 2-line block ×3, first 2 shown]
	s_nop 1
	v_mov_b32_dpp v30, v5 row_shr:1 row_mask:0xf bank_mask:0xf
	v_cndmask_b32_e64 v30, v30, 0, s[6:7]
	v_add_u32_e32 v5, v30, v5
	s_nop 1
	v_mov_b32_dpp v30, v5 row_shr:2 row_mask:0xf bank_mask:0xf
	v_cndmask_b32_e64 v30, 0, v30, s[8:9]
	v_add_u32_e32 v5, v5, v30
	;; [unrolled: 4-line block ×4, first 2 shown]
	s_and_saveexec_b64 s[22:23], s[14:15]
	s_cbranch_execz .LBB259_53
; %bb.52:                               ;   in Loop: Header=BB259_44 Depth=1
	ds_write_b32 v16, v5 offset:512
.LBB259_53:                             ;   in Loop: Header=BB259_44 Depth=1
	s_or_b64 exec, exec, s[22:23]
	ds_bpermute_b32 v5, v24, v5
	s_waitcnt lgkmcnt(0)
	; wave barrier
	s_waitcnt lgkmcnt(0)
	ds_read_b32 v30, v16 offset:512
	s_cmp_gt_u32 s36, 11
	v_cndmask_b32_e64 v5, v5, 0, s[16:17]
	s_waitcnt lgkmcnt(0)
	v_lshl_add_u32 v5, v30, 16, v5
	v_add_u32_e32 v12, v5, v12
	v_add_u32_e32 v13, v12, v13
	ds_write2_b32 v22, v5, v12 offset1:1
	v_add_u32_e32 v5, v13, v10
	v_add_u32_e32 v10, v5, v11
	v_add_u32_e32 v2, v10, v2
	v_add_u32_e32 v3, v2, v3
	v_add_u32_e32 v4, v3, v4
	ds_write2_b32 v22, v13, v5 offset0:2 offset1:3
	ds_write2_b32 v22, v10, v2 offset0:4 offset1:5
	;; [unrolled: 1-line block ×3, first 2 shown]
	s_waitcnt lgkmcnt(0)
	; wave barrier
	s_waitcnt lgkmcnt(0)
	ds_read_u16 v2, v27
	ds_read_u16 v3, v29
	s_waitcnt lgkmcnt(1)
	v_add_u32_sdwa v10, v2, v26 dst_sel:DWORD dst_unused:UNUSED_PAD src0_sel:DWORD src1_sel:WORD_0
	s_waitcnt lgkmcnt(0)
	v_add_u32_sdwa v11, v3, v28 dst_sel:DWORD dst_unused:UNUSED_PAD src0_sel:DWORD src1_sel:WORD_0
	s_cbranch_scc0 .LBB259_43
; %bb.54:
                                        ; implicit-def: $vgpr4_vgpr5
                                        ; implicit-def: $sgpr36
                                        ; implicit-def: $vgpr13
                                        ; implicit-def: $vgpr12
.LBB259_55:
	v_lshlrev_b32_e32 v1, 1, v10
	s_waitcnt lgkmcnt(0)
	; wave barrier
	ds_write_b16 v1, v25
	v_lshlrev_b32_e32 v1, 1, v11
	ds_write_b16 v1, v17
	s_waitcnt lgkmcnt(0)
	; wave barrier
	s_waitcnt lgkmcnt(0)
	ds_read_b32 v3, v23
	v_lshlrev_b32_e32 v1, 3, v10
	v_lshlrev_b32_e32 v2, 3, v11
	s_waitcnt lgkmcnt(0)
	; wave barrier
	s_waitcnt lgkmcnt(0)
	ds_write_b64 v1, v[8:9]
	ds_write_b64 v2, v[6:7]
	s_waitcnt lgkmcnt(0)
	; wave barrier
	s_waitcnt lgkmcnt(0)
	ds_read2_b64 v[6:9], v21 offset1:1
	v_mov_b32_e32 v1, 0
	v_mov_b32_e32 v2, 0x7fff
	v_cmp_gt_i16_e32 vcc, 0, v3
	v_cmp_lt_i16_sdwa s[4:5], v3, v1 src0_sel:WORD_1 src1_sel:DWORD
	v_cndmask_b32_e64 v4, v2, 0, vcc
	v_cndmask_b32_e64 v1, v2, 0, s[4:5]
	s_mov_b32 s4, 0x5040100
	v_perm_b32 v1, v1, v4, s4
	v_xor_b32_e32 v10, v1, v3
.LBB259_56:
	v_mad_u64_u32 v[2:3], s[4:5], v0, s18, 0
	v_mov_b32_e32 v4, v3
	s_waitcnt lgkmcnt(0)
	; wave barrier
	s_waitcnt lgkmcnt(0)
	ds_write_b32 v20, v10
	s_waitcnt lgkmcnt(0)
	; wave barrier
	s_waitcnt lgkmcnt(0)
	ds_read_u16 v1, v18 offset:32
	v_mad_u64_u32 v[4:5], s[4:5], v0, s19, v[4:5]
	v_mov_b32_e32 v3, v4
	v_lshlrev_b64 v[2:3], 1, v[2:3]
	v_mov_b32_e32 v4, s31
	v_add_co_u32_e32 v2, vcc, s30, v2
	v_addc_co_u32_e32 v3, vcc, v4, v3, vcc
	s_and_saveexec_b64 s[4:5], s[0:1]
	s_cbranch_execz .LBB259_58
; %bb.57:
	ds_read_u16 v4, v18
	s_waitcnt lgkmcnt(0)
	global_store_short v[2:3], v4, off
.LBB259_58:
	s_or_b64 exec, exec, s[4:5]
	s_and_saveexec_b64 s[4:5], s[2:3]
	s_cbranch_execz .LBB259_60
; %bb.59:
	s_lshl_b64 s[6:7], s[18:19], 5
	v_mov_b32_e32 v4, s7
	v_add_co_u32_e32 v2, vcc, s6, v2
	v_addc_co_u32_e32 v3, vcc, v3, v4, vcc
	s_waitcnt lgkmcnt(0)
	global_store_short v[2:3], v1, off
.LBB259_60:
	s_or_b64 exec, exec, s[4:5]
	v_mad_u64_u32 v[4:5], s[4:5], v0, s20, 0
	s_waitcnt lgkmcnt(0)
	; wave barrier
	s_waitcnt lgkmcnt(0)
	ds_write2_b64 v21, v[6:7], v[8:9] offset1:1
	v_mov_b32_e32 v6, v5
	s_waitcnt lgkmcnt(0)
	; wave barrier
	s_waitcnt lgkmcnt(0)
	ds_read_b64 v[2:3], v19 offset:128
	v_mad_u64_u32 v[0:1], s[4:5], v0, s21, v[6:7]
	v_mov_b32_e32 v5, v0
	v_lshlrev_b64 v[0:1], 3, v[4:5]
	v_mov_b32_e32 v4, s34
	v_add_co_u32_e32 v0, vcc, s33, v0
	v_addc_co_u32_e32 v1, vcc, v4, v1, vcc
	s_and_saveexec_b64 s[4:5], s[0:1]
	s_cbranch_execz .LBB259_62
; %bb.61:
	ds_read_b64 v[4:5], v19
	s_waitcnt lgkmcnt(0)
	global_store_dwordx2 v[0:1], v[4:5], off
.LBB259_62:
	s_or_b64 exec, exec, s[4:5]
	s_and_saveexec_b64 s[0:1], s[2:3]
	s_cbranch_execz .LBB259_64
; %bb.63:
	s_lshl_b64 s[0:1], s[20:21], 7
	v_mov_b32_e32 v4, s1
	v_add_co_u32_e32 v0, vcc, s0, v0
	v_addc_co_u32_e32 v1, vcc, v1, v4, vcc
	s_waitcnt lgkmcnt(0)
	global_store_dwordx2 v[0:1], v[2:3], off
.LBB259_64:
	s_endpgm
	.section	.rodata,"a",@progbits
	.p2align	6, 0x0
	.amdhsa_kernel _ZN2at6native18radixSortKVInPlaceILin1ELin1ELi16ELi2EN3c108BFloat16ElmEEvNS_4cuda6detail10TensorInfoIT3_T5_EES8_S8_S8_NS6_IT4_S8_EES8_b
		.amdhsa_group_segment_fixed_size 528
		.amdhsa_private_segment_fixed_size 0
		.amdhsa_kernarg_size 1128
		.amdhsa_user_sgpr_count 6
		.amdhsa_user_sgpr_private_segment_buffer 1
		.amdhsa_user_sgpr_dispatch_ptr 0
		.amdhsa_user_sgpr_queue_ptr 0
		.amdhsa_user_sgpr_kernarg_segment_ptr 1
		.amdhsa_user_sgpr_dispatch_id 0
		.amdhsa_user_sgpr_flat_scratch_init 0
		.amdhsa_user_sgpr_kernarg_preload_length 0
		.amdhsa_user_sgpr_kernarg_preload_offset 0
		.amdhsa_user_sgpr_private_segment_size 0
		.amdhsa_uses_dynamic_stack 0
		.amdhsa_system_sgpr_private_segment_wavefront_offset 0
		.amdhsa_system_sgpr_workgroup_id_x 1
		.amdhsa_system_sgpr_workgroup_id_y 1
		.amdhsa_system_sgpr_workgroup_id_z 1
		.amdhsa_system_sgpr_workgroup_info 0
		.amdhsa_system_vgpr_workitem_id 0
		.amdhsa_next_free_vgpr 38
		.amdhsa_next_free_sgpr 42
		.amdhsa_accum_offset 40
		.amdhsa_reserve_vcc 1
		.amdhsa_reserve_flat_scratch 0
		.amdhsa_float_round_mode_32 0
		.amdhsa_float_round_mode_16_64 0
		.amdhsa_float_denorm_mode_32 3
		.amdhsa_float_denorm_mode_16_64 3
		.amdhsa_dx10_clamp 1
		.amdhsa_ieee_mode 1
		.amdhsa_fp16_overflow 0
		.amdhsa_tg_split 0
		.amdhsa_exception_fp_ieee_invalid_op 0
		.amdhsa_exception_fp_denorm_src 0
		.amdhsa_exception_fp_ieee_div_zero 0
		.amdhsa_exception_fp_ieee_overflow 0
		.amdhsa_exception_fp_ieee_underflow 0
		.amdhsa_exception_fp_ieee_inexact 0
		.amdhsa_exception_int_div_zero 0
	.end_amdhsa_kernel
	.section	.text._ZN2at6native18radixSortKVInPlaceILin1ELin1ELi16ELi2EN3c108BFloat16ElmEEvNS_4cuda6detail10TensorInfoIT3_T5_EES8_S8_S8_NS6_IT4_S8_EES8_b,"axG",@progbits,_ZN2at6native18radixSortKVInPlaceILin1ELin1ELi16ELi2EN3c108BFloat16ElmEEvNS_4cuda6detail10TensorInfoIT3_T5_EES8_S8_S8_NS6_IT4_S8_EES8_b,comdat
.Lfunc_end259:
	.size	_ZN2at6native18radixSortKVInPlaceILin1ELin1ELi16ELi2EN3c108BFloat16ElmEEvNS_4cuda6detail10TensorInfoIT3_T5_EES8_S8_S8_NS6_IT4_S8_EES8_b, .Lfunc_end259-_ZN2at6native18radixSortKVInPlaceILin1ELin1ELi16ELi2EN3c108BFloat16ElmEEvNS_4cuda6detail10TensorInfoIT3_T5_EES8_S8_S8_NS6_IT4_S8_EES8_b
                                        ; -- End function
	.section	.AMDGPU.csdata,"",@progbits
; Kernel info:
; codeLenInByte = 4732
; NumSgprs: 46
; NumVgprs: 38
; NumAgprs: 0
; TotalNumVgprs: 38
; ScratchSize: 0
; MemoryBound: 0
; FloatMode: 240
; IeeeMode: 1
; LDSByteSize: 528 bytes/workgroup (compile time only)
; SGPRBlocks: 5
; VGPRBlocks: 4
; NumSGPRsForWavesPerEU: 46
; NumVGPRsForWavesPerEU: 38
; AccumOffset: 40
; Occupancy: 8
; WaveLimiterHint : 1
; COMPUTE_PGM_RSRC2:SCRATCH_EN: 0
; COMPUTE_PGM_RSRC2:USER_SGPR: 6
; COMPUTE_PGM_RSRC2:TRAP_HANDLER: 0
; COMPUTE_PGM_RSRC2:TGID_X_EN: 1
; COMPUTE_PGM_RSRC2:TGID_Y_EN: 1
; COMPUTE_PGM_RSRC2:TGID_Z_EN: 1
; COMPUTE_PGM_RSRC2:TIDIG_COMP_CNT: 0
; COMPUTE_PGM_RSRC3_GFX90A:ACCUM_OFFSET: 9
; COMPUTE_PGM_RSRC3_GFX90A:TG_SPLIT: 0
	.section	.text._ZN2at6native18radixSortKVInPlaceILin2ELin1ELi512ELi8EbljEEvNS_4cuda6detail10TensorInfoIT3_T5_EES6_S6_S6_NS4_IT4_S6_EES6_b,"axG",@progbits,_ZN2at6native18radixSortKVInPlaceILin2ELin1ELi512ELi8EbljEEvNS_4cuda6detail10TensorInfoIT3_T5_EES6_S6_S6_NS4_IT4_S6_EES6_b,comdat
	.protected	_ZN2at6native18radixSortKVInPlaceILin2ELin1ELi512ELi8EbljEEvNS_4cuda6detail10TensorInfoIT3_T5_EES6_S6_S6_NS4_IT4_S6_EES6_b ; -- Begin function _ZN2at6native18radixSortKVInPlaceILin2ELin1ELi512ELi8EbljEEvNS_4cuda6detail10TensorInfoIT3_T5_EES6_S6_S6_NS4_IT4_S6_EES6_b
	.globl	_ZN2at6native18radixSortKVInPlaceILin2ELin1ELi512ELi8EbljEEvNS_4cuda6detail10TensorInfoIT3_T5_EES6_S6_S6_NS4_IT4_S6_EES6_b
	.p2align	8
	.type	_ZN2at6native18radixSortKVInPlaceILin2ELin1ELi512ELi8EbljEEvNS_4cuda6detail10TensorInfoIT3_T5_EES6_S6_S6_NS4_IT4_S6_EES6_b,@function
_ZN2at6native18radixSortKVInPlaceILin2ELin1ELi512ELi8EbljEEvNS_4cuda6detail10TensorInfoIT3_T5_EES6_S6_S6_NS4_IT4_S6_EES6_b: ; @_ZN2at6native18radixSortKVInPlaceILin2ELin1ELi512ELi8EbljEEvNS_4cuda6detail10TensorInfoIT3_T5_EES6_S6_S6_NS4_IT4_S6_EES6_b
; %bb.0:
	s_load_dwordx2 s[0:1], s[4:5], 0x1c8
	s_load_dwordx4 s[36:39], s[4:5], 0xd8
	s_add_u32 s42, s4, 0x1c8
	s_addc_u32 s43, s5, 0
	s_waitcnt lgkmcnt(0)
	s_mul_i32 s1, s1, s8
	s_add_i32 s1, s1, s7
	s_mul_i32 s0, s1, s0
	s_add_i32 s6, s0, s6
	s_cmp_ge_u32 s6, s36
	s_cbranch_scc1 .LBB260_102
; %bb.1:
	s_load_dword s2, s[4:5], 0x1b8
	s_load_dwordx2 s[0:1], s[4:5], 0x0
	s_add_u32 s14, s4, 0xe8
	s_addc_u32 s15, s5, 0
	s_mov_b32 s17, 0
	s_waitcnt lgkmcnt(0)
	s_cmp_lt_i32 s2, 2
	s_mov_b32 s16, s6
	s_cbranch_scc1 .LBB260_4
; %bb.2:
	s_add_i32 s16, s2, -1
	s_add_i32 s7, s2, 1
	s_lshl_b64 s[2:3], s[16:17], 2
	s_add_u32 s2, s2, s14
	s_addc_u32 s3, s3, s15
	s_add_u32 s2, s2, 8
	s_addc_u32 s3, s3, 0
	s_mov_b32 s16, s6
.LBB260_3:                              ; =>This Inner Loop Header: Depth=1
	s_load_dword s8, s[2:3], 0x0
	s_load_dword s10, s[2:3], 0x64
	s_mov_b32 s9, s16
	s_waitcnt lgkmcnt(0)
	v_cvt_f32_u32_e32 v1, s8
	s_sub_i32 s11, 0, s8
	v_rcp_iflag_f32_e32 v1, v1
	v_mul_f32_e32 v1, 0x4f7ffffe, v1
	v_cvt_u32_f32_e32 v1, v1
	v_readfirstlane_b32 s12, v1
	s_mul_i32 s11, s11, s12
	s_mul_hi_u32 s11, s12, s11
	s_add_i32 s12, s12, s11
	s_mul_hi_u32 s11, s16, s12
	s_mul_i32 s12, s11, s8
	s_sub_i32 s12, s16, s12
	s_add_i32 s13, s11, 1
	s_sub_i32 s16, s12, s8
	s_cmp_ge_u32 s12, s8
	s_cselect_b32 s11, s13, s11
	s_cselect_b32 s12, s16, s12
	s_add_i32 s13, s11, 1
	s_cmp_ge_u32 s12, s8
	s_cselect_b32 s16, s13, s11
	s_mul_i32 s8, s16, s8
	s_sub_i32 s8, s9, s8
	s_mul_i32 s8, s10, s8
	s_add_i32 s7, s7, -1
	s_add_i32 s17, s8, s17
	s_add_u32 s2, s2, -4
	s_addc_u32 s3, s3, -1
	s_cmp_gt_u32 s7, 2
	s_cbranch_scc1 .LBB260_3
.LBB260_4:
	s_load_dword s2, s[4:5], 0x6c
	s_load_dwordx2 s[34:35], s[4:5], 0x1c0
	v_and_b32_e32 v36, 0x3ff, v0
	v_mul_lo_u32 v37, v36, s38
	s_waitcnt lgkmcnt(0)
	s_mul_i32 s4, s2, s6
	s_bitcmp1_b32 s35, 0
	s_cselect_b64 s[2:3], -1, 0
	s_add_u32 s40, s0, s4
	s_addc_u32 s41, s1, 0
	s_xor_b64 s[44:45], s[2:3], -1
	v_cndmask_b32_e64 v1, 0, 1, s[44:45]
	v_lshlrev_b16_e32 v2, 8, v1
	v_or_b32_e32 v2, v1, v2
	v_lshlrev_b32_e32 v3, 16, v2
	v_or_b32_sdwa v2, v2, v3 dst_sel:DWORD dst_unused:UNUSED_PAD src0_sel:WORD_0 src1_sel:DWORD
	v_mov_b32_e32 v3, v2
	v_cmp_gt_u32_e64 s[0:1], s37, v36
	s_and_saveexec_b64 s[2:3], s[0:1]
	s_cbranch_execz .LBB260_6
; %bb.5:
	global_load_ubyte v1, v37, s[40:41]
	s_mov_b32 s4, 0x3020104
	v_mov_b32_e32 v5, v2
	s_waitcnt vmcnt(0)
	v_perm_b32 v4, v1, v2, s4
	v_pk_mov_b32 v[2:3], v[4:5], v[4:5] op_sel:[0,1]
.LBB260_6:
	s_or_b64 exec, exec, s[2:3]
	v_add_u32_e32 v32, 0x200, v36
	v_cmp_gt_u32_e64 s[2:3], s37, v32
	s_and_saveexec_b64 s[4:5], s[2:3]
	s_cbranch_execz .LBB260_8
; %bb.7:
	v_mul_lo_u32 v4, v32, s38
	global_load_ubyte v4, v4, s[40:41]
	s_mov_b32 s6, 0x7060004
	s_waitcnt vmcnt(0)
	v_perm_b32 v2, v2, v4, s6
.LBB260_8:
	s_or_b64 exec, exec, s[4:5]
	v_or_b32_e32 v31, 0x400, v36
	v_cmp_gt_u32_e64 s[4:5], s37, v31
	s_and_saveexec_b64 s[6:7], s[4:5]
	s_cbranch_execz .LBB260_10
; %bb.9:
	v_mul_lo_u32 v4, v31, s38
	global_load_ubyte v4, v4, s[40:41]
	s_movk_i32 s8, 0xff00
	v_and_b32_sdwa v5, v2, s8 dst_sel:DWORD dst_unused:UNUSED_PAD src0_sel:WORD_1 src1_sel:DWORD
	s_mov_b32 s8, 0xffff
	s_waitcnt vmcnt(0)
	v_or_b32_sdwa v4, v4, v5 dst_sel:WORD_1 dst_unused:UNUSED_PAD src0_sel:DWORD src1_sel:DWORD
	v_and_or_b32 v2, v2, s8, v4
.LBB260_10:
	s_or_b64 exec, exec, s[6:7]
	v_add_u32_e32 v30, 0x600, v36
	v_cmp_gt_u32_e64 s[6:7], s37, v30
	s_and_saveexec_b64 s[8:9], s[6:7]
	s_cbranch_execz .LBB260_12
; %bb.11:
	v_mul_lo_u32 v4, v30, s38
	global_load_ubyte v4, v4, s[40:41]
	s_movk_i32 s10, 0xff
	v_and_b32_sdwa v5, v2, s10 dst_sel:DWORD dst_unused:UNUSED_PAD src0_sel:WORD_1 src1_sel:DWORD
	s_mov_b32 s10, 0xffff
	s_waitcnt vmcnt(0)
	v_lshlrev_b16_e32 v4, 8, v4
	v_or_b32_sdwa v4, v5, v4 dst_sel:WORD_1 dst_unused:UNUSED_PAD src0_sel:DWORD src1_sel:DWORD
	v_and_or_b32 v2, v2, s10, v4
.LBB260_12:
	s_or_b64 exec, exec, s[8:9]
	v_or_b32_e32 v29, 0x800, v36
	v_cmp_gt_u32_e64 s[8:9], s37, v29
	s_and_saveexec_b64 s[10:11], s[8:9]
	s_cbranch_execz .LBB260_14
; %bb.13:
	v_mul_lo_u32 v4, v29, s38
	global_load_ubyte v4, v4, s[40:41]
	s_mov_b32 s12, 0x3020104
	s_waitcnt vmcnt(0)
	v_perm_b32 v3, v4, v3, s12
.LBB260_14:
	s_or_b64 exec, exec, s[10:11]
	v_add_u32_e32 v28, 0xa00, v36
	v_cmp_gt_u32_e64 s[10:11], s37, v28
	s_and_saveexec_b64 s[12:13], s[10:11]
	s_cbranch_execz .LBB260_16
; %bb.15:
	v_mul_lo_u32 v4, v28, s38
	global_load_ubyte v4, v4, s[40:41]
	s_mov_b32 s18, 0x7060004
	s_waitcnt vmcnt(0)
	v_perm_b32 v3, v3, v4, s18
.LBB260_16:
	s_or_b64 exec, exec, s[12:13]
	s_load_dwordx2 s[18:19], s[14:15], 0x0
	v_or_b32_e32 v27, 0xc00, v36
	v_cmp_gt_u32_e64 s[12:13], s37, v27
	s_and_saveexec_b64 s[20:21], s[12:13]
	s_cbranch_execz .LBB260_18
; %bb.17:
	v_mul_lo_u32 v4, v27, s38
	global_load_ubyte v4, v4, s[40:41]
	s_mov_b32 s22, 0x7000504
	s_waitcnt vmcnt(0)
	v_perm_b32 v3, v3, v4, s22
.LBB260_18:
	s_or_b64 exec, exec, s[20:21]
	s_load_dword s22, s[14:15], 0x6c
	v_add_u32_e32 v22, 0xe00, v36
	v_cmp_gt_u32_e64 s[14:15], s37, v22
	s_and_saveexec_b64 s[20:21], s[14:15]
	s_cbranch_execz .LBB260_20
; %bb.19:
	v_mul_lo_u32 v4, v22, s38
	global_load_ubyte v4, v4, s[40:41]
	s_mov_b32 s23, 0x60504
	s_waitcnt vmcnt(0)
	v_perm_b32 v3, v3, v4, s23
.LBB260_20:
	s_or_b64 exec, exec, s[20:21]
	v_lshrrev_b32_e32 v26, 5, v36
	v_and_b32_e32 v4, 28, v26
	v_add_u32_e32 v44, v4, v36
	v_lshrrev_b32_e32 v25, 5, v32
	ds_write_b8 v44, v1
	v_and_b32_e32 v1, 60, v25
	v_lshrrev_b32_e32 v24, 5, v31
	v_add_u32_e32 v45, v1, v36
	v_and_b32_e32 v1, 60, v24
	v_lshrrev_b32_e32 v23, 5, v30
	v_add_u32_e32 v46, v1, v36
	;; [unrolled: 3-line block ×3, first 2 shown]
	v_and_b32_e32 v1, 0x5c, v21
	v_lshrrev_b32_e32 v19, 5, v28
	v_lshrrev_b32_e32 v4, 8, v2
	v_add_u32_e32 v48, v1, v36
	v_and_b32_e32 v1, 0x7c, v19
	v_lshrrev_b32_e32 v18, 5, v27
	ds_write_b8 v45, v4 offset:512
	ds_write_b8_d16_hi v46, v2 offset:1024
	v_lshrrev_b32_e32 v2, 24, v2
	v_add_u32_e32 v49, v1, v36
	v_and_b32_e32 v1, 0x7c, v18
	ds_write_b8 v47, v2 offset:1536
	v_lshrrev_b32_e32 v2, 8, v3
	v_add_u32_e32 v50, v1, v36
	v_lshrrev_b32_e32 v1, 5, v22
	ds_write_b8 v48, v3 offset:2048
	ds_write_b8 v49, v2 offset:2560
	v_and_b32_e32 v2, 0xfc, v1
	v_lshrrev_b32_e32 v20, 2, v36
	v_add_u32_e32 v51, v2, v36
	v_lshlrev_b32_e32 v53, 3, v36
	v_and_b32_e32 v2, 0xfc, v20
	s_waitcnt lgkmcnt(0)
	s_mul_i32 s16, s22, s16
	ds_write_b8_d16_hi v50, v3 offset:3072
	v_lshrrev_b32_e32 v3, 24, v3
	v_add_u32_e32 v52, v2, v53
	s_add_i32 s16, s16, s17
	s_mov_b32 s17, 0
	ds_write_b8 v51, v3 offset:3584
	s_waitcnt lgkmcnt(0)
	s_barrier
	ds_read_b64 v[38:39], v52
	s_lshl_b64 s[20:21], s[16:17], 3
	s_add_u32 s33, s18, s20
	s_mov_b32 s16, s17
	s_addc_u32 s35, s19, s21
	s_mov_b32 s18, s17
	s_mov_b32 s19, s17
	s_mov_b32 s20, s17
	s_mov_b32 s21, s17
	s_mov_b32 s22, s17
	s_mov_b32 s23, s17
	s_mov_b32 s24, s17
	s_mov_b32 s25, s17
	s_mov_b32 s26, s17
	s_mov_b32 s27, s17
	s_mov_b32 s28, s17
	s_mov_b32 s29, s17
	s_mov_b32 s30, s17
	s_mov_b32 s31, s17
	v_pk_mov_b32 v[2:3], s[16:17], s[16:17] op_sel:[0,1]
	v_pk_mov_b32 v[4:5], s[18:19], s[18:19] op_sel:[0,1]
	;; [unrolled: 1-line block ×8, first 2 shown]
	v_pk_mov_b32 v[2:3], 0, 0
	v_mul_lo_u32 v34, v36, s34
	s_waitcnt lgkmcnt(0)
	s_barrier
	s_and_saveexec_b64 s[16:17], s[0:1]
	s_cbranch_execnz .LBB260_53
; %bb.21:
	s_or_b64 exec, exec, s[16:17]
	s_and_saveexec_b64 s[16:17], s[2:3]
	s_cbranch_execnz .LBB260_54
.LBB260_22:
	s_or_b64 exec, exec, s[16:17]
	s_and_saveexec_b64 s[16:17], s[4:5]
	s_cbranch_execnz .LBB260_55
.LBB260_23:
	s_or_b64 exec, exec, s[16:17]
	s_and_saveexec_b64 s[16:17], s[6:7]
	s_cbranch_execnz .LBB260_56
.LBB260_24:
	s_or_b64 exec, exec, s[16:17]
	s_and_saveexec_b64 s[16:17], s[8:9]
	s_cbranch_execnz .LBB260_57
.LBB260_25:
	s_or_b64 exec, exec, s[16:17]
	s_and_saveexec_b64 s[16:17], s[10:11]
	s_cbranch_execnz .LBB260_58
.LBB260_26:
	s_or_b64 exec, exec, s[16:17]
	s_and_saveexec_b64 s[16:17], s[12:13]
	s_cbranch_execnz .LBB260_59
.LBB260_27:
	s_or_b64 exec, exec, s[16:17]
	s_and_saveexec_b64 s[16:17], s[14:15]
	s_cbranch_execz .LBB260_29
.LBB260_28:
	v_mul_lo_u32 v16, v22, s34
	v_mov_b32_e32 v17, 0
	v_lshlrev_b64 v[16:17], 3, v[16:17]
	v_mov_b32_e32 v22, s35
	v_add_co_u32_e32 v16, vcc, s33, v16
	v_addc_co_u32_e32 v17, vcc, v22, v17, vcc
	global_load_dwordx2 v[16:17], v[16:17], off
.LBB260_29:
	s_or_b64 exec, exec, s[16:17]
	v_lshrrev_b64 v[40:41], 24, v[38:39]
	v_add_lshl_u32 v41, v26, v36, 3
	v_add_lshl_u32 v35, v25, v36, 3
	;; [unrolled: 1-line block ×9, first 2 shown]
	s_waitcnt vmcnt(0)
	ds_write_b64 v41, v[2:3]
	ds_write_b64 v35, v[4:5] offset:4096
	ds_write_b64 v54, v[6:7] offset:8192
	;; [unrolled: 1-line block ×7, first 2 shown]
	s_waitcnt lgkmcnt(0)
	s_barrier
	ds_read2_b64 v[14:17], v60 offset1:1
	ds_read2_b64 v[10:13], v60 offset0:2 offset1:3
	ds_read2_b64 v[6:9], v60 offset0:4 offset1:5
	;; [unrolled: 1-line block ×3, first 2 shown]
	v_lshrrev_b32_e32 v64, 8, v38
	v_lshrrev_b32_e32 v65, 8, v39
	s_and_b64 vcc, exec, s[44:45]
	v_bfe_u32 v62, v0, 10, 10
	v_bfe_u32 v63, v0, 20, 10
	v_mbcnt_lo_u32_b32 v66, -1, 0
	v_lshlrev_b32_e32 v61, 4, v36
	s_waitcnt lgkmcnt(0)
	s_barrier
	s_cbranch_vccz .LBB260_60
; %bb.30:
	s_movk_i32 s16, 0xff
	v_mov_b32_e32 v1, 8
	v_lshlrev_b16_e32 v0, 8, v65
	v_lshlrev_b16_sdwa v1, v1, v39 dst_sel:DWORD dst_unused:UNUSED_PAD src0_sel:DWORD src1_sel:BYTE_3
	v_and_b32_sdwa v20, v39, s16 dst_sel:DWORD dst_unused:UNUSED_PAD src0_sel:WORD_1 src1_sel:DWORD
	v_or_b32_sdwa v0, v39, v0 dst_sel:DWORD dst_unused:UNUSED_PAD src0_sel:BYTE_0 src1_sel:DWORD
	v_or_b32_sdwa v1, v20, v1 dst_sel:WORD_1 dst_unused:UNUSED_PAD src0_sel:DWORD src1_sel:DWORD
	v_mbcnt_hi_u32_b32 v75, -1, v66
	v_and_b32_e32 v76, 0x3c0, v36
	v_or_b32_sdwa v1, v0, v1 dst_sel:DWORD dst_unused:UNUSED_PAD src0_sel:WORD_0 src1_sel:DWORD
	v_lshlrev_b16_e32 v0, 8, v64
	v_lshlrev_b16_e32 v20, 8, v40
	v_and_b32_sdwa v21, v38, s16 dst_sel:DWORD dst_unused:UNUSED_PAD src0_sel:WORD_1 src1_sel:DWORD
	v_add_u32_e32 v18, v75, v76
	v_or_b32_sdwa v0, v38, v0 dst_sel:DWORD dst_unused:UNUSED_PAD src0_sel:BYTE_0 src1_sel:DWORD
	v_or_b32_sdwa v20, v21, v20 dst_sel:WORD_1 dst_unused:UNUSED_PAD src0_sel:DWORD src1_sel:DWORD
	v_lshlrev_b32_e32 v19, 3, v18
	v_or_b32_sdwa v0, v0, v20 dst_sel:DWORD dst_unused:UNUSED_PAD src0_sel:WORD_0 src1_sel:DWORD
	s_movk_i32 s16, 0x1e00
	ds_write_b64 v19, v[0:1]
	v_and_or_b32 v0, v53, s16, v75
	; wave barrier
	ds_read_u8 v67, v0
	ds_read_u8 v68, v0 offset:64
	ds_read_u8 v69, v0 offset:128
	;; [unrolled: 1-line block ×7, first 2 shown]
	v_lshlrev_b32_e32 v1, 6, v18
	v_lshlrev_b32_e32 v0, 3, v0
	s_getpc_b64 s[16:17]
	s_add_u32 s16, s16, _ZN7rocprim17ROCPRIM_400000_NS16block_radix_sortIbLj512ELj8ElLj1ELj1ELj0ELNS0_26block_radix_rank_algorithmE1ELNS0_18block_padding_hintE2ELNS0_4arch9wavefront6targetE1EE19radix_bits_per_passE@rel32@lo+4
	s_addc_u32 s17, s17, _ZN7rocprim17ROCPRIM_400000_NS16block_radix_sortIbLj512ELj8ElLj1ELj1ELj0ELNS0_26block_radix_rank_algorithmE1ELNS0_18block_padding_hintE2ELNS0_4arch9wavefront6targetE1EE19radix_bits_per_passE@rel32@hi+12
	s_waitcnt lgkmcnt(0)
	s_barrier
	ds_write2_b64 v1, v[14:15], v[16:17] offset1:1
	ds_write2_b64 v1, v[10:11], v[12:13] offset0:2 offset1:3
	ds_write2_b64 v1, v[6:7], v[8:9] offset0:4 offset1:5
	;; [unrolled: 1-line block ×3, first 2 shown]
	; wave barrier
	ds_read2st64_b64 v[30:33], v0 offset1:1
	ds_read2st64_b64 v[26:29], v0 offset0:2 offset1:3
	ds_read2st64_b64 v[22:25], v0 offset0:4 offset1:5
	;; [unrolled: 1-line block ×3, first 2 shown]
	s_waitcnt lgkmcnt(0)
	s_barrier
	s_load_dword s18, s[16:17], 0x0
	s_load_dword s19, s[42:43], 0xc
	s_waitcnt lgkmcnt(0)
	s_min_u32 s18, s18, 8
	s_lshr_b32 s16, s19, 16
	s_and_b32 s17, s19, 0xffff
	v_mad_u32_u24 v0, v63, s16, v62
	v_mad_u64_u32 v[0:1], s[16:17], v0, s17, v[36:37]
	s_lshl_b32 s16, -1, s18
	s_not_b32 s18, s16
	v_lshrrev_b32_e32 v42, 6, v0
	v_and_b32_e32 v0, s18, v67
	v_mov_b32_e32 v1, 0
	v_and_b32_e32 v0, 1, v0
	ds_write2_b32 v61, v1, v1 offset0:8 offset1:9
	ds_write2_b32 v61, v1, v1 offset0:10 offset1:11
	v_lshlrev_b32_e32 v1, 3, v0
	v_cmp_ne_u32_e32 vcc, 0, v0
	v_add_co_u32_e64 v0, s[16:17], -1, v0
	v_add_lshl_u32 v77, v42, v1, 2
	v_addc_co_u32_e64 v1, s[16:17], 0, -1, s[16:17]
	v_xor_b32_e32 v0, vcc_lo, v0
	v_xor_b32_e32 v1, vcc_hi, v1
	v_and_b32_e32 v0, exec_lo, v0
	v_and_b32_e32 v1, exec_hi, v1
	v_mbcnt_lo_u32_b32 v43, v0, 0
	v_mbcnt_hi_u32_b32 v78, v1, v43
	v_cmp_eq_u32_e32 vcc, 0, v78
	v_cmp_ne_u64_e64 s[16:17], 0, v[0:1]
	s_and_b64 s[20:21], s[16:17], vcc
	s_waitcnt lgkmcnt(0)
	s_barrier
	s_waitcnt lgkmcnt(0)
	; wave barrier
	s_and_saveexec_b64 s[16:17], s[20:21]
	s_cbranch_execz .LBB260_32
; %bb.31:
	v_bcnt_u32_b32 v0, v0, 0
	v_bcnt_u32_b32 v0, v1, v0
	ds_write_b32 v77, v0 offset:32
.LBB260_32:
	s_or_b64 exec, exec, s[16:17]
	v_and_b32_e32 v0, s18, v68
	v_and_b32_e32 v0, 0xff, v0
	v_lshlrev_b32_e32 v1, 3, v0
	v_cmp_ne_u32_e32 vcc, 0, v0
	v_add_co_u32_e64 v0, s[16:17], -1, v0
	v_add_lshl_u32 v80, v42, v1, 2
	v_addc_co_u32_e64 v1, s[16:17], 0, -1, s[16:17]
	v_xor_b32_e32 v0, vcc_lo, v0
	; wave barrier
	ds_read_b32 v79, v80 offset:32
	v_xor_b32_e32 v1, vcc_hi, v1
	v_and_b32_e32 v0, exec_lo, v0
	v_and_b32_e32 v1, exec_hi, v1
	v_mbcnt_lo_u32_b32 v43, v0, 0
	v_mbcnt_hi_u32_b32 v81, v1, v43
	v_cmp_eq_u32_e32 vcc, 0, v81
	v_cmp_ne_u64_e64 s[16:17], 0, v[0:1]
	s_and_b64 s[20:21], s[16:17], vcc
	; wave barrier
	s_and_saveexec_b64 s[16:17], s[20:21]
	s_cbranch_execz .LBB260_34
; %bb.33:
	v_bcnt_u32_b32 v0, v0, 0
	v_bcnt_u32_b32 v0, v1, v0
	s_waitcnt lgkmcnt(0)
	v_add_u32_e32 v0, v79, v0
	ds_write_b32 v80, v0 offset:32
.LBB260_34:
	s_or_b64 exec, exec, s[16:17]
	v_and_b32_e32 v0, s18, v69
	v_and_b32_e32 v0, 0xff, v0
	v_lshlrev_b32_e32 v1, 3, v0
	v_cmp_ne_u32_e32 vcc, 0, v0
	v_add_co_u32_e64 v0, s[16:17], -1, v0
	v_add_lshl_u32 v83, v42, v1, 2
	v_addc_co_u32_e64 v1, s[16:17], 0, -1, s[16:17]
	v_xor_b32_e32 v0, vcc_lo, v0
	; wave barrier
	ds_read_b32 v82, v83 offset:32
	v_xor_b32_e32 v1, vcc_hi, v1
	v_and_b32_e32 v0, exec_lo, v0
	v_and_b32_e32 v1, exec_hi, v1
	v_mbcnt_lo_u32_b32 v43, v0, 0
	v_mbcnt_hi_u32_b32 v84, v1, v43
	v_cmp_eq_u32_e32 vcc, 0, v84
	v_cmp_ne_u64_e64 s[16:17], 0, v[0:1]
	s_and_b64 s[20:21], s[16:17], vcc
	; wave barrier
	s_and_saveexec_b64 s[16:17], s[20:21]
	s_cbranch_execz .LBB260_36
; %bb.35:
	v_bcnt_u32_b32 v0, v0, 0
	v_bcnt_u32_b32 v0, v1, v0
	s_waitcnt lgkmcnt(0)
	v_add_u32_e32 v0, v82, v0
	ds_write_b32 v83, v0 offset:32
.LBB260_36:
	;; [unrolled: 29-line block ×6, first 2 shown]
	s_or_b64 exec, exec, s[16:17]
	v_and_b32_e32 v0, s18, v74
	v_and_b32_e32 v0, 0xff, v0
	v_lshlrev_b32_e32 v1, 3, v0
	v_cmp_ne_u32_e32 vcc, 0, v0
	v_add_co_u32_e64 v0, s[16:17], -1, v0
	v_add_lshl_u32 v98, v42, v1, 2
	v_addc_co_u32_e64 v1, s[16:17], 0, -1, s[16:17]
	v_xor_b32_e32 v0, vcc_lo, v0
	; wave barrier
	ds_read_b32 v97, v98 offset:32
	v_xor_b32_e32 v1, vcc_hi, v1
	v_and_b32_e32 v0, exec_lo, v0
	v_and_b32_e32 v1, exec_hi, v1
	v_mbcnt_lo_u32_b32 v42, v0, 0
	v_mbcnt_hi_u32_b32 v99, v1, v42
	v_cmp_eq_u32_e32 vcc, 0, v99
	v_cmp_ne_u64_e64 s[16:17], 0, v[0:1]
	v_add_u32_e32 v100, 32, v61
	s_and_b64 s[18:19], s[16:17], vcc
	; wave barrier
	s_and_saveexec_b64 s[16:17], s[18:19]
	s_cbranch_execz .LBB260_46
; %bb.45:
	v_bcnt_u32_b32 v0, v0, 0
	v_bcnt_u32_b32 v0, v1, v0
	s_waitcnt lgkmcnt(0)
	v_add_u32_e32 v0, v97, v0
	ds_write_b32 v98, v0 offset:32
.LBB260_46:
	s_or_b64 exec, exec, s[16:17]
	; wave barrier
	s_waitcnt lgkmcnt(0)
	s_barrier
	ds_read2_b32 v[0:1], v61 offset0:8 offset1:9
	ds_read2_b32 v[42:43], v100 offset0:2 offset1:3
	v_min_u32_e32 v76, 0x1c0, v76
	v_or_b32_e32 v76, 63, v76
	s_waitcnt lgkmcnt(1)
	v_add_u32_e32 v101, v1, v0
	s_waitcnt lgkmcnt(0)
	v_add3_u32 v43, v101, v42, v43
	v_and_b32_e32 v101, 15, v75
	v_cmp_ne_u32_e32 vcc, 0, v101
	v_mov_b32_dpp v102, v43 row_shr:1 row_mask:0xf bank_mask:0xf
	v_cndmask_b32_e32 v102, 0, v102, vcc
	v_add_u32_e32 v43, v102, v43
	v_cmp_lt_u32_e32 vcc, 1, v101
	s_nop 0
	v_mov_b32_dpp v102, v43 row_shr:2 row_mask:0xf bank_mask:0xf
	v_cndmask_b32_e32 v102, 0, v102, vcc
	v_add_u32_e32 v43, v43, v102
	v_cmp_lt_u32_e32 vcc, 3, v101
	s_nop 0
	;; [unrolled: 5-line block ×3, first 2 shown]
	v_mov_b32_dpp v102, v43 row_shr:8 row_mask:0xf bank_mask:0xf
	v_cndmask_b32_e32 v101, 0, v102, vcc
	v_add_u32_e32 v43, v43, v101
	v_bfe_i32 v102, v75, 4, 1
	v_cmp_lt_u32_e32 vcc, 31, v75
	v_mov_b32_dpp v101, v43 row_bcast:15 row_mask:0xf bank_mask:0xf
	v_and_b32_e32 v101, v102, v101
	v_add_u32_e32 v43, v43, v101
	s_nop 1
	v_mov_b32_dpp v101, v43 row_bcast:31 row_mask:0xf bank_mask:0xf
	v_cndmask_b32_e32 v101, 0, v101, vcc
	v_add_u32_e32 v43, v43, v101
	v_lshrrev_b32_e32 v101, 6, v36
	v_cmp_eq_u32_e32 vcc, v76, v36
	s_and_saveexec_b64 s[16:17], vcc
	s_cbranch_execz .LBB260_48
; %bb.47:
	v_lshlrev_b32_e32 v76, 2, v101
	ds_write_b32 v76, v43
.LBB260_48:
	s_or_b64 exec, exec, s[16:17]
	v_cmp_gt_u32_e32 vcc, 8, v36
	s_waitcnt lgkmcnt(0)
	s_barrier
	s_and_saveexec_b64 s[16:17], vcc
	s_cbranch_execz .LBB260_50
; %bb.49:
	v_lshlrev_b32_e32 v76, 2, v36
	ds_read_b32 v102, v76
	v_and_b32_e32 v103, 7, v75
	v_cmp_ne_u32_e32 vcc, 0, v103
	s_waitcnt lgkmcnt(0)
	v_mov_b32_dpp v104, v102 row_shr:1 row_mask:0xf bank_mask:0xf
	v_cndmask_b32_e32 v104, 0, v104, vcc
	v_add_u32_e32 v102, v104, v102
	v_cmp_lt_u32_e32 vcc, 1, v103
	s_nop 0
	v_mov_b32_dpp v104, v102 row_shr:2 row_mask:0xf bank_mask:0xf
	v_cndmask_b32_e32 v104, 0, v104, vcc
	v_add_u32_e32 v102, v102, v104
	v_cmp_lt_u32_e32 vcc, 3, v103
	s_nop 0
	v_mov_b32_dpp v104, v102 row_shr:4 row_mask:0xf bank_mask:0xf
	v_cndmask_b32_e32 v103, 0, v104, vcc
	v_add_u32_e32 v102, v102, v103
	ds_write_b32 v76, v102
.LBB260_50:
	s_or_b64 exec, exec, s[16:17]
	v_cmp_lt_u32_e32 vcc, 63, v36
	v_mov_b32_e32 v76, 0
	s_waitcnt lgkmcnt(0)
	s_barrier
	s_and_saveexec_b64 s[16:17], vcc
	s_cbranch_execz .LBB260_52
; %bb.51:
	v_lshl_add_u32 v76, v101, 2, -4
	ds_read_b32 v76, v76
.LBB260_52:
	s_or_b64 exec, exec, s[16:17]
	v_add_u32_e32 v101, -1, v75
	v_and_b32_e32 v102, 64, v75
	v_cmp_lt_i32_e32 vcc, v101, v102
	v_cndmask_b32_e32 v101, v101, v75, vcc
	s_waitcnt lgkmcnt(0)
	v_add_u32_e32 v43, v76, v43
	v_lshlrev_b32_e32 v101, 2, v101
	ds_bpermute_b32 v43, v101, v43
	v_cmp_eq_u32_e32 vcc, 0, v75
	s_waitcnt lgkmcnt(0)
	v_cndmask_b32_e32 v43, v43, v76, vcc
	v_cmp_ne_u32_e32 vcc, 0, v36
	v_cndmask_b32_e32 v43, 0, v43, vcc
	v_add_u32_e32 v0, v43, v0
	v_add_u32_e32 v1, v0, v1
	;; [unrolled: 1-line block ×3, first 2 shown]
	ds_write2_b32 v61, v43, v0 offset0:8 offset1:9
	ds_write2_b32 v100, v1, v42 offset0:2 offset1:3
	s_waitcnt lgkmcnt(0)
	s_barrier
	ds_read_b32 v0, v77 offset:32
	ds_read_b32 v1, v80 offset:32
	;; [unrolled: 1-line block ×8, first 2 shown]
	s_waitcnt lgkmcnt(7)
	v_add_u32_e32 v78, v0, v78
	s_waitcnt lgkmcnt(6)
	v_add3_u32 v79, v81, v79, v1
	s_waitcnt lgkmcnt(5)
	v_add3_u32 v42, v84, v82, v42
	;; [unrolled: 2-line block ×7, first 2 shown]
	s_barrier
	ds_write_b8 v78, v67
	ds_write_b8 v79, v68
	;; [unrolled: 1-line block ×8, first 2 shown]
	v_lshlrev_b32_e32 v67, 3, v78
	s_waitcnt lgkmcnt(0)
	s_barrier
	ds_read_b64 v[0:1], v53
	s_waitcnt lgkmcnt(0)
	s_barrier
	ds_write_b64 v67, v[30:31]
	v_lshlrev_b32_e32 v30, 3, v79
	ds_write_b64 v30, v[32:33]
	v_lshlrev_b32_e32 v30, 3, v42
	ds_write_b64 v30, v[26:27]
	v_lshlrev_b32_e32 v26, 3, v43
	ds_write_b64 v26, v[28:29]
	v_lshlrev_b32_e32 v26, 3, v75
	ds_write_b64 v26, v[22:23]
	v_lshlrev_b32_e32 v22, 3, v76
	ds_write_b64 v22, v[24:25]
	v_lshlrev_b32_e32 v22, 3, v77
	ds_write_b64 v22, v[18:19]
	v_lshlrev_b32_e32 v18, 3, v80
	v_lshlrev_b32_e32 v30, 3, v53
	ds_write_b64 v18, v[20:21]
	s_waitcnt lgkmcnt(0)
	s_barrier
	ds_read2_b64 v[18:21], v30 offset1:1
	ds_read2_b64 v[22:25], v30 offset0:2 offset1:3
	ds_read2_b64 v[26:29], v30 offset0:4 offset1:5
	;; [unrolled: 1-line block ×3, first 2 shown]
	s_branch .LBB260_84
.LBB260_53:
	v_mov_b32_e32 v35, 0
	v_lshlrev_b64 v[2:3], 3, v[34:35]
	v_mov_b32_e32 v4, s35
	v_add_co_u32_e32 v2, vcc, s33, v2
	v_addc_co_u32_e32 v3, vcc, v4, v3, vcc
	global_load_dwordx2 v[2:3], v[2:3], off
	v_mov_b32_e32 v4, v35
	v_mov_b32_e32 v5, v35
	;; [unrolled: 1-line block ×14, first 2 shown]
	s_or_b64 exec, exec, s[16:17]
	s_and_saveexec_b64 s[16:17], s[2:3]
	s_cbranch_execz .LBB260_22
.LBB260_54:
	v_mul_lo_u32 v4, v32, s34
	v_mov_b32_e32 v5, 0
	v_lshlrev_b64 v[4:5], 3, v[4:5]
	v_mov_b32_e32 v32, s35
	v_add_co_u32_e32 v4, vcc, s33, v4
	v_addc_co_u32_e32 v5, vcc, v32, v5, vcc
	global_load_dwordx2 v[4:5], v[4:5], off
	s_or_b64 exec, exec, s[16:17]
	s_and_saveexec_b64 s[16:17], s[4:5]
	s_cbranch_execz .LBB260_23
.LBB260_55:
	v_mul_lo_u32 v6, v31, s34
	v_mov_b32_e32 v7, 0
	v_lshlrev_b64 v[6:7], 3, v[6:7]
	v_mov_b32_e32 v31, s35
	v_add_co_u32_e32 v6, vcc, s33, v6
	v_addc_co_u32_e32 v7, vcc, v31, v7, vcc
	global_load_dwordx2 v[6:7], v[6:7], off
	s_or_b64 exec, exec, s[16:17]
	s_and_saveexec_b64 s[16:17], s[6:7]
	s_cbranch_execz .LBB260_24
.LBB260_56:
	v_mul_lo_u32 v8, v30, s34
	v_mov_b32_e32 v9, 0
	v_lshlrev_b64 v[8:9], 3, v[8:9]
	v_mov_b32_e32 v30, s35
	v_add_co_u32_e32 v8, vcc, s33, v8
	v_addc_co_u32_e32 v9, vcc, v30, v9, vcc
	global_load_dwordx2 v[8:9], v[8:9], off
	s_or_b64 exec, exec, s[16:17]
	s_and_saveexec_b64 s[16:17], s[8:9]
	s_cbranch_execz .LBB260_25
.LBB260_57:
	v_mul_lo_u32 v10, v29, s34
	v_mov_b32_e32 v11, 0
	v_lshlrev_b64 v[10:11], 3, v[10:11]
	v_mov_b32_e32 v29, s35
	v_add_co_u32_e32 v10, vcc, s33, v10
	v_addc_co_u32_e32 v11, vcc, v29, v11, vcc
	global_load_dwordx2 v[10:11], v[10:11], off
	s_or_b64 exec, exec, s[16:17]
	s_and_saveexec_b64 s[16:17], s[10:11]
	s_cbranch_execz .LBB260_26
.LBB260_58:
	v_mul_lo_u32 v12, v28, s34
	v_mov_b32_e32 v13, 0
	v_lshlrev_b64 v[12:13], 3, v[12:13]
	v_mov_b32_e32 v28, s35
	v_add_co_u32_e32 v12, vcc, s33, v12
	v_addc_co_u32_e32 v13, vcc, v28, v13, vcc
	global_load_dwordx2 v[12:13], v[12:13], off
	s_or_b64 exec, exec, s[16:17]
	s_and_saveexec_b64 s[16:17], s[12:13]
	s_cbranch_execz .LBB260_27
.LBB260_59:
	v_mul_lo_u32 v14, v27, s34
	v_mov_b32_e32 v15, 0
	v_lshlrev_b64 v[14:15], 3, v[14:15]
	v_mov_b32_e32 v27, s35
	v_add_co_u32_e32 v14, vcc, s33, v14
	v_addc_co_u32_e32 v15, vcc, v27, v15, vcc
	global_load_dwordx2 v[14:15], v[14:15], off
	s_or_b64 exec, exec, s[16:17]
	s_and_saveexec_b64 s[16:17], s[14:15]
	s_cbranch_execnz .LBB260_28
	s_branch .LBB260_29
.LBB260_60:
                                        ; implicit-def: $vgpr1
                                        ; implicit-def: $vgpr32_vgpr33
                                        ; implicit-def: $vgpr28_vgpr29
                                        ; implicit-def: $vgpr24_vgpr25
                                        ; implicit-def: $vgpr20_vgpr21
	s_cbranch_execz .LBB260_84
; %bb.61:
	v_and_b32_e32 v0, 1, v65
	v_cmp_eq_u32_e32 vcc, 1, v0
	v_and_b32_e32 v0, 1, v39
	v_cmp_eq_u32_e64 s[16:17], 1, v0
	v_mov_b32_e32 v0, 1
	v_and_b32_sdwa v1, v0, v39 dst_sel:DWORD dst_unused:UNUSED_PAD src0_sel:DWORD src1_sel:BYTE_3
	v_cmp_eq_u32_e64 s[18:19], 1, v1
	v_and_b32_sdwa v1, v0, v39 dst_sel:DWORD dst_unused:UNUSED_PAD src0_sel:DWORD src1_sel:WORD_1
	v_cmp_eq_u32_e64 s[20:21], 1, v1
	v_and_b32_e32 v1, 1, v64
	v_cmp_eq_u32_e64 s[22:23], 1, v1
	v_and_b32_e32 v1, 1, v38
	v_and_b32_sdwa v0, v0, v38 dst_sel:DWORD dst_unused:UNUSED_PAD src0_sel:DWORD src1_sel:WORD_1
	s_xor_b64 s[30:31], vcc, -1
	v_cmp_eq_u32_e64 s[24:25], 1, v1
	v_and_b32_e32 v1, 1, v40
	v_cmp_eq_u32_e64 s[28:29], 1, v0
	v_cndmask_b32_e64 v0, 0, 1, s[30:31]
	s_xor_b64 s[16:17], s[16:17], -1
	v_cmp_eq_u32_e64 s[26:27], 1, v1
	v_lshlrev_b16_e32 v0, 8, v0
	v_cndmask_b32_e64 v1, 0, 1, s[16:17]
	s_xor_b64 s[16:17], s[18:19], -1
	v_or_b32_e32 v0, v1, v0
	v_cndmask_b32_e64 v1, 0, 1, s[16:17]
	s_xor_b64 s[16:17], s[20:21], -1
	v_lshlrev_b16_e32 v1, 8, v1
	s_waitcnt lgkmcnt(3)
	v_cndmask_b32_e64 v21, 0, 1, s[16:17]
	v_or_b32_sdwa v1, v21, v1 dst_sel:WORD_1 dst_unused:UNUSED_PAD src0_sel:DWORD src1_sel:DWORD
	s_xor_b64 s[16:17], s[22:23], -1
	v_or_b32_sdwa v1, v0, v1 dst_sel:DWORD dst_unused:UNUSED_PAD src0_sel:WORD_0 src1_sel:DWORD
	v_cndmask_b32_e64 v0, 0, 1, s[16:17]
	s_xor_b64 s[16:17], s[24:25], -1
	v_lshlrev_b16_e32 v0, 8, v0
	v_cndmask_b32_e64 v21, 0, 1, s[16:17]
	s_xor_b64 s[16:17], s[26:27], -1
	v_or_b32_e32 v0, v21, v0
	v_cndmask_b32_e64 v21, 0, 1, s[16:17]
	s_xor_b64 s[16:17], s[28:29], -1
	v_mbcnt_hi_u32_b32 v20, -1, v66
	s_waitcnt lgkmcnt(1)
	v_and_b32_e32 v29, 0x3c0, v36
	v_lshlrev_b16_e32 v21, 8, v21
	v_cndmask_b32_e64 v22, 0, 1, s[16:17]
	v_add_u32_e32 v18, v20, v29
	v_or_b32_sdwa v21, v22, v21 dst_sel:WORD_1 dst_unused:UNUSED_PAD src0_sel:DWORD src1_sel:DWORD
	v_lshlrev_b32_e32 v19, 3, v18
	v_or_b32_sdwa v0, v0, v21 dst_sel:DWORD dst_unused:UNUSED_PAD src0_sel:WORD_0 src1_sel:DWORD
	s_movk_i32 s16, 0x1e00
	ds_write_b64 v19, v[0:1]
	v_and_or_b32 v0, v53, s16, v20
	; wave barrier
	ds_read_u8 v21, v0
	ds_read_u8 v22, v0 offset:64
	ds_read_u8 v23, v0 offset:128
	;; [unrolled: 1-line block ×7, first 2 shown]
	v_lshlrev_b32_e32 v1, 6, v18
	v_lshlrev_b32_e32 v0, 3, v0
	s_getpc_b64 s[16:17]
	s_add_u32 s16, s16, _ZN7rocprim17ROCPRIM_400000_NS16block_radix_sortIbLj512ELj8ElLj1ELj1ELj0ELNS0_26block_radix_rank_algorithmE1ELNS0_18block_padding_hintE2ELNS0_4arch9wavefront6targetE1EE19radix_bits_per_passE@rel32@lo+4
	s_addc_u32 s17, s17, _ZN7rocprim17ROCPRIM_400000_NS16block_radix_sortIbLj512ELj8ElLj1ELj1ELj0ELNS0_26block_radix_rank_algorithmE1ELNS0_18block_padding_hintE2ELNS0_4arch9wavefront6targetE1EE19radix_bits_per_passE@rel32@hi+12
	s_waitcnt lgkmcnt(0)
	s_barrier
	ds_write2_b64 v1, v[14:15], v[16:17] offset1:1
	ds_write2_b64 v1, v[10:11], v[12:13] offset0:2 offset1:3
	ds_write2_b64 v1, v[6:7], v[8:9] offset0:4 offset1:5
	;; [unrolled: 1-line block ×3, first 2 shown]
	; wave barrier
	ds_read2st64_b64 v[12:15], v0 offset1:1
	ds_read2st64_b64 v[8:11], v0 offset0:2 offset1:3
	ds_read2st64_b64 v[4:7], v0 offset0:4 offset1:5
	;; [unrolled: 1-line block ×3, first 2 shown]
	s_waitcnt lgkmcnt(0)
	s_barrier
	s_load_dword s18, s[16:17], 0x0
	s_load_dword s19, s[42:43], 0xc
	s_waitcnt lgkmcnt(0)
	s_min_u32 s18, s18, 8
	s_lshr_b32 s16, s19, 16
	s_and_b32 s17, s19, 0xffff
	v_mad_u32_u24 v16, v63, s16, v62
	v_mad_u64_u32 v[16:17], s[16:17], v16, s17, v[36:37]
	s_lshl_b32 s16, -1, s18
	s_not_b32 s18, s16
	v_lshrrev_b32_e32 v18, 6, v16
	v_and_b32_e32 v16, s18, v21
	v_mov_b32_e32 v17, 0
	v_and_b32_e32 v16, 1, v16
	ds_write2_b32 v61, v17, v17 offset0:8 offset1:9
	ds_write2_b32 v61, v17, v17 offset0:10 offset1:11
	v_lshlrev_b32_e32 v17, 3, v16
	v_cmp_ne_u32_e32 vcc, 0, v16
	v_add_co_u32_e64 v16, s[16:17], -1, v16
	v_add_lshl_u32 v30, v18, v17, 2
	v_addc_co_u32_e64 v17, s[16:17], 0, -1, s[16:17]
	v_xor_b32_e32 v16, vcc_lo, v16
	v_xor_b32_e32 v17, vcc_hi, v17
	v_and_b32_e32 v16, exec_lo, v16
	v_and_b32_e32 v17, exec_hi, v17
	v_mbcnt_lo_u32_b32 v19, v16, 0
	v_mbcnt_hi_u32_b32 v31, v17, v19
	v_cmp_eq_u32_e32 vcc, 0, v31
	v_cmp_ne_u64_e64 s[16:17], 0, v[16:17]
	s_and_b64 s[20:21], s[16:17], vcc
	s_waitcnt lgkmcnt(0)
	s_barrier
	s_waitcnt lgkmcnt(0)
	; wave barrier
	s_and_saveexec_b64 s[16:17], s[20:21]
	s_cbranch_execz .LBB260_63
; %bb.62:
	v_bcnt_u32_b32 v16, v16, 0
	v_bcnt_u32_b32 v16, v17, v16
	ds_write_b32 v30, v16 offset:32
.LBB260_63:
	s_or_b64 exec, exec, s[16:17]
	v_and_b32_e32 v16, s18, v22
	v_and_b32_e32 v16, 0xff, v16
	v_lshlrev_b32_e32 v17, 3, v16
	v_cmp_ne_u32_e32 vcc, 0, v16
	v_add_co_u32_e64 v16, s[16:17], -1, v16
	v_add_lshl_u32 v33, v18, v17, 2
	v_addc_co_u32_e64 v17, s[16:17], 0, -1, s[16:17]
	v_xor_b32_e32 v16, vcc_lo, v16
	; wave barrier
	ds_read_b32 v32, v33 offset:32
	v_xor_b32_e32 v17, vcc_hi, v17
	v_and_b32_e32 v16, exec_lo, v16
	v_and_b32_e32 v17, exec_hi, v17
	v_mbcnt_lo_u32_b32 v19, v16, 0
	v_mbcnt_hi_u32_b32 v38, v17, v19
	v_cmp_eq_u32_e32 vcc, 0, v38
	v_cmp_ne_u64_e64 s[16:17], 0, v[16:17]
	s_and_b64 s[20:21], s[16:17], vcc
	; wave barrier
	s_and_saveexec_b64 s[16:17], s[20:21]
	s_cbranch_execz .LBB260_65
; %bb.64:
	v_bcnt_u32_b32 v16, v16, 0
	v_bcnt_u32_b32 v16, v17, v16
	s_waitcnt lgkmcnt(0)
	v_add_u32_e32 v16, v32, v16
	ds_write_b32 v33, v16 offset:32
.LBB260_65:
	s_or_b64 exec, exec, s[16:17]
	v_and_b32_e32 v16, s18, v23
	v_and_b32_e32 v16, 0xff, v16
	v_lshlrev_b32_e32 v17, 3, v16
	v_cmp_ne_u32_e32 vcc, 0, v16
	v_add_co_u32_e64 v16, s[16:17], -1, v16
	v_add_lshl_u32 v40, v18, v17, 2
	v_addc_co_u32_e64 v17, s[16:17], 0, -1, s[16:17]
	v_xor_b32_e32 v16, vcc_lo, v16
	; wave barrier
	ds_read_b32 v39, v40 offset:32
	v_xor_b32_e32 v17, vcc_hi, v17
	v_and_b32_e32 v16, exec_lo, v16
	v_and_b32_e32 v17, exec_hi, v17
	v_mbcnt_lo_u32_b32 v19, v16, 0
	v_mbcnt_hi_u32_b32 v42, v17, v19
	v_cmp_eq_u32_e32 vcc, 0, v42
	v_cmp_ne_u64_e64 s[16:17], 0, v[16:17]
	s_and_b64 s[20:21], s[16:17], vcc
	; wave barrier
	s_and_saveexec_b64 s[16:17], s[20:21]
	s_cbranch_execz .LBB260_67
; %bb.66:
	v_bcnt_u32_b32 v16, v16, 0
	v_bcnt_u32_b32 v16, v17, v16
	s_waitcnt lgkmcnt(0)
	v_add_u32_e32 v16, v39, v16
	ds_write_b32 v40, v16 offset:32
.LBB260_67:
	;; [unrolled: 29-line block ×6, first 2 shown]
	s_or_b64 exec, exec, s[16:17]
	v_and_b32_e32 v16, s18, v28
	v_and_b32_e32 v16, 0xff, v16
	v_lshlrev_b32_e32 v17, 3, v16
	v_cmp_ne_u32_e32 vcc, 0, v16
	v_add_co_u32_e64 v16, s[16:17], -1, v16
	v_add_lshl_u32 v74, v18, v17, 2
	v_addc_co_u32_e64 v17, s[16:17], 0, -1, s[16:17]
	v_xor_b32_e32 v16, vcc_lo, v16
	; wave barrier
	ds_read_b32 v73, v74 offset:32
	v_xor_b32_e32 v17, vcc_hi, v17
	v_and_b32_e32 v16, exec_lo, v16
	v_and_b32_e32 v17, exec_hi, v17
	v_mbcnt_lo_u32_b32 v18, v16, 0
	v_mbcnt_hi_u32_b32 v75, v17, v18
	v_cmp_eq_u32_e32 vcc, 0, v75
	v_cmp_ne_u64_e64 s[16:17], 0, v[16:17]
	v_add_u32_e32 v76, 32, v61
	s_and_b64 s[18:19], s[16:17], vcc
	; wave barrier
	s_and_saveexec_b64 s[16:17], s[18:19]
	s_cbranch_execz .LBB260_77
; %bb.76:
	v_bcnt_u32_b32 v16, v16, 0
	v_bcnt_u32_b32 v16, v17, v16
	s_waitcnt lgkmcnt(0)
	v_add_u32_e32 v16, v73, v16
	ds_write_b32 v74, v16 offset:32
.LBB260_77:
	s_or_b64 exec, exec, s[16:17]
	; wave barrier
	s_waitcnt lgkmcnt(0)
	s_barrier
	ds_read2_b32 v[16:17], v61 offset0:8 offset1:9
	ds_read2_b32 v[18:19], v76 offset0:2 offset1:3
	v_min_u32_e32 v29, 0x1c0, v29
	v_or_b32_e32 v29, 63, v29
	s_waitcnt lgkmcnt(1)
	v_add_u32_e32 v77, v17, v16
	s_waitcnt lgkmcnt(0)
	v_add3_u32 v19, v77, v18, v19
	v_and_b32_e32 v77, 15, v20
	v_cmp_ne_u32_e32 vcc, 0, v77
	v_mov_b32_dpp v78, v19 row_shr:1 row_mask:0xf bank_mask:0xf
	v_cndmask_b32_e32 v78, 0, v78, vcc
	v_add_u32_e32 v19, v78, v19
	v_cmp_lt_u32_e32 vcc, 1, v77
	s_nop 0
	v_mov_b32_dpp v78, v19 row_shr:2 row_mask:0xf bank_mask:0xf
	v_cndmask_b32_e32 v78, 0, v78, vcc
	v_add_u32_e32 v19, v19, v78
	v_cmp_lt_u32_e32 vcc, 3, v77
	s_nop 0
	;; [unrolled: 5-line block ×3, first 2 shown]
	v_mov_b32_dpp v78, v19 row_shr:8 row_mask:0xf bank_mask:0xf
	v_cndmask_b32_e32 v77, 0, v78, vcc
	v_add_u32_e32 v19, v19, v77
	v_bfe_i32 v78, v20, 4, 1
	v_cmp_lt_u32_e32 vcc, 31, v20
	v_mov_b32_dpp v77, v19 row_bcast:15 row_mask:0xf bank_mask:0xf
	v_and_b32_e32 v77, v78, v77
	v_add_u32_e32 v19, v19, v77
	s_nop 1
	v_mov_b32_dpp v77, v19 row_bcast:31 row_mask:0xf bank_mask:0xf
	v_cndmask_b32_e32 v77, 0, v77, vcc
	v_add_u32_e32 v19, v19, v77
	v_lshrrev_b32_e32 v77, 6, v36
	v_cmp_eq_u32_e32 vcc, v29, v36
	s_and_saveexec_b64 s[16:17], vcc
	s_cbranch_execz .LBB260_79
; %bb.78:
	v_lshlrev_b32_e32 v29, 2, v77
	ds_write_b32 v29, v19
.LBB260_79:
	s_or_b64 exec, exec, s[16:17]
	v_cmp_gt_u32_e32 vcc, 8, v36
	s_waitcnt lgkmcnt(0)
	s_barrier
	s_and_saveexec_b64 s[16:17], vcc
	s_cbranch_execz .LBB260_81
; %bb.80:
	v_lshlrev_b32_e32 v29, 2, v36
	ds_read_b32 v78, v29
	v_and_b32_e32 v79, 7, v20
	v_cmp_ne_u32_e32 vcc, 0, v79
	s_waitcnt lgkmcnt(0)
	v_mov_b32_dpp v80, v78 row_shr:1 row_mask:0xf bank_mask:0xf
	v_cndmask_b32_e32 v80, 0, v80, vcc
	v_add_u32_e32 v78, v80, v78
	v_cmp_lt_u32_e32 vcc, 1, v79
	s_nop 0
	v_mov_b32_dpp v80, v78 row_shr:2 row_mask:0xf bank_mask:0xf
	v_cndmask_b32_e32 v80, 0, v80, vcc
	v_add_u32_e32 v78, v78, v80
	v_cmp_lt_u32_e32 vcc, 3, v79
	s_nop 0
	v_mov_b32_dpp v80, v78 row_shr:4 row_mask:0xf bank_mask:0xf
	v_cndmask_b32_e32 v79, 0, v80, vcc
	v_add_u32_e32 v78, v78, v79
	ds_write_b32 v29, v78
.LBB260_81:
	s_or_b64 exec, exec, s[16:17]
	v_cmp_lt_u32_e32 vcc, 63, v36
	v_mov_b32_e32 v29, 0
	s_waitcnt lgkmcnt(0)
	s_barrier
	s_and_saveexec_b64 s[16:17], vcc
	s_cbranch_execz .LBB260_83
; %bb.82:
	v_lshl_add_u32 v29, v77, 2, -4
	ds_read_b32 v29, v29
.LBB260_83:
	s_or_b64 exec, exec, s[16:17]
	v_add_u32_e32 v77, -1, v20
	v_and_b32_e32 v78, 64, v20
	v_cmp_lt_i32_e32 vcc, v77, v78
	v_cndmask_b32_e32 v77, v77, v20, vcc
	s_waitcnt lgkmcnt(0)
	v_add_u32_e32 v19, v29, v19
	v_lshlrev_b32_e32 v77, 2, v77
	ds_bpermute_b32 v19, v77, v19
	v_cmp_eq_u32_e32 vcc, 0, v20
	s_waitcnt lgkmcnt(0)
	v_cndmask_b32_e32 v19, v19, v29, vcc
	v_cmp_ne_u32_e32 vcc, 0, v36
	v_cndmask_b32_e32 v19, 0, v19, vcc
	v_add_u32_e32 v16, v19, v16
	v_add_u32_e32 v17, v16, v17
	;; [unrolled: 1-line block ×3, first 2 shown]
	ds_write2_b32 v61, v19, v16 offset0:8 offset1:9
	ds_write2_b32 v76, v17, v18 offset0:2 offset1:3
	s_waitcnt lgkmcnt(0)
	s_barrier
	ds_read_b32 v16, v30 offset:32
	ds_read_b32 v17, v33 offset:32
	;; [unrolled: 1-line block ×8, first 2 shown]
	s_waitcnt lgkmcnt(7)
	v_add_u32_e32 v31, v16, v31
	s_waitcnt lgkmcnt(6)
	v_add3_u32 v32, v38, v32, v17
	s_waitcnt lgkmcnt(5)
	v_add3_u32 v18, v42, v39, v18
	;; [unrolled: 2-line block ×7, first 2 shown]
	s_barrier
	ds_write_b8 v31, v21
	ds_write_b8 v32, v22
	;; [unrolled: 1-line block ×8, first 2 shown]
	v_lshlrev_b32_e32 v21, 3, v31
	s_waitcnt lgkmcnt(0)
	s_barrier
	ds_read_b64 v[16:17], v53
	s_waitcnt lgkmcnt(0)
	s_barrier
	ds_write_b64 v21, v[12:13]
	v_lshlrev_b32_e32 v12, 3, v32
	ds_write_b64 v12, v[14:15]
	v_lshlrev_b32_e32 v12, 3, v18
	;; [unrolled: 2-line block ×8, first 2 shown]
	s_waitcnt lgkmcnt(0)
	s_barrier
	ds_read2_b64 v[18:21], v0 offset1:1
	ds_read2_b64 v[22:25], v0 offset0:2 offset1:3
	ds_read2_b64 v[26:29], v0 offset0:4 offset1:5
	;; [unrolled: 1-line block ×3, first 2 shown]
	v_lshrrev_b32_e32 v36, 8, v16
	v_mov_b32_e32 v1, 1
	v_lshrrev_b32_e32 v38, 8, v17
	v_xor_b32_e32 v0, 1, v16
	v_xor_b32_sdwa v2, v36, v1 dst_sel:BYTE_1 dst_unused:UNUSED_PAD src0_sel:DWORD src1_sel:DWORD
	v_xor_b32_sdwa v3, v16, v1 dst_sel:DWORD dst_unused:UNUSED_PAD src0_sel:WORD_1 src1_sel:DWORD
	v_xor_b32_sdwa v4, v16, v1 dst_sel:BYTE_1 dst_unused:UNUSED_PAD src0_sel:BYTE_3 src1_sel:DWORD
	v_xor_b32_e32 v5, 1, v17
	v_xor_b32_sdwa v6, v38, v1 dst_sel:BYTE_1 dst_unused:UNUSED_PAD src0_sel:DWORD src1_sel:DWORD
	v_xor_b32_sdwa v7, v17, v1 dst_sel:DWORD dst_unused:UNUSED_PAD src0_sel:WORD_1 src1_sel:DWORD
	v_xor_b32_sdwa v1, v17, v1 dst_sel:BYTE_1 dst_unused:UNUSED_PAD src0_sel:BYTE_3 src1_sel:DWORD
	v_or_b32_sdwa v0, v0, v2 dst_sel:DWORD dst_unused:UNUSED_PAD src0_sel:BYTE_0 src1_sel:DWORD
	v_or_b32_sdwa v2, v3, v4 dst_sel:WORD_1 dst_unused:UNUSED_PAD src0_sel:BYTE_0 src1_sel:DWORD
	v_or_b32_sdwa v0, v0, v2 dst_sel:DWORD dst_unused:UNUSED_PAD src0_sel:WORD_0 src1_sel:DWORD
	v_or_b32_sdwa v2, v5, v6 dst_sel:DWORD dst_unused:UNUSED_PAD src0_sel:BYTE_0 src1_sel:DWORD
	v_or_b32_sdwa v1, v7, v1 dst_sel:WORD_1 dst_unused:UNUSED_PAD src0_sel:BYTE_0 src1_sel:DWORD
	v_or_b32_sdwa v1, v2, v1 dst_sel:DWORD dst_unused:UNUSED_PAD src0_sel:WORD_0 src1_sel:DWORD
.LBB260_84:
	s_waitcnt lgkmcnt(0)
	s_barrier
	ds_write_b64 v52, v[0:1]
	s_waitcnt lgkmcnt(0)
	s_barrier
	ds_read_u8 v8, v45 offset:512
	ds_read_u8 v7, v46 offset:1024
	;; [unrolled: 1-line block ×7, first 2 shown]
	v_mov_b32_e32 v1, s41
	v_add_co_u32_e32 v0, vcc, s40, v37
	v_addc_co_u32_e32 v1, vcc, 0, v1, vcc
	s_and_saveexec_b64 s[16:17], s[0:1]
	s_cbranch_execnz .LBB260_103
; %bb.85:
	s_or_b64 exec, exec, s[16:17]
	s_and_saveexec_b64 s[16:17], s[2:3]
	s_cbranch_execnz .LBB260_104
.LBB260_86:
	s_or_b64 exec, exec, s[16:17]
	s_and_saveexec_b64 s[16:17], s[4:5]
	s_cbranch_execnz .LBB260_105
.LBB260_87:
	s_or_b64 exec, exec, s[16:17]
	s_and_saveexec_b64 s[16:17], s[6:7]
	s_cbranch_execnz .LBB260_106
.LBB260_88:
	s_or_b64 exec, exec, s[16:17]
	s_and_saveexec_b64 s[16:17], s[8:9]
	s_cbranch_execnz .LBB260_107
.LBB260_89:
	s_or_b64 exec, exec, s[16:17]
	s_and_saveexec_b64 s[16:17], s[10:11]
	s_cbranch_execnz .LBB260_108
.LBB260_90:
	s_or_b64 exec, exec, s[16:17]
	s_and_saveexec_b64 s[16:17], s[12:13]
	s_cbranch_execnz .LBB260_109
.LBB260_91:
	s_or_b64 exec, exec, s[16:17]
	s_and_saveexec_b64 s[16:17], s[14:15]
	s_cbranch_execz .LBB260_93
.LBB260_92:
	s_mul_i32 s18, s38, 0xe00
	v_add_co_u32_e32 v0, vcc, s18, v0
	v_addc_co_u32_e32 v1, vcc, 0, v1, vcc
	s_waitcnt lgkmcnt(0)
	global_store_byte v[0:1], v2, off
.LBB260_93:
	s_or_b64 exec, exec, s[16:17]
	s_waitcnt lgkmcnt(0)
	s_barrier
	ds_write2_b64 v60, v[18:19], v[20:21] offset1:1
	ds_write2_b64 v60, v[22:23], v[24:25] offset0:2 offset1:3
	ds_write2_b64 v60, v[26:27], v[28:29] offset0:4 offset1:5
	;; [unrolled: 1-line block ×3, first 2 shown]
	s_waitcnt lgkmcnt(0)
	s_barrier
	ds_read_b64 v[14:15], v35 offset:4096
	ds_read_b64 v[12:13], v54 offset:8192
	;; [unrolled: 1-line block ×7, first 2 shown]
	v_mov_b32_e32 v35, 0
	v_lshlrev_b64 v[2:3], 3, v[34:35]
	v_mov_b32_e32 v16, s35
	v_add_co_u32_e32 v2, vcc, s33, v2
	v_addc_co_u32_e32 v3, vcc, v16, v3, vcc
	s_and_saveexec_b64 s[16:17], s[0:1]
	s_cbranch_execnz .LBB260_110
; %bb.94:
	s_or_b64 exec, exec, s[16:17]
	s_and_saveexec_b64 s[0:1], s[2:3]
	s_cbranch_execnz .LBB260_111
.LBB260_95:
	s_or_b64 exec, exec, s[0:1]
	s_and_saveexec_b64 s[0:1], s[4:5]
	s_cbranch_execnz .LBB260_112
.LBB260_96:
	s_or_b64 exec, exec, s[0:1]
	s_and_saveexec_b64 s[0:1], s[6:7]
	s_cbranch_execnz .LBB260_113
.LBB260_97:
	s_or_b64 exec, exec, s[0:1]
	s_and_saveexec_b64 s[0:1], s[8:9]
	s_cbranch_execnz .LBB260_114
.LBB260_98:
	s_or_b64 exec, exec, s[0:1]
	s_and_saveexec_b64 s[0:1], s[10:11]
	s_cbranch_execnz .LBB260_115
.LBB260_99:
	s_or_b64 exec, exec, s[0:1]
	s_and_saveexec_b64 s[0:1], s[12:13]
	s_cbranch_execnz .LBB260_116
.LBB260_100:
	s_or_b64 exec, exec, s[0:1]
	s_and_saveexec_b64 s[0:1], s[14:15]
	s_cbranch_execz .LBB260_102
.LBB260_101:
	s_mul_i32 s0, s34, 0xe00
	s_mov_b32 s1, 0
	s_lshl_b64 s[0:1], s[0:1], 3
	s_waitcnt lgkmcnt(1)
	v_mov_b32_e32 v4, s1
	v_add_co_u32_e32 v2, vcc, s0, v2
	v_addc_co_u32_e32 v3, vcc, v3, v4, vcc
	s_waitcnt lgkmcnt(0)
	global_store_dwordx2 v[2:3], v[0:1], off
.LBB260_102:
	s_endpgm
.LBB260_103:
	ds_read_u8 v9, v44
	s_waitcnt lgkmcnt(0)
	global_store_byte v[0:1], v9, off
	s_or_b64 exec, exec, s[16:17]
	s_and_saveexec_b64 s[16:17], s[2:3]
	s_cbranch_execz .LBB260_86
.LBB260_104:
	s_lshl_b32 s18, s38, 9
	v_add_co_u32_e32 v10, vcc, s18, v0
	v_addc_co_u32_e32 v11, vcc, 0, v1, vcc
	s_waitcnt lgkmcnt(6)
	global_store_byte v[10:11], v8, off
	s_or_b64 exec, exec, s[16:17]
	s_and_saveexec_b64 s[16:17], s[4:5]
	s_cbranch_execz .LBB260_87
.LBB260_105:
	s_lshl_b32 s18, s38, 10
	s_waitcnt lgkmcnt(6)
	v_add_co_u32_e32 v8, vcc, s18, v0
	v_addc_co_u32_e32 v9, vcc, 0, v1, vcc
	s_waitcnt lgkmcnt(5)
	global_store_byte v[8:9], v7, off
	s_or_b64 exec, exec, s[16:17]
	s_and_saveexec_b64 s[16:17], s[6:7]
	s_cbranch_execz .LBB260_88
.LBB260_106:
	s_mul_i32 s18, s38, 0x600
	s_waitcnt lgkmcnt(6)
	v_add_co_u32_e32 v8, vcc, s18, v0
	v_addc_co_u32_e32 v9, vcc, 0, v1, vcc
	s_waitcnt lgkmcnt(4)
	global_store_byte v[8:9], v6, off
	s_or_b64 exec, exec, s[16:17]
	s_and_saveexec_b64 s[16:17], s[8:9]
	s_cbranch_execz .LBB260_89
.LBB260_107:
	s_lshl_b32 s18, s38, 11
	s_waitcnt lgkmcnt(4)
	v_add_co_u32_e32 v6, vcc, s18, v0
	v_addc_co_u32_e32 v7, vcc, 0, v1, vcc
	s_waitcnt lgkmcnt(3)
	global_store_byte v[6:7], v5, off
	s_or_b64 exec, exec, s[16:17]
	s_and_saveexec_b64 s[16:17], s[10:11]
	s_cbranch_execz .LBB260_90
.LBB260_108:
	s_mul_i32 s18, s38, 0xa00
	s_waitcnt lgkmcnt(4)
	v_add_co_u32_e32 v6, vcc, s18, v0
	v_addc_co_u32_e32 v7, vcc, 0, v1, vcc
	s_waitcnt lgkmcnt(2)
	global_store_byte v[6:7], v4, off
	s_or_b64 exec, exec, s[16:17]
	s_and_saveexec_b64 s[16:17], s[12:13]
	s_cbranch_execz .LBB260_91
.LBB260_109:
	s_mul_i32 s18, s38, 0xc00
	s_waitcnt lgkmcnt(2)
	v_add_co_u32_e32 v4, vcc, s18, v0
	v_addc_co_u32_e32 v5, vcc, 0, v1, vcc
	s_waitcnt lgkmcnt(1)
	global_store_byte v[4:5], v3, off
	s_or_b64 exec, exec, s[16:17]
	s_and_saveexec_b64 s[16:17], s[14:15]
	s_cbranch_execnz .LBB260_92
	s_branch .LBB260_93
.LBB260_110:
	ds_read_b64 v[16:17], v41
	s_waitcnt lgkmcnt(0)
	global_store_dwordx2 v[2:3], v[16:17], off
	s_or_b64 exec, exec, s[16:17]
	s_and_saveexec_b64 s[0:1], s[2:3]
	s_cbranch_execz .LBB260_95
.LBB260_111:
	s_lshl_b32 s2, s34, 9
	s_mov_b32 s3, 0
	s_lshl_b64 s[2:3], s[2:3], 3
	v_mov_b32_e32 v17, s3
	v_add_co_u32_e32 v16, vcc, s2, v2
	v_addc_co_u32_e32 v17, vcc, v3, v17, vcc
	s_waitcnt lgkmcnt(6)
	global_store_dwordx2 v[16:17], v[14:15], off
	s_or_b64 exec, exec, s[0:1]
	s_and_saveexec_b64 s[0:1], s[4:5]
	s_cbranch_execz .LBB260_96
.LBB260_112:
	s_lshl_b32 s2, s34, 10
	s_mov_b32 s3, 0
	s_lshl_b64 s[2:3], s[2:3], 3
	s_waitcnt lgkmcnt(6)
	v_mov_b32_e32 v15, s3
	v_add_co_u32_e32 v14, vcc, s2, v2
	v_addc_co_u32_e32 v15, vcc, v3, v15, vcc
	s_waitcnt lgkmcnt(5)
	global_store_dwordx2 v[14:15], v[12:13], off
	s_or_b64 exec, exec, s[0:1]
	s_and_saveexec_b64 s[0:1], s[6:7]
	s_cbranch_execz .LBB260_97
.LBB260_113:
	s_mul_i32 s2, s34, 0x600
	s_mov_b32 s3, 0
	s_lshl_b64 s[2:3], s[2:3], 3
	s_waitcnt lgkmcnt(5)
	v_mov_b32_e32 v13, s3
	v_add_co_u32_e32 v12, vcc, s2, v2
	v_addc_co_u32_e32 v13, vcc, v3, v13, vcc
	s_waitcnt lgkmcnt(4)
	global_store_dwordx2 v[12:13], v[10:11], off
	s_or_b64 exec, exec, s[0:1]
	s_and_saveexec_b64 s[0:1], s[8:9]
	s_cbranch_execz .LBB260_98
.LBB260_114:
	s_lshl_b32 s2, s34, 11
	s_mov_b32 s3, 0
	s_lshl_b64 s[2:3], s[2:3], 3
	s_waitcnt lgkmcnt(4)
	v_mov_b32_e32 v11, s3
	v_add_co_u32_e32 v10, vcc, s2, v2
	v_addc_co_u32_e32 v11, vcc, v3, v11, vcc
	s_waitcnt lgkmcnt(3)
	global_store_dwordx2 v[10:11], v[8:9], off
	s_or_b64 exec, exec, s[0:1]
	s_and_saveexec_b64 s[0:1], s[10:11]
	s_cbranch_execz .LBB260_99
.LBB260_115:
	s_mul_i32 s2, s34, 0xa00
	s_mov_b32 s3, 0
	s_lshl_b64 s[2:3], s[2:3], 3
	s_waitcnt lgkmcnt(3)
	v_mov_b32_e32 v9, s3
	v_add_co_u32_e32 v8, vcc, s2, v2
	v_addc_co_u32_e32 v9, vcc, v3, v9, vcc
	s_waitcnt lgkmcnt(2)
	global_store_dwordx2 v[8:9], v[6:7], off
	s_or_b64 exec, exec, s[0:1]
	s_and_saveexec_b64 s[0:1], s[12:13]
	s_cbranch_execz .LBB260_100
.LBB260_116:
	s_mul_i32 s2, s34, 0xc00
	s_mov_b32 s3, 0
	s_lshl_b64 s[2:3], s[2:3], 3
	s_waitcnt lgkmcnt(2)
	v_mov_b32_e32 v7, s3
	v_add_co_u32_e32 v6, vcc, s2, v2
	v_addc_co_u32_e32 v7, vcc, v3, v7, vcc
	s_waitcnt lgkmcnt(1)
	global_store_dwordx2 v[6:7], v[4:5], off
	s_or_b64 exec, exec, s[0:1]
	s_and_saveexec_b64 s[0:1], s[14:15]
	s_cbranch_execnz .LBB260_101
	s_branch .LBB260_102
	.section	.rodata,"a",@progbits
	.p2align	6, 0x0
	.amdhsa_kernel _ZN2at6native18radixSortKVInPlaceILin2ELin1ELi512ELi8EbljEEvNS_4cuda6detail10TensorInfoIT3_T5_EES6_S6_S6_NS4_IT4_S6_EES6_b
		.amdhsa_group_segment_fixed_size 33792
		.amdhsa_private_segment_fixed_size 0
		.amdhsa_kernarg_size 712
		.amdhsa_user_sgpr_count 6
		.amdhsa_user_sgpr_private_segment_buffer 1
		.amdhsa_user_sgpr_dispatch_ptr 0
		.amdhsa_user_sgpr_queue_ptr 0
		.amdhsa_user_sgpr_kernarg_segment_ptr 1
		.amdhsa_user_sgpr_dispatch_id 0
		.amdhsa_user_sgpr_flat_scratch_init 0
		.amdhsa_user_sgpr_kernarg_preload_length 0
		.amdhsa_user_sgpr_kernarg_preload_offset 0
		.amdhsa_user_sgpr_private_segment_size 0
		.amdhsa_uses_dynamic_stack 0
		.amdhsa_system_sgpr_private_segment_wavefront_offset 0
		.amdhsa_system_sgpr_workgroup_id_x 1
		.amdhsa_system_sgpr_workgroup_id_y 1
		.amdhsa_system_sgpr_workgroup_id_z 1
		.amdhsa_system_sgpr_workgroup_info 0
		.amdhsa_system_vgpr_workitem_id 2
		.amdhsa_next_free_vgpr 105
		.amdhsa_next_free_sgpr 46
		.amdhsa_accum_offset 108
		.amdhsa_reserve_vcc 1
		.amdhsa_reserve_flat_scratch 0
		.amdhsa_float_round_mode_32 0
		.amdhsa_float_round_mode_16_64 0
		.amdhsa_float_denorm_mode_32 3
		.amdhsa_float_denorm_mode_16_64 3
		.amdhsa_dx10_clamp 1
		.amdhsa_ieee_mode 1
		.amdhsa_fp16_overflow 0
		.amdhsa_tg_split 0
		.amdhsa_exception_fp_ieee_invalid_op 0
		.amdhsa_exception_fp_denorm_src 0
		.amdhsa_exception_fp_ieee_div_zero 0
		.amdhsa_exception_fp_ieee_overflow 0
		.amdhsa_exception_fp_ieee_underflow 0
		.amdhsa_exception_fp_ieee_inexact 0
		.amdhsa_exception_int_div_zero 0
	.end_amdhsa_kernel
	.section	.text._ZN2at6native18radixSortKVInPlaceILin2ELin1ELi512ELi8EbljEEvNS_4cuda6detail10TensorInfoIT3_T5_EES6_S6_S6_NS4_IT4_S6_EES6_b,"axG",@progbits,_ZN2at6native18radixSortKVInPlaceILin2ELin1ELi512ELi8EbljEEvNS_4cuda6detail10TensorInfoIT3_T5_EES6_S6_S6_NS4_IT4_S6_EES6_b,comdat
.Lfunc_end260:
	.size	_ZN2at6native18radixSortKVInPlaceILin2ELin1ELi512ELi8EbljEEvNS_4cuda6detail10TensorInfoIT3_T5_EES6_S6_S6_NS4_IT4_S6_EES6_b, .Lfunc_end260-_ZN2at6native18radixSortKVInPlaceILin2ELin1ELi512ELi8EbljEEvNS_4cuda6detail10TensorInfoIT3_T5_EES6_S6_S6_NS4_IT4_S6_EES6_b
                                        ; -- End function
	.section	.AMDGPU.csdata,"",@progbits
; Kernel info:
; codeLenInByte = 8396
; NumSgprs: 50
; NumVgprs: 105
; NumAgprs: 0
; TotalNumVgprs: 105
; ScratchSize: 0
; MemoryBound: 0
; FloatMode: 240
; IeeeMode: 1
; LDSByteSize: 33792 bytes/workgroup (compile time only)
; SGPRBlocks: 6
; VGPRBlocks: 13
; NumSGPRsForWavesPerEU: 50
; NumVGPRsForWavesPerEU: 105
; AccumOffset: 108
; Occupancy: 2
; WaveLimiterHint : 1
; COMPUTE_PGM_RSRC2:SCRATCH_EN: 0
; COMPUTE_PGM_RSRC2:USER_SGPR: 6
; COMPUTE_PGM_RSRC2:TRAP_HANDLER: 0
; COMPUTE_PGM_RSRC2:TGID_X_EN: 1
; COMPUTE_PGM_RSRC2:TGID_Y_EN: 1
; COMPUTE_PGM_RSRC2:TGID_Z_EN: 1
; COMPUTE_PGM_RSRC2:TIDIG_COMP_CNT: 2
; COMPUTE_PGM_RSRC3_GFX90A:ACCUM_OFFSET: 26
; COMPUTE_PGM_RSRC3_GFX90A:TG_SPLIT: 0
	.section	.text._ZN2at6native18radixSortKVInPlaceILin2ELin1ELi256ELi8EbljEEvNS_4cuda6detail10TensorInfoIT3_T5_EES6_S6_S6_NS4_IT4_S6_EES6_b,"axG",@progbits,_ZN2at6native18radixSortKVInPlaceILin2ELin1ELi256ELi8EbljEEvNS_4cuda6detail10TensorInfoIT3_T5_EES6_S6_S6_NS4_IT4_S6_EES6_b,comdat
	.protected	_ZN2at6native18radixSortKVInPlaceILin2ELin1ELi256ELi8EbljEEvNS_4cuda6detail10TensorInfoIT3_T5_EES6_S6_S6_NS4_IT4_S6_EES6_b ; -- Begin function _ZN2at6native18radixSortKVInPlaceILin2ELin1ELi256ELi8EbljEEvNS_4cuda6detail10TensorInfoIT3_T5_EES6_S6_S6_NS4_IT4_S6_EES6_b
	.globl	_ZN2at6native18radixSortKVInPlaceILin2ELin1ELi256ELi8EbljEEvNS_4cuda6detail10TensorInfoIT3_T5_EES6_S6_S6_NS4_IT4_S6_EES6_b
	.p2align	8
	.type	_ZN2at6native18radixSortKVInPlaceILin2ELin1ELi256ELi8EbljEEvNS_4cuda6detail10TensorInfoIT3_T5_EES6_S6_S6_NS4_IT4_S6_EES6_b,@function
_ZN2at6native18radixSortKVInPlaceILin2ELin1ELi256ELi8EbljEEvNS_4cuda6detail10TensorInfoIT3_T5_EES6_S6_S6_NS4_IT4_S6_EES6_b: ; @_ZN2at6native18radixSortKVInPlaceILin2ELin1ELi256ELi8EbljEEvNS_4cuda6detail10TensorInfoIT3_T5_EES6_S6_S6_NS4_IT4_S6_EES6_b
; %bb.0:
	s_load_dwordx2 s[0:1], s[4:5], 0x1c8
	s_load_dwordx4 s[36:39], s[4:5], 0xd8
	s_add_u32 s42, s4, 0x1c8
	s_addc_u32 s43, s5, 0
	s_waitcnt lgkmcnt(0)
	s_mul_i32 s1, s1, s8
	s_add_i32 s1, s1, s7
	s_mul_i32 s0, s1, s0
	s_add_i32 s6, s0, s6
	s_cmp_ge_u32 s6, s36
	s_cbranch_scc1 .LBB261_102
; %bb.1:
	s_load_dword s2, s[4:5], 0x1b8
	s_load_dwordx2 s[0:1], s[4:5], 0x0
	s_add_u32 s14, s4, 0xe8
	s_addc_u32 s15, s5, 0
	s_mov_b32 s17, 0
	s_waitcnt lgkmcnt(0)
	s_cmp_lt_i32 s2, 2
	s_mov_b32 s16, s6
	s_cbranch_scc1 .LBB261_4
; %bb.2:
	s_add_i32 s16, s2, -1
	s_add_i32 s7, s2, 1
	s_lshl_b64 s[2:3], s[16:17], 2
	s_add_u32 s2, s2, s14
	s_addc_u32 s3, s3, s15
	s_add_u32 s2, s2, 8
	s_addc_u32 s3, s3, 0
	s_mov_b32 s16, s6
.LBB261_3:                              ; =>This Inner Loop Header: Depth=1
	s_load_dword s8, s[2:3], 0x0
	s_load_dword s10, s[2:3], 0x64
	s_mov_b32 s9, s16
	s_waitcnt lgkmcnt(0)
	v_cvt_f32_u32_e32 v1, s8
	s_sub_i32 s11, 0, s8
	v_rcp_iflag_f32_e32 v1, v1
	v_mul_f32_e32 v1, 0x4f7ffffe, v1
	v_cvt_u32_f32_e32 v1, v1
	v_readfirstlane_b32 s12, v1
	s_mul_i32 s11, s11, s12
	s_mul_hi_u32 s11, s12, s11
	s_add_i32 s12, s12, s11
	s_mul_hi_u32 s11, s16, s12
	s_mul_i32 s12, s11, s8
	s_sub_i32 s12, s16, s12
	s_add_i32 s13, s11, 1
	s_sub_i32 s16, s12, s8
	s_cmp_ge_u32 s12, s8
	s_cselect_b32 s11, s13, s11
	s_cselect_b32 s12, s16, s12
	s_add_i32 s13, s11, 1
	s_cmp_ge_u32 s12, s8
	s_cselect_b32 s16, s13, s11
	s_mul_i32 s8, s16, s8
	s_sub_i32 s8, s9, s8
	s_mul_i32 s8, s10, s8
	s_add_i32 s7, s7, -1
	s_add_i32 s17, s8, s17
	s_add_u32 s2, s2, -4
	s_addc_u32 s3, s3, -1
	s_cmp_gt_u32 s7, 2
	s_cbranch_scc1 .LBB261_3
.LBB261_4:
	s_load_dword s2, s[4:5], 0x6c
	s_load_dwordx2 s[34:35], s[4:5], 0x1c0
	v_and_b32_e32 v36, 0x3ff, v0
	v_mul_lo_u32 v37, v36, s38
	s_waitcnt lgkmcnt(0)
	s_mul_i32 s4, s2, s6
	s_bitcmp1_b32 s35, 0
	s_cselect_b64 s[2:3], -1, 0
	s_add_u32 s40, s0, s4
	s_addc_u32 s41, s1, 0
	s_xor_b64 s[44:45], s[2:3], -1
	v_cndmask_b32_e64 v1, 0, 1, s[44:45]
	v_lshlrev_b16_e32 v2, 8, v1
	v_or_b32_e32 v2, v1, v2
	v_lshlrev_b32_e32 v3, 16, v2
	v_or_b32_sdwa v2, v2, v3 dst_sel:DWORD dst_unused:UNUSED_PAD src0_sel:WORD_0 src1_sel:DWORD
	v_mov_b32_e32 v3, v2
	v_cmp_gt_u32_e64 s[0:1], s37, v36
	s_and_saveexec_b64 s[2:3], s[0:1]
	s_cbranch_execz .LBB261_6
; %bb.5:
	global_load_ubyte v1, v37, s[40:41]
	s_mov_b32 s4, 0x3020104
	v_mov_b32_e32 v5, v2
	s_waitcnt vmcnt(0)
	v_perm_b32 v4, v1, v2, s4
	v_pk_mov_b32 v[2:3], v[4:5], v[4:5] op_sel:[0,1]
.LBB261_6:
	s_or_b64 exec, exec, s[2:3]
	v_add_u32_e32 v32, 0x100, v36
	v_cmp_gt_u32_e64 s[2:3], s37, v32
	s_and_saveexec_b64 s[4:5], s[2:3]
	s_cbranch_execz .LBB261_8
; %bb.7:
	v_mul_lo_u32 v4, v32, s38
	global_load_ubyte v4, v4, s[40:41]
	s_mov_b32 s6, 0x7060004
	s_waitcnt vmcnt(0)
	v_perm_b32 v2, v2, v4, s6
.LBB261_8:
	s_or_b64 exec, exec, s[4:5]
	v_add_u32_e32 v31, 0x200, v36
	v_cmp_gt_u32_e64 s[4:5], s37, v31
	s_and_saveexec_b64 s[6:7], s[4:5]
	s_cbranch_execz .LBB261_10
; %bb.9:
	v_mul_lo_u32 v4, v31, s38
	global_load_ubyte v4, v4, s[40:41]
	s_movk_i32 s8, 0xff00
	v_and_b32_sdwa v5, v2, s8 dst_sel:DWORD dst_unused:UNUSED_PAD src0_sel:WORD_1 src1_sel:DWORD
	s_mov_b32 s8, 0xffff
	s_waitcnt vmcnt(0)
	v_or_b32_sdwa v4, v4, v5 dst_sel:WORD_1 dst_unused:UNUSED_PAD src0_sel:DWORD src1_sel:DWORD
	v_and_or_b32 v2, v2, s8, v4
.LBB261_10:
	s_or_b64 exec, exec, s[6:7]
	v_add_u32_e32 v30, 0x300, v36
	v_cmp_gt_u32_e64 s[6:7], s37, v30
	s_and_saveexec_b64 s[8:9], s[6:7]
	s_cbranch_execz .LBB261_12
; %bb.11:
	v_mul_lo_u32 v4, v30, s38
	global_load_ubyte v4, v4, s[40:41]
	s_movk_i32 s10, 0xff
	v_and_b32_sdwa v5, v2, s10 dst_sel:DWORD dst_unused:UNUSED_PAD src0_sel:WORD_1 src1_sel:DWORD
	s_mov_b32 s10, 0xffff
	s_waitcnt vmcnt(0)
	v_lshlrev_b16_e32 v4, 8, v4
	v_or_b32_sdwa v4, v5, v4 dst_sel:WORD_1 dst_unused:UNUSED_PAD src0_sel:DWORD src1_sel:DWORD
	v_and_or_b32 v2, v2, s10, v4
.LBB261_12:
	s_or_b64 exec, exec, s[8:9]
	v_or_b32_e32 v29, 0x400, v36
	v_cmp_gt_u32_e64 s[8:9], s37, v29
	s_and_saveexec_b64 s[10:11], s[8:9]
	s_cbranch_execz .LBB261_14
; %bb.13:
	v_mul_lo_u32 v4, v29, s38
	global_load_ubyte v4, v4, s[40:41]
	s_mov_b32 s12, 0x3020104
	s_waitcnt vmcnt(0)
	v_perm_b32 v3, v4, v3, s12
.LBB261_14:
	s_or_b64 exec, exec, s[10:11]
	v_add_u32_e32 v28, 0x500, v36
	v_cmp_gt_u32_e64 s[10:11], s37, v28
	s_and_saveexec_b64 s[12:13], s[10:11]
	s_cbranch_execz .LBB261_16
; %bb.15:
	v_mul_lo_u32 v4, v28, s38
	global_load_ubyte v4, v4, s[40:41]
	s_mov_b32 s18, 0x7060004
	s_waitcnt vmcnt(0)
	v_perm_b32 v3, v3, v4, s18
.LBB261_16:
	s_or_b64 exec, exec, s[12:13]
	s_load_dwordx2 s[18:19], s[14:15], 0x0
	v_add_u32_e32 v27, 0x600, v36
	v_cmp_gt_u32_e64 s[12:13], s37, v27
	s_and_saveexec_b64 s[20:21], s[12:13]
	s_cbranch_execz .LBB261_18
; %bb.17:
	v_mul_lo_u32 v4, v27, s38
	global_load_ubyte v4, v4, s[40:41]
	s_mov_b32 s22, 0x7000504
	s_waitcnt vmcnt(0)
	v_perm_b32 v3, v3, v4, s22
.LBB261_18:
	s_or_b64 exec, exec, s[20:21]
	s_load_dword s22, s[14:15], 0x6c
	v_add_u32_e32 v22, 0x700, v36
	v_cmp_gt_u32_e64 s[14:15], s37, v22
	s_and_saveexec_b64 s[20:21], s[14:15]
	s_cbranch_execz .LBB261_20
; %bb.19:
	v_mul_lo_u32 v4, v22, s38
	global_load_ubyte v4, v4, s[40:41]
	s_mov_b32 s23, 0x60504
	s_waitcnt vmcnt(0)
	v_perm_b32 v3, v3, v4, s23
.LBB261_20:
	s_or_b64 exec, exec, s[20:21]
	v_lshrrev_b32_e32 v26, 5, v36
	v_and_b32_e32 v4, 28, v26
	v_add_u32_e32 v44, v4, v36
	v_lshrrev_b32_e32 v25, 5, v32
	ds_write_b8 v44, v1
	v_and_b32_e32 v1, 60, v25
	v_lshrrev_b32_e32 v24, 5, v31
	v_add_u32_e32 v45, v1, v36
	v_and_b32_e32 v1, 60, v24
	v_lshrrev_b32_e32 v23, 5, v30
	v_add_u32_e32 v46, v1, v36
	;; [unrolled: 3-line block ×3, first 2 shown]
	v_and_b32_e32 v1, 60, v21
	v_lshrrev_b32_e32 v19, 5, v28
	v_lshrrev_b32_e32 v4, 8, v2
	v_add_u32_e32 v48, v1, v36
	v_and_b32_e32 v1, 0x7c, v19
	v_lshrrev_b32_e32 v18, 5, v27
	ds_write_b8 v45, v4 offset:256
	ds_write_b8_d16_hi v46, v2 offset:512
	v_lshrrev_b32_e32 v2, 24, v2
	v_add_u32_e32 v49, v1, v36
	v_and_b32_e32 v1, 0x7c, v18
	ds_write_b8 v47, v2 offset:768
	v_lshrrev_b32_e32 v2, 8, v3
	v_add_u32_e32 v50, v1, v36
	v_lshrrev_b32_e32 v1, 5, v22
	ds_write_b8 v48, v3 offset:1024
	ds_write_b8 v49, v2 offset:1280
	v_and_b32_e32 v2, 0x7c, v1
	v_lshrrev_b32_e32 v20, 2, v36
	v_add_u32_e32 v51, v2, v36
	v_lshlrev_b32_e32 v53, 3, v36
	v_and_b32_e32 v2, 0xfc, v20
	s_waitcnt lgkmcnt(0)
	s_mul_i32 s16, s22, s16
	ds_write_b8_d16_hi v50, v3 offset:1536
	v_lshrrev_b32_e32 v3, 24, v3
	v_add_u32_e32 v52, v2, v53
	s_add_i32 s16, s16, s17
	s_mov_b32 s17, 0
	ds_write_b8 v51, v3 offset:1792
	s_waitcnt lgkmcnt(0)
	s_barrier
	ds_read_b64 v[38:39], v52
	s_lshl_b64 s[20:21], s[16:17], 3
	s_add_u32 s33, s18, s20
	s_mov_b32 s16, s17
	s_addc_u32 s35, s19, s21
	s_mov_b32 s18, s17
	s_mov_b32 s19, s17
	;; [unrolled: 1-line block ×14, first 2 shown]
	v_pk_mov_b32 v[2:3], s[16:17], s[16:17] op_sel:[0,1]
	v_pk_mov_b32 v[4:5], s[18:19], s[18:19] op_sel:[0,1]
	;; [unrolled: 1-line block ×8, first 2 shown]
	v_pk_mov_b32 v[2:3], 0, 0
	v_mul_lo_u32 v34, v36, s34
	s_waitcnt lgkmcnt(0)
	s_barrier
	s_and_saveexec_b64 s[16:17], s[0:1]
	s_cbranch_execnz .LBB261_53
; %bb.21:
	s_or_b64 exec, exec, s[16:17]
	s_and_saveexec_b64 s[16:17], s[2:3]
	s_cbranch_execnz .LBB261_54
.LBB261_22:
	s_or_b64 exec, exec, s[16:17]
	s_and_saveexec_b64 s[16:17], s[4:5]
	s_cbranch_execnz .LBB261_55
.LBB261_23:
	s_or_b64 exec, exec, s[16:17]
	s_and_saveexec_b64 s[16:17], s[6:7]
	s_cbranch_execnz .LBB261_56
.LBB261_24:
	s_or_b64 exec, exec, s[16:17]
	s_and_saveexec_b64 s[16:17], s[8:9]
	s_cbranch_execnz .LBB261_57
.LBB261_25:
	s_or_b64 exec, exec, s[16:17]
	s_and_saveexec_b64 s[16:17], s[10:11]
	s_cbranch_execnz .LBB261_58
.LBB261_26:
	s_or_b64 exec, exec, s[16:17]
	s_and_saveexec_b64 s[16:17], s[12:13]
	s_cbranch_execnz .LBB261_59
.LBB261_27:
	s_or_b64 exec, exec, s[16:17]
	s_and_saveexec_b64 s[16:17], s[14:15]
	s_cbranch_execz .LBB261_29
.LBB261_28:
	v_mul_lo_u32 v16, v22, s34
	v_mov_b32_e32 v17, 0
	v_lshlrev_b64 v[16:17], 3, v[16:17]
	v_mov_b32_e32 v22, s35
	v_add_co_u32_e32 v16, vcc, s33, v16
	v_addc_co_u32_e32 v17, vcc, v22, v17, vcc
	global_load_dwordx2 v[16:17], v[16:17], off
.LBB261_29:
	s_or_b64 exec, exec, s[16:17]
	v_lshrrev_b64 v[40:41], 24, v[38:39]
	v_add_lshl_u32 v41, v26, v36, 3
	v_add_lshl_u32 v35, v25, v36, 3
	;; [unrolled: 1-line block ×9, first 2 shown]
	s_waitcnt vmcnt(0)
	ds_write_b64 v41, v[2:3]
	ds_write_b64 v35, v[4:5] offset:2048
	ds_write_b64 v54, v[6:7] offset:4096
	;; [unrolled: 1-line block ×7, first 2 shown]
	s_waitcnt lgkmcnt(0)
	s_barrier
	ds_read2_b64 v[14:17], v60 offset1:1
	ds_read2_b64 v[10:13], v60 offset0:2 offset1:3
	ds_read2_b64 v[6:9], v60 offset0:4 offset1:5
	;; [unrolled: 1-line block ×3, first 2 shown]
	v_lshrrev_b32_e32 v64, 8, v38
	v_lshrrev_b32_e32 v65, 8, v39
	s_and_b64 vcc, exec, s[44:45]
	v_bfe_u32 v62, v0, 10, 10
	v_bfe_u32 v63, v0, 20, 10
	v_mbcnt_lo_u32_b32 v66, -1, 0
	v_lshlrev_b32_e32 v61, 4, v36
	s_waitcnt lgkmcnt(0)
	s_barrier
	s_cbranch_vccz .LBB261_60
; %bb.30:
	s_movk_i32 s16, 0xff
	v_mov_b32_e32 v1, 8
	v_lshlrev_b16_e32 v0, 8, v65
	v_lshlrev_b16_sdwa v1, v1, v39 dst_sel:DWORD dst_unused:UNUSED_PAD src0_sel:DWORD src1_sel:BYTE_3
	v_and_b32_sdwa v20, v39, s16 dst_sel:DWORD dst_unused:UNUSED_PAD src0_sel:WORD_1 src1_sel:DWORD
	v_or_b32_sdwa v0, v39, v0 dst_sel:DWORD dst_unused:UNUSED_PAD src0_sel:BYTE_0 src1_sel:DWORD
	v_or_b32_sdwa v1, v20, v1 dst_sel:WORD_1 dst_unused:UNUSED_PAD src0_sel:DWORD src1_sel:DWORD
	v_mbcnt_hi_u32_b32 v75, -1, v66
	v_and_b32_e32 v76, 0x3c0, v36
	v_or_b32_sdwa v1, v0, v1 dst_sel:DWORD dst_unused:UNUSED_PAD src0_sel:WORD_0 src1_sel:DWORD
	v_lshlrev_b16_e32 v0, 8, v64
	v_lshlrev_b16_e32 v20, 8, v40
	v_and_b32_sdwa v21, v38, s16 dst_sel:DWORD dst_unused:UNUSED_PAD src0_sel:WORD_1 src1_sel:DWORD
	v_add_u32_e32 v18, v75, v76
	v_or_b32_sdwa v0, v38, v0 dst_sel:DWORD dst_unused:UNUSED_PAD src0_sel:BYTE_0 src1_sel:DWORD
	v_or_b32_sdwa v20, v21, v20 dst_sel:WORD_1 dst_unused:UNUSED_PAD src0_sel:DWORD src1_sel:DWORD
	v_lshlrev_b32_e32 v19, 3, v18
	v_or_b32_sdwa v0, v0, v20 dst_sel:DWORD dst_unused:UNUSED_PAD src0_sel:WORD_0 src1_sel:DWORD
	s_movk_i32 s16, 0x1e00
	ds_write_b64 v19, v[0:1]
	v_and_or_b32 v0, v53, s16, v75
	; wave barrier
	ds_read_u8 v67, v0
	ds_read_u8 v68, v0 offset:64
	ds_read_u8 v69, v0 offset:128
	;; [unrolled: 1-line block ×7, first 2 shown]
	v_lshlrev_b32_e32 v1, 6, v18
	v_lshlrev_b32_e32 v0, 3, v0
	s_getpc_b64 s[16:17]
	s_add_u32 s16, s16, _ZN7rocprim17ROCPRIM_400000_NS16block_radix_sortIbLj256ELj8ElLj1ELj1ELj0ELNS0_26block_radix_rank_algorithmE1ELNS0_18block_padding_hintE2ELNS0_4arch9wavefront6targetE1EE19radix_bits_per_passE@rel32@lo+4
	s_addc_u32 s17, s17, _ZN7rocprim17ROCPRIM_400000_NS16block_radix_sortIbLj256ELj8ElLj1ELj1ELj0ELNS0_26block_radix_rank_algorithmE1ELNS0_18block_padding_hintE2ELNS0_4arch9wavefront6targetE1EE19radix_bits_per_passE@rel32@hi+12
	s_waitcnt lgkmcnt(0)
	s_barrier
	ds_write2_b64 v1, v[14:15], v[16:17] offset1:1
	ds_write2_b64 v1, v[10:11], v[12:13] offset0:2 offset1:3
	ds_write2_b64 v1, v[6:7], v[8:9] offset0:4 offset1:5
	;; [unrolled: 1-line block ×3, first 2 shown]
	; wave barrier
	ds_read2st64_b64 v[30:33], v0 offset1:1
	ds_read2st64_b64 v[26:29], v0 offset0:2 offset1:3
	ds_read2st64_b64 v[22:25], v0 offset0:4 offset1:5
	;; [unrolled: 1-line block ×3, first 2 shown]
	s_waitcnt lgkmcnt(0)
	s_barrier
	s_load_dword s18, s[16:17], 0x0
	s_load_dword s19, s[42:43], 0xc
	s_waitcnt lgkmcnt(0)
	s_min_u32 s18, s18, 8
	s_lshr_b32 s16, s19, 16
	s_and_b32 s17, s19, 0xffff
	v_mad_u32_u24 v0, v63, s16, v62
	v_mad_u64_u32 v[0:1], s[16:17], v0, s17, v[36:37]
	s_lshl_b32 s16, -1, s18
	s_not_b32 s18, s16
	v_lshrrev_b32_e32 v42, 6, v0
	v_and_b32_e32 v0, s18, v67
	v_mov_b32_e32 v1, 0
	v_and_b32_e32 v0, 1, v0
	ds_write2_b32 v61, v1, v1 offset0:4 offset1:5
	ds_write2_b32 v61, v1, v1 offset0:6 offset1:7
	v_lshlrev_b32_e32 v1, 2, v0
	v_cmp_ne_u32_e32 vcc, 0, v0
	v_add_co_u32_e64 v0, s[16:17], -1, v0
	v_add_lshl_u32 v77, v42, v1, 2
	v_addc_co_u32_e64 v1, s[16:17], 0, -1, s[16:17]
	v_xor_b32_e32 v0, vcc_lo, v0
	v_xor_b32_e32 v1, vcc_hi, v1
	v_and_b32_e32 v0, exec_lo, v0
	v_and_b32_e32 v1, exec_hi, v1
	v_mbcnt_lo_u32_b32 v43, v0, 0
	v_mbcnt_hi_u32_b32 v78, v1, v43
	v_cmp_eq_u32_e32 vcc, 0, v78
	v_cmp_ne_u64_e64 s[16:17], 0, v[0:1]
	s_and_b64 s[20:21], s[16:17], vcc
	s_waitcnt lgkmcnt(0)
	s_barrier
	s_waitcnt lgkmcnt(0)
	; wave barrier
	s_and_saveexec_b64 s[16:17], s[20:21]
	s_cbranch_execz .LBB261_32
; %bb.31:
	v_bcnt_u32_b32 v0, v0, 0
	v_bcnt_u32_b32 v0, v1, v0
	ds_write_b32 v77, v0 offset:16
.LBB261_32:
	s_or_b64 exec, exec, s[16:17]
	v_and_b32_e32 v0, s18, v68
	v_and_b32_e32 v0, 0xff, v0
	v_lshlrev_b32_e32 v1, 2, v0
	v_cmp_ne_u32_e32 vcc, 0, v0
	v_add_co_u32_e64 v0, s[16:17], -1, v0
	v_add_lshl_u32 v80, v42, v1, 2
	v_addc_co_u32_e64 v1, s[16:17], 0, -1, s[16:17]
	v_xor_b32_e32 v0, vcc_lo, v0
	; wave barrier
	ds_read_b32 v79, v80 offset:16
	v_xor_b32_e32 v1, vcc_hi, v1
	v_and_b32_e32 v0, exec_lo, v0
	v_and_b32_e32 v1, exec_hi, v1
	v_mbcnt_lo_u32_b32 v43, v0, 0
	v_mbcnt_hi_u32_b32 v81, v1, v43
	v_cmp_eq_u32_e32 vcc, 0, v81
	v_cmp_ne_u64_e64 s[16:17], 0, v[0:1]
	s_and_b64 s[20:21], s[16:17], vcc
	; wave barrier
	s_and_saveexec_b64 s[16:17], s[20:21]
	s_cbranch_execz .LBB261_34
; %bb.33:
	v_bcnt_u32_b32 v0, v0, 0
	v_bcnt_u32_b32 v0, v1, v0
	s_waitcnt lgkmcnt(0)
	v_add_u32_e32 v0, v79, v0
	ds_write_b32 v80, v0 offset:16
.LBB261_34:
	s_or_b64 exec, exec, s[16:17]
	v_and_b32_e32 v0, s18, v69
	v_and_b32_e32 v0, 0xff, v0
	v_lshlrev_b32_e32 v1, 2, v0
	v_cmp_ne_u32_e32 vcc, 0, v0
	v_add_co_u32_e64 v0, s[16:17], -1, v0
	v_add_lshl_u32 v83, v42, v1, 2
	v_addc_co_u32_e64 v1, s[16:17], 0, -1, s[16:17]
	v_xor_b32_e32 v0, vcc_lo, v0
	; wave barrier
	ds_read_b32 v82, v83 offset:16
	v_xor_b32_e32 v1, vcc_hi, v1
	v_and_b32_e32 v0, exec_lo, v0
	v_and_b32_e32 v1, exec_hi, v1
	v_mbcnt_lo_u32_b32 v43, v0, 0
	v_mbcnt_hi_u32_b32 v84, v1, v43
	v_cmp_eq_u32_e32 vcc, 0, v84
	v_cmp_ne_u64_e64 s[16:17], 0, v[0:1]
	s_and_b64 s[20:21], s[16:17], vcc
	; wave barrier
	s_and_saveexec_b64 s[16:17], s[20:21]
	s_cbranch_execz .LBB261_36
; %bb.35:
	v_bcnt_u32_b32 v0, v0, 0
	v_bcnt_u32_b32 v0, v1, v0
	s_waitcnt lgkmcnt(0)
	v_add_u32_e32 v0, v82, v0
	ds_write_b32 v83, v0 offset:16
.LBB261_36:
	;; [unrolled: 29-line block ×6, first 2 shown]
	s_or_b64 exec, exec, s[16:17]
	v_and_b32_e32 v0, s18, v74
	v_and_b32_e32 v0, 0xff, v0
	v_lshlrev_b32_e32 v1, 2, v0
	v_cmp_ne_u32_e32 vcc, 0, v0
	v_add_co_u32_e64 v0, s[16:17], -1, v0
	v_add_lshl_u32 v98, v42, v1, 2
	v_addc_co_u32_e64 v1, s[16:17], 0, -1, s[16:17]
	v_xor_b32_e32 v0, vcc_lo, v0
	; wave barrier
	ds_read_b32 v97, v98 offset:16
	v_xor_b32_e32 v1, vcc_hi, v1
	v_and_b32_e32 v0, exec_lo, v0
	v_and_b32_e32 v1, exec_hi, v1
	v_mbcnt_lo_u32_b32 v42, v0, 0
	v_mbcnt_hi_u32_b32 v99, v1, v42
	v_cmp_eq_u32_e32 vcc, 0, v99
	v_cmp_ne_u64_e64 s[16:17], 0, v[0:1]
	v_add_u32_e32 v100, 16, v61
	s_and_b64 s[18:19], s[16:17], vcc
	; wave barrier
	s_and_saveexec_b64 s[16:17], s[18:19]
	s_cbranch_execz .LBB261_46
; %bb.45:
	v_bcnt_u32_b32 v0, v0, 0
	v_bcnt_u32_b32 v0, v1, v0
	s_waitcnt lgkmcnt(0)
	v_add_u32_e32 v0, v97, v0
	ds_write_b32 v98, v0 offset:16
.LBB261_46:
	s_or_b64 exec, exec, s[16:17]
	; wave barrier
	s_waitcnt lgkmcnt(0)
	s_barrier
	ds_read2_b32 v[0:1], v61 offset0:4 offset1:5
	ds_read2_b32 v[42:43], v100 offset0:2 offset1:3
	v_min_u32_e32 v76, 0xc0, v76
	v_or_b32_e32 v76, 63, v76
	s_waitcnt lgkmcnt(1)
	v_add_u32_e32 v101, v1, v0
	s_waitcnt lgkmcnt(0)
	v_add3_u32 v43, v101, v42, v43
	v_and_b32_e32 v101, 15, v75
	v_cmp_ne_u32_e32 vcc, 0, v101
	v_mov_b32_dpp v102, v43 row_shr:1 row_mask:0xf bank_mask:0xf
	v_cndmask_b32_e32 v102, 0, v102, vcc
	v_add_u32_e32 v43, v102, v43
	v_cmp_lt_u32_e32 vcc, 1, v101
	s_nop 0
	v_mov_b32_dpp v102, v43 row_shr:2 row_mask:0xf bank_mask:0xf
	v_cndmask_b32_e32 v102, 0, v102, vcc
	v_add_u32_e32 v43, v43, v102
	v_cmp_lt_u32_e32 vcc, 3, v101
	s_nop 0
	;; [unrolled: 5-line block ×3, first 2 shown]
	v_mov_b32_dpp v102, v43 row_shr:8 row_mask:0xf bank_mask:0xf
	v_cndmask_b32_e32 v101, 0, v102, vcc
	v_add_u32_e32 v43, v43, v101
	v_bfe_i32 v102, v75, 4, 1
	v_cmp_lt_u32_e32 vcc, 31, v75
	v_mov_b32_dpp v101, v43 row_bcast:15 row_mask:0xf bank_mask:0xf
	v_and_b32_e32 v101, v102, v101
	v_add_u32_e32 v43, v43, v101
	s_nop 1
	v_mov_b32_dpp v101, v43 row_bcast:31 row_mask:0xf bank_mask:0xf
	v_cndmask_b32_e32 v101, 0, v101, vcc
	v_add_u32_e32 v43, v43, v101
	v_lshrrev_b32_e32 v101, 6, v36
	v_cmp_eq_u32_e32 vcc, v76, v36
	s_and_saveexec_b64 s[16:17], vcc
	s_cbranch_execz .LBB261_48
; %bb.47:
	v_lshlrev_b32_e32 v76, 2, v101
	ds_write_b32 v76, v43
.LBB261_48:
	s_or_b64 exec, exec, s[16:17]
	v_cmp_gt_u32_e32 vcc, 4, v36
	s_waitcnt lgkmcnt(0)
	s_barrier
	s_and_saveexec_b64 s[16:17], vcc
	s_cbranch_execz .LBB261_50
; %bb.49:
	v_lshlrev_b32_e32 v76, 2, v36
	ds_read_b32 v102, v76
	v_and_b32_e32 v103, 3, v75
	v_cmp_ne_u32_e32 vcc, 0, v103
	s_waitcnt lgkmcnt(0)
	v_mov_b32_dpp v104, v102 row_shr:1 row_mask:0xf bank_mask:0xf
	v_cndmask_b32_e32 v104, 0, v104, vcc
	v_add_u32_e32 v102, v104, v102
	v_cmp_lt_u32_e32 vcc, 1, v103
	s_nop 0
	v_mov_b32_dpp v104, v102 row_shr:2 row_mask:0xf bank_mask:0xf
	v_cndmask_b32_e32 v103, 0, v104, vcc
	v_add_u32_e32 v102, v102, v103
	ds_write_b32 v76, v102
.LBB261_50:
	s_or_b64 exec, exec, s[16:17]
	v_cmp_lt_u32_e32 vcc, 63, v36
	v_mov_b32_e32 v76, 0
	s_waitcnt lgkmcnt(0)
	s_barrier
	s_and_saveexec_b64 s[16:17], vcc
	s_cbranch_execz .LBB261_52
; %bb.51:
	v_lshl_add_u32 v76, v101, 2, -4
	ds_read_b32 v76, v76
.LBB261_52:
	s_or_b64 exec, exec, s[16:17]
	v_add_u32_e32 v101, -1, v75
	v_and_b32_e32 v102, 64, v75
	v_cmp_lt_i32_e32 vcc, v101, v102
	v_cndmask_b32_e32 v101, v101, v75, vcc
	s_waitcnt lgkmcnt(0)
	v_add_u32_e32 v43, v76, v43
	v_lshlrev_b32_e32 v101, 2, v101
	ds_bpermute_b32 v43, v101, v43
	v_cmp_eq_u32_e32 vcc, 0, v75
	s_waitcnt lgkmcnt(0)
	v_cndmask_b32_e32 v43, v43, v76, vcc
	v_cmp_ne_u32_e32 vcc, 0, v36
	v_cndmask_b32_e32 v43, 0, v43, vcc
	v_add_u32_e32 v0, v43, v0
	v_add_u32_e32 v1, v0, v1
	;; [unrolled: 1-line block ×3, first 2 shown]
	ds_write2_b32 v61, v43, v0 offset0:4 offset1:5
	ds_write2_b32 v100, v1, v42 offset0:2 offset1:3
	s_waitcnt lgkmcnt(0)
	s_barrier
	ds_read_b32 v0, v77 offset:16
	ds_read_b32 v1, v80 offset:16
	;; [unrolled: 1-line block ×8, first 2 shown]
	s_waitcnt lgkmcnt(7)
	v_add_u32_e32 v78, v0, v78
	s_waitcnt lgkmcnt(6)
	v_add3_u32 v79, v81, v79, v1
	s_waitcnt lgkmcnt(5)
	v_add3_u32 v42, v84, v82, v42
	;; [unrolled: 2-line block ×7, first 2 shown]
	s_barrier
	ds_write_b8 v78, v67
	ds_write_b8 v79, v68
	;; [unrolled: 1-line block ×8, first 2 shown]
	v_lshlrev_b32_e32 v67, 3, v78
	s_waitcnt lgkmcnt(0)
	s_barrier
	ds_read_b64 v[0:1], v53
	s_waitcnt lgkmcnt(0)
	s_barrier
	ds_write_b64 v67, v[30:31]
	v_lshlrev_b32_e32 v30, 3, v79
	ds_write_b64 v30, v[32:33]
	v_lshlrev_b32_e32 v30, 3, v42
	;; [unrolled: 2-line block ×7, first 2 shown]
	v_lshlrev_b32_e32 v30, 3, v53
	ds_write_b64 v18, v[20:21]
	s_waitcnt lgkmcnt(0)
	s_barrier
	ds_read2_b64 v[18:21], v30 offset1:1
	ds_read2_b64 v[22:25], v30 offset0:2 offset1:3
	ds_read2_b64 v[26:29], v30 offset0:4 offset1:5
	;; [unrolled: 1-line block ×3, first 2 shown]
	s_branch .LBB261_84
.LBB261_53:
	v_mov_b32_e32 v35, 0
	v_lshlrev_b64 v[2:3], 3, v[34:35]
	v_mov_b32_e32 v4, s35
	v_add_co_u32_e32 v2, vcc, s33, v2
	v_addc_co_u32_e32 v3, vcc, v4, v3, vcc
	global_load_dwordx2 v[2:3], v[2:3], off
	v_mov_b32_e32 v4, v35
	v_mov_b32_e32 v5, v35
	;; [unrolled: 1-line block ×14, first 2 shown]
	s_or_b64 exec, exec, s[16:17]
	s_and_saveexec_b64 s[16:17], s[2:3]
	s_cbranch_execz .LBB261_22
.LBB261_54:
	v_mul_lo_u32 v4, v32, s34
	v_mov_b32_e32 v5, 0
	v_lshlrev_b64 v[4:5], 3, v[4:5]
	v_mov_b32_e32 v32, s35
	v_add_co_u32_e32 v4, vcc, s33, v4
	v_addc_co_u32_e32 v5, vcc, v32, v5, vcc
	global_load_dwordx2 v[4:5], v[4:5], off
	s_or_b64 exec, exec, s[16:17]
	s_and_saveexec_b64 s[16:17], s[4:5]
	s_cbranch_execz .LBB261_23
.LBB261_55:
	v_mul_lo_u32 v6, v31, s34
	v_mov_b32_e32 v7, 0
	v_lshlrev_b64 v[6:7], 3, v[6:7]
	v_mov_b32_e32 v31, s35
	v_add_co_u32_e32 v6, vcc, s33, v6
	v_addc_co_u32_e32 v7, vcc, v31, v7, vcc
	global_load_dwordx2 v[6:7], v[6:7], off
	s_or_b64 exec, exec, s[16:17]
	s_and_saveexec_b64 s[16:17], s[6:7]
	s_cbranch_execz .LBB261_24
.LBB261_56:
	v_mul_lo_u32 v8, v30, s34
	v_mov_b32_e32 v9, 0
	v_lshlrev_b64 v[8:9], 3, v[8:9]
	v_mov_b32_e32 v30, s35
	v_add_co_u32_e32 v8, vcc, s33, v8
	v_addc_co_u32_e32 v9, vcc, v30, v9, vcc
	global_load_dwordx2 v[8:9], v[8:9], off
	s_or_b64 exec, exec, s[16:17]
	s_and_saveexec_b64 s[16:17], s[8:9]
	s_cbranch_execz .LBB261_25
.LBB261_57:
	v_mul_lo_u32 v10, v29, s34
	v_mov_b32_e32 v11, 0
	v_lshlrev_b64 v[10:11], 3, v[10:11]
	v_mov_b32_e32 v29, s35
	v_add_co_u32_e32 v10, vcc, s33, v10
	v_addc_co_u32_e32 v11, vcc, v29, v11, vcc
	global_load_dwordx2 v[10:11], v[10:11], off
	s_or_b64 exec, exec, s[16:17]
	s_and_saveexec_b64 s[16:17], s[10:11]
	s_cbranch_execz .LBB261_26
.LBB261_58:
	v_mul_lo_u32 v12, v28, s34
	v_mov_b32_e32 v13, 0
	v_lshlrev_b64 v[12:13], 3, v[12:13]
	v_mov_b32_e32 v28, s35
	v_add_co_u32_e32 v12, vcc, s33, v12
	v_addc_co_u32_e32 v13, vcc, v28, v13, vcc
	global_load_dwordx2 v[12:13], v[12:13], off
	s_or_b64 exec, exec, s[16:17]
	s_and_saveexec_b64 s[16:17], s[12:13]
	s_cbranch_execz .LBB261_27
.LBB261_59:
	v_mul_lo_u32 v14, v27, s34
	v_mov_b32_e32 v15, 0
	v_lshlrev_b64 v[14:15], 3, v[14:15]
	v_mov_b32_e32 v27, s35
	v_add_co_u32_e32 v14, vcc, s33, v14
	v_addc_co_u32_e32 v15, vcc, v27, v15, vcc
	global_load_dwordx2 v[14:15], v[14:15], off
	s_or_b64 exec, exec, s[16:17]
	s_and_saveexec_b64 s[16:17], s[14:15]
	s_cbranch_execnz .LBB261_28
	s_branch .LBB261_29
.LBB261_60:
                                        ; implicit-def: $vgpr1
                                        ; implicit-def: $vgpr32_vgpr33
                                        ; implicit-def: $vgpr28_vgpr29
                                        ; implicit-def: $vgpr24_vgpr25
                                        ; implicit-def: $vgpr20_vgpr21
	s_cbranch_execz .LBB261_84
; %bb.61:
	v_and_b32_e32 v0, 1, v65
	v_cmp_eq_u32_e32 vcc, 1, v0
	v_and_b32_e32 v0, 1, v39
	v_cmp_eq_u32_e64 s[16:17], 1, v0
	v_mov_b32_e32 v0, 1
	v_and_b32_sdwa v1, v0, v39 dst_sel:DWORD dst_unused:UNUSED_PAD src0_sel:DWORD src1_sel:BYTE_3
	v_cmp_eq_u32_e64 s[18:19], 1, v1
	v_and_b32_sdwa v1, v0, v39 dst_sel:DWORD dst_unused:UNUSED_PAD src0_sel:DWORD src1_sel:WORD_1
	v_cmp_eq_u32_e64 s[20:21], 1, v1
	v_and_b32_e32 v1, 1, v64
	v_cmp_eq_u32_e64 s[22:23], 1, v1
	v_and_b32_e32 v1, 1, v38
	v_and_b32_sdwa v0, v0, v38 dst_sel:DWORD dst_unused:UNUSED_PAD src0_sel:DWORD src1_sel:WORD_1
	s_xor_b64 s[30:31], vcc, -1
	v_cmp_eq_u32_e64 s[24:25], 1, v1
	v_and_b32_e32 v1, 1, v40
	v_cmp_eq_u32_e64 s[28:29], 1, v0
	v_cndmask_b32_e64 v0, 0, 1, s[30:31]
	s_xor_b64 s[16:17], s[16:17], -1
	v_cmp_eq_u32_e64 s[26:27], 1, v1
	v_lshlrev_b16_e32 v0, 8, v0
	v_cndmask_b32_e64 v1, 0, 1, s[16:17]
	s_xor_b64 s[16:17], s[18:19], -1
	v_or_b32_e32 v0, v1, v0
	v_cndmask_b32_e64 v1, 0, 1, s[16:17]
	s_xor_b64 s[16:17], s[20:21], -1
	v_lshlrev_b16_e32 v1, 8, v1
	s_waitcnt lgkmcnt(3)
	v_cndmask_b32_e64 v21, 0, 1, s[16:17]
	v_or_b32_sdwa v1, v21, v1 dst_sel:WORD_1 dst_unused:UNUSED_PAD src0_sel:DWORD src1_sel:DWORD
	s_xor_b64 s[16:17], s[22:23], -1
	v_or_b32_sdwa v1, v0, v1 dst_sel:DWORD dst_unused:UNUSED_PAD src0_sel:WORD_0 src1_sel:DWORD
	v_cndmask_b32_e64 v0, 0, 1, s[16:17]
	s_xor_b64 s[16:17], s[24:25], -1
	v_lshlrev_b16_e32 v0, 8, v0
	v_cndmask_b32_e64 v21, 0, 1, s[16:17]
	s_xor_b64 s[16:17], s[26:27], -1
	v_or_b32_e32 v0, v21, v0
	v_cndmask_b32_e64 v21, 0, 1, s[16:17]
	s_xor_b64 s[16:17], s[28:29], -1
	v_mbcnt_hi_u32_b32 v20, -1, v66
	s_waitcnt lgkmcnt(1)
	v_and_b32_e32 v29, 0x3c0, v36
	v_lshlrev_b16_e32 v21, 8, v21
	v_cndmask_b32_e64 v22, 0, 1, s[16:17]
	v_add_u32_e32 v18, v20, v29
	v_or_b32_sdwa v21, v22, v21 dst_sel:WORD_1 dst_unused:UNUSED_PAD src0_sel:DWORD src1_sel:DWORD
	v_lshlrev_b32_e32 v19, 3, v18
	v_or_b32_sdwa v0, v0, v21 dst_sel:DWORD dst_unused:UNUSED_PAD src0_sel:WORD_0 src1_sel:DWORD
	s_movk_i32 s16, 0x1e00
	ds_write_b64 v19, v[0:1]
	v_and_or_b32 v0, v53, s16, v20
	; wave barrier
	ds_read_u8 v21, v0
	ds_read_u8 v22, v0 offset:64
	ds_read_u8 v23, v0 offset:128
	;; [unrolled: 1-line block ×7, first 2 shown]
	v_lshlrev_b32_e32 v1, 6, v18
	v_lshlrev_b32_e32 v0, 3, v0
	s_getpc_b64 s[16:17]
	s_add_u32 s16, s16, _ZN7rocprim17ROCPRIM_400000_NS16block_radix_sortIbLj256ELj8ElLj1ELj1ELj0ELNS0_26block_radix_rank_algorithmE1ELNS0_18block_padding_hintE2ELNS0_4arch9wavefront6targetE1EE19radix_bits_per_passE@rel32@lo+4
	s_addc_u32 s17, s17, _ZN7rocprim17ROCPRIM_400000_NS16block_radix_sortIbLj256ELj8ElLj1ELj1ELj0ELNS0_26block_radix_rank_algorithmE1ELNS0_18block_padding_hintE2ELNS0_4arch9wavefront6targetE1EE19radix_bits_per_passE@rel32@hi+12
	s_waitcnt lgkmcnt(0)
	s_barrier
	ds_write2_b64 v1, v[14:15], v[16:17] offset1:1
	ds_write2_b64 v1, v[10:11], v[12:13] offset0:2 offset1:3
	ds_write2_b64 v1, v[6:7], v[8:9] offset0:4 offset1:5
	;; [unrolled: 1-line block ×3, first 2 shown]
	; wave barrier
	ds_read2st64_b64 v[12:15], v0 offset1:1
	ds_read2st64_b64 v[8:11], v0 offset0:2 offset1:3
	ds_read2st64_b64 v[4:7], v0 offset0:4 offset1:5
	;; [unrolled: 1-line block ×3, first 2 shown]
	s_waitcnt lgkmcnt(0)
	s_barrier
	s_load_dword s18, s[16:17], 0x0
	s_load_dword s19, s[42:43], 0xc
	s_waitcnt lgkmcnt(0)
	s_min_u32 s18, s18, 8
	s_lshr_b32 s16, s19, 16
	s_and_b32 s17, s19, 0xffff
	v_mad_u32_u24 v16, v63, s16, v62
	v_mad_u64_u32 v[16:17], s[16:17], v16, s17, v[36:37]
	s_lshl_b32 s16, -1, s18
	s_not_b32 s18, s16
	v_lshrrev_b32_e32 v18, 6, v16
	v_and_b32_e32 v16, s18, v21
	v_mov_b32_e32 v17, 0
	v_and_b32_e32 v16, 1, v16
	ds_write2_b32 v61, v17, v17 offset0:4 offset1:5
	ds_write2_b32 v61, v17, v17 offset0:6 offset1:7
	v_lshlrev_b32_e32 v17, 2, v16
	v_cmp_ne_u32_e32 vcc, 0, v16
	v_add_co_u32_e64 v16, s[16:17], -1, v16
	v_add_lshl_u32 v30, v18, v17, 2
	v_addc_co_u32_e64 v17, s[16:17], 0, -1, s[16:17]
	v_xor_b32_e32 v16, vcc_lo, v16
	v_xor_b32_e32 v17, vcc_hi, v17
	v_and_b32_e32 v16, exec_lo, v16
	v_and_b32_e32 v17, exec_hi, v17
	v_mbcnt_lo_u32_b32 v19, v16, 0
	v_mbcnt_hi_u32_b32 v31, v17, v19
	v_cmp_eq_u32_e32 vcc, 0, v31
	v_cmp_ne_u64_e64 s[16:17], 0, v[16:17]
	s_and_b64 s[20:21], s[16:17], vcc
	s_waitcnt lgkmcnt(0)
	s_barrier
	s_waitcnt lgkmcnt(0)
	; wave barrier
	s_and_saveexec_b64 s[16:17], s[20:21]
	s_cbranch_execz .LBB261_63
; %bb.62:
	v_bcnt_u32_b32 v16, v16, 0
	v_bcnt_u32_b32 v16, v17, v16
	ds_write_b32 v30, v16 offset:16
.LBB261_63:
	s_or_b64 exec, exec, s[16:17]
	v_and_b32_e32 v16, s18, v22
	v_and_b32_e32 v16, 0xff, v16
	v_lshlrev_b32_e32 v17, 2, v16
	v_cmp_ne_u32_e32 vcc, 0, v16
	v_add_co_u32_e64 v16, s[16:17], -1, v16
	v_add_lshl_u32 v33, v18, v17, 2
	v_addc_co_u32_e64 v17, s[16:17], 0, -1, s[16:17]
	v_xor_b32_e32 v16, vcc_lo, v16
	; wave barrier
	ds_read_b32 v32, v33 offset:16
	v_xor_b32_e32 v17, vcc_hi, v17
	v_and_b32_e32 v16, exec_lo, v16
	v_and_b32_e32 v17, exec_hi, v17
	v_mbcnt_lo_u32_b32 v19, v16, 0
	v_mbcnt_hi_u32_b32 v38, v17, v19
	v_cmp_eq_u32_e32 vcc, 0, v38
	v_cmp_ne_u64_e64 s[16:17], 0, v[16:17]
	s_and_b64 s[20:21], s[16:17], vcc
	; wave barrier
	s_and_saveexec_b64 s[16:17], s[20:21]
	s_cbranch_execz .LBB261_65
; %bb.64:
	v_bcnt_u32_b32 v16, v16, 0
	v_bcnt_u32_b32 v16, v17, v16
	s_waitcnt lgkmcnt(0)
	v_add_u32_e32 v16, v32, v16
	ds_write_b32 v33, v16 offset:16
.LBB261_65:
	s_or_b64 exec, exec, s[16:17]
	v_and_b32_e32 v16, s18, v23
	v_and_b32_e32 v16, 0xff, v16
	v_lshlrev_b32_e32 v17, 2, v16
	v_cmp_ne_u32_e32 vcc, 0, v16
	v_add_co_u32_e64 v16, s[16:17], -1, v16
	v_add_lshl_u32 v40, v18, v17, 2
	v_addc_co_u32_e64 v17, s[16:17], 0, -1, s[16:17]
	v_xor_b32_e32 v16, vcc_lo, v16
	; wave barrier
	ds_read_b32 v39, v40 offset:16
	v_xor_b32_e32 v17, vcc_hi, v17
	v_and_b32_e32 v16, exec_lo, v16
	v_and_b32_e32 v17, exec_hi, v17
	v_mbcnt_lo_u32_b32 v19, v16, 0
	v_mbcnt_hi_u32_b32 v42, v17, v19
	v_cmp_eq_u32_e32 vcc, 0, v42
	v_cmp_ne_u64_e64 s[16:17], 0, v[16:17]
	s_and_b64 s[20:21], s[16:17], vcc
	; wave barrier
	s_and_saveexec_b64 s[16:17], s[20:21]
	s_cbranch_execz .LBB261_67
; %bb.66:
	v_bcnt_u32_b32 v16, v16, 0
	v_bcnt_u32_b32 v16, v17, v16
	s_waitcnt lgkmcnt(0)
	v_add_u32_e32 v16, v39, v16
	ds_write_b32 v40, v16 offset:16
.LBB261_67:
	;; [unrolled: 29-line block ×6, first 2 shown]
	s_or_b64 exec, exec, s[16:17]
	v_and_b32_e32 v16, s18, v28
	v_and_b32_e32 v16, 0xff, v16
	v_lshlrev_b32_e32 v17, 2, v16
	v_cmp_ne_u32_e32 vcc, 0, v16
	v_add_co_u32_e64 v16, s[16:17], -1, v16
	v_add_lshl_u32 v74, v18, v17, 2
	v_addc_co_u32_e64 v17, s[16:17], 0, -1, s[16:17]
	v_xor_b32_e32 v16, vcc_lo, v16
	; wave barrier
	ds_read_b32 v73, v74 offset:16
	v_xor_b32_e32 v17, vcc_hi, v17
	v_and_b32_e32 v16, exec_lo, v16
	v_and_b32_e32 v17, exec_hi, v17
	v_mbcnt_lo_u32_b32 v18, v16, 0
	v_mbcnt_hi_u32_b32 v75, v17, v18
	v_cmp_eq_u32_e32 vcc, 0, v75
	v_cmp_ne_u64_e64 s[16:17], 0, v[16:17]
	v_add_u32_e32 v76, 16, v61
	s_and_b64 s[18:19], s[16:17], vcc
	; wave barrier
	s_and_saveexec_b64 s[16:17], s[18:19]
	s_cbranch_execz .LBB261_77
; %bb.76:
	v_bcnt_u32_b32 v16, v16, 0
	v_bcnt_u32_b32 v16, v17, v16
	s_waitcnt lgkmcnt(0)
	v_add_u32_e32 v16, v73, v16
	ds_write_b32 v74, v16 offset:16
.LBB261_77:
	s_or_b64 exec, exec, s[16:17]
	; wave barrier
	s_waitcnt lgkmcnt(0)
	s_barrier
	ds_read2_b32 v[16:17], v61 offset0:4 offset1:5
	ds_read2_b32 v[18:19], v76 offset0:2 offset1:3
	v_min_u32_e32 v29, 0xc0, v29
	v_or_b32_e32 v29, 63, v29
	s_waitcnt lgkmcnt(1)
	v_add_u32_e32 v77, v17, v16
	s_waitcnt lgkmcnt(0)
	v_add3_u32 v19, v77, v18, v19
	v_and_b32_e32 v77, 15, v20
	v_cmp_ne_u32_e32 vcc, 0, v77
	v_mov_b32_dpp v78, v19 row_shr:1 row_mask:0xf bank_mask:0xf
	v_cndmask_b32_e32 v78, 0, v78, vcc
	v_add_u32_e32 v19, v78, v19
	v_cmp_lt_u32_e32 vcc, 1, v77
	s_nop 0
	v_mov_b32_dpp v78, v19 row_shr:2 row_mask:0xf bank_mask:0xf
	v_cndmask_b32_e32 v78, 0, v78, vcc
	v_add_u32_e32 v19, v19, v78
	v_cmp_lt_u32_e32 vcc, 3, v77
	s_nop 0
	;; [unrolled: 5-line block ×3, first 2 shown]
	v_mov_b32_dpp v78, v19 row_shr:8 row_mask:0xf bank_mask:0xf
	v_cndmask_b32_e32 v77, 0, v78, vcc
	v_add_u32_e32 v19, v19, v77
	v_bfe_i32 v78, v20, 4, 1
	v_cmp_lt_u32_e32 vcc, 31, v20
	v_mov_b32_dpp v77, v19 row_bcast:15 row_mask:0xf bank_mask:0xf
	v_and_b32_e32 v77, v78, v77
	v_add_u32_e32 v19, v19, v77
	s_nop 1
	v_mov_b32_dpp v77, v19 row_bcast:31 row_mask:0xf bank_mask:0xf
	v_cndmask_b32_e32 v77, 0, v77, vcc
	v_add_u32_e32 v19, v19, v77
	v_lshrrev_b32_e32 v77, 6, v36
	v_cmp_eq_u32_e32 vcc, v29, v36
	s_and_saveexec_b64 s[16:17], vcc
	s_cbranch_execz .LBB261_79
; %bb.78:
	v_lshlrev_b32_e32 v29, 2, v77
	ds_write_b32 v29, v19
.LBB261_79:
	s_or_b64 exec, exec, s[16:17]
	v_cmp_gt_u32_e32 vcc, 4, v36
	s_waitcnt lgkmcnt(0)
	s_barrier
	s_and_saveexec_b64 s[16:17], vcc
	s_cbranch_execz .LBB261_81
; %bb.80:
	v_lshlrev_b32_e32 v29, 2, v36
	ds_read_b32 v78, v29
	v_and_b32_e32 v79, 3, v20
	v_cmp_ne_u32_e32 vcc, 0, v79
	s_waitcnt lgkmcnt(0)
	v_mov_b32_dpp v80, v78 row_shr:1 row_mask:0xf bank_mask:0xf
	v_cndmask_b32_e32 v80, 0, v80, vcc
	v_add_u32_e32 v78, v80, v78
	v_cmp_lt_u32_e32 vcc, 1, v79
	s_nop 0
	v_mov_b32_dpp v80, v78 row_shr:2 row_mask:0xf bank_mask:0xf
	v_cndmask_b32_e32 v79, 0, v80, vcc
	v_add_u32_e32 v78, v78, v79
	ds_write_b32 v29, v78
.LBB261_81:
	s_or_b64 exec, exec, s[16:17]
	v_cmp_lt_u32_e32 vcc, 63, v36
	v_mov_b32_e32 v29, 0
	s_waitcnt lgkmcnt(0)
	s_barrier
	s_and_saveexec_b64 s[16:17], vcc
	s_cbranch_execz .LBB261_83
; %bb.82:
	v_lshl_add_u32 v29, v77, 2, -4
	ds_read_b32 v29, v29
.LBB261_83:
	s_or_b64 exec, exec, s[16:17]
	v_add_u32_e32 v77, -1, v20
	v_and_b32_e32 v78, 64, v20
	v_cmp_lt_i32_e32 vcc, v77, v78
	v_cndmask_b32_e32 v77, v77, v20, vcc
	s_waitcnt lgkmcnt(0)
	v_add_u32_e32 v19, v29, v19
	v_lshlrev_b32_e32 v77, 2, v77
	ds_bpermute_b32 v19, v77, v19
	v_cmp_eq_u32_e32 vcc, 0, v20
	s_waitcnt lgkmcnt(0)
	v_cndmask_b32_e32 v19, v19, v29, vcc
	v_cmp_ne_u32_e32 vcc, 0, v36
	v_cndmask_b32_e32 v19, 0, v19, vcc
	v_add_u32_e32 v16, v19, v16
	v_add_u32_e32 v17, v16, v17
	;; [unrolled: 1-line block ×3, first 2 shown]
	ds_write2_b32 v61, v19, v16 offset0:4 offset1:5
	ds_write2_b32 v76, v17, v18 offset0:2 offset1:3
	s_waitcnt lgkmcnt(0)
	s_barrier
	ds_read_b32 v16, v30 offset:16
	ds_read_b32 v17, v33 offset:16
	;; [unrolled: 1-line block ×8, first 2 shown]
	s_waitcnt lgkmcnt(7)
	v_add_u32_e32 v31, v16, v31
	s_waitcnt lgkmcnt(6)
	v_add3_u32 v32, v38, v32, v17
	s_waitcnt lgkmcnt(5)
	v_add3_u32 v18, v42, v39, v18
	;; [unrolled: 2-line block ×7, first 2 shown]
	s_barrier
	ds_write_b8 v31, v21
	ds_write_b8 v32, v22
	;; [unrolled: 1-line block ×8, first 2 shown]
	v_lshlrev_b32_e32 v21, 3, v31
	s_waitcnt lgkmcnt(0)
	s_barrier
	ds_read_b64 v[16:17], v53
	s_waitcnt lgkmcnt(0)
	s_barrier
	ds_write_b64 v21, v[12:13]
	v_lshlrev_b32_e32 v12, 3, v32
	ds_write_b64 v12, v[14:15]
	v_lshlrev_b32_e32 v12, 3, v18
	;; [unrolled: 2-line block ×8, first 2 shown]
	s_waitcnt lgkmcnt(0)
	s_barrier
	ds_read2_b64 v[18:21], v0 offset1:1
	ds_read2_b64 v[22:25], v0 offset0:2 offset1:3
	ds_read2_b64 v[26:29], v0 offset0:4 offset1:5
	;; [unrolled: 1-line block ×3, first 2 shown]
	v_lshrrev_b32_e32 v36, 8, v16
	v_mov_b32_e32 v1, 1
	v_lshrrev_b32_e32 v38, 8, v17
	v_xor_b32_e32 v0, 1, v16
	v_xor_b32_sdwa v2, v36, v1 dst_sel:BYTE_1 dst_unused:UNUSED_PAD src0_sel:DWORD src1_sel:DWORD
	v_xor_b32_sdwa v3, v16, v1 dst_sel:DWORD dst_unused:UNUSED_PAD src0_sel:WORD_1 src1_sel:DWORD
	v_xor_b32_sdwa v4, v16, v1 dst_sel:BYTE_1 dst_unused:UNUSED_PAD src0_sel:BYTE_3 src1_sel:DWORD
	v_xor_b32_e32 v5, 1, v17
	v_xor_b32_sdwa v6, v38, v1 dst_sel:BYTE_1 dst_unused:UNUSED_PAD src0_sel:DWORD src1_sel:DWORD
	v_xor_b32_sdwa v7, v17, v1 dst_sel:DWORD dst_unused:UNUSED_PAD src0_sel:WORD_1 src1_sel:DWORD
	v_xor_b32_sdwa v1, v17, v1 dst_sel:BYTE_1 dst_unused:UNUSED_PAD src0_sel:BYTE_3 src1_sel:DWORD
	v_or_b32_sdwa v0, v0, v2 dst_sel:DWORD dst_unused:UNUSED_PAD src0_sel:BYTE_0 src1_sel:DWORD
	v_or_b32_sdwa v2, v3, v4 dst_sel:WORD_1 dst_unused:UNUSED_PAD src0_sel:BYTE_0 src1_sel:DWORD
	v_or_b32_sdwa v0, v0, v2 dst_sel:DWORD dst_unused:UNUSED_PAD src0_sel:WORD_0 src1_sel:DWORD
	v_or_b32_sdwa v2, v5, v6 dst_sel:DWORD dst_unused:UNUSED_PAD src0_sel:BYTE_0 src1_sel:DWORD
	v_or_b32_sdwa v1, v7, v1 dst_sel:WORD_1 dst_unused:UNUSED_PAD src0_sel:BYTE_0 src1_sel:DWORD
	v_or_b32_sdwa v1, v2, v1 dst_sel:DWORD dst_unused:UNUSED_PAD src0_sel:WORD_0 src1_sel:DWORD
.LBB261_84:
	s_waitcnt lgkmcnt(0)
	s_barrier
	ds_write_b64 v52, v[0:1]
	s_waitcnt lgkmcnt(0)
	s_barrier
	ds_read_u8 v8, v45 offset:256
	ds_read_u8 v7, v46 offset:512
	ds_read_u8 v6, v47 offset:768
	ds_read_u8 v5, v48 offset:1024
	ds_read_u8 v4, v49 offset:1280
	ds_read_u8 v3, v50 offset:1536
	ds_read_u8 v2, v51 offset:1792
	v_mov_b32_e32 v1, s41
	v_add_co_u32_e32 v0, vcc, s40, v37
	v_addc_co_u32_e32 v1, vcc, 0, v1, vcc
	s_and_saveexec_b64 s[16:17], s[0:1]
	s_cbranch_execnz .LBB261_103
; %bb.85:
	s_or_b64 exec, exec, s[16:17]
	s_and_saveexec_b64 s[16:17], s[2:3]
	s_cbranch_execnz .LBB261_104
.LBB261_86:
	s_or_b64 exec, exec, s[16:17]
	s_and_saveexec_b64 s[16:17], s[4:5]
	s_cbranch_execnz .LBB261_105
.LBB261_87:
	s_or_b64 exec, exec, s[16:17]
	s_and_saveexec_b64 s[16:17], s[6:7]
	s_cbranch_execnz .LBB261_106
.LBB261_88:
	s_or_b64 exec, exec, s[16:17]
	s_and_saveexec_b64 s[16:17], s[8:9]
	s_cbranch_execnz .LBB261_107
.LBB261_89:
	s_or_b64 exec, exec, s[16:17]
	s_and_saveexec_b64 s[16:17], s[10:11]
	s_cbranch_execnz .LBB261_108
.LBB261_90:
	s_or_b64 exec, exec, s[16:17]
	s_and_saveexec_b64 s[16:17], s[12:13]
	s_cbranch_execnz .LBB261_109
.LBB261_91:
	s_or_b64 exec, exec, s[16:17]
	s_and_saveexec_b64 s[16:17], s[14:15]
	s_cbranch_execz .LBB261_93
.LBB261_92:
	s_mul_i32 s18, s38, 0x700
	v_add_co_u32_e32 v0, vcc, s18, v0
	v_addc_co_u32_e32 v1, vcc, 0, v1, vcc
	s_waitcnt lgkmcnt(0)
	global_store_byte v[0:1], v2, off
.LBB261_93:
	s_or_b64 exec, exec, s[16:17]
	s_waitcnt lgkmcnt(0)
	s_barrier
	ds_write2_b64 v60, v[18:19], v[20:21] offset1:1
	ds_write2_b64 v60, v[22:23], v[24:25] offset0:2 offset1:3
	ds_write2_b64 v60, v[26:27], v[28:29] offset0:4 offset1:5
	;; [unrolled: 1-line block ×3, first 2 shown]
	s_waitcnt lgkmcnt(0)
	s_barrier
	ds_read_b64 v[14:15], v35 offset:2048
	ds_read_b64 v[12:13], v54 offset:4096
	;; [unrolled: 1-line block ×7, first 2 shown]
	v_mov_b32_e32 v35, 0
	v_lshlrev_b64 v[2:3], 3, v[34:35]
	v_mov_b32_e32 v16, s35
	v_add_co_u32_e32 v2, vcc, s33, v2
	v_addc_co_u32_e32 v3, vcc, v16, v3, vcc
	s_and_saveexec_b64 s[16:17], s[0:1]
	s_cbranch_execnz .LBB261_110
; %bb.94:
	s_or_b64 exec, exec, s[16:17]
	s_and_saveexec_b64 s[0:1], s[2:3]
	s_cbranch_execnz .LBB261_111
.LBB261_95:
	s_or_b64 exec, exec, s[0:1]
	s_and_saveexec_b64 s[0:1], s[4:5]
	s_cbranch_execnz .LBB261_112
.LBB261_96:
	s_or_b64 exec, exec, s[0:1]
	s_and_saveexec_b64 s[0:1], s[6:7]
	s_cbranch_execnz .LBB261_113
.LBB261_97:
	s_or_b64 exec, exec, s[0:1]
	s_and_saveexec_b64 s[0:1], s[8:9]
	s_cbranch_execnz .LBB261_114
.LBB261_98:
	s_or_b64 exec, exec, s[0:1]
	s_and_saveexec_b64 s[0:1], s[10:11]
	s_cbranch_execnz .LBB261_115
.LBB261_99:
	s_or_b64 exec, exec, s[0:1]
	s_and_saveexec_b64 s[0:1], s[12:13]
	s_cbranch_execnz .LBB261_116
.LBB261_100:
	s_or_b64 exec, exec, s[0:1]
	s_and_saveexec_b64 s[0:1], s[14:15]
	s_cbranch_execz .LBB261_102
.LBB261_101:
	s_mul_i32 s0, s34, 0x700
	s_mov_b32 s1, 0
	s_lshl_b64 s[0:1], s[0:1], 3
	s_waitcnt lgkmcnt(1)
	v_mov_b32_e32 v4, s1
	v_add_co_u32_e32 v2, vcc, s0, v2
	v_addc_co_u32_e32 v3, vcc, v3, v4, vcc
	s_waitcnt lgkmcnt(0)
	global_store_dwordx2 v[2:3], v[0:1], off
.LBB261_102:
	s_endpgm
.LBB261_103:
	ds_read_u8 v9, v44
	s_waitcnt lgkmcnt(0)
	global_store_byte v[0:1], v9, off
	s_or_b64 exec, exec, s[16:17]
	s_and_saveexec_b64 s[16:17], s[2:3]
	s_cbranch_execz .LBB261_86
.LBB261_104:
	s_lshl_b32 s18, s38, 8
	v_add_co_u32_e32 v10, vcc, s18, v0
	v_addc_co_u32_e32 v11, vcc, 0, v1, vcc
	s_waitcnt lgkmcnt(6)
	global_store_byte v[10:11], v8, off
	s_or_b64 exec, exec, s[16:17]
	s_and_saveexec_b64 s[16:17], s[4:5]
	s_cbranch_execz .LBB261_87
.LBB261_105:
	s_lshl_b32 s18, s38, 9
	s_waitcnt lgkmcnt(6)
	v_add_co_u32_e32 v8, vcc, s18, v0
	v_addc_co_u32_e32 v9, vcc, 0, v1, vcc
	s_waitcnt lgkmcnt(5)
	global_store_byte v[8:9], v7, off
	s_or_b64 exec, exec, s[16:17]
	s_and_saveexec_b64 s[16:17], s[6:7]
	s_cbranch_execz .LBB261_88
.LBB261_106:
	s_mul_i32 s18, s38, 0x300
	s_waitcnt lgkmcnt(6)
	v_add_co_u32_e32 v8, vcc, s18, v0
	v_addc_co_u32_e32 v9, vcc, 0, v1, vcc
	s_waitcnt lgkmcnt(4)
	global_store_byte v[8:9], v6, off
	s_or_b64 exec, exec, s[16:17]
	s_and_saveexec_b64 s[16:17], s[8:9]
	s_cbranch_execz .LBB261_89
.LBB261_107:
	s_lshl_b32 s18, s38, 10
	s_waitcnt lgkmcnt(4)
	v_add_co_u32_e32 v6, vcc, s18, v0
	v_addc_co_u32_e32 v7, vcc, 0, v1, vcc
	s_waitcnt lgkmcnt(3)
	global_store_byte v[6:7], v5, off
	s_or_b64 exec, exec, s[16:17]
	s_and_saveexec_b64 s[16:17], s[10:11]
	s_cbranch_execz .LBB261_90
.LBB261_108:
	s_mul_i32 s18, s38, 0x500
	s_waitcnt lgkmcnt(4)
	v_add_co_u32_e32 v6, vcc, s18, v0
	v_addc_co_u32_e32 v7, vcc, 0, v1, vcc
	s_waitcnt lgkmcnt(2)
	global_store_byte v[6:7], v4, off
	s_or_b64 exec, exec, s[16:17]
	s_and_saveexec_b64 s[16:17], s[12:13]
	s_cbranch_execz .LBB261_91
.LBB261_109:
	s_mul_i32 s18, s38, 0x600
	s_waitcnt lgkmcnt(2)
	v_add_co_u32_e32 v4, vcc, s18, v0
	v_addc_co_u32_e32 v5, vcc, 0, v1, vcc
	s_waitcnt lgkmcnt(1)
	global_store_byte v[4:5], v3, off
	s_or_b64 exec, exec, s[16:17]
	s_and_saveexec_b64 s[16:17], s[14:15]
	s_cbranch_execnz .LBB261_92
	s_branch .LBB261_93
.LBB261_110:
	ds_read_b64 v[16:17], v41
	s_waitcnt lgkmcnt(0)
	global_store_dwordx2 v[2:3], v[16:17], off
	s_or_b64 exec, exec, s[16:17]
	s_and_saveexec_b64 s[0:1], s[2:3]
	s_cbranch_execz .LBB261_95
.LBB261_111:
	s_lshl_b32 s2, s34, 8
	s_mov_b32 s3, 0
	s_lshl_b64 s[2:3], s[2:3], 3
	v_mov_b32_e32 v17, s3
	v_add_co_u32_e32 v16, vcc, s2, v2
	v_addc_co_u32_e32 v17, vcc, v3, v17, vcc
	s_waitcnt lgkmcnt(6)
	global_store_dwordx2 v[16:17], v[14:15], off
	s_or_b64 exec, exec, s[0:1]
	s_and_saveexec_b64 s[0:1], s[4:5]
	s_cbranch_execz .LBB261_96
.LBB261_112:
	s_lshl_b32 s2, s34, 9
	s_mov_b32 s3, 0
	s_lshl_b64 s[2:3], s[2:3], 3
	s_waitcnt lgkmcnt(6)
	v_mov_b32_e32 v15, s3
	v_add_co_u32_e32 v14, vcc, s2, v2
	v_addc_co_u32_e32 v15, vcc, v3, v15, vcc
	s_waitcnt lgkmcnt(5)
	global_store_dwordx2 v[14:15], v[12:13], off
	s_or_b64 exec, exec, s[0:1]
	s_and_saveexec_b64 s[0:1], s[6:7]
	s_cbranch_execz .LBB261_97
.LBB261_113:
	s_mul_i32 s2, s34, 0x300
	s_mov_b32 s3, 0
	s_lshl_b64 s[2:3], s[2:3], 3
	s_waitcnt lgkmcnt(5)
	v_mov_b32_e32 v13, s3
	v_add_co_u32_e32 v12, vcc, s2, v2
	v_addc_co_u32_e32 v13, vcc, v3, v13, vcc
	s_waitcnt lgkmcnt(4)
	global_store_dwordx2 v[12:13], v[10:11], off
	s_or_b64 exec, exec, s[0:1]
	s_and_saveexec_b64 s[0:1], s[8:9]
	s_cbranch_execz .LBB261_98
.LBB261_114:
	s_lshl_b32 s2, s34, 10
	s_mov_b32 s3, 0
	s_lshl_b64 s[2:3], s[2:3], 3
	s_waitcnt lgkmcnt(4)
	v_mov_b32_e32 v11, s3
	v_add_co_u32_e32 v10, vcc, s2, v2
	v_addc_co_u32_e32 v11, vcc, v3, v11, vcc
	s_waitcnt lgkmcnt(3)
	global_store_dwordx2 v[10:11], v[8:9], off
	s_or_b64 exec, exec, s[0:1]
	s_and_saveexec_b64 s[0:1], s[10:11]
	s_cbranch_execz .LBB261_99
.LBB261_115:
	s_mul_i32 s2, s34, 0x500
	s_mov_b32 s3, 0
	s_lshl_b64 s[2:3], s[2:3], 3
	s_waitcnt lgkmcnt(3)
	v_mov_b32_e32 v9, s3
	v_add_co_u32_e32 v8, vcc, s2, v2
	v_addc_co_u32_e32 v9, vcc, v3, v9, vcc
	s_waitcnt lgkmcnt(2)
	global_store_dwordx2 v[8:9], v[6:7], off
	s_or_b64 exec, exec, s[0:1]
	s_and_saveexec_b64 s[0:1], s[12:13]
	s_cbranch_execz .LBB261_100
.LBB261_116:
	s_mul_i32 s2, s34, 0x600
	s_mov_b32 s3, 0
	s_lshl_b64 s[2:3], s[2:3], 3
	s_waitcnt lgkmcnt(2)
	v_mov_b32_e32 v7, s3
	v_add_co_u32_e32 v6, vcc, s2, v2
	v_addc_co_u32_e32 v7, vcc, v3, v7, vcc
	s_waitcnt lgkmcnt(1)
	global_store_dwordx2 v[6:7], v[4:5], off
	s_or_b64 exec, exec, s[0:1]
	s_and_saveexec_b64 s[0:1], s[14:15]
	s_cbranch_execnz .LBB261_101
	s_branch .LBB261_102
	.section	.rodata,"a",@progbits
	.p2align	6, 0x0
	.amdhsa_kernel _ZN2at6native18radixSortKVInPlaceILin2ELin1ELi256ELi8EbljEEvNS_4cuda6detail10TensorInfoIT3_T5_EES6_S6_S6_NS4_IT4_S6_EES6_b
		.amdhsa_group_segment_fixed_size 16896
		.amdhsa_private_segment_fixed_size 0
		.amdhsa_kernarg_size 712
		.amdhsa_user_sgpr_count 6
		.amdhsa_user_sgpr_private_segment_buffer 1
		.amdhsa_user_sgpr_dispatch_ptr 0
		.amdhsa_user_sgpr_queue_ptr 0
		.amdhsa_user_sgpr_kernarg_segment_ptr 1
		.amdhsa_user_sgpr_dispatch_id 0
		.amdhsa_user_sgpr_flat_scratch_init 0
		.amdhsa_user_sgpr_kernarg_preload_length 0
		.amdhsa_user_sgpr_kernarg_preload_offset 0
		.amdhsa_user_sgpr_private_segment_size 0
		.amdhsa_uses_dynamic_stack 0
		.amdhsa_system_sgpr_private_segment_wavefront_offset 0
		.amdhsa_system_sgpr_workgroup_id_x 1
		.amdhsa_system_sgpr_workgroup_id_y 1
		.amdhsa_system_sgpr_workgroup_id_z 1
		.amdhsa_system_sgpr_workgroup_info 0
		.amdhsa_system_vgpr_workitem_id 2
		.amdhsa_next_free_vgpr 105
		.amdhsa_next_free_sgpr 46
		.amdhsa_accum_offset 108
		.amdhsa_reserve_vcc 1
		.amdhsa_reserve_flat_scratch 0
		.amdhsa_float_round_mode_32 0
		.amdhsa_float_round_mode_16_64 0
		.amdhsa_float_denorm_mode_32 3
		.amdhsa_float_denorm_mode_16_64 3
		.amdhsa_dx10_clamp 1
		.amdhsa_ieee_mode 1
		.amdhsa_fp16_overflow 0
		.amdhsa_tg_split 0
		.amdhsa_exception_fp_ieee_invalid_op 0
		.amdhsa_exception_fp_denorm_src 0
		.amdhsa_exception_fp_ieee_div_zero 0
		.amdhsa_exception_fp_ieee_overflow 0
		.amdhsa_exception_fp_ieee_underflow 0
		.amdhsa_exception_fp_ieee_inexact 0
		.amdhsa_exception_int_div_zero 0
	.end_amdhsa_kernel
	.section	.text._ZN2at6native18radixSortKVInPlaceILin2ELin1ELi256ELi8EbljEEvNS_4cuda6detail10TensorInfoIT3_T5_EES6_S6_S6_NS4_IT4_S6_EES6_b,"axG",@progbits,_ZN2at6native18radixSortKVInPlaceILin2ELin1ELi256ELi8EbljEEvNS_4cuda6detail10TensorInfoIT3_T5_EES6_S6_S6_NS4_IT4_S6_EES6_b,comdat
.Lfunc_end261:
	.size	_ZN2at6native18radixSortKVInPlaceILin2ELin1ELi256ELi8EbljEEvNS_4cuda6detail10TensorInfoIT3_T5_EES6_S6_S6_NS4_IT4_S6_EES6_b, .Lfunc_end261-_ZN2at6native18radixSortKVInPlaceILin2ELin1ELi256ELi8EbljEEvNS_4cuda6detail10TensorInfoIT3_T5_EES6_S6_S6_NS4_IT4_S6_EES6_b
                                        ; -- End function
	.section	.AMDGPU.csdata,"",@progbits
; Kernel info:
; codeLenInByte = 8340
; NumSgprs: 50
; NumVgprs: 105
; NumAgprs: 0
; TotalNumVgprs: 105
; ScratchSize: 0
; MemoryBound: 0
; FloatMode: 240
; IeeeMode: 1
; LDSByteSize: 16896 bytes/workgroup (compile time only)
; SGPRBlocks: 6
; VGPRBlocks: 13
; NumSGPRsForWavesPerEU: 50
; NumVGPRsForWavesPerEU: 105
; AccumOffset: 108
; Occupancy: 3
; WaveLimiterHint : 1
; COMPUTE_PGM_RSRC2:SCRATCH_EN: 0
; COMPUTE_PGM_RSRC2:USER_SGPR: 6
; COMPUTE_PGM_RSRC2:TRAP_HANDLER: 0
; COMPUTE_PGM_RSRC2:TGID_X_EN: 1
; COMPUTE_PGM_RSRC2:TGID_Y_EN: 1
; COMPUTE_PGM_RSRC2:TGID_Z_EN: 1
; COMPUTE_PGM_RSRC2:TIDIG_COMP_CNT: 2
; COMPUTE_PGM_RSRC3_GFX90A:ACCUM_OFFSET: 26
; COMPUTE_PGM_RSRC3_GFX90A:TG_SPLIT: 0
	.section	.text._ZN2at6native18radixSortKVInPlaceILin2ELin1ELi128ELi8EbljEEvNS_4cuda6detail10TensorInfoIT3_T5_EES6_S6_S6_NS4_IT4_S6_EES6_b,"axG",@progbits,_ZN2at6native18radixSortKVInPlaceILin2ELin1ELi128ELi8EbljEEvNS_4cuda6detail10TensorInfoIT3_T5_EES6_S6_S6_NS4_IT4_S6_EES6_b,comdat
	.protected	_ZN2at6native18radixSortKVInPlaceILin2ELin1ELi128ELi8EbljEEvNS_4cuda6detail10TensorInfoIT3_T5_EES6_S6_S6_NS4_IT4_S6_EES6_b ; -- Begin function _ZN2at6native18radixSortKVInPlaceILin2ELin1ELi128ELi8EbljEEvNS_4cuda6detail10TensorInfoIT3_T5_EES6_S6_S6_NS4_IT4_S6_EES6_b
	.globl	_ZN2at6native18radixSortKVInPlaceILin2ELin1ELi128ELi8EbljEEvNS_4cuda6detail10TensorInfoIT3_T5_EES6_S6_S6_NS4_IT4_S6_EES6_b
	.p2align	8
	.type	_ZN2at6native18radixSortKVInPlaceILin2ELin1ELi128ELi8EbljEEvNS_4cuda6detail10TensorInfoIT3_T5_EES6_S6_S6_NS4_IT4_S6_EES6_b,@function
_ZN2at6native18radixSortKVInPlaceILin2ELin1ELi128ELi8EbljEEvNS_4cuda6detail10TensorInfoIT3_T5_EES6_S6_S6_NS4_IT4_S6_EES6_b: ; @_ZN2at6native18radixSortKVInPlaceILin2ELin1ELi128ELi8EbljEEvNS_4cuda6detail10TensorInfoIT3_T5_EES6_S6_S6_NS4_IT4_S6_EES6_b
; %bb.0:
	s_load_dwordx2 s[0:1], s[4:5], 0x1c8
	s_load_dwordx4 s[36:39], s[4:5], 0xd8
	s_add_u32 s42, s4, 0x1c8
	s_addc_u32 s43, s5, 0
	s_waitcnt lgkmcnt(0)
	s_mul_i32 s1, s1, s8
	s_add_i32 s1, s1, s7
	s_mul_i32 s0, s1, s0
	s_add_i32 s6, s0, s6
	s_cmp_ge_u32 s6, s36
	s_cbranch_scc1 .LBB262_102
; %bb.1:
	s_load_dword s2, s[4:5], 0x1b8
	s_load_dwordx2 s[0:1], s[4:5], 0x0
	s_add_u32 s14, s4, 0xe8
	s_addc_u32 s15, s5, 0
	s_mov_b32 s17, 0
	s_waitcnt lgkmcnt(0)
	s_cmp_lt_i32 s2, 2
	s_mov_b32 s16, s6
	s_cbranch_scc1 .LBB262_4
; %bb.2:
	s_add_i32 s16, s2, -1
	s_add_i32 s7, s2, 1
	s_lshl_b64 s[2:3], s[16:17], 2
	s_add_u32 s2, s2, s14
	s_addc_u32 s3, s3, s15
	s_add_u32 s2, s2, 8
	s_addc_u32 s3, s3, 0
	s_mov_b32 s16, s6
.LBB262_3:                              ; =>This Inner Loop Header: Depth=1
	s_load_dword s8, s[2:3], 0x0
	s_load_dword s10, s[2:3], 0x64
	s_mov_b32 s9, s16
	s_waitcnt lgkmcnt(0)
	v_cvt_f32_u32_e32 v1, s8
	s_sub_i32 s11, 0, s8
	v_rcp_iflag_f32_e32 v1, v1
	v_mul_f32_e32 v1, 0x4f7ffffe, v1
	v_cvt_u32_f32_e32 v1, v1
	v_readfirstlane_b32 s12, v1
	s_mul_i32 s11, s11, s12
	s_mul_hi_u32 s11, s12, s11
	s_add_i32 s12, s12, s11
	s_mul_hi_u32 s11, s16, s12
	s_mul_i32 s12, s11, s8
	s_sub_i32 s12, s16, s12
	s_add_i32 s13, s11, 1
	s_sub_i32 s16, s12, s8
	s_cmp_ge_u32 s12, s8
	s_cselect_b32 s11, s13, s11
	s_cselect_b32 s12, s16, s12
	s_add_i32 s13, s11, 1
	s_cmp_ge_u32 s12, s8
	s_cselect_b32 s16, s13, s11
	s_mul_i32 s8, s16, s8
	s_sub_i32 s8, s9, s8
	s_mul_i32 s8, s10, s8
	s_add_i32 s7, s7, -1
	s_add_i32 s17, s8, s17
	s_add_u32 s2, s2, -4
	s_addc_u32 s3, s3, -1
	s_cmp_gt_u32 s7, 2
	s_cbranch_scc1 .LBB262_3
.LBB262_4:
	s_load_dword s2, s[4:5], 0x6c
	s_load_dwordx2 s[34:35], s[4:5], 0x1c0
	v_and_b32_e32 v36, 0x3ff, v0
	v_mul_lo_u32 v37, v36, s38
	s_waitcnt lgkmcnt(0)
	s_mul_i32 s4, s2, s6
	s_bitcmp1_b32 s35, 0
	s_cselect_b64 s[2:3], -1, 0
	s_add_u32 s40, s0, s4
	s_addc_u32 s41, s1, 0
	s_xor_b64 s[44:45], s[2:3], -1
	v_cndmask_b32_e64 v1, 0, 1, s[44:45]
	v_lshlrev_b16_e32 v2, 8, v1
	v_or_b32_e32 v2, v1, v2
	v_lshlrev_b32_e32 v3, 16, v2
	v_or_b32_sdwa v2, v2, v3 dst_sel:DWORD dst_unused:UNUSED_PAD src0_sel:WORD_0 src1_sel:DWORD
	v_mov_b32_e32 v3, v2
	v_cmp_gt_u32_e64 s[0:1], s37, v36
	s_and_saveexec_b64 s[2:3], s[0:1]
	s_cbranch_execz .LBB262_6
; %bb.5:
	global_load_ubyte v1, v37, s[40:41]
	s_mov_b32 s4, 0x3020104
	v_mov_b32_e32 v5, v2
	s_waitcnt vmcnt(0)
	v_perm_b32 v4, v1, v2, s4
	v_pk_mov_b32 v[2:3], v[4:5], v[4:5] op_sel:[0,1]
.LBB262_6:
	s_or_b64 exec, exec, s[2:3]
	v_add_u32_e32 v32, 0x80, v36
	v_cmp_gt_u32_e64 s[2:3], s37, v32
	s_and_saveexec_b64 s[4:5], s[2:3]
	s_cbranch_execz .LBB262_8
; %bb.7:
	v_mul_lo_u32 v4, v32, s38
	global_load_ubyte v4, v4, s[40:41]
	s_mov_b32 s6, 0x7060004
	s_waitcnt vmcnt(0)
	v_perm_b32 v2, v2, v4, s6
.LBB262_8:
	s_or_b64 exec, exec, s[4:5]
	v_add_u32_e32 v31, 0x100, v36
	v_cmp_gt_u32_e64 s[4:5], s37, v31
	s_and_saveexec_b64 s[6:7], s[4:5]
	s_cbranch_execz .LBB262_10
; %bb.9:
	v_mul_lo_u32 v4, v31, s38
	global_load_ubyte v4, v4, s[40:41]
	s_movk_i32 s8, 0xff00
	v_and_b32_sdwa v5, v2, s8 dst_sel:DWORD dst_unused:UNUSED_PAD src0_sel:WORD_1 src1_sel:DWORD
	s_mov_b32 s8, 0xffff
	s_waitcnt vmcnt(0)
	v_or_b32_sdwa v4, v4, v5 dst_sel:WORD_1 dst_unused:UNUSED_PAD src0_sel:DWORD src1_sel:DWORD
	v_and_or_b32 v2, v2, s8, v4
.LBB262_10:
	s_or_b64 exec, exec, s[6:7]
	v_add_u32_e32 v30, 0x180, v36
	v_cmp_gt_u32_e64 s[6:7], s37, v30
	s_and_saveexec_b64 s[8:9], s[6:7]
	s_cbranch_execz .LBB262_12
; %bb.11:
	v_mul_lo_u32 v4, v30, s38
	global_load_ubyte v4, v4, s[40:41]
	s_movk_i32 s10, 0xff
	v_and_b32_sdwa v5, v2, s10 dst_sel:DWORD dst_unused:UNUSED_PAD src0_sel:WORD_1 src1_sel:DWORD
	s_mov_b32 s10, 0xffff
	s_waitcnt vmcnt(0)
	v_lshlrev_b16_e32 v4, 8, v4
	v_or_b32_sdwa v4, v5, v4 dst_sel:WORD_1 dst_unused:UNUSED_PAD src0_sel:DWORD src1_sel:DWORD
	v_and_or_b32 v2, v2, s10, v4
.LBB262_12:
	s_or_b64 exec, exec, s[8:9]
	v_add_u32_e32 v29, 0x200, v36
	v_cmp_gt_u32_e64 s[8:9], s37, v29
	s_and_saveexec_b64 s[10:11], s[8:9]
	s_cbranch_execz .LBB262_14
; %bb.13:
	v_mul_lo_u32 v4, v29, s38
	global_load_ubyte v4, v4, s[40:41]
	s_mov_b32 s12, 0x3020104
	s_waitcnt vmcnt(0)
	v_perm_b32 v3, v4, v3, s12
.LBB262_14:
	s_or_b64 exec, exec, s[10:11]
	v_add_u32_e32 v28, 0x280, v36
	v_cmp_gt_u32_e64 s[10:11], s37, v28
	s_and_saveexec_b64 s[12:13], s[10:11]
	s_cbranch_execz .LBB262_16
; %bb.15:
	v_mul_lo_u32 v4, v28, s38
	global_load_ubyte v4, v4, s[40:41]
	s_mov_b32 s18, 0x7060004
	s_waitcnt vmcnt(0)
	v_perm_b32 v3, v3, v4, s18
.LBB262_16:
	s_or_b64 exec, exec, s[12:13]
	s_load_dwordx2 s[18:19], s[14:15], 0x0
	v_add_u32_e32 v27, 0x300, v36
	v_cmp_gt_u32_e64 s[12:13], s37, v27
	s_and_saveexec_b64 s[20:21], s[12:13]
	s_cbranch_execz .LBB262_18
; %bb.17:
	v_mul_lo_u32 v4, v27, s38
	global_load_ubyte v4, v4, s[40:41]
	s_mov_b32 s22, 0x7000504
	s_waitcnt vmcnt(0)
	v_perm_b32 v3, v3, v4, s22
.LBB262_18:
	s_or_b64 exec, exec, s[20:21]
	s_load_dword s22, s[14:15], 0x6c
	v_add_u32_e32 v22, 0x380, v36
	v_cmp_gt_u32_e64 s[14:15], s37, v22
	s_and_saveexec_b64 s[20:21], s[14:15]
	s_cbranch_execz .LBB262_20
; %bb.19:
	v_mul_lo_u32 v4, v22, s38
	global_load_ubyte v4, v4, s[40:41]
	s_mov_b32 s23, 0x60504
	s_waitcnt vmcnt(0)
	v_perm_b32 v3, v3, v4, s23
.LBB262_20:
	s_or_b64 exec, exec, s[20:21]
	v_lshrrev_b32_e32 v26, 5, v36
	v_and_b32_e32 v4, 28, v26
	v_add_u32_e32 v44, v4, v36
	v_lshrrev_b32_e32 v25, 5, v32
	ds_write_b8 v44, v1
	v_and_b32_e32 v1, 60, v25
	v_lshrrev_b32_e32 v24, 5, v31
	v_add_u32_e32 v45, v1, v36
	v_and_b32_e32 v1, 60, v24
	v_lshrrev_b32_e32 v23, 5, v30
	v_add_u32_e32 v46, v1, v36
	;; [unrolled: 3-line block ×3, first 2 shown]
	v_and_b32_e32 v1, 60, v21
	v_lshrrev_b32_e32 v19, 5, v28
	v_lshrrev_b32_e32 v4, 8, v2
	v_add_u32_e32 v48, v1, v36
	v_and_b32_e32 v1, 60, v19
	v_lshrrev_b32_e32 v18, 5, v27
	ds_write_b8 v45, v4 offset:128
	ds_write_b8_d16_hi v46, v2 offset:256
	v_lshrrev_b32_e32 v2, 24, v2
	v_add_u32_e32 v49, v1, v36
	v_and_b32_e32 v1, 60, v18
	ds_write_b8 v47, v2 offset:384
	v_lshrrev_b32_e32 v2, 8, v3
	v_add_u32_e32 v50, v1, v36
	v_lshrrev_b32_e32 v1, 5, v22
	ds_write_b8 v48, v3 offset:512
	ds_write_b8 v49, v2 offset:640
	v_and_b32_e32 v2, 60, v1
	v_lshrrev_b32_e32 v20, 2, v36
	v_add_u32_e32 v51, v2, v36
	v_lshlrev_b32_e32 v53, 3, v36
	v_and_b32_e32 v2, 0xfc, v20
	s_waitcnt lgkmcnt(0)
	s_mul_i32 s16, s22, s16
	ds_write_b8_d16_hi v50, v3 offset:768
	v_lshrrev_b32_e32 v3, 24, v3
	v_add_u32_e32 v52, v2, v53
	s_add_i32 s16, s16, s17
	s_mov_b32 s17, 0
	ds_write_b8 v51, v3 offset:896
	s_waitcnt lgkmcnt(0)
	s_barrier
	ds_read_b64 v[38:39], v52
	s_lshl_b64 s[20:21], s[16:17], 3
	s_add_u32 s33, s18, s20
	s_mov_b32 s16, s17
	s_addc_u32 s35, s19, s21
	s_mov_b32 s18, s17
	s_mov_b32 s19, s17
	;; [unrolled: 1-line block ×14, first 2 shown]
	v_pk_mov_b32 v[2:3], s[16:17], s[16:17] op_sel:[0,1]
	v_pk_mov_b32 v[4:5], s[18:19], s[18:19] op_sel:[0,1]
	;; [unrolled: 1-line block ×8, first 2 shown]
	v_pk_mov_b32 v[2:3], 0, 0
	v_mul_lo_u32 v34, v36, s34
	s_waitcnt lgkmcnt(0)
	s_barrier
	s_and_saveexec_b64 s[16:17], s[0:1]
	s_cbranch_execnz .LBB262_53
; %bb.21:
	s_or_b64 exec, exec, s[16:17]
	s_and_saveexec_b64 s[16:17], s[2:3]
	s_cbranch_execnz .LBB262_54
.LBB262_22:
	s_or_b64 exec, exec, s[16:17]
	s_and_saveexec_b64 s[16:17], s[4:5]
	s_cbranch_execnz .LBB262_55
.LBB262_23:
	s_or_b64 exec, exec, s[16:17]
	s_and_saveexec_b64 s[16:17], s[6:7]
	s_cbranch_execnz .LBB262_56
.LBB262_24:
	s_or_b64 exec, exec, s[16:17]
	s_and_saveexec_b64 s[16:17], s[8:9]
	s_cbranch_execnz .LBB262_57
.LBB262_25:
	s_or_b64 exec, exec, s[16:17]
	s_and_saveexec_b64 s[16:17], s[10:11]
	s_cbranch_execnz .LBB262_58
.LBB262_26:
	s_or_b64 exec, exec, s[16:17]
	s_and_saveexec_b64 s[16:17], s[12:13]
	s_cbranch_execnz .LBB262_59
.LBB262_27:
	s_or_b64 exec, exec, s[16:17]
	s_and_saveexec_b64 s[16:17], s[14:15]
	s_cbranch_execz .LBB262_29
.LBB262_28:
	v_mul_lo_u32 v16, v22, s34
	v_mov_b32_e32 v17, 0
	v_lshlrev_b64 v[16:17], 3, v[16:17]
	v_mov_b32_e32 v22, s35
	v_add_co_u32_e32 v16, vcc, s33, v16
	v_addc_co_u32_e32 v17, vcc, v22, v17, vcc
	global_load_dwordx2 v[16:17], v[16:17], off
.LBB262_29:
	s_or_b64 exec, exec, s[16:17]
	v_lshrrev_b64 v[40:41], 24, v[38:39]
	v_add_lshl_u32 v41, v26, v36, 3
	v_add_lshl_u32 v35, v25, v36, 3
	;; [unrolled: 1-line block ×9, first 2 shown]
	s_waitcnt vmcnt(0)
	ds_write_b64 v41, v[2:3]
	ds_write_b64 v35, v[4:5] offset:1024
	ds_write_b64 v54, v[6:7] offset:2048
	;; [unrolled: 1-line block ×7, first 2 shown]
	s_waitcnt lgkmcnt(0)
	s_barrier
	ds_read2_b64 v[14:17], v60 offset1:1
	ds_read2_b64 v[10:13], v60 offset0:2 offset1:3
	ds_read2_b64 v[6:9], v60 offset0:4 offset1:5
	;; [unrolled: 1-line block ×3, first 2 shown]
	v_lshrrev_b32_e32 v64, 8, v38
	v_lshrrev_b32_e32 v65, 8, v39
	s_and_b64 vcc, exec, s[44:45]
	v_bfe_u32 v62, v0, 10, 10
	v_bfe_u32 v63, v0, 20, 10
	v_mbcnt_lo_u32_b32 v66, -1, 0
	v_lshlrev_b32_e32 v61, 4, v36
	s_waitcnt lgkmcnt(0)
	s_barrier
	s_cbranch_vccz .LBB262_60
; %bb.30:
	s_movk_i32 s16, 0xff
	v_mov_b32_e32 v1, 8
	v_lshlrev_b16_e32 v0, 8, v65
	v_lshlrev_b16_sdwa v1, v1, v39 dst_sel:DWORD dst_unused:UNUSED_PAD src0_sel:DWORD src1_sel:BYTE_3
	v_and_b32_sdwa v20, v39, s16 dst_sel:DWORD dst_unused:UNUSED_PAD src0_sel:WORD_1 src1_sel:DWORD
	v_or_b32_sdwa v0, v39, v0 dst_sel:DWORD dst_unused:UNUSED_PAD src0_sel:BYTE_0 src1_sel:DWORD
	v_or_b32_sdwa v1, v20, v1 dst_sel:WORD_1 dst_unused:UNUSED_PAD src0_sel:DWORD src1_sel:DWORD
	v_mbcnt_hi_u32_b32 v75, -1, v66
	v_and_b32_e32 v76, 0x3c0, v36
	v_or_b32_sdwa v1, v0, v1 dst_sel:DWORD dst_unused:UNUSED_PAD src0_sel:WORD_0 src1_sel:DWORD
	v_lshlrev_b16_e32 v0, 8, v64
	v_lshlrev_b16_e32 v20, 8, v40
	v_and_b32_sdwa v21, v38, s16 dst_sel:DWORD dst_unused:UNUSED_PAD src0_sel:WORD_1 src1_sel:DWORD
	v_add_u32_e32 v18, v75, v76
	v_or_b32_sdwa v0, v38, v0 dst_sel:DWORD dst_unused:UNUSED_PAD src0_sel:BYTE_0 src1_sel:DWORD
	v_or_b32_sdwa v20, v21, v20 dst_sel:WORD_1 dst_unused:UNUSED_PAD src0_sel:DWORD src1_sel:DWORD
	v_lshlrev_b32_e32 v19, 3, v18
	v_or_b32_sdwa v0, v0, v20 dst_sel:DWORD dst_unused:UNUSED_PAD src0_sel:WORD_0 src1_sel:DWORD
	s_movk_i32 s16, 0x1e00
	ds_write_b64 v19, v[0:1]
	v_and_or_b32 v0, v53, s16, v75
	; wave barrier
	ds_read_u8 v67, v0
	ds_read_u8 v68, v0 offset:64
	ds_read_u8 v69, v0 offset:128
	;; [unrolled: 1-line block ×7, first 2 shown]
	v_lshlrev_b32_e32 v1, 6, v18
	v_lshlrev_b32_e32 v0, 3, v0
	s_getpc_b64 s[16:17]
	s_add_u32 s16, s16, _ZN7rocprim17ROCPRIM_400000_NS16block_radix_sortIbLj128ELj8ElLj1ELj1ELj0ELNS0_26block_radix_rank_algorithmE1ELNS0_18block_padding_hintE2ELNS0_4arch9wavefront6targetE1EE19radix_bits_per_passE@rel32@lo+4
	s_addc_u32 s17, s17, _ZN7rocprim17ROCPRIM_400000_NS16block_radix_sortIbLj128ELj8ElLj1ELj1ELj0ELNS0_26block_radix_rank_algorithmE1ELNS0_18block_padding_hintE2ELNS0_4arch9wavefront6targetE1EE19radix_bits_per_passE@rel32@hi+12
	s_waitcnt lgkmcnt(0)
	s_barrier
	ds_write2_b64 v1, v[14:15], v[16:17] offset1:1
	ds_write2_b64 v1, v[10:11], v[12:13] offset0:2 offset1:3
	ds_write2_b64 v1, v[6:7], v[8:9] offset0:4 offset1:5
	ds_write2_b64 v1, v[2:3], v[4:5] offset0:6 offset1:7
	; wave barrier
	ds_read2st64_b64 v[30:33], v0 offset1:1
	ds_read2st64_b64 v[26:29], v0 offset0:2 offset1:3
	ds_read2st64_b64 v[22:25], v0 offset0:4 offset1:5
	;; [unrolled: 1-line block ×3, first 2 shown]
	s_waitcnt lgkmcnt(0)
	s_barrier
	s_load_dword s18, s[16:17], 0x0
	s_load_dword s19, s[42:43], 0xc
	s_waitcnt lgkmcnt(0)
	s_min_u32 s18, s18, 8
	s_lshr_b32 s16, s19, 16
	s_and_b32 s17, s19, 0xffff
	v_mad_u32_u24 v0, v63, s16, v62
	v_mad_u64_u32 v[0:1], s[16:17], v0, s17, v[36:37]
	s_lshl_b32 s16, -1, s18
	s_not_b32 s18, s16
	v_lshrrev_b32_e32 v42, 6, v0
	v_and_b32_e32 v0, s18, v67
	v_mov_b32_e32 v1, 0
	v_and_b32_e32 v0, 1, v0
	ds_write2_b32 v61, v1, v1 offset0:2 offset1:3
	ds_write2_b32 v61, v1, v1 offset0:4 offset1:5
	v_lshlrev_b32_e32 v1, 1, v0
	v_cmp_ne_u32_e32 vcc, 0, v0
	v_add_co_u32_e64 v0, s[16:17], -1, v0
	v_add_lshl_u32 v77, v42, v1, 2
	v_addc_co_u32_e64 v1, s[16:17], 0, -1, s[16:17]
	v_xor_b32_e32 v0, vcc_lo, v0
	v_xor_b32_e32 v1, vcc_hi, v1
	v_and_b32_e32 v0, exec_lo, v0
	v_and_b32_e32 v1, exec_hi, v1
	v_mbcnt_lo_u32_b32 v43, v0, 0
	v_mbcnt_hi_u32_b32 v78, v1, v43
	v_cmp_eq_u32_e32 vcc, 0, v78
	v_cmp_ne_u64_e64 s[16:17], 0, v[0:1]
	s_and_b64 s[20:21], s[16:17], vcc
	s_waitcnt lgkmcnt(0)
	s_barrier
	s_waitcnt lgkmcnt(0)
	; wave barrier
	s_and_saveexec_b64 s[16:17], s[20:21]
	s_cbranch_execz .LBB262_32
; %bb.31:
	v_bcnt_u32_b32 v0, v0, 0
	v_bcnt_u32_b32 v0, v1, v0
	ds_write_b32 v77, v0 offset:8
.LBB262_32:
	s_or_b64 exec, exec, s[16:17]
	v_and_b32_e32 v0, s18, v68
	v_and_b32_e32 v0, 0xff, v0
	v_lshlrev_b32_e32 v1, 1, v0
	v_cmp_ne_u32_e32 vcc, 0, v0
	v_add_co_u32_e64 v0, s[16:17], -1, v0
	v_add_lshl_u32 v80, v42, v1, 2
	v_addc_co_u32_e64 v1, s[16:17], 0, -1, s[16:17]
	v_xor_b32_e32 v0, vcc_lo, v0
	; wave barrier
	ds_read_b32 v79, v80 offset:8
	v_xor_b32_e32 v1, vcc_hi, v1
	v_and_b32_e32 v0, exec_lo, v0
	v_and_b32_e32 v1, exec_hi, v1
	v_mbcnt_lo_u32_b32 v43, v0, 0
	v_mbcnt_hi_u32_b32 v81, v1, v43
	v_cmp_eq_u32_e32 vcc, 0, v81
	v_cmp_ne_u64_e64 s[16:17], 0, v[0:1]
	s_and_b64 s[20:21], s[16:17], vcc
	; wave barrier
	s_and_saveexec_b64 s[16:17], s[20:21]
	s_cbranch_execz .LBB262_34
; %bb.33:
	v_bcnt_u32_b32 v0, v0, 0
	v_bcnt_u32_b32 v0, v1, v0
	s_waitcnt lgkmcnt(0)
	v_add_u32_e32 v0, v79, v0
	ds_write_b32 v80, v0 offset:8
.LBB262_34:
	s_or_b64 exec, exec, s[16:17]
	v_and_b32_e32 v0, s18, v69
	v_and_b32_e32 v0, 0xff, v0
	v_lshlrev_b32_e32 v1, 1, v0
	v_cmp_ne_u32_e32 vcc, 0, v0
	v_add_co_u32_e64 v0, s[16:17], -1, v0
	v_add_lshl_u32 v83, v42, v1, 2
	v_addc_co_u32_e64 v1, s[16:17], 0, -1, s[16:17]
	v_xor_b32_e32 v0, vcc_lo, v0
	; wave barrier
	ds_read_b32 v82, v83 offset:8
	v_xor_b32_e32 v1, vcc_hi, v1
	v_and_b32_e32 v0, exec_lo, v0
	v_and_b32_e32 v1, exec_hi, v1
	v_mbcnt_lo_u32_b32 v43, v0, 0
	v_mbcnt_hi_u32_b32 v84, v1, v43
	v_cmp_eq_u32_e32 vcc, 0, v84
	v_cmp_ne_u64_e64 s[16:17], 0, v[0:1]
	s_and_b64 s[20:21], s[16:17], vcc
	; wave barrier
	s_and_saveexec_b64 s[16:17], s[20:21]
	s_cbranch_execz .LBB262_36
; %bb.35:
	v_bcnt_u32_b32 v0, v0, 0
	v_bcnt_u32_b32 v0, v1, v0
	s_waitcnt lgkmcnt(0)
	v_add_u32_e32 v0, v82, v0
	ds_write_b32 v83, v0 offset:8
.LBB262_36:
	;; [unrolled: 29-line block ×6, first 2 shown]
	s_or_b64 exec, exec, s[16:17]
	v_and_b32_e32 v0, s18, v74
	v_and_b32_e32 v0, 0xff, v0
	v_lshlrev_b32_e32 v1, 1, v0
	v_cmp_ne_u32_e32 vcc, 0, v0
	v_add_co_u32_e64 v0, s[16:17], -1, v0
	v_add_lshl_u32 v98, v42, v1, 2
	v_addc_co_u32_e64 v1, s[16:17], 0, -1, s[16:17]
	v_xor_b32_e32 v0, vcc_lo, v0
	; wave barrier
	ds_read_b32 v97, v98 offset:8
	v_xor_b32_e32 v1, vcc_hi, v1
	v_and_b32_e32 v0, exec_lo, v0
	v_and_b32_e32 v1, exec_hi, v1
	v_mbcnt_lo_u32_b32 v42, v0, 0
	v_mbcnt_hi_u32_b32 v99, v1, v42
	v_cmp_eq_u32_e32 vcc, 0, v99
	v_cmp_ne_u64_e64 s[16:17], 0, v[0:1]
	v_or_b32_e32 v100, 8, v61
	s_and_b64 s[18:19], s[16:17], vcc
	; wave barrier
	s_and_saveexec_b64 s[16:17], s[18:19]
	s_cbranch_execz .LBB262_46
; %bb.45:
	v_bcnt_u32_b32 v0, v0, 0
	v_bcnt_u32_b32 v0, v1, v0
	s_waitcnt lgkmcnt(0)
	v_add_u32_e32 v0, v97, v0
	ds_write_b32 v98, v0 offset:8
.LBB262_46:
	s_or_b64 exec, exec, s[16:17]
	; wave barrier
	s_waitcnt lgkmcnt(0)
	s_barrier
	ds_read2_b32 v[0:1], v61 offset0:2 offset1:3
	ds_read2_b32 v[42:43], v100 offset0:2 offset1:3
	v_min_u32_e32 v76, 64, v76
	v_or_b32_e32 v76, 63, v76
	s_waitcnt lgkmcnt(1)
	v_add_u32_e32 v101, v1, v0
	s_waitcnt lgkmcnt(0)
	v_add3_u32 v43, v101, v42, v43
	v_and_b32_e32 v101, 15, v75
	v_cmp_ne_u32_e32 vcc, 0, v101
	v_mov_b32_dpp v102, v43 row_shr:1 row_mask:0xf bank_mask:0xf
	v_cndmask_b32_e32 v102, 0, v102, vcc
	v_add_u32_e32 v43, v102, v43
	v_cmp_lt_u32_e32 vcc, 1, v101
	s_nop 0
	v_mov_b32_dpp v102, v43 row_shr:2 row_mask:0xf bank_mask:0xf
	v_cndmask_b32_e32 v102, 0, v102, vcc
	v_add_u32_e32 v43, v43, v102
	v_cmp_lt_u32_e32 vcc, 3, v101
	s_nop 0
	;; [unrolled: 5-line block ×3, first 2 shown]
	v_mov_b32_dpp v102, v43 row_shr:8 row_mask:0xf bank_mask:0xf
	v_cndmask_b32_e32 v101, 0, v102, vcc
	v_add_u32_e32 v43, v43, v101
	v_bfe_i32 v102, v75, 4, 1
	v_cmp_lt_u32_e32 vcc, 31, v75
	v_mov_b32_dpp v101, v43 row_bcast:15 row_mask:0xf bank_mask:0xf
	v_and_b32_e32 v101, v102, v101
	v_add_u32_e32 v43, v43, v101
	s_nop 1
	v_mov_b32_dpp v101, v43 row_bcast:31 row_mask:0xf bank_mask:0xf
	v_cndmask_b32_e32 v101, 0, v101, vcc
	v_add_u32_e32 v43, v43, v101
	v_lshrrev_b32_e32 v101, 6, v36
	v_cmp_eq_u32_e32 vcc, v76, v36
	s_and_saveexec_b64 s[16:17], vcc
	s_cbranch_execz .LBB262_48
; %bb.47:
	v_lshlrev_b32_e32 v76, 2, v101
	ds_write_b32 v76, v43
.LBB262_48:
	s_or_b64 exec, exec, s[16:17]
	v_cmp_gt_u32_e32 vcc, 2, v36
	s_waitcnt lgkmcnt(0)
	s_barrier
	s_and_saveexec_b64 s[16:17], vcc
	s_cbranch_execz .LBB262_50
; %bb.49:
	v_lshlrev_b32_e32 v76, 2, v36
	ds_read_b32 v102, v76
	v_bfe_i32 v103, v75, 0, 1
	s_waitcnt lgkmcnt(0)
	v_mov_b32_dpp v104, v102 row_shr:1 row_mask:0xf bank_mask:0xf
	v_and_b32_e32 v103, v103, v104
	v_add_u32_e32 v102, v103, v102
	ds_write_b32 v76, v102
.LBB262_50:
	s_or_b64 exec, exec, s[16:17]
	v_cmp_lt_u32_e32 vcc, 63, v36
	v_mov_b32_e32 v76, 0
	s_waitcnt lgkmcnt(0)
	s_barrier
	s_and_saveexec_b64 s[16:17], vcc
	s_cbranch_execz .LBB262_52
; %bb.51:
	v_lshl_add_u32 v76, v101, 2, -4
	ds_read_b32 v76, v76
.LBB262_52:
	s_or_b64 exec, exec, s[16:17]
	v_add_u32_e32 v101, -1, v75
	v_and_b32_e32 v102, 64, v75
	v_cmp_lt_i32_e32 vcc, v101, v102
	v_cndmask_b32_e32 v101, v101, v75, vcc
	s_waitcnt lgkmcnt(0)
	v_add_u32_e32 v43, v76, v43
	v_lshlrev_b32_e32 v101, 2, v101
	ds_bpermute_b32 v43, v101, v43
	v_cmp_eq_u32_e32 vcc, 0, v75
	s_waitcnt lgkmcnt(0)
	v_cndmask_b32_e32 v43, v43, v76, vcc
	v_cmp_ne_u32_e32 vcc, 0, v36
	v_cndmask_b32_e32 v43, 0, v43, vcc
	v_add_u32_e32 v0, v43, v0
	v_add_u32_e32 v1, v0, v1
	v_add_u32_e32 v42, v1, v42
	ds_write2_b32 v61, v43, v0 offset0:2 offset1:3
	ds_write2_b32 v100, v1, v42 offset0:2 offset1:3
	s_waitcnt lgkmcnt(0)
	s_barrier
	ds_read_b32 v0, v77 offset:8
	ds_read_b32 v1, v80 offset:8
	;; [unrolled: 1-line block ×8, first 2 shown]
	s_waitcnt lgkmcnt(7)
	v_add_u32_e32 v78, v0, v78
	s_waitcnt lgkmcnt(6)
	v_add3_u32 v79, v81, v79, v1
	s_waitcnt lgkmcnt(5)
	v_add3_u32 v42, v84, v82, v42
	;; [unrolled: 2-line block ×7, first 2 shown]
	s_barrier
	ds_write_b8 v78, v67
	ds_write_b8 v79, v68
	;; [unrolled: 1-line block ×8, first 2 shown]
	v_lshlrev_b32_e32 v67, 3, v78
	s_waitcnt lgkmcnt(0)
	s_barrier
	ds_read_b64 v[0:1], v53
	s_waitcnt lgkmcnt(0)
	s_barrier
	ds_write_b64 v67, v[30:31]
	v_lshlrev_b32_e32 v30, 3, v79
	ds_write_b64 v30, v[32:33]
	v_lshlrev_b32_e32 v30, 3, v42
	;; [unrolled: 2-line block ×7, first 2 shown]
	v_lshlrev_b32_e32 v30, 3, v53
	ds_write_b64 v18, v[20:21]
	s_waitcnt lgkmcnt(0)
	s_barrier
	ds_read2_b64 v[18:21], v30 offset1:1
	ds_read2_b64 v[22:25], v30 offset0:2 offset1:3
	ds_read2_b64 v[26:29], v30 offset0:4 offset1:5
	;; [unrolled: 1-line block ×3, first 2 shown]
	s_branch .LBB262_84
.LBB262_53:
	v_mov_b32_e32 v35, 0
	v_lshlrev_b64 v[2:3], 3, v[34:35]
	v_mov_b32_e32 v4, s35
	v_add_co_u32_e32 v2, vcc, s33, v2
	v_addc_co_u32_e32 v3, vcc, v4, v3, vcc
	global_load_dwordx2 v[2:3], v[2:3], off
	v_mov_b32_e32 v4, v35
	v_mov_b32_e32 v5, v35
	;; [unrolled: 1-line block ×14, first 2 shown]
	s_or_b64 exec, exec, s[16:17]
	s_and_saveexec_b64 s[16:17], s[2:3]
	s_cbranch_execz .LBB262_22
.LBB262_54:
	v_mul_lo_u32 v4, v32, s34
	v_mov_b32_e32 v5, 0
	v_lshlrev_b64 v[4:5], 3, v[4:5]
	v_mov_b32_e32 v32, s35
	v_add_co_u32_e32 v4, vcc, s33, v4
	v_addc_co_u32_e32 v5, vcc, v32, v5, vcc
	global_load_dwordx2 v[4:5], v[4:5], off
	s_or_b64 exec, exec, s[16:17]
	s_and_saveexec_b64 s[16:17], s[4:5]
	s_cbranch_execz .LBB262_23
.LBB262_55:
	v_mul_lo_u32 v6, v31, s34
	v_mov_b32_e32 v7, 0
	v_lshlrev_b64 v[6:7], 3, v[6:7]
	v_mov_b32_e32 v31, s35
	v_add_co_u32_e32 v6, vcc, s33, v6
	v_addc_co_u32_e32 v7, vcc, v31, v7, vcc
	global_load_dwordx2 v[6:7], v[6:7], off
	s_or_b64 exec, exec, s[16:17]
	s_and_saveexec_b64 s[16:17], s[6:7]
	s_cbranch_execz .LBB262_24
.LBB262_56:
	v_mul_lo_u32 v8, v30, s34
	v_mov_b32_e32 v9, 0
	v_lshlrev_b64 v[8:9], 3, v[8:9]
	v_mov_b32_e32 v30, s35
	v_add_co_u32_e32 v8, vcc, s33, v8
	v_addc_co_u32_e32 v9, vcc, v30, v9, vcc
	global_load_dwordx2 v[8:9], v[8:9], off
	s_or_b64 exec, exec, s[16:17]
	s_and_saveexec_b64 s[16:17], s[8:9]
	s_cbranch_execz .LBB262_25
.LBB262_57:
	v_mul_lo_u32 v10, v29, s34
	v_mov_b32_e32 v11, 0
	v_lshlrev_b64 v[10:11], 3, v[10:11]
	v_mov_b32_e32 v29, s35
	v_add_co_u32_e32 v10, vcc, s33, v10
	v_addc_co_u32_e32 v11, vcc, v29, v11, vcc
	global_load_dwordx2 v[10:11], v[10:11], off
	s_or_b64 exec, exec, s[16:17]
	s_and_saveexec_b64 s[16:17], s[10:11]
	s_cbranch_execz .LBB262_26
.LBB262_58:
	v_mul_lo_u32 v12, v28, s34
	v_mov_b32_e32 v13, 0
	v_lshlrev_b64 v[12:13], 3, v[12:13]
	v_mov_b32_e32 v28, s35
	v_add_co_u32_e32 v12, vcc, s33, v12
	v_addc_co_u32_e32 v13, vcc, v28, v13, vcc
	global_load_dwordx2 v[12:13], v[12:13], off
	s_or_b64 exec, exec, s[16:17]
	s_and_saveexec_b64 s[16:17], s[12:13]
	s_cbranch_execz .LBB262_27
.LBB262_59:
	v_mul_lo_u32 v14, v27, s34
	v_mov_b32_e32 v15, 0
	v_lshlrev_b64 v[14:15], 3, v[14:15]
	v_mov_b32_e32 v27, s35
	v_add_co_u32_e32 v14, vcc, s33, v14
	v_addc_co_u32_e32 v15, vcc, v27, v15, vcc
	global_load_dwordx2 v[14:15], v[14:15], off
	s_or_b64 exec, exec, s[16:17]
	s_and_saveexec_b64 s[16:17], s[14:15]
	s_cbranch_execnz .LBB262_28
	s_branch .LBB262_29
.LBB262_60:
                                        ; implicit-def: $vgpr1
                                        ; implicit-def: $vgpr32_vgpr33
                                        ; implicit-def: $vgpr28_vgpr29
                                        ; implicit-def: $vgpr24_vgpr25
                                        ; implicit-def: $vgpr20_vgpr21
	s_cbranch_execz .LBB262_84
; %bb.61:
	v_and_b32_e32 v0, 1, v65
	v_cmp_eq_u32_e32 vcc, 1, v0
	v_and_b32_e32 v0, 1, v39
	v_cmp_eq_u32_e64 s[16:17], 1, v0
	v_mov_b32_e32 v0, 1
	v_and_b32_sdwa v1, v0, v39 dst_sel:DWORD dst_unused:UNUSED_PAD src0_sel:DWORD src1_sel:BYTE_3
	v_cmp_eq_u32_e64 s[18:19], 1, v1
	v_and_b32_sdwa v1, v0, v39 dst_sel:DWORD dst_unused:UNUSED_PAD src0_sel:DWORD src1_sel:WORD_1
	v_cmp_eq_u32_e64 s[20:21], 1, v1
	v_and_b32_e32 v1, 1, v64
	v_cmp_eq_u32_e64 s[22:23], 1, v1
	v_and_b32_e32 v1, 1, v38
	v_and_b32_sdwa v0, v0, v38 dst_sel:DWORD dst_unused:UNUSED_PAD src0_sel:DWORD src1_sel:WORD_1
	s_xor_b64 s[30:31], vcc, -1
	v_cmp_eq_u32_e64 s[24:25], 1, v1
	v_and_b32_e32 v1, 1, v40
	v_cmp_eq_u32_e64 s[28:29], 1, v0
	v_cndmask_b32_e64 v0, 0, 1, s[30:31]
	s_xor_b64 s[16:17], s[16:17], -1
	v_cmp_eq_u32_e64 s[26:27], 1, v1
	v_lshlrev_b16_e32 v0, 8, v0
	v_cndmask_b32_e64 v1, 0, 1, s[16:17]
	s_xor_b64 s[16:17], s[18:19], -1
	v_or_b32_e32 v0, v1, v0
	v_cndmask_b32_e64 v1, 0, 1, s[16:17]
	s_xor_b64 s[16:17], s[20:21], -1
	v_lshlrev_b16_e32 v1, 8, v1
	s_waitcnt lgkmcnt(3)
	v_cndmask_b32_e64 v21, 0, 1, s[16:17]
	v_or_b32_sdwa v1, v21, v1 dst_sel:WORD_1 dst_unused:UNUSED_PAD src0_sel:DWORD src1_sel:DWORD
	s_xor_b64 s[16:17], s[22:23], -1
	v_or_b32_sdwa v1, v0, v1 dst_sel:DWORD dst_unused:UNUSED_PAD src0_sel:WORD_0 src1_sel:DWORD
	v_cndmask_b32_e64 v0, 0, 1, s[16:17]
	s_xor_b64 s[16:17], s[24:25], -1
	v_lshlrev_b16_e32 v0, 8, v0
	v_cndmask_b32_e64 v21, 0, 1, s[16:17]
	s_xor_b64 s[16:17], s[26:27], -1
	v_or_b32_e32 v0, v21, v0
	v_cndmask_b32_e64 v21, 0, 1, s[16:17]
	s_xor_b64 s[16:17], s[28:29], -1
	v_mbcnt_hi_u32_b32 v20, -1, v66
	s_waitcnt lgkmcnt(1)
	v_and_b32_e32 v29, 0x3c0, v36
	v_lshlrev_b16_e32 v21, 8, v21
	v_cndmask_b32_e64 v22, 0, 1, s[16:17]
	v_add_u32_e32 v18, v20, v29
	v_or_b32_sdwa v21, v22, v21 dst_sel:WORD_1 dst_unused:UNUSED_PAD src0_sel:DWORD src1_sel:DWORD
	v_lshlrev_b32_e32 v19, 3, v18
	v_or_b32_sdwa v0, v0, v21 dst_sel:DWORD dst_unused:UNUSED_PAD src0_sel:WORD_0 src1_sel:DWORD
	s_movk_i32 s16, 0x1e00
	ds_write_b64 v19, v[0:1]
	v_and_or_b32 v0, v53, s16, v20
	; wave barrier
	ds_read_u8 v21, v0
	ds_read_u8 v22, v0 offset:64
	ds_read_u8 v23, v0 offset:128
	;; [unrolled: 1-line block ×7, first 2 shown]
	v_lshlrev_b32_e32 v1, 6, v18
	v_lshlrev_b32_e32 v0, 3, v0
	s_getpc_b64 s[16:17]
	s_add_u32 s16, s16, _ZN7rocprim17ROCPRIM_400000_NS16block_radix_sortIbLj128ELj8ElLj1ELj1ELj0ELNS0_26block_radix_rank_algorithmE1ELNS0_18block_padding_hintE2ELNS0_4arch9wavefront6targetE1EE19radix_bits_per_passE@rel32@lo+4
	s_addc_u32 s17, s17, _ZN7rocprim17ROCPRIM_400000_NS16block_radix_sortIbLj128ELj8ElLj1ELj1ELj0ELNS0_26block_radix_rank_algorithmE1ELNS0_18block_padding_hintE2ELNS0_4arch9wavefront6targetE1EE19radix_bits_per_passE@rel32@hi+12
	s_waitcnt lgkmcnt(0)
	s_barrier
	ds_write2_b64 v1, v[14:15], v[16:17] offset1:1
	ds_write2_b64 v1, v[10:11], v[12:13] offset0:2 offset1:3
	ds_write2_b64 v1, v[6:7], v[8:9] offset0:4 offset1:5
	;; [unrolled: 1-line block ×3, first 2 shown]
	; wave barrier
	ds_read2st64_b64 v[12:15], v0 offset1:1
	ds_read2st64_b64 v[8:11], v0 offset0:2 offset1:3
	ds_read2st64_b64 v[4:7], v0 offset0:4 offset1:5
	;; [unrolled: 1-line block ×3, first 2 shown]
	s_waitcnt lgkmcnt(0)
	s_barrier
	s_load_dword s18, s[16:17], 0x0
	s_load_dword s19, s[42:43], 0xc
	s_waitcnt lgkmcnt(0)
	s_min_u32 s18, s18, 8
	s_lshr_b32 s16, s19, 16
	s_and_b32 s17, s19, 0xffff
	v_mad_u32_u24 v16, v63, s16, v62
	v_mad_u64_u32 v[16:17], s[16:17], v16, s17, v[36:37]
	s_lshl_b32 s16, -1, s18
	s_not_b32 s18, s16
	v_lshrrev_b32_e32 v18, 6, v16
	v_and_b32_e32 v16, s18, v21
	v_mov_b32_e32 v17, 0
	v_and_b32_e32 v16, 1, v16
	ds_write2_b32 v61, v17, v17 offset0:2 offset1:3
	ds_write2_b32 v61, v17, v17 offset0:4 offset1:5
	v_lshlrev_b32_e32 v17, 1, v16
	v_cmp_ne_u32_e32 vcc, 0, v16
	v_add_co_u32_e64 v16, s[16:17], -1, v16
	v_add_lshl_u32 v30, v18, v17, 2
	v_addc_co_u32_e64 v17, s[16:17], 0, -1, s[16:17]
	v_xor_b32_e32 v16, vcc_lo, v16
	v_xor_b32_e32 v17, vcc_hi, v17
	v_and_b32_e32 v16, exec_lo, v16
	v_and_b32_e32 v17, exec_hi, v17
	v_mbcnt_lo_u32_b32 v19, v16, 0
	v_mbcnt_hi_u32_b32 v31, v17, v19
	v_cmp_eq_u32_e32 vcc, 0, v31
	v_cmp_ne_u64_e64 s[16:17], 0, v[16:17]
	s_and_b64 s[20:21], s[16:17], vcc
	s_waitcnt lgkmcnt(0)
	s_barrier
	s_waitcnt lgkmcnt(0)
	; wave barrier
	s_and_saveexec_b64 s[16:17], s[20:21]
	s_cbranch_execz .LBB262_63
; %bb.62:
	v_bcnt_u32_b32 v16, v16, 0
	v_bcnt_u32_b32 v16, v17, v16
	ds_write_b32 v30, v16 offset:8
.LBB262_63:
	s_or_b64 exec, exec, s[16:17]
	v_and_b32_e32 v16, s18, v22
	v_and_b32_e32 v16, 0xff, v16
	v_lshlrev_b32_e32 v17, 1, v16
	v_cmp_ne_u32_e32 vcc, 0, v16
	v_add_co_u32_e64 v16, s[16:17], -1, v16
	v_add_lshl_u32 v33, v18, v17, 2
	v_addc_co_u32_e64 v17, s[16:17], 0, -1, s[16:17]
	v_xor_b32_e32 v16, vcc_lo, v16
	; wave barrier
	ds_read_b32 v32, v33 offset:8
	v_xor_b32_e32 v17, vcc_hi, v17
	v_and_b32_e32 v16, exec_lo, v16
	v_and_b32_e32 v17, exec_hi, v17
	v_mbcnt_lo_u32_b32 v19, v16, 0
	v_mbcnt_hi_u32_b32 v38, v17, v19
	v_cmp_eq_u32_e32 vcc, 0, v38
	v_cmp_ne_u64_e64 s[16:17], 0, v[16:17]
	s_and_b64 s[20:21], s[16:17], vcc
	; wave barrier
	s_and_saveexec_b64 s[16:17], s[20:21]
	s_cbranch_execz .LBB262_65
; %bb.64:
	v_bcnt_u32_b32 v16, v16, 0
	v_bcnt_u32_b32 v16, v17, v16
	s_waitcnt lgkmcnt(0)
	v_add_u32_e32 v16, v32, v16
	ds_write_b32 v33, v16 offset:8
.LBB262_65:
	s_or_b64 exec, exec, s[16:17]
	v_and_b32_e32 v16, s18, v23
	v_and_b32_e32 v16, 0xff, v16
	v_lshlrev_b32_e32 v17, 1, v16
	v_cmp_ne_u32_e32 vcc, 0, v16
	v_add_co_u32_e64 v16, s[16:17], -1, v16
	v_add_lshl_u32 v40, v18, v17, 2
	v_addc_co_u32_e64 v17, s[16:17], 0, -1, s[16:17]
	v_xor_b32_e32 v16, vcc_lo, v16
	; wave barrier
	ds_read_b32 v39, v40 offset:8
	v_xor_b32_e32 v17, vcc_hi, v17
	v_and_b32_e32 v16, exec_lo, v16
	v_and_b32_e32 v17, exec_hi, v17
	v_mbcnt_lo_u32_b32 v19, v16, 0
	v_mbcnt_hi_u32_b32 v42, v17, v19
	v_cmp_eq_u32_e32 vcc, 0, v42
	v_cmp_ne_u64_e64 s[16:17], 0, v[16:17]
	s_and_b64 s[20:21], s[16:17], vcc
	; wave barrier
	s_and_saveexec_b64 s[16:17], s[20:21]
	s_cbranch_execz .LBB262_67
; %bb.66:
	v_bcnt_u32_b32 v16, v16, 0
	v_bcnt_u32_b32 v16, v17, v16
	s_waitcnt lgkmcnt(0)
	v_add_u32_e32 v16, v39, v16
	ds_write_b32 v40, v16 offset:8
.LBB262_67:
	;; [unrolled: 29-line block ×6, first 2 shown]
	s_or_b64 exec, exec, s[16:17]
	v_and_b32_e32 v16, s18, v28
	v_and_b32_e32 v16, 0xff, v16
	v_lshlrev_b32_e32 v17, 1, v16
	v_cmp_ne_u32_e32 vcc, 0, v16
	v_add_co_u32_e64 v16, s[16:17], -1, v16
	v_add_lshl_u32 v74, v18, v17, 2
	v_addc_co_u32_e64 v17, s[16:17], 0, -1, s[16:17]
	v_xor_b32_e32 v16, vcc_lo, v16
	; wave barrier
	ds_read_b32 v73, v74 offset:8
	v_xor_b32_e32 v17, vcc_hi, v17
	v_and_b32_e32 v16, exec_lo, v16
	v_and_b32_e32 v17, exec_hi, v17
	v_mbcnt_lo_u32_b32 v18, v16, 0
	v_mbcnt_hi_u32_b32 v75, v17, v18
	v_cmp_eq_u32_e32 vcc, 0, v75
	v_cmp_ne_u64_e64 s[16:17], 0, v[16:17]
	v_or_b32_e32 v76, 8, v61
	s_and_b64 s[18:19], s[16:17], vcc
	; wave barrier
	s_and_saveexec_b64 s[16:17], s[18:19]
	s_cbranch_execz .LBB262_77
; %bb.76:
	v_bcnt_u32_b32 v16, v16, 0
	v_bcnt_u32_b32 v16, v17, v16
	s_waitcnt lgkmcnt(0)
	v_add_u32_e32 v16, v73, v16
	ds_write_b32 v74, v16 offset:8
.LBB262_77:
	s_or_b64 exec, exec, s[16:17]
	; wave barrier
	s_waitcnt lgkmcnt(0)
	s_barrier
	ds_read2_b32 v[16:17], v61 offset0:2 offset1:3
	ds_read2_b32 v[18:19], v76 offset0:2 offset1:3
	v_min_u32_e32 v29, 64, v29
	v_or_b32_e32 v29, 63, v29
	s_waitcnt lgkmcnt(1)
	v_add_u32_e32 v77, v17, v16
	s_waitcnt lgkmcnt(0)
	v_add3_u32 v19, v77, v18, v19
	v_and_b32_e32 v77, 15, v20
	v_cmp_ne_u32_e32 vcc, 0, v77
	v_mov_b32_dpp v78, v19 row_shr:1 row_mask:0xf bank_mask:0xf
	v_cndmask_b32_e32 v78, 0, v78, vcc
	v_add_u32_e32 v19, v78, v19
	v_cmp_lt_u32_e32 vcc, 1, v77
	s_nop 0
	v_mov_b32_dpp v78, v19 row_shr:2 row_mask:0xf bank_mask:0xf
	v_cndmask_b32_e32 v78, 0, v78, vcc
	v_add_u32_e32 v19, v19, v78
	v_cmp_lt_u32_e32 vcc, 3, v77
	s_nop 0
	;; [unrolled: 5-line block ×3, first 2 shown]
	v_mov_b32_dpp v78, v19 row_shr:8 row_mask:0xf bank_mask:0xf
	v_cndmask_b32_e32 v77, 0, v78, vcc
	v_add_u32_e32 v19, v19, v77
	v_bfe_i32 v78, v20, 4, 1
	v_cmp_lt_u32_e32 vcc, 31, v20
	v_mov_b32_dpp v77, v19 row_bcast:15 row_mask:0xf bank_mask:0xf
	v_and_b32_e32 v77, v78, v77
	v_add_u32_e32 v19, v19, v77
	s_nop 1
	v_mov_b32_dpp v77, v19 row_bcast:31 row_mask:0xf bank_mask:0xf
	v_cndmask_b32_e32 v77, 0, v77, vcc
	v_add_u32_e32 v19, v19, v77
	v_lshrrev_b32_e32 v77, 6, v36
	v_cmp_eq_u32_e32 vcc, v29, v36
	s_and_saveexec_b64 s[16:17], vcc
	s_cbranch_execz .LBB262_79
; %bb.78:
	v_lshlrev_b32_e32 v29, 2, v77
	ds_write_b32 v29, v19
.LBB262_79:
	s_or_b64 exec, exec, s[16:17]
	v_cmp_gt_u32_e32 vcc, 2, v36
	s_waitcnt lgkmcnt(0)
	s_barrier
	s_and_saveexec_b64 s[16:17], vcc
	s_cbranch_execz .LBB262_81
; %bb.80:
	v_lshlrev_b32_e32 v29, 2, v36
	ds_read_b32 v78, v29
	v_bfe_i32 v79, v20, 0, 1
	s_waitcnt lgkmcnt(0)
	v_mov_b32_dpp v80, v78 row_shr:1 row_mask:0xf bank_mask:0xf
	v_and_b32_e32 v79, v79, v80
	v_add_u32_e32 v78, v79, v78
	ds_write_b32 v29, v78
.LBB262_81:
	s_or_b64 exec, exec, s[16:17]
	v_cmp_lt_u32_e32 vcc, 63, v36
	v_mov_b32_e32 v29, 0
	s_waitcnt lgkmcnt(0)
	s_barrier
	s_and_saveexec_b64 s[16:17], vcc
	s_cbranch_execz .LBB262_83
; %bb.82:
	v_lshl_add_u32 v29, v77, 2, -4
	ds_read_b32 v29, v29
.LBB262_83:
	s_or_b64 exec, exec, s[16:17]
	v_add_u32_e32 v77, -1, v20
	v_and_b32_e32 v78, 64, v20
	v_cmp_lt_i32_e32 vcc, v77, v78
	v_cndmask_b32_e32 v77, v77, v20, vcc
	s_waitcnt lgkmcnt(0)
	v_add_u32_e32 v19, v29, v19
	v_lshlrev_b32_e32 v77, 2, v77
	ds_bpermute_b32 v19, v77, v19
	v_cmp_eq_u32_e32 vcc, 0, v20
	s_waitcnt lgkmcnt(0)
	v_cndmask_b32_e32 v19, v19, v29, vcc
	v_cmp_ne_u32_e32 vcc, 0, v36
	v_cndmask_b32_e32 v19, 0, v19, vcc
	v_add_u32_e32 v16, v19, v16
	v_add_u32_e32 v17, v16, v17
	;; [unrolled: 1-line block ×3, first 2 shown]
	ds_write2_b32 v61, v19, v16 offset0:2 offset1:3
	ds_write2_b32 v76, v17, v18 offset0:2 offset1:3
	s_waitcnt lgkmcnt(0)
	s_barrier
	ds_read_b32 v16, v30 offset:8
	ds_read_b32 v17, v33 offset:8
	;; [unrolled: 1-line block ×8, first 2 shown]
	s_waitcnt lgkmcnt(7)
	v_add_u32_e32 v31, v16, v31
	s_waitcnt lgkmcnt(6)
	v_add3_u32 v32, v38, v32, v17
	s_waitcnt lgkmcnt(5)
	v_add3_u32 v18, v42, v39, v18
	s_waitcnt lgkmcnt(4)
	v_add3_u32 v19, v63, v43, v19
	s_waitcnt lgkmcnt(3)
	v_add3_u32 v20, v66, v64, v20
	s_waitcnt lgkmcnt(2)
	v_add3_u32 v29, v69, v67, v29
	s_waitcnt lgkmcnt(1)
	v_add3_u32 v30, v72, v70, v30
	s_waitcnt lgkmcnt(0)
	v_add3_u32 v33, v75, v73, v33
	s_barrier
	ds_write_b8 v31, v21
	ds_write_b8 v32, v22
	;; [unrolled: 1-line block ×8, first 2 shown]
	v_lshlrev_b32_e32 v21, 3, v31
	s_waitcnt lgkmcnt(0)
	s_barrier
	ds_read_b64 v[16:17], v53
	s_waitcnt lgkmcnt(0)
	s_barrier
	ds_write_b64 v21, v[12:13]
	v_lshlrev_b32_e32 v12, 3, v32
	ds_write_b64 v12, v[14:15]
	v_lshlrev_b32_e32 v12, 3, v18
	;; [unrolled: 2-line block ×8, first 2 shown]
	s_waitcnt lgkmcnt(0)
	s_barrier
	ds_read2_b64 v[18:21], v0 offset1:1
	ds_read2_b64 v[22:25], v0 offset0:2 offset1:3
	ds_read2_b64 v[26:29], v0 offset0:4 offset1:5
	;; [unrolled: 1-line block ×3, first 2 shown]
	v_lshrrev_b32_e32 v36, 8, v16
	v_mov_b32_e32 v1, 1
	v_lshrrev_b32_e32 v38, 8, v17
	v_xor_b32_e32 v0, 1, v16
	v_xor_b32_sdwa v2, v36, v1 dst_sel:BYTE_1 dst_unused:UNUSED_PAD src0_sel:DWORD src1_sel:DWORD
	v_xor_b32_sdwa v3, v16, v1 dst_sel:DWORD dst_unused:UNUSED_PAD src0_sel:WORD_1 src1_sel:DWORD
	v_xor_b32_sdwa v4, v16, v1 dst_sel:BYTE_1 dst_unused:UNUSED_PAD src0_sel:BYTE_3 src1_sel:DWORD
	v_xor_b32_e32 v5, 1, v17
	v_xor_b32_sdwa v6, v38, v1 dst_sel:BYTE_1 dst_unused:UNUSED_PAD src0_sel:DWORD src1_sel:DWORD
	v_xor_b32_sdwa v7, v17, v1 dst_sel:DWORD dst_unused:UNUSED_PAD src0_sel:WORD_1 src1_sel:DWORD
	v_xor_b32_sdwa v1, v17, v1 dst_sel:BYTE_1 dst_unused:UNUSED_PAD src0_sel:BYTE_3 src1_sel:DWORD
	v_or_b32_sdwa v0, v0, v2 dst_sel:DWORD dst_unused:UNUSED_PAD src0_sel:BYTE_0 src1_sel:DWORD
	v_or_b32_sdwa v2, v3, v4 dst_sel:WORD_1 dst_unused:UNUSED_PAD src0_sel:BYTE_0 src1_sel:DWORD
	v_or_b32_sdwa v0, v0, v2 dst_sel:DWORD dst_unused:UNUSED_PAD src0_sel:WORD_0 src1_sel:DWORD
	v_or_b32_sdwa v2, v5, v6 dst_sel:DWORD dst_unused:UNUSED_PAD src0_sel:BYTE_0 src1_sel:DWORD
	v_or_b32_sdwa v1, v7, v1 dst_sel:WORD_1 dst_unused:UNUSED_PAD src0_sel:BYTE_0 src1_sel:DWORD
	v_or_b32_sdwa v1, v2, v1 dst_sel:DWORD dst_unused:UNUSED_PAD src0_sel:WORD_0 src1_sel:DWORD
.LBB262_84:
	s_waitcnt lgkmcnt(0)
	s_barrier
	ds_write_b64 v52, v[0:1]
	s_waitcnt lgkmcnt(0)
	s_barrier
	ds_read_u8 v8, v45 offset:128
	ds_read_u8 v7, v46 offset:256
	;; [unrolled: 1-line block ×7, first 2 shown]
	v_mov_b32_e32 v1, s41
	v_add_co_u32_e32 v0, vcc, s40, v37
	v_addc_co_u32_e32 v1, vcc, 0, v1, vcc
	s_and_saveexec_b64 s[16:17], s[0:1]
	s_cbranch_execnz .LBB262_103
; %bb.85:
	s_or_b64 exec, exec, s[16:17]
	s_and_saveexec_b64 s[16:17], s[2:3]
	s_cbranch_execnz .LBB262_104
.LBB262_86:
	s_or_b64 exec, exec, s[16:17]
	s_and_saveexec_b64 s[16:17], s[4:5]
	s_cbranch_execnz .LBB262_105
.LBB262_87:
	s_or_b64 exec, exec, s[16:17]
	s_and_saveexec_b64 s[16:17], s[6:7]
	s_cbranch_execnz .LBB262_106
.LBB262_88:
	s_or_b64 exec, exec, s[16:17]
	s_and_saveexec_b64 s[16:17], s[8:9]
	s_cbranch_execnz .LBB262_107
.LBB262_89:
	s_or_b64 exec, exec, s[16:17]
	s_and_saveexec_b64 s[16:17], s[10:11]
	s_cbranch_execnz .LBB262_108
.LBB262_90:
	s_or_b64 exec, exec, s[16:17]
	s_and_saveexec_b64 s[16:17], s[12:13]
	s_cbranch_execnz .LBB262_109
.LBB262_91:
	s_or_b64 exec, exec, s[16:17]
	s_and_saveexec_b64 s[16:17], s[14:15]
	s_cbranch_execz .LBB262_93
.LBB262_92:
	s_mul_i32 s18, s38, 0x380
	v_add_co_u32_e32 v0, vcc, s18, v0
	v_addc_co_u32_e32 v1, vcc, 0, v1, vcc
	s_waitcnt lgkmcnt(0)
	global_store_byte v[0:1], v2, off
.LBB262_93:
	s_or_b64 exec, exec, s[16:17]
	s_waitcnt lgkmcnt(0)
	s_barrier
	ds_write2_b64 v60, v[18:19], v[20:21] offset1:1
	ds_write2_b64 v60, v[22:23], v[24:25] offset0:2 offset1:3
	ds_write2_b64 v60, v[26:27], v[28:29] offset0:4 offset1:5
	;; [unrolled: 1-line block ×3, first 2 shown]
	s_waitcnt lgkmcnt(0)
	s_barrier
	ds_read_b64 v[14:15], v35 offset:1024
	ds_read_b64 v[12:13], v54 offset:2048
	;; [unrolled: 1-line block ×7, first 2 shown]
	v_mov_b32_e32 v35, 0
	v_lshlrev_b64 v[2:3], 3, v[34:35]
	v_mov_b32_e32 v16, s35
	v_add_co_u32_e32 v2, vcc, s33, v2
	v_addc_co_u32_e32 v3, vcc, v16, v3, vcc
	s_and_saveexec_b64 s[16:17], s[0:1]
	s_cbranch_execnz .LBB262_110
; %bb.94:
	s_or_b64 exec, exec, s[16:17]
	s_and_saveexec_b64 s[0:1], s[2:3]
	s_cbranch_execnz .LBB262_111
.LBB262_95:
	s_or_b64 exec, exec, s[0:1]
	s_and_saveexec_b64 s[0:1], s[4:5]
	s_cbranch_execnz .LBB262_112
.LBB262_96:
	s_or_b64 exec, exec, s[0:1]
	s_and_saveexec_b64 s[0:1], s[6:7]
	s_cbranch_execnz .LBB262_113
.LBB262_97:
	s_or_b64 exec, exec, s[0:1]
	s_and_saveexec_b64 s[0:1], s[8:9]
	s_cbranch_execnz .LBB262_114
.LBB262_98:
	s_or_b64 exec, exec, s[0:1]
	s_and_saveexec_b64 s[0:1], s[10:11]
	s_cbranch_execnz .LBB262_115
.LBB262_99:
	s_or_b64 exec, exec, s[0:1]
	s_and_saveexec_b64 s[0:1], s[12:13]
	s_cbranch_execnz .LBB262_116
.LBB262_100:
	s_or_b64 exec, exec, s[0:1]
	s_and_saveexec_b64 s[0:1], s[14:15]
	s_cbranch_execz .LBB262_102
.LBB262_101:
	s_mul_i32 s0, s34, 0x380
	s_mov_b32 s1, 0
	s_lshl_b64 s[0:1], s[0:1], 3
	s_waitcnt lgkmcnt(1)
	v_mov_b32_e32 v4, s1
	v_add_co_u32_e32 v2, vcc, s0, v2
	v_addc_co_u32_e32 v3, vcc, v3, v4, vcc
	s_waitcnt lgkmcnt(0)
	global_store_dwordx2 v[2:3], v[0:1], off
.LBB262_102:
	s_endpgm
.LBB262_103:
	ds_read_u8 v9, v44
	s_waitcnt lgkmcnt(0)
	global_store_byte v[0:1], v9, off
	s_or_b64 exec, exec, s[16:17]
	s_and_saveexec_b64 s[16:17], s[2:3]
	s_cbranch_execz .LBB262_86
.LBB262_104:
	s_lshl_b32 s18, s38, 7
	v_add_co_u32_e32 v10, vcc, s18, v0
	v_addc_co_u32_e32 v11, vcc, 0, v1, vcc
	s_waitcnt lgkmcnt(6)
	global_store_byte v[10:11], v8, off
	s_or_b64 exec, exec, s[16:17]
	s_and_saveexec_b64 s[16:17], s[4:5]
	s_cbranch_execz .LBB262_87
.LBB262_105:
	s_lshl_b32 s18, s38, 8
	s_waitcnt lgkmcnt(6)
	v_add_co_u32_e32 v8, vcc, s18, v0
	v_addc_co_u32_e32 v9, vcc, 0, v1, vcc
	s_waitcnt lgkmcnt(5)
	global_store_byte v[8:9], v7, off
	s_or_b64 exec, exec, s[16:17]
	s_and_saveexec_b64 s[16:17], s[6:7]
	s_cbranch_execz .LBB262_88
.LBB262_106:
	s_mul_i32 s18, s38, 0x180
	s_waitcnt lgkmcnt(6)
	v_add_co_u32_e32 v8, vcc, s18, v0
	v_addc_co_u32_e32 v9, vcc, 0, v1, vcc
	s_waitcnt lgkmcnt(4)
	global_store_byte v[8:9], v6, off
	s_or_b64 exec, exec, s[16:17]
	s_and_saveexec_b64 s[16:17], s[8:9]
	s_cbranch_execz .LBB262_89
.LBB262_107:
	s_lshl_b32 s18, s38, 9
	s_waitcnt lgkmcnt(4)
	v_add_co_u32_e32 v6, vcc, s18, v0
	v_addc_co_u32_e32 v7, vcc, 0, v1, vcc
	s_waitcnt lgkmcnt(3)
	global_store_byte v[6:7], v5, off
	s_or_b64 exec, exec, s[16:17]
	s_and_saveexec_b64 s[16:17], s[10:11]
	s_cbranch_execz .LBB262_90
.LBB262_108:
	s_mul_i32 s18, s38, 0x280
	s_waitcnt lgkmcnt(4)
	v_add_co_u32_e32 v6, vcc, s18, v0
	v_addc_co_u32_e32 v7, vcc, 0, v1, vcc
	s_waitcnt lgkmcnt(2)
	global_store_byte v[6:7], v4, off
	s_or_b64 exec, exec, s[16:17]
	s_and_saveexec_b64 s[16:17], s[12:13]
	s_cbranch_execz .LBB262_91
.LBB262_109:
	s_mul_i32 s18, s38, 0x300
	s_waitcnt lgkmcnt(2)
	v_add_co_u32_e32 v4, vcc, s18, v0
	v_addc_co_u32_e32 v5, vcc, 0, v1, vcc
	s_waitcnt lgkmcnt(1)
	global_store_byte v[4:5], v3, off
	s_or_b64 exec, exec, s[16:17]
	s_and_saveexec_b64 s[16:17], s[14:15]
	s_cbranch_execnz .LBB262_92
	s_branch .LBB262_93
.LBB262_110:
	ds_read_b64 v[16:17], v41
	s_waitcnt lgkmcnt(0)
	global_store_dwordx2 v[2:3], v[16:17], off
	s_or_b64 exec, exec, s[16:17]
	s_and_saveexec_b64 s[0:1], s[2:3]
	s_cbranch_execz .LBB262_95
.LBB262_111:
	s_lshl_b32 s2, s34, 7
	s_mov_b32 s3, 0
	s_lshl_b64 s[2:3], s[2:3], 3
	v_mov_b32_e32 v17, s3
	v_add_co_u32_e32 v16, vcc, s2, v2
	v_addc_co_u32_e32 v17, vcc, v3, v17, vcc
	s_waitcnt lgkmcnt(6)
	global_store_dwordx2 v[16:17], v[14:15], off
	s_or_b64 exec, exec, s[0:1]
	s_and_saveexec_b64 s[0:1], s[4:5]
	s_cbranch_execz .LBB262_96
.LBB262_112:
	s_lshl_b32 s2, s34, 8
	s_mov_b32 s3, 0
	s_lshl_b64 s[2:3], s[2:3], 3
	s_waitcnt lgkmcnt(6)
	v_mov_b32_e32 v15, s3
	v_add_co_u32_e32 v14, vcc, s2, v2
	v_addc_co_u32_e32 v15, vcc, v3, v15, vcc
	s_waitcnt lgkmcnt(5)
	global_store_dwordx2 v[14:15], v[12:13], off
	s_or_b64 exec, exec, s[0:1]
	s_and_saveexec_b64 s[0:1], s[6:7]
	s_cbranch_execz .LBB262_97
.LBB262_113:
	s_mul_i32 s2, s34, 0x180
	s_mov_b32 s3, 0
	s_lshl_b64 s[2:3], s[2:3], 3
	s_waitcnt lgkmcnt(5)
	v_mov_b32_e32 v13, s3
	v_add_co_u32_e32 v12, vcc, s2, v2
	v_addc_co_u32_e32 v13, vcc, v3, v13, vcc
	s_waitcnt lgkmcnt(4)
	global_store_dwordx2 v[12:13], v[10:11], off
	s_or_b64 exec, exec, s[0:1]
	s_and_saveexec_b64 s[0:1], s[8:9]
	s_cbranch_execz .LBB262_98
.LBB262_114:
	s_lshl_b32 s2, s34, 9
	s_mov_b32 s3, 0
	s_lshl_b64 s[2:3], s[2:3], 3
	s_waitcnt lgkmcnt(4)
	v_mov_b32_e32 v11, s3
	v_add_co_u32_e32 v10, vcc, s2, v2
	v_addc_co_u32_e32 v11, vcc, v3, v11, vcc
	s_waitcnt lgkmcnt(3)
	global_store_dwordx2 v[10:11], v[8:9], off
	s_or_b64 exec, exec, s[0:1]
	s_and_saveexec_b64 s[0:1], s[10:11]
	s_cbranch_execz .LBB262_99
.LBB262_115:
	s_mul_i32 s2, s34, 0x280
	s_mov_b32 s3, 0
	s_lshl_b64 s[2:3], s[2:3], 3
	s_waitcnt lgkmcnt(3)
	v_mov_b32_e32 v9, s3
	v_add_co_u32_e32 v8, vcc, s2, v2
	v_addc_co_u32_e32 v9, vcc, v3, v9, vcc
	s_waitcnt lgkmcnt(2)
	global_store_dwordx2 v[8:9], v[6:7], off
	s_or_b64 exec, exec, s[0:1]
	s_and_saveexec_b64 s[0:1], s[12:13]
	s_cbranch_execz .LBB262_100
.LBB262_116:
	s_mul_i32 s2, s34, 0x300
	s_mov_b32 s3, 0
	s_lshl_b64 s[2:3], s[2:3], 3
	s_waitcnt lgkmcnt(2)
	v_mov_b32_e32 v7, s3
	v_add_co_u32_e32 v6, vcc, s2, v2
	v_addc_co_u32_e32 v7, vcc, v3, v7, vcc
	s_waitcnt lgkmcnt(1)
	global_store_dwordx2 v[6:7], v[4:5], off
	s_or_b64 exec, exec, s[0:1]
	s_and_saveexec_b64 s[0:1], s[14:15]
	s_cbranch_execnz .LBB262_101
	s_branch .LBB262_102
	.section	.rodata,"a",@progbits
	.p2align	6, 0x0
	.amdhsa_kernel _ZN2at6native18radixSortKVInPlaceILin2ELin1ELi128ELi8EbljEEvNS_4cuda6detail10TensorInfoIT3_T5_EES6_S6_S6_NS4_IT4_S6_EES6_b
		.amdhsa_group_segment_fixed_size 8448
		.amdhsa_private_segment_fixed_size 0
		.amdhsa_kernarg_size 712
		.amdhsa_user_sgpr_count 6
		.amdhsa_user_sgpr_private_segment_buffer 1
		.amdhsa_user_sgpr_dispatch_ptr 0
		.amdhsa_user_sgpr_queue_ptr 0
		.amdhsa_user_sgpr_kernarg_segment_ptr 1
		.amdhsa_user_sgpr_dispatch_id 0
		.amdhsa_user_sgpr_flat_scratch_init 0
		.amdhsa_user_sgpr_kernarg_preload_length 0
		.amdhsa_user_sgpr_kernarg_preload_offset 0
		.amdhsa_user_sgpr_private_segment_size 0
		.amdhsa_uses_dynamic_stack 0
		.amdhsa_system_sgpr_private_segment_wavefront_offset 0
		.amdhsa_system_sgpr_workgroup_id_x 1
		.amdhsa_system_sgpr_workgroup_id_y 1
		.amdhsa_system_sgpr_workgroup_id_z 1
		.amdhsa_system_sgpr_workgroup_info 0
		.amdhsa_system_vgpr_workitem_id 2
		.amdhsa_next_free_vgpr 105
		.amdhsa_next_free_sgpr 46
		.amdhsa_accum_offset 108
		.amdhsa_reserve_vcc 1
		.amdhsa_reserve_flat_scratch 0
		.amdhsa_float_round_mode_32 0
		.amdhsa_float_round_mode_16_64 0
		.amdhsa_float_denorm_mode_32 3
		.amdhsa_float_denorm_mode_16_64 3
		.amdhsa_dx10_clamp 1
		.amdhsa_ieee_mode 1
		.amdhsa_fp16_overflow 0
		.amdhsa_tg_split 0
		.amdhsa_exception_fp_ieee_invalid_op 0
		.amdhsa_exception_fp_denorm_src 0
		.amdhsa_exception_fp_ieee_div_zero 0
		.amdhsa_exception_fp_ieee_overflow 0
		.amdhsa_exception_fp_ieee_underflow 0
		.amdhsa_exception_fp_ieee_inexact 0
		.amdhsa_exception_int_div_zero 0
	.end_amdhsa_kernel
	.section	.text._ZN2at6native18radixSortKVInPlaceILin2ELin1ELi128ELi8EbljEEvNS_4cuda6detail10TensorInfoIT3_T5_EES6_S6_S6_NS4_IT4_S6_EES6_b,"axG",@progbits,_ZN2at6native18radixSortKVInPlaceILin2ELin1ELi128ELi8EbljEEvNS_4cuda6detail10TensorInfoIT3_T5_EES6_S6_S6_NS4_IT4_S6_EES6_b,comdat
.Lfunc_end262:
	.size	_ZN2at6native18radixSortKVInPlaceILin2ELin1ELi128ELi8EbljEEvNS_4cuda6detail10TensorInfoIT3_T5_EES6_S6_S6_NS4_IT4_S6_EES6_b, .Lfunc_end262-_ZN2at6native18radixSortKVInPlaceILin2ELin1ELi128ELi8EbljEEvNS_4cuda6detail10TensorInfoIT3_T5_EES6_S6_S6_NS4_IT4_S6_EES6_b
                                        ; -- End function
	.section	.AMDGPU.csdata,"",@progbits
; Kernel info:
; codeLenInByte = 8272
; NumSgprs: 50
; NumVgprs: 105
; NumAgprs: 0
; TotalNumVgprs: 105
; ScratchSize: 0
; MemoryBound: 0
; FloatMode: 240
; IeeeMode: 1
; LDSByteSize: 8448 bytes/workgroup (compile time only)
; SGPRBlocks: 6
; VGPRBlocks: 13
; NumSGPRsForWavesPerEU: 50
; NumVGPRsForWavesPerEU: 105
; AccumOffset: 108
; Occupancy: 4
; WaveLimiterHint : 1
; COMPUTE_PGM_RSRC2:SCRATCH_EN: 0
; COMPUTE_PGM_RSRC2:USER_SGPR: 6
; COMPUTE_PGM_RSRC2:TRAP_HANDLER: 0
; COMPUTE_PGM_RSRC2:TGID_X_EN: 1
; COMPUTE_PGM_RSRC2:TGID_Y_EN: 1
; COMPUTE_PGM_RSRC2:TGID_Z_EN: 1
; COMPUTE_PGM_RSRC2:TIDIG_COMP_CNT: 2
; COMPUTE_PGM_RSRC3_GFX90A:ACCUM_OFFSET: 26
; COMPUTE_PGM_RSRC3_GFX90A:TG_SPLIT: 0
	.section	.text._ZN2at6native18radixSortKVInPlaceILin2ELin1ELi32ELi4EbljEEvNS_4cuda6detail10TensorInfoIT3_T5_EES6_S6_S6_NS4_IT4_S6_EES6_b,"axG",@progbits,_ZN2at6native18radixSortKVInPlaceILin2ELin1ELi32ELi4EbljEEvNS_4cuda6detail10TensorInfoIT3_T5_EES6_S6_S6_NS4_IT4_S6_EES6_b,comdat
	.protected	_ZN2at6native18radixSortKVInPlaceILin2ELin1ELi32ELi4EbljEEvNS_4cuda6detail10TensorInfoIT3_T5_EES6_S6_S6_NS4_IT4_S6_EES6_b ; -- Begin function _ZN2at6native18radixSortKVInPlaceILin2ELin1ELi32ELi4EbljEEvNS_4cuda6detail10TensorInfoIT3_T5_EES6_S6_S6_NS4_IT4_S6_EES6_b
	.globl	_ZN2at6native18radixSortKVInPlaceILin2ELin1ELi32ELi4EbljEEvNS_4cuda6detail10TensorInfoIT3_T5_EES6_S6_S6_NS4_IT4_S6_EES6_b
	.p2align	8
	.type	_ZN2at6native18radixSortKVInPlaceILin2ELin1ELi32ELi4EbljEEvNS_4cuda6detail10TensorInfoIT3_T5_EES6_S6_S6_NS4_IT4_S6_EES6_b,@function
_ZN2at6native18radixSortKVInPlaceILin2ELin1ELi32ELi4EbljEEvNS_4cuda6detail10TensorInfoIT3_T5_EES6_S6_S6_NS4_IT4_S6_EES6_b: ; @_ZN2at6native18radixSortKVInPlaceILin2ELin1ELi32ELi4EbljEEvNS_4cuda6detail10TensorInfoIT3_T5_EES6_S6_S6_NS4_IT4_S6_EES6_b
; %bb.0:
	s_load_dwordx2 s[0:1], s[4:5], 0x1c8
	s_load_dwordx4 s[28:31], s[4:5], 0xd8
	s_waitcnt lgkmcnt(0)
	s_mul_i32 s1, s1, s8
	s_add_i32 s1, s1, s7
	s_mul_i32 s8, s1, s0
	s_add_i32 s8, s8, s6
	s_cmp_ge_u32 s8, s28
	s_cbranch_scc1 .LBB263_70
; %bb.1:
	s_load_dword s6, s[4:5], 0x1b8
	s_load_dwordx2 s[0:1], s[4:5], 0x0
	s_add_u32 s2, s4, 0xe8
	s_addc_u32 s3, s5, 0
	s_mov_b32 s11, 0
	s_waitcnt lgkmcnt(0)
	s_cmp_lt_i32 s6, 2
	s_mov_b32 s10, s8
	s_cbranch_scc1 .LBB263_4
; %bb.2:
	s_add_i32 s10, s6, -1
	s_add_i32 s9, s6, 1
	s_lshl_b64 s[6:7], s[10:11], 2
	s_add_u32 s6, s6, s2
	s_addc_u32 s7, s7, s3
	s_add_u32 s6, s6, 8
	s_addc_u32 s7, s7, 0
	s_mov_b32 s10, s8
.LBB263_3:                              ; =>This Inner Loop Header: Depth=1
	s_load_dword s12, s[6:7], 0x0
	s_load_dword s14, s[6:7], 0x64
	s_mov_b32 s13, s10
	s_waitcnt lgkmcnt(0)
	v_cvt_f32_u32_e32 v1, s12
	s_sub_i32 s10, 0, s12
	v_rcp_iflag_f32_e32 v1, v1
	v_mul_f32_e32 v1, 0x4f7ffffe, v1
	v_cvt_u32_f32_e32 v1, v1
	v_readfirstlane_b32 s15, v1
	s_mul_i32 s10, s10, s15
	s_mul_hi_u32 s10, s15, s10
	s_add_i32 s15, s15, s10
	s_mul_hi_u32 s10, s13, s15
	s_mul_i32 s15, s10, s12
	s_sub_i32 s15, s13, s15
	s_add_i32 s16, s10, 1
	s_sub_i32 s17, s15, s12
	s_cmp_ge_u32 s15, s12
	s_cselect_b32 s10, s16, s10
	s_cselect_b32 s15, s17, s15
	s_add_i32 s16, s10, 1
	s_cmp_ge_u32 s15, s12
	s_cselect_b32 s10, s16, s10
	s_mul_i32 s12, s10, s12
	s_sub_i32 s12, s13, s12
	s_mul_i32 s12, s14, s12
	s_add_i32 s9, s9, -1
	s_add_i32 s11, s12, s11
	s_add_u32 s6, s6, -4
	s_addc_u32 s7, s7, -1
	s_cmp_gt_u32 s9, 2
	s_cbranch_scc1 .LBB263_3
.LBB263_4:
	s_load_dword s6, s[4:5], 0x6c
	s_load_dwordx2 s[34:35], s[4:5], 0x1c0
	v_mul_lo_u32 v28, v0, s30
	s_waitcnt lgkmcnt(0)
	s_mul_i32 s6, s6, s8
	s_bitcmp1_b32 s35, 0
	s_cselect_b64 s[4:5], -1, 0
	s_add_u32 s36, s0, s6
	s_addc_u32 s37, s1, 0
	s_xor_b64 s[8:9], s[4:5], -1
	v_cndmask_b32_e64 v3, 0, 1, s[8:9]
	v_lshlrev_b16_e32 v1, 8, v3
	v_or_b32_e32 v1, v3, v1
	v_lshlrev_b32_e32 v2, 16, v1
	v_or_b32_sdwa v2, v1, v2 dst_sel:DWORD dst_unused:UNUSED_PAD src0_sel:WORD_0 src1_sel:DWORD
	v_cmp_gt_u32_e64 s[0:1], s29, v0
	s_and_saveexec_b64 s[4:5], s[0:1]
	s_cbranch_execz .LBB263_6
; %bb.5:
	global_load_ubyte v3, v28, s[36:37]
	s_mov_b32 s6, 0x3020104
	s_waitcnt vmcnt(0)
	v_perm_b32 v2, v3, v2, s6
.LBB263_6:
	s_or_b64 exec, exec, s[4:5]
	v_or_b32_e32 v1, 32, v0
	v_cmp_gt_u32_e64 s[6:7], s29, v1
	s_and_saveexec_b64 s[4:5], s[6:7]
	s_cbranch_execz .LBB263_8
; %bb.7:
	v_mul_lo_u32 v4, v1, s30
	global_load_ubyte v4, v4, s[36:37]
	s_mov_b32 s12, 0x7060004
	s_waitcnt vmcnt(0)
	v_perm_b32 v2, v2, v4, s12
.LBB263_8:
	s_or_b64 exec, exec, s[4:5]
	s_load_dwordx2 s[12:13], s[2:3], 0x0
	v_or_b32_e32 v10, 64, v0
	v_cmp_gt_u32_e64 s[4:5], s29, v10
	s_and_saveexec_b64 s[14:15], s[4:5]
	s_cbranch_execz .LBB263_10
; %bb.9:
	v_mul_lo_u32 v4, v10, s30
	global_load_ubyte v4, v4, s[36:37]
	s_mov_b32 s16, 0x7000504
	s_waitcnt vmcnt(0)
	v_perm_b32 v2, v2, v4, s16
.LBB263_10:
	s_or_b64 exec, exec, s[14:15]
	s_load_dword s16, s[2:3], 0x6c
	v_or_b32_e32 v11, 0x60, v0
	v_cmp_gt_u32_e64 s[2:3], s29, v11
	s_and_saveexec_b64 s[14:15], s[2:3]
	s_cbranch_execz .LBB263_12
; %bb.11:
	v_mul_lo_u32 v4, v11, s30
	global_load_ubyte v4, v4, s[36:37]
	s_mov_b32 s17, 0x60504
	s_waitcnt vmcnt(0)
	v_perm_b32 v2, v2, v4, s17
.LBB263_12:
	s_or_b64 exec, exec, s[14:15]
	ds_write_b8 v0, v3
	v_lshrrev_b32_e32 v3, 8, v2
	ds_write_b8 v0, v3 offset:32
	ds_write_b8_d16_hi v0, v2 offset:64
	v_lshrrev_b32_e32 v2, 24, v2
	v_lshlrev_b32_e32 v29, 2, v0
	ds_write_b8 v0, v2 offset:96
	s_waitcnt lgkmcnt(0)
	; wave barrier
	s_waitcnt lgkmcnt(0)
	ds_read_u8 v37, v29
	ds_read_u8 v36, v29 offset:1
	ds_read_u8 v35, v29 offset:2
	;; [unrolled: 1-line block ×3, first 2 shown]
	s_mul_i32 s10, s16, s10
	s_add_i32 s16, s10, s11
	s_mov_b32 s17, 0
	s_lshl_b64 s[10:11], s[16:17], 3
	s_mov_b32 s16, s17
	s_add_u32 s31, s12, s10
	s_mov_b32 s18, s17
	s_mov_b32 s19, s17
	;; [unrolled: 1-line block ×6, first 2 shown]
	v_pk_mov_b32 v[2:3], s[16:17], s[16:17] op_sel:[0,1]
	s_addc_u32 s33, s13, s11
	v_pk_mov_b32 v[4:5], s[18:19], s[18:19] op_sel:[0,1]
	v_pk_mov_b32 v[6:7], s[20:21], s[20:21] op_sel:[0,1]
	;; [unrolled: 1-line block ×3, first 2 shown]
	v_pk_mov_b32 v[2:3], 0, 0
	v_mul_lo_u32 v18, v0, s34
	s_waitcnt lgkmcnt(0)
	; wave barrier
	s_waitcnt lgkmcnt(0)
	s_and_saveexec_b64 s[10:11], s[0:1]
	s_cbranch_execnz .LBB263_26
; %bb.13:
	s_or_b64 exec, exec, s[10:11]
	s_and_saveexec_b64 s[10:11], s[6:7]
	s_cbranch_execnz .LBB263_27
.LBB263_14:
	s_or_b64 exec, exec, s[10:11]
	s_and_saveexec_b64 s[10:11], s[4:5]
	s_cbranch_execz .LBB263_16
.LBB263_15:
	v_mul_lo_u32 v6, v10, s34
	v_mov_b32_e32 v7, 0
	v_lshlrev_b64 v[6:7], 3, v[6:7]
	v_mov_b32_e32 v12, s33
	v_add_co_u32_e32 v6, vcc, s31, v6
	v_addc_co_u32_e32 v7, vcc, v12, v7, vcc
	global_load_dwordx2 v[6:7], v[6:7], off
.LBB263_16:
	s_or_b64 exec, exec, s[10:11]
	v_lshrrev_b32_e32 v14, 5, v1
	v_lshrrev_b32_e32 v13, 5, v10
	;; [unrolled: 1-line block ×4, first 2 shown]
	s_and_saveexec_b64 s[10:11], s[2:3]
	s_cbranch_execz .LBB263_18
; %bb.17:
	v_mul_lo_u32 v8, v11, s34
	v_mov_b32_e32 v9, 0
	v_lshlrev_b64 v[8:9], 3, v[8:9]
	v_mov_b32_e32 v11, s33
	v_add_co_u32_e32 v8, vcc, s31, v8
	v_addc_co_u32_e32 v9, vcc, v11, v9, vcc
	global_load_dwordx2 v[8:9], v[8:9], off
.LBB263_18:
	s_or_b64 exec, exec, s[10:11]
	v_lshlrev_b32_e32 v30, 3, v0
	v_add_lshl_u32 v19, v14, v0, 3
	v_add_lshl_u32 v31, v13, v0, 3
	;; [unrolled: 1-line block ×4, first 2 shown]
	s_waitcnt vmcnt(0)
	ds_write_b64 v30, v[2:3]
	ds_write_b64 v19, v[4:5] offset:256
	ds_write_b64 v31, v[6:7] offset:512
	;; [unrolled: 1-line block ×3, first 2 shown]
	s_waitcnt lgkmcnt(0)
	; wave barrier
	s_waitcnt lgkmcnt(0)
	ds_read2_b64 v[2:5], v33 offset1:1
	ds_read2_b64 v[6:9], v33 offset0:2 offset1:3
	s_and_b64 vcc, exec, s[8:9]
	s_waitcnt lgkmcnt(0)
	; wave barrier
	s_waitcnt lgkmcnt(0)
	s_cbranch_vccz .LBB263_28
; %bb.19:
	s_movk_i32 s10, 0x100
	v_cmp_gt_u32_e32 vcc, s10, v0
	s_getpc_b64 s[8:9]
	s_add_u32 s8, s8, _ZN7rocprim17ROCPRIM_400000_NS16block_radix_sortIbLj32ELj4ElLj1ELj1ELj0ELNS0_26block_radix_rank_algorithmE1ELNS0_18block_padding_hintE2ELNS0_4arch9wavefront6targetE1EE19radix_bits_per_passE@rel32@lo+4
	s_addc_u32 s9, s9, _ZN7rocprim17ROCPRIM_400000_NS16block_radix_sortIbLj32ELj4ElLj1ELj1ELj0ELNS0_26block_radix_rank_algorithmE1ELNS0_18block_padding_hintE2ELNS0_4arch9wavefront6targetE1EE19radix_bits_per_passE@rel32@hi+12
	s_and_saveexec_b64 s[10:11], vcc
	s_cbranch_execz .LBB263_29
; %bb.20:
	s_mov_b32 s18, 0
	s_mov_b64 s[12:13], 0
	v_mov_b32_e32 v12, 0
	v_pk_mov_b32 v[10:11], v[0:1], v[0:1] op_sel:[0,1]
	s_branch .LBB263_22
.LBB263_21:                             ;   in Loop: Header=BB263_22 Depth=1
	s_or_b64 exec, exec, s[16:17]
	s_add_i32 s18, s18, 2
	v_cmp_eq_u32_e64 s[14:15], 8, s18
	v_add_u32_e32 v11, 64, v11
	s_or_b64 s[12:13], s[14:15], s[12:13]
	v_add_u32_e32 v10, 64, v10
	s_andn2_b64 exec, exec, s[12:13]
	s_cbranch_execz .LBB263_29
.LBB263_22:                             ; =>This Inner Loop Header: Depth=1
	s_or_b32 s14, s18, 1
	v_cmp_le_u32_e64 s[14:15], s14, 7
	v_cmp_le_u32_e64 s[20:21], s18, 7
	s_and_saveexec_b64 s[16:17], s[20:21]
	s_cbranch_execz .LBB263_24
; %bb.23:                               ;   in Loop: Header=BB263_22 Depth=1
	v_lshlrev_b32_e32 v13, 2, v10
	ds_write_b32 v13, v12
.LBB263_24:                             ;   in Loop: Header=BB263_22 Depth=1
	s_or_b64 exec, exec, s[16:17]
	s_and_saveexec_b64 s[16:17], s[14:15]
	s_cbranch_execz .LBB263_21
; %bb.25:                               ;   in Loop: Header=BB263_22 Depth=1
	v_lshlrev_b32_e32 v13, 2, v11
	ds_write_b32 v13, v12
	s_branch .LBB263_21
.LBB263_26:
	v_mov_b32_e32 v19, 0
	v_lshlrev_b64 v[2:3], 3, v[18:19]
	v_mov_b32_e32 v4, s33
	v_add_co_u32_e32 v2, vcc, s31, v2
	v_addc_co_u32_e32 v3, vcc, v4, v3, vcc
	global_load_dwordx2 v[2:3], v[2:3], off
	v_mov_b32_e32 v4, v19
	v_mov_b32_e32 v5, v19
	v_mov_b32_e32 v6, v19
	v_mov_b32_e32 v7, v19
	v_mov_b32_e32 v8, v19
	v_mov_b32_e32 v9, v19
	s_or_b64 exec, exec, s[10:11]
	s_and_saveexec_b64 s[10:11], s[6:7]
	s_cbranch_execz .LBB263_14
.LBB263_27:
	v_mul_lo_u32 v4, v1, s34
	v_mov_b32_e32 v5, 0
	v_lshlrev_b64 v[4:5], 3, v[4:5]
	v_mov_b32_e32 v12, s33
	v_add_co_u32_e32 v4, vcc, s31, v4
	v_addc_co_u32_e32 v5, vcc, v12, v5, vcc
	global_load_dwordx2 v[4:5], v[4:5], off
	s_or_b64 exec, exec, s[10:11]
	s_and_saveexec_b64 s[10:11], s[4:5]
	s_cbranch_execnz .LBB263_15
	s_branch .LBB263_16
.LBB263_28:
                                        ; implicit-def: $vgpr16_vgpr17
                                        ; implicit-def: $vgpr12_vgpr13
                                        ; implicit-def: $vgpr20
	s_cbranch_execnz .LBB263_41
	s_branch .LBB263_60
.LBB263_29:
	s_or_b64 exec, exec, s[10:11]
	s_load_dword s8, s[8:9], 0x0
	v_lshlrev_b32_e32 v38, 5, v0
	v_cmp_eq_u32_e64 s[10:11], 31, v0
	s_waitcnt lgkmcnt(0)
	s_min_u32 s8, s8, 8
	s_lshl_b32 s8, -1, s8
	s_not_b32 s8, s8
	v_and_b32_e32 v10, s8, v37
	v_and_b32_e32 v10, 0xff, v10
	v_lshl_or_b32 v21, v10, 7, v29
	ds_read_u16 v20, v21
	v_and_b32_e32 v10, s8, v36
	v_and_b32_e32 v10, 0xff, v10
	v_lshl_or_b32 v24, v10, 7, v29
	v_and_b32_e32 v11, s8, v35
	s_waitcnt lgkmcnt(0)
	v_add_u16_e32 v10, 1, v20
	ds_write_b16 v21, v10
	ds_read_u16 v23, v24
	v_and_b32_e32 v11, 0xff, v11
	v_lshl_or_b32 v26, v11, 7, v29
	v_mbcnt_lo_u32_b32 v10, -1, 0
	v_mbcnt_hi_u32_b32 v41, -1, v10
	s_waitcnt lgkmcnt(0)
	v_add_u16_e32 v11, 1, v23
	ds_write_b16 v24, v11
	ds_read_u16 v25, v26
	v_and_b32_e32 v10, s8, v34
	v_and_b32_e32 v10, 0xff, v10
	v_lshl_or_b32 v39, v10, 7, v29
	v_and_b32_e32 v22, 15, v41
	s_waitcnt lgkmcnt(0)
	v_add_u16_e32 v10, 1, v25
	ds_write_b16 v26, v10
	ds_read_u16 v27, v39
	v_and_b32_e32 v10, 16, v41
	v_cmp_eq_u32_e64 s[8:9], 0, v10
	v_cmp_eq_u32_e64 s[14:15], 0, v22
	v_cmp_lt_u32_e64 s[16:17], 1, v22
	s_waitcnt lgkmcnt(0)
	v_add_u16_e32 v10, 1, v27
	ds_write_b16 v39, v10
	s_waitcnt lgkmcnt(0)
	; wave barrier
	s_waitcnt lgkmcnt(0)
	ds_read2_b32 v[16:17], v38 offset1:1
	ds_read2_b32 v[14:15], v38 offset0:2 offset1:3
	ds_read2_b32 v[10:11], v38 offset0:4 offset1:5
	;; [unrolled: 1-line block ×3, first 2 shown]
	v_cmp_lt_u32_e64 s[18:19], 3, v22
	s_waitcnt lgkmcnt(3)
	v_add_u32_e32 v42, v17, v16
	s_waitcnt lgkmcnt(2)
	v_add3_u32 v42, v42, v14, v15
	s_waitcnt lgkmcnt(1)
	v_add3_u32 v42, v42, v10, v11
	;; [unrolled: 2-line block ×3, first 2 shown]
	v_cmp_lt_u32_e64 s[20:21], 7, v22
	v_bfe_i32 v40, v41, 4, 1
	v_mov_b32_dpp v42, v13 row_shr:1 row_mask:0xf bank_mask:0xf
	v_cndmask_b32_e64 v42, v42, 0, s[14:15]
	v_add_u32_e32 v13, v42, v13
	s_nop 1
	v_mov_b32_dpp v42, v13 row_shr:2 row_mask:0xf bank_mask:0xf
	v_cndmask_b32_e64 v42, 0, v42, s[16:17]
	v_add_u32_e32 v13, v13, v42
	s_nop 1
	v_mov_b32_dpp v42, v13 row_shr:4 row_mask:0xf bank_mask:0xf
	v_cndmask_b32_e64 v42, 0, v42, s[18:19]
	v_add_u32_e32 v13, v13, v42
	s_nop 1
	v_mov_b32_dpp v42, v13 row_shr:8 row_mask:0xf bank_mask:0xf
	v_cndmask_b32_e64 v22, 0, v42, s[20:21]
	v_add_u32_e32 v13, v13, v22
	s_nop 1
	v_mov_b32_dpp v22, v13 row_bcast:15 row_mask:0xf bank_mask:0xf
	v_and_b32_e32 v22, v40, v22
	v_add_u32_e32 v13, v13, v22
	s_and_saveexec_b64 s[12:13], s[10:11]
	s_cbranch_execz .LBB263_31
; %bb.30:
	v_mov_b32_e32 v22, 0
	ds_write_b32 v22, v13 offset:1024
.LBB263_31:
	s_or_b64 exec, exec, s[12:13]
	v_add_u32_e32 v22, -1, v41
	v_and_b32_e32 v40, 0x60, v41
	v_cmp_lt_i32_e64 s[12:13], v22, v40
	v_cndmask_b32_e64 v22, v22, v41, s[12:13]
	v_lshlrev_b32_e32 v40, 2, v22
	ds_bpermute_b32 v13, v40, v13
	v_mov_b32_e32 v22, 0
	s_waitcnt lgkmcnt(0)
	; wave barrier
	s_waitcnt lgkmcnt(0)
	ds_read_b32 v42, v22 offset:1024
	v_cmp_eq_u32_e64 s[12:13], 0, v41
	v_cndmask_b32_e64 v13, v13, 0, s[12:13]
	s_waitcnt lgkmcnt(0)
	v_lshl_add_u32 v13, v42, 16, v13
	v_add_u32_e32 v16, v13, v16
	v_add_u32_e32 v17, v16, v17
	;; [unrolled: 1-line block ×7, first 2 shown]
	ds_write2_b32 v38, v13, v16 offset1:1
	ds_write2_b32 v38, v17, v14 offset0:2 offset1:3
	ds_write2_b32 v38, v15, v10 offset0:4 offset1:5
	;; [unrolled: 1-line block ×3, first 2 shown]
	s_waitcnt lgkmcnt(0)
	; wave barrier
	s_waitcnt lgkmcnt(0)
	ds_read_u16 v10, v21
	ds_read_u16 v11, v24
	;; [unrolled: 1-line block ×4, first 2 shown]
	s_waitcnt lgkmcnt(0)
	v_add_u32_sdwa v10, v10, v20 dst_sel:DWORD dst_unused:UNUSED_PAD src0_sel:DWORD src1_sel:WORD_0
	v_add_u32_sdwa v11, v11, v23 dst_sel:DWORD dst_unused:UNUSED_PAD src0_sel:DWORD src1_sel:WORD_0
	;; [unrolled: 1-line block ×4, first 2 shown]
	; wave barrier
	ds_write_b8 v10, v37
	ds_write_b8 v11, v36
	;; [unrolled: 1-line block ×4, first 2 shown]
	v_lshlrev_b32_e32 v10, 3, v10
	s_waitcnt lgkmcnt(0)
	; wave barrier
	s_waitcnt lgkmcnt(0)
	ds_read_u8 v41, v29
	ds_read_u8 v42, v29 offset:1
	ds_read_u8 v43, v29 offset:2
	ds_read_u8 v44, v29 offset:3
	s_waitcnt lgkmcnt(0)
	; wave barrier
	s_waitcnt lgkmcnt(0)
	ds_write_b64 v10, v[2:3]
	v_lshlrev_b32_e32 v10, 3, v11
	ds_write_b64 v10, v[4:5]
	v_lshlrev_b32_e32 v10, 3, v12
	v_lshlrev_b32_e32 v39, 3, v29
	ds_write_b64 v10, v[6:7]
	v_lshlrev_b32_e32 v10, 3, v13
	ds_write_b64 v10, v[8:9]
	s_waitcnt lgkmcnt(0)
	; wave barrier
	s_waitcnt lgkmcnt(0)
	ds_read2_b64 v[14:17], v39 offset1:1
	ds_read2_b64 v[10:13], v39 offset0:2 offset1:3
	s_waitcnt lgkmcnt(0)
	; wave barrier
	s_waitcnt lgkmcnt(0)
	s_and_saveexec_b64 s[22:23], vcc
	s_cbranch_execz .LBB263_38
; %bb.32:
	s_mov_b32 s35, 0
	s_mov_b64 s[24:25], 0
	v_pk_mov_b32 v[20:21], v[0:1], v[0:1] op_sel:[0,1]
	s_branch .LBB263_34
.LBB263_33:                             ;   in Loop: Header=BB263_34 Depth=1
	s_or_b64 exec, exec, s[28:29]
	s_add_i32 s35, s35, 2
	v_cmp_eq_u32_e64 s[26:27], 8, s35
	v_add_u32_e32 v21, 64, v21
	s_or_b64 s[24:25], s[26:27], s[24:25]
	v_add_u32_e32 v20, 64, v20
	s_andn2_b64 exec, exec, s[24:25]
	s_cbranch_execz .LBB263_38
.LBB263_34:                             ; =>This Inner Loop Header: Depth=1
	s_or_b32 s26, s35, 1
	v_cmp_le_u32_e64 s[26:27], s26, 7
	v_cmp_le_u32_e64 s[38:39], s35, 7
	s_and_saveexec_b64 s[28:29], s[38:39]
	s_cbranch_execz .LBB263_36
; %bb.35:                               ;   in Loop: Header=BB263_34 Depth=1
	v_lshlrev_b32_e32 v23, 2, v20
	ds_write_b32 v23, v22
.LBB263_36:                             ;   in Loop: Header=BB263_34 Depth=1
	s_or_b64 exec, exec, s[28:29]
	s_and_saveexec_b64 s[28:29], s[26:27]
	s_cbranch_execz .LBB263_33
; %bb.37:                               ;   in Loop: Header=BB263_34 Depth=1
	v_lshlrev_b32_e32 v23, 2, v21
	ds_write_b32 v23, v22
	s_branch .LBB263_33
.LBB263_38:
	s_or_b64 exec, exec, s[22:23]
	v_lshlrev_b32_e32 v20, 1, v0
	v_lshlrev_b32_e32 v46, 1, v20
	ds_read_u16 v45, v46
	s_waitcnt lgkmcnt(0)
	v_add_u16_e32 v20, 4, v45
	ds_write_b16 v46, v20
	s_waitcnt lgkmcnt(0)
	; wave barrier
	s_waitcnt lgkmcnt(0)
	ds_read2_b32 v[26:27], v38 offset1:1
	ds_read2_b32 v[24:25], v38 offset0:2 offset1:3
	ds_read2_b32 v[20:21], v38 offset0:4 offset1:5
	;; [unrolled: 1-line block ×3, first 2 shown]
	s_waitcnt lgkmcnt(3)
	v_add_u32_e32 v47, v27, v26
	s_waitcnt lgkmcnt(2)
	v_add3_u32 v47, v47, v24, v25
	s_waitcnt lgkmcnt(1)
	v_add3_u32 v47, v47, v20, v21
	;; [unrolled: 2-line block ×3, first 2 shown]
	s_nop 1
	v_mov_b32_dpp v47, v23 row_shr:1 row_mask:0xf bank_mask:0xf
	v_cndmask_b32_e64 v47, v47, 0, s[14:15]
	v_add_u32_e32 v23, v47, v23
	s_nop 1
	v_mov_b32_dpp v47, v23 row_shr:2 row_mask:0xf bank_mask:0xf
	v_cndmask_b32_e64 v47, 0, v47, s[16:17]
	v_add_u32_e32 v23, v23, v47
	;; [unrolled: 4-line block ×4, first 2 shown]
	s_nop 1
	v_mov_b32_dpp v47, v23 row_bcast:15 row_mask:0xf bank_mask:0xf
	v_cndmask_b32_e64 v47, v47, 0, s[8:9]
	v_add_u32_e32 v23, v23, v47
	s_and_saveexec_b64 s[8:9], s[10:11]
	s_cbranch_execz .LBB263_40
; %bb.39:
	v_mov_b32_e32 v47, 0
	ds_write_b32 v47, v23 offset:1024
.LBB263_40:
	s_or_b64 exec, exec, s[8:9]
	ds_bpermute_b32 v23, v40, v23
	v_mov_b32_e32 v40, 0
	s_waitcnt lgkmcnt(0)
	; wave barrier
	s_waitcnt lgkmcnt(0)
	ds_read_b32 v40, v40 offset:1024
	v_cndmask_b32_e64 v23, v23, 0, s[12:13]
	s_waitcnt lgkmcnt(0)
	v_lshl_add_u32 v23, v40, 16, v23
	v_add_u32_e32 v26, v23, v26
	v_add_u32_e32 v27, v26, v27
	;; [unrolled: 1-line block ×7, first 2 shown]
	ds_write2_b32 v38, v23, v26 offset1:1
	ds_write2_b32 v38, v27, v24 offset0:2 offset1:3
	ds_write2_b32 v38, v25, v20 offset0:4 offset1:5
	;; [unrolled: 1-line block ×3, first 2 shown]
	s_waitcnt lgkmcnt(0)
	; wave barrier
	s_waitcnt lgkmcnt(0)
	ds_read_u16 v20, v46
	v_pk_sub_u16 v21, v45, -2 op_sel:[0,1] op_sel_hi:[0,0]
	v_add_u16_e32 v22, 3, v45
	s_waitcnt lgkmcnt(0)
	; wave barrier
	s_waitcnt lgkmcnt(0)
	v_add_u32_e32 v22, v20, v22
	v_add_u32_sdwa v23, v20, v21 dst_sel:DWORD dst_unused:UNUSED_PAD src0_sel:DWORD src1_sel:WORD_1
	v_add_u32_sdwa v21, v20, v21 dst_sel:DWORD dst_unused:UNUSED_PAD src0_sel:DWORD src1_sel:WORD_0
	v_add_u32_sdwa v20, v20, v45 dst_sel:DWORD dst_unused:UNUSED_PAD src0_sel:DWORD src1_sel:WORD_0
	ds_write_b8 v20, v41
	ds_write_b8 v21, v42
	;; [unrolled: 1-line block ×4, first 2 shown]
	v_lshlrev_b32_e32 v20, 3, v20
	s_waitcnt lgkmcnt(0)
	; wave barrier
	s_waitcnt lgkmcnt(0)
	ds_read_u8 v24, v29
	ds_read_u8 v25, v29 offset:1
	ds_read_u8 v26, v29 offset:2
	;; [unrolled: 1-line block ×3, first 2 shown]
	s_waitcnt lgkmcnt(0)
	; wave barrier
	s_waitcnt lgkmcnt(0)
	ds_write_b64 v20, v[14:15]
	v_lshlrev_b32_e32 v14, 3, v21
	ds_write_b64 v14, v[16:17]
	v_lshlrev_b32_e32 v14, 3, v23
	;; [unrolled: 2-line block ×3, first 2 shown]
	ds_write_b64 v10, v[12:13]
	s_waitcnt lgkmcnt(0)
	; wave barrier
	s_waitcnt lgkmcnt(0)
	ds_read2_b64 v[10:13], v39 offset1:1
	ds_read2_b64 v[14:17], v39 offset0:2 offset1:3
	v_lshlrev_b16_e32 v20, 8, v25
	v_lshlrev_b16_e32 v21, 8, v27
	v_or_b32_e32 v20, v24, v20
	v_or_b32_sdwa v21, v26, v21 dst_sel:WORD_1 dst_unused:UNUSED_PAD src0_sel:DWORD src1_sel:DWORD
	v_or_b32_sdwa v20, v20, v21 dst_sel:DWORD dst_unused:UNUSED_PAD src0_sel:WORD_0 src1_sel:DWORD
	s_branch .LBB263_60
.LBB263_41:
	s_movk_i32 s10, 0x100
	v_cmp_gt_u32_e32 vcc, s10, v0
	s_getpc_b64 s[8:9]
	s_add_u32 s8, s8, _ZN7rocprim17ROCPRIM_400000_NS16block_radix_sortIbLj32ELj4ElLj1ELj1ELj0ELNS0_26block_radix_rank_algorithmE1ELNS0_18block_padding_hintE2ELNS0_4arch9wavefront6targetE1EE19radix_bits_per_passE@rel32@lo+4
	s_addc_u32 s9, s9, _ZN7rocprim17ROCPRIM_400000_NS16block_radix_sortIbLj32ELj4ElLj1ELj1ELj0ELNS0_26block_radix_rank_algorithmE1ELNS0_18block_padding_hintE2ELNS0_4arch9wavefront6targetE1EE19radix_bits_per_passE@rel32@hi+12
	s_and_saveexec_b64 s[10:11], vcc
	s_cbranch_execz .LBB263_48
; %bb.42:
	s_mov_b32 s18, 0
	s_mov_b64 s[12:13], 0
	s_waitcnt lgkmcnt(1)
	v_mov_b32_e32 v12, 0
	v_pk_mov_b32 v[10:11], v[0:1], v[0:1] op_sel:[0,1]
	s_branch .LBB263_44
.LBB263_43:                             ;   in Loop: Header=BB263_44 Depth=1
	s_or_b64 exec, exec, s[16:17]
	s_add_i32 s18, s18, 2
	v_cmp_eq_u32_e64 s[14:15], 8, s18
	v_add_u32_e32 v11, 64, v11
	s_or_b64 s[12:13], s[14:15], s[12:13]
	v_add_u32_e32 v10, 64, v10
	s_andn2_b64 exec, exec, s[12:13]
	s_cbranch_execz .LBB263_48
.LBB263_44:                             ; =>This Inner Loop Header: Depth=1
	s_or_b32 s14, s18, 1
	v_cmp_le_u32_e64 s[14:15], s14, 7
	v_cmp_le_u32_e64 s[20:21], s18, 7
	s_and_saveexec_b64 s[16:17], s[20:21]
	s_cbranch_execz .LBB263_46
; %bb.45:                               ;   in Loop: Header=BB263_44 Depth=1
	v_lshlrev_b32_e32 v13, 2, v10
	ds_write_b32 v13, v12
.LBB263_46:                             ;   in Loop: Header=BB263_44 Depth=1
	s_or_b64 exec, exec, s[16:17]
	s_and_saveexec_b64 s[16:17], s[14:15]
	s_cbranch_execz .LBB263_43
; %bb.47:                               ;   in Loop: Header=BB263_44 Depth=1
	v_lshlrev_b32_e32 v13, 2, v11
	ds_write_b32 v13, v12
	s_branch .LBB263_43
.LBB263_48:
	s_or_b64 exec, exec, s[10:11]
	s_load_dword s8, s[8:9], 0x0
	s_waitcnt lgkmcnt(0)
	v_and_b32_e32 v10, 1, v37
	v_cmp_eq_u32_e64 s[20:21], 1, v10
	v_lshlrev_b32_e32 v20, 5, v0
	v_cmp_eq_u32_e64 s[10:11], 31, v0
	s_min_u32 s8, s8, 8
	s_lshl_b32 s8, -1, s8
	s_not_b32 s8, s8
	s_lshl_b32 s8, s8, 6
	s_and_b32 s8, s8, 64
	v_mov_b32_e32 v11, s8
	v_cndmask_b32_e64 v10, v11, 0, s[20:21]
	v_lshl_or_b32 v21, v10, 1, v29
	ds_read_u16 v23, v21
	v_and_b32_e32 v10, 1, v36
	v_cmp_eq_u32_e64 s[24:25], 1, v10
	v_cndmask_b32_e64 v10, v11, 0, s[24:25]
	v_lshl_or_b32 v25, v10, 1, v29
	s_waitcnt lgkmcnt(0)
	v_add_u16_e32 v12, 1, v23
	ds_write_b16 v21, v12
	ds_read_u16 v24, v25
	v_and_b32_e32 v10, 1, v35
	v_cmp_eq_u32_e64 s[26:27], 1, v10
	v_cndmask_b32_e64 v10, v11, 0, s[26:27]
	v_lshl_or_b32 v27, v10, 1, v29
	s_waitcnt lgkmcnt(0)
	v_add_u16_e32 v12, 1, v24
	ds_write_b16 v25, v12
	ds_read_u16 v26, v27
	v_and_b32_e32 v10, 1, v34
	v_mbcnt_lo_u32_b32 v12, -1, 0
	v_cmp_eq_u32_e64 s[22:23], 1, v10
	v_mbcnt_hi_u32_b32 v36, -1, v12
	s_waitcnt lgkmcnt(0)
	v_add_u16_e32 v12, 1, v26
	v_cndmask_b32_e64 v10, v11, 0, s[22:23]
	ds_write_b16 v27, v12
	v_lshl_or_b32 v35, v10, 1, v29
	ds_read_u16 v34, v35
	v_and_b32_e32 v10, 16, v36
	v_cmp_eq_u32_e64 s[8:9], 0, v10
	v_and_b32_e32 v22, 15, v36
	v_cmp_eq_u32_e64 s[12:13], 0, v22
	s_waitcnt lgkmcnt(0)
	v_add_u16_e32 v10, 1, v34
	ds_write_b16 v35, v10
	s_waitcnt lgkmcnt(0)
	; wave barrier
	s_waitcnt lgkmcnt(0)
	ds_read2_b32 v[16:17], v20 offset1:1
	ds_read2_b32 v[14:15], v20 offset0:2 offset1:3
	ds_read2_b32 v[10:11], v20 offset0:4 offset1:5
	;; [unrolled: 1-line block ×3, first 2 shown]
	v_cmp_lt_u32_e64 s[14:15], 1, v22
	s_waitcnt lgkmcnt(3)
	v_add_u32_e32 v38, v17, v16
	s_waitcnt lgkmcnt(2)
	v_add3_u32 v38, v38, v14, v15
	s_waitcnt lgkmcnt(1)
	v_add3_u32 v38, v38, v10, v11
	;; [unrolled: 2-line block ×3, first 2 shown]
	v_cmp_lt_u32_e64 s[16:17], 3, v22
	v_cmp_lt_u32_e64 s[18:19], 7, v22
	v_mov_b32_dpp v38, v13 row_shr:1 row_mask:0xf bank_mask:0xf
	v_cndmask_b32_e64 v38, v38, 0, s[12:13]
	v_add_u32_e32 v13, v38, v13
	v_bfe_i32 v37, v36, 4, 1
	s_nop 0
	v_mov_b32_dpp v38, v13 row_shr:2 row_mask:0xf bank_mask:0xf
	v_cndmask_b32_e64 v38, 0, v38, s[14:15]
	v_add_u32_e32 v13, v13, v38
	s_nop 1
	v_mov_b32_dpp v38, v13 row_shr:4 row_mask:0xf bank_mask:0xf
	v_cndmask_b32_e64 v38, 0, v38, s[16:17]
	v_add_u32_e32 v13, v13, v38
	s_nop 1
	v_mov_b32_dpp v38, v13 row_shr:8 row_mask:0xf bank_mask:0xf
	v_cndmask_b32_e64 v22, 0, v38, s[18:19]
	v_add_u32_e32 v13, v13, v22
	s_nop 1
	v_mov_b32_dpp v22, v13 row_bcast:15 row_mask:0xf bank_mask:0xf
	v_and_b32_e32 v22, v37, v22
	v_add_u32_e32 v13, v13, v22
	s_and_saveexec_b64 s[28:29], s[10:11]
	s_cbranch_execz .LBB263_50
; %bb.49:
	v_mov_b32_e32 v22, 0
	ds_write_b32 v22, v13 offset:1024
.LBB263_50:
	s_or_b64 exec, exec, s[28:29]
	s_xor_b64 s[20:21], s[20:21], -1
	v_cndmask_b32_e64 v37, 0, 1, s[20:21]
	s_xor_b64 s[20:21], s[24:25], -1
	v_cndmask_b32_e64 v38, 0, 1, s[20:21]
	s_xor_b64 s[20:21], s[26:27], -1
	v_add_u32_e32 v22, -1, v36
	v_and_b32_e32 v40, 0x60, v36
	v_cndmask_b32_e64 v39, 0, 1, s[20:21]
	v_cmp_lt_i32_e64 s[20:21], v22, v40
	v_cndmask_b32_e64 v22, v22, v36, s[20:21]
	v_lshlrev_b32_e32 v22, 2, v22
	ds_bpermute_b32 v40, v22, v13
	v_mov_b32_e32 v13, 0
	s_waitcnt lgkmcnt(0)
	; wave barrier
	s_waitcnt lgkmcnt(0)
	ds_read_b32 v41, v13 offset:1024
	s_xor_b64 s[20:21], s[22:23], -1
	v_cndmask_b32_e64 v42, 0, 1, s[20:21]
	v_cmp_eq_u32_e64 s[20:21], 0, v36
	v_cndmask_b32_e64 v36, v40, 0, s[20:21]
	s_waitcnt lgkmcnt(0)
	v_lshl_add_u32 v36, v41, 16, v36
	v_add_u32_e32 v16, v36, v16
	v_add_u32_e32 v17, v16, v17
	;; [unrolled: 1-line block ×7, first 2 shown]
	ds_write2_b32 v20, v36, v16 offset1:1
	ds_write2_b32 v20, v17, v14 offset0:2 offset1:3
	ds_write2_b32 v20, v15, v10 offset0:4 offset1:5
	;; [unrolled: 1-line block ×3, first 2 shown]
	s_waitcnt lgkmcnt(0)
	; wave barrier
	s_waitcnt lgkmcnt(0)
	ds_read_u16 v10, v21
	ds_read_u16 v11, v25
	;; [unrolled: 1-line block ×4, first 2 shown]
	s_waitcnt lgkmcnt(0)
	v_add_u32_sdwa v10, v10, v23 dst_sel:DWORD dst_unused:UNUSED_PAD src0_sel:DWORD src1_sel:WORD_0
	v_add_u32_sdwa v11, v11, v24 dst_sel:DWORD dst_unused:UNUSED_PAD src0_sel:DWORD src1_sel:WORD_0
	v_add_u32_sdwa v12, v12, v26 dst_sel:DWORD dst_unused:UNUSED_PAD src0_sel:DWORD src1_sel:WORD_0
	v_add_u32_sdwa v14, v14, v34 dst_sel:DWORD dst_unused:UNUSED_PAD src0_sel:DWORD src1_sel:WORD_0
	; wave barrier
	ds_write_b8 v10, v37
	ds_write_b8 v11, v38
	ds_write_b8 v12, v39
	ds_write_b8 v14, v42
	v_lshlrev_b32_e32 v10, 3, v10
	s_waitcnt lgkmcnt(0)
	; wave barrier
	s_waitcnt lgkmcnt(0)
	ds_read_u8 v23, v29
	ds_read_u8 v24, v29 offset:1
	ds_read_u8 v25, v29 offset:2
	;; [unrolled: 1-line block ×3, first 2 shown]
	s_waitcnt lgkmcnt(0)
	; wave barrier
	s_waitcnt lgkmcnt(0)
	ds_write_b64 v10, v[2:3]
	v_lshlrev_b32_e32 v2, 3, v11
	ds_write_b64 v2, v[4:5]
	v_lshlrev_b32_e32 v2, 3, v12
	v_lshlrev_b32_e32 v21, 3, v29
	ds_write_b64 v2, v[6:7]
	v_lshlrev_b32_e32 v2, 3, v14
	ds_write_b64 v2, v[8:9]
	s_waitcnt lgkmcnt(0)
	; wave barrier
	s_waitcnt lgkmcnt(0)
	ds_read2_b64 v[6:9], v21 offset1:1
	ds_read2_b64 v[2:5], v21 offset0:2 offset1:3
	s_waitcnt lgkmcnt(0)
	; wave barrier
	s_waitcnt lgkmcnt(0)
	s_and_saveexec_b64 s[22:23], vcc
	s_cbranch_execz .LBB263_57
; %bb.51:
	s_mov_b32 s35, 0
	s_mov_b64 s[24:25], 0
	v_pk_mov_b32 v[10:11], v[0:1], v[0:1] op_sel:[0,1]
	s_branch .LBB263_53
.LBB263_52:                             ;   in Loop: Header=BB263_53 Depth=1
	s_or_b64 exec, exec, s[28:29]
	s_add_i32 s35, s35, 2
	v_cmp_eq_u32_e64 s[26:27], 8, s35
	v_add_u32_e32 v11, 64, v11
	s_or_b64 s[24:25], s[26:27], s[24:25]
	v_add_u32_e32 v10, 64, v10
	s_andn2_b64 exec, exec, s[24:25]
	s_cbranch_execz .LBB263_57
.LBB263_53:                             ; =>This Inner Loop Header: Depth=1
	s_or_b32 s26, s35, 1
	v_cmp_le_u32_e64 s[26:27], s26, 7
	v_cmp_le_u32_e64 s[38:39], s35, 7
	s_and_saveexec_b64 s[28:29], s[38:39]
	s_cbranch_execz .LBB263_55
; %bb.54:                               ;   in Loop: Header=BB263_53 Depth=1
	v_lshlrev_b32_e32 v1, 2, v10
	ds_write_b32 v1, v13
.LBB263_55:                             ;   in Loop: Header=BB263_53 Depth=1
	s_or_b64 exec, exec, s[28:29]
	s_and_saveexec_b64 s[28:29], s[26:27]
	s_cbranch_execz .LBB263_52
; %bb.56:                               ;   in Loop: Header=BB263_53 Depth=1
	v_lshlrev_b32_e32 v1, 2, v11
	ds_write_b32 v1, v13
	s_branch .LBB263_52
.LBB263_57:
	s_or_b64 exec, exec, s[22:23]
	v_lshlrev_b32_e32 v1, 1, v0
	v_lshlrev_b32_e32 v27, 1, v1
	ds_read_u16 v1, v27
	s_waitcnt lgkmcnt(0)
	v_add_u16_e32 v10, 4, v1
	ds_write_b16 v27, v10
	s_waitcnt lgkmcnt(0)
	; wave barrier
	s_waitcnt lgkmcnt(0)
	ds_read2_b32 v[16:17], v20 offset1:1
	ds_read2_b32 v[14:15], v20 offset0:2 offset1:3
	ds_read2_b32 v[10:11], v20 offset0:4 offset1:5
	ds_read2_b32 v[12:13], v20 offset0:6 offset1:7
	s_waitcnt lgkmcnt(3)
	v_add_u32_e32 v34, v17, v16
	s_waitcnt lgkmcnt(2)
	v_add3_u32 v34, v34, v14, v15
	s_waitcnt lgkmcnt(1)
	v_add3_u32 v34, v34, v10, v11
	;; [unrolled: 2-line block ×3, first 2 shown]
	s_nop 1
	v_mov_b32_dpp v34, v13 row_shr:1 row_mask:0xf bank_mask:0xf
	v_cndmask_b32_e64 v34, v34, 0, s[12:13]
	v_add_u32_e32 v13, v34, v13
	s_nop 1
	v_mov_b32_dpp v34, v13 row_shr:2 row_mask:0xf bank_mask:0xf
	v_cndmask_b32_e64 v34, 0, v34, s[14:15]
	v_add_u32_e32 v13, v13, v34
	;; [unrolled: 4-line block ×4, first 2 shown]
	s_nop 1
	v_mov_b32_dpp v34, v13 row_bcast:15 row_mask:0xf bank_mask:0xf
	v_cndmask_b32_e64 v34, v34, 0, s[8:9]
	v_add_u32_e32 v13, v13, v34
	s_and_saveexec_b64 s[8:9], s[10:11]
	s_cbranch_execz .LBB263_59
; %bb.58:
	v_mov_b32_e32 v34, 0
	ds_write_b32 v34, v13 offset:1024
.LBB263_59:
	s_or_b64 exec, exec, s[8:9]
	ds_bpermute_b32 v13, v22, v13
	v_mov_b32_e32 v22, 0
	s_waitcnt lgkmcnt(0)
	; wave barrier
	s_waitcnt lgkmcnt(0)
	ds_read_b32 v22, v22 offset:1024
	v_cndmask_b32_e64 v13, v13, 0, s[20:21]
	s_waitcnt lgkmcnt(0)
	v_lshl_add_u32 v13, v22, 16, v13
	v_add_u32_e32 v16, v13, v16
	v_add_u32_e32 v17, v16, v17
	;; [unrolled: 1-line block ×7, first 2 shown]
	ds_write2_b32 v20, v13, v16 offset1:1
	ds_write2_b32 v20, v17, v14 offset0:2 offset1:3
	ds_write2_b32 v20, v15, v10 offset0:4 offset1:5
	;; [unrolled: 1-line block ×3, first 2 shown]
	s_waitcnt lgkmcnt(0)
	; wave barrier
	s_waitcnt lgkmcnt(0)
	ds_read_u16 v10, v27
	v_pk_sub_u16 v11, v1, -2 op_sel:[0,1] op_sel_hi:[0,0]
	v_add_u16_e32 v12, 3, v1
	s_waitcnt lgkmcnt(0)
	; wave barrier
	s_waitcnt lgkmcnt(0)
	v_add_u32_sdwa v1, v10, v1 dst_sel:DWORD dst_unused:UNUSED_PAD src0_sel:DWORD src1_sel:WORD_0
	v_add_u32_e32 v12, v10, v12
	v_add_u32_sdwa v13, v10, v11 dst_sel:DWORD dst_unused:UNUSED_PAD src0_sel:DWORD src1_sel:WORD_1
	v_add_u32_sdwa v11, v10, v11 dst_sel:DWORD dst_unused:UNUSED_PAD src0_sel:DWORD src1_sel:WORD_0
	ds_write_b8 v1, v23
	ds_write_b8 v11, v24
	;; [unrolled: 1-line block ×4, first 2 shown]
	v_lshlrev_b32_e32 v1, 3, v1
	s_waitcnt lgkmcnt(0)
	; wave barrier
	s_waitcnt lgkmcnt(0)
	ds_read_u8 v20, v29
	ds_read_u8 v22, v29 offset:1
	ds_read_u8 v23, v29 offset:2
	ds_read_u8 v24, v29 offset:3
	s_waitcnt lgkmcnt(0)
	; wave barrier
	s_waitcnt lgkmcnt(0)
	ds_write_b64 v1, v[6:7]
	v_lshlrev_b32_e32 v1, 3, v11
	ds_write_b64 v1, v[8:9]
	v_lshlrev_b32_e32 v1, 3, v13
	;; [unrolled: 2-line block ×3, first 2 shown]
	ds_write_b64 v1, v[4:5]
	s_waitcnt lgkmcnt(0)
	; wave barrier
	s_waitcnt lgkmcnt(0)
	ds_read2_b64 v[10:13], v21 offset1:1
	ds_read2_b64 v[14:17], v21 offset0:2 offset1:3
	v_mov_b32_e32 v2, 1
	v_xor_b32_e32 v1, 1, v20
	v_xor_b32_sdwa v3, v22, v2 dst_sel:BYTE_1 dst_unused:UNUSED_PAD src0_sel:DWORD src1_sel:DWORD
	v_xor_b32_e32 v4, 1, v23
	v_xor_b32_sdwa v2, v24, v2 dst_sel:BYTE_1 dst_unused:UNUSED_PAD src0_sel:DWORD src1_sel:DWORD
	v_or_b32_e32 v1, v1, v3
	v_or_b32_sdwa v2, v4, v2 dst_sel:WORD_1 dst_unused:UNUSED_PAD src0_sel:DWORD src1_sel:DWORD
	v_or_b32_sdwa v20, v1, v2 dst_sel:DWORD dst_unused:UNUSED_PAD src0_sel:WORD_0 src1_sel:DWORD
.LBB263_60:
	s_waitcnt lgkmcnt(0)
	; wave barrier
	s_waitcnt lgkmcnt(0)
	ds_write_b32 v29, v20
	s_waitcnt lgkmcnt(0)
	; wave barrier
	s_waitcnt lgkmcnt(0)
	ds_read_u8 v5, v0 offset:32
	ds_read_u8 v4, v0 offset:64
	;; [unrolled: 1-line block ×3, first 2 shown]
	v_mov_b32_e32 v3, s37
	v_add_co_u32_e32 v2, vcc, s36, v28
	v_addc_co_u32_e32 v3, vcc, 0, v3, vcc
	s_and_saveexec_b64 s[8:9], s[0:1]
	s_cbranch_execnz .LBB263_71
; %bb.61:
	s_or_b64 exec, exec, s[8:9]
	s_and_saveexec_b64 s[8:9], s[6:7]
	s_cbranch_execnz .LBB263_72
.LBB263_62:
	s_or_b64 exec, exec, s[8:9]
	s_and_saveexec_b64 s[8:9], s[4:5]
	s_cbranch_execnz .LBB263_73
.LBB263_63:
	s_or_b64 exec, exec, s[8:9]
	s_and_saveexec_b64 s[8:9], s[2:3]
	s_cbranch_execz .LBB263_65
.LBB263_64:
	s_mul_i32 s10, s30, 0x60
	v_add_co_u32_e32 v2, vcc, s10, v2
	v_addc_co_u32_e32 v3, vcc, 0, v3, vcc
	s_waitcnt lgkmcnt(0)
	global_store_byte v[2:3], v1, off
.LBB263_65:
	s_or_b64 exec, exec, s[8:9]
	s_waitcnt lgkmcnt(0)
	; wave barrier
	s_waitcnt lgkmcnt(0)
	ds_write2_b64 v33, v[10:11], v[12:13] offset1:1
	ds_write2_b64 v33, v[14:15], v[16:17] offset0:2 offset1:3
	s_waitcnt lgkmcnt(0)
	; wave barrier
	s_waitcnt lgkmcnt(0)
	ds_read_b64 v[6:7], v19 offset:256
	ds_read_b64 v[4:5], v31 offset:512
	;; [unrolled: 1-line block ×3, first 2 shown]
	v_mov_b32_e32 v19, 0
	v_lshlrev_b64 v[2:3], 3, v[18:19]
	v_mov_b32_e32 v8, s33
	v_add_co_u32_e32 v2, vcc, s31, v2
	v_addc_co_u32_e32 v3, vcc, v8, v3, vcc
	s_and_saveexec_b64 s[8:9], s[0:1]
	s_cbranch_execnz .LBB263_74
; %bb.66:
	s_or_b64 exec, exec, s[8:9]
	s_and_saveexec_b64 s[0:1], s[6:7]
	s_cbranch_execnz .LBB263_75
.LBB263_67:
	s_or_b64 exec, exec, s[0:1]
	s_and_saveexec_b64 s[0:1], s[4:5]
	s_cbranch_execnz .LBB263_76
.LBB263_68:
	s_or_b64 exec, exec, s[0:1]
	s_and_saveexec_b64 s[0:1], s[2:3]
	s_cbranch_execz .LBB263_70
.LBB263_69:
	s_mul_i32 s0, s34, 0x60
	s_mov_b32 s1, 0
	s_lshl_b64 s[0:1], s[0:1], 3
	s_waitcnt lgkmcnt(1)
	v_mov_b32_e32 v4, s1
	v_add_co_u32_e32 v2, vcc, s0, v2
	v_addc_co_u32_e32 v3, vcc, v3, v4, vcc
	s_waitcnt lgkmcnt(0)
	global_store_dwordx2 v[2:3], v[0:1], off
.LBB263_70:
	s_endpgm
.LBB263_71:
	ds_read_u8 v0, v0
	s_waitcnt lgkmcnt(0)
	global_store_byte v[2:3], v0, off
	s_or_b64 exec, exec, s[8:9]
	s_and_saveexec_b64 s[8:9], s[6:7]
	s_cbranch_execz .LBB263_62
.LBB263_72:
	s_lshl_b32 s10, s30, 5
	v_add_co_u32_e32 v6, vcc, s10, v2
	v_addc_co_u32_e32 v7, vcc, 0, v3, vcc
	s_waitcnt lgkmcnt(2)
	global_store_byte v[6:7], v5, off
	s_or_b64 exec, exec, s[8:9]
	s_and_saveexec_b64 s[8:9], s[4:5]
	s_cbranch_execz .LBB263_63
.LBB263_73:
	s_lshl_b32 s10, s30, 6
	v_add_co_u32_e32 v6, vcc, s10, v2
	v_addc_co_u32_e32 v7, vcc, 0, v3, vcc
	s_waitcnt lgkmcnt(1)
	global_store_byte v[6:7], v4, off
	s_or_b64 exec, exec, s[8:9]
	s_and_saveexec_b64 s[8:9], s[2:3]
	s_cbranch_execnz .LBB263_64
	s_branch .LBB263_65
.LBB263_74:
	ds_read_b64 v[8:9], v30
	s_waitcnt lgkmcnt(0)
	global_store_dwordx2 v[2:3], v[8:9], off
	s_or_b64 exec, exec, s[8:9]
	s_and_saveexec_b64 s[0:1], s[6:7]
	s_cbranch_execz .LBB263_67
.LBB263_75:
	s_lshl_b32 s6, s34, 5
	s_mov_b32 s7, 0
	s_lshl_b64 s[6:7], s[6:7], 3
	v_mov_b32_e32 v9, s7
	v_add_co_u32_e32 v8, vcc, s6, v2
	v_addc_co_u32_e32 v9, vcc, v3, v9, vcc
	s_waitcnt lgkmcnt(2)
	global_store_dwordx2 v[8:9], v[6:7], off
	s_or_b64 exec, exec, s[0:1]
	s_and_saveexec_b64 s[0:1], s[4:5]
	s_cbranch_execz .LBB263_68
.LBB263_76:
	s_lshl_b32 s4, s34, 6
	s_mov_b32 s5, 0
	s_lshl_b64 s[4:5], s[4:5], 3
	s_waitcnt lgkmcnt(2)
	v_mov_b32_e32 v7, s5
	v_add_co_u32_e32 v6, vcc, s4, v2
	v_addc_co_u32_e32 v7, vcc, v3, v7, vcc
	s_waitcnt lgkmcnt(1)
	global_store_dwordx2 v[6:7], v[4:5], off
	s_or_b64 exec, exec, s[0:1]
	s_and_saveexec_b64 s[0:1], s[2:3]
	s_cbranch_execnz .LBB263_69
	s_branch .LBB263_70
	.section	.rodata,"a",@progbits
	.p2align	6, 0x0
	.amdhsa_kernel _ZN2at6native18radixSortKVInPlaceILin2ELin1ELi32ELi4EbljEEvNS_4cuda6detail10TensorInfoIT3_T5_EES6_S6_S6_NS4_IT4_S6_EES6_b
		.amdhsa_group_segment_fixed_size 1056
		.amdhsa_private_segment_fixed_size 0
		.amdhsa_kernarg_size 712
		.amdhsa_user_sgpr_count 6
		.amdhsa_user_sgpr_private_segment_buffer 1
		.amdhsa_user_sgpr_dispatch_ptr 0
		.amdhsa_user_sgpr_queue_ptr 0
		.amdhsa_user_sgpr_kernarg_segment_ptr 1
		.amdhsa_user_sgpr_dispatch_id 0
		.amdhsa_user_sgpr_flat_scratch_init 0
		.amdhsa_user_sgpr_kernarg_preload_length 0
		.amdhsa_user_sgpr_kernarg_preload_offset 0
		.amdhsa_user_sgpr_private_segment_size 0
		.amdhsa_uses_dynamic_stack 0
		.amdhsa_system_sgpr_private_segment_wavefront_offset 0
		.amdhsa_system_sgpr_workgroup_id_x 1
		.amdhsa_system_sgpr_workgroup_id_y 1
		.amdhsa_system_sgpr_workgroup_id_z 1
		.amdhsa_system_sgpr_workgroup_info 0
		.amdhsa_system_vgpr_workitem_id 0
		.amdhsa_next_free_vgpr 48
		.amdhsa_next_free_sgpr 40
		.amdhsa_accum_offset 48
		.amdhsa_reserve_vcc 1
		.amdhsa_reserve_flat_scratch 0
		.amdhsa_float_round_mode_32 0
		.amdhsa_float_round_mode_16_64 0
		.amdhsa_float_denorm_mode_32 3
		.amdhsa_float_denorm_mode_16_64 3
		.amdhsa_dx10_clamp 1
		.amdhsa_ieee_mode 1
		.amdhsa_fp16_overflow 0
		.amdhsa_tg_split 0
		.amdhsa_exception_fp_ieee_invalid_op 0
		.amdhsa_exception_fp_denorm_src 0
		.amdhsa_exception_fp_ieee_div_zero 0
		.amdhsa_exception_fp_ieee_overflow 0
		.amdhsa_exception_fp_ieee_underflow 0
		.amdhsa_exception_fp_ieee_inexact 0
		.amdhsa_exception_int_div_zero 0
	.end_amdhsa_kernel
	.section	.text._ZN2at6native18radixSortKVInPlaceILin2ELin1ELi32ELi4EbljEEvNS_4cuda6detail10TensorInfoIT3_T5_EES6_S6_S6_NS4_IT4_S6_EES6_b,"axG",@progbits,_ZN2at6native18radixSortKVInPlaceILin2ELin1ELi32ELi4EbljEEvNS_4cuda6detail10TensorInfoIT3_T5_EES6_S6_S6_NS4_IT4_S6_EES6_b,comdat
.Lfunc_end263:
	.size	_ZN2at6native18radixSortKVInPlaceILin2ELin1ELi32ELi4EbljEEvNS_4cuda6detail10TensorInfoIT3_T5_EES6_S6_S6_NS4_IT4_S6_EES6_b, .Lfunc_end263-_ZN2at6native18radixSortKVInPlaceILin2ELin1ELi32ELi4EbljEEvNS_4cuda6detail10TensorInfoIT3_T5_EES6_S6_S6_NS4_IT4_S6_EES6_b
                                        ; -- End function
	.section	.AMDGPU.csdata,"",@progbits
; Kernel info:
; codeLenInByte = 5464
; NumSgprs: 44
; NumVgprs: 48
; NumAgprs: 0
; TotalNumVgprs: 48
; ScratchSize: 0
; MemoryBound: 0
; FloatMode: 240
; IeeeMode: 1
; LDSByteSize: 1056 bytes/workgroup (compile time only)
; SGPRBlocks: 5
; VGPRBlocks: 5
; NumSGPRsForWavesPerEU: 44
; NumVGPRsForWavesPerEU: 48
; AccumOffset: 48
; Occupancy: 8
; WaveLimiterHint : 1
; COMPUTE_PGM_RSRC2:SCRATCH_EN: 0
; COMPUTE_PGM_RSRC2:USER_SGPR: 6
; COMPUTE_PGM_RSRC2:TRAP_HANDLER: 0
; COMPUTE_PGM_RSRC2:TGID_X_EN: 1
; COMPUTE_PGM_RSRC2:TGID_Y_EN: 1
; COMPUTE_PGM_RSRC2:TGID_Z_EN: 1
; COMPUTE_PGM_RSRC2:TIDIG_COMP_CNT: 0
; COMPUTE_PGM_RSRC3_GFX90A:ACCUM_OFFSET: 11
; COMPUTE_PGM_RSRC3_GFX90A:TG_SPLIT: 0
	.section	.text._ZN2at6native18radixSortKVInPlaceILin2ELin1ELi16ELi2EbljEEvNS_4cuda6detail10TensorInfoIT3_T5_EES6_S6_S6_NS4_IT4_S6_EES6_b,"axG",@progbits,_ZN2at6native18radixSortKVInPlaceILin2ELin1ELi16ELi2EbljEEvNS_4cuda6detail10TensorInfoIT3_T5_EES6_S6_S6_NS4_IT4_S6_EES6_b,comdat
	.protected	_ZN2at6native18radixSortKVInPlaceILin2ELin1ELi16ELi2EbljEEvNS_4cuda6detail10TensorInfoIT3_T5_EES6_S6_S6_NS4_IT4_S6_EES6_b ; -- Begin function _ZN2at6native18radixSortKVInPlaceILin2ELin1ELi16ELi2EbljEEvNS_4cuda6detail10TensorInfoIT3_T5_EES6_S6_S6_NS4_IT4_S6_EES6_b
	.globl	_ZN2at6native18radixSortKVInPlaceILin2ELin1ELi16ELi2EbljEEvNS_4cuda6detail10TensorInfoIT3_T5_EES6_S6_S6_NS4_IT4_S6_EES6_b
	.p2align	8
	.type	_ZN2at6native18radixSortKVInPlaceILin2ELin1ELi16ELi2EbljEEvNS_4cuda6detail10TensorInfoIT3_T5_EES6_S6_S6_NS4_IT4_S6_EES6_b,@function
_ZN2at6native18radixSortKVInPlaceILin2ELin1ELi16ELi2EbljEEvNS_4cuda6detail10TensorInfoIT3_T5_EES6_S6_S6_NS4_IT4_S6_EES6_b: ; @_ZN2at6native18radixSortKVInPlaceILin2ELin1ELi16ELi2EbljEEvNS_4cuda6detail10TensorInfoIT3_T5_EES6_S6_S6_NS4_IT4_S6_EES6_b
; %bb.0:
	s_load_dwordx2 s[0:1], s[4:5], 0x1c8
	s_load_dwordx4 s[20:23], s[4:5], 0xd8
	s_waitcnt lgkmcnt(0)
	s_mul_i32 s1, s1, s8
	s_add_i32 s1, s1, s7
	s_mul_i32 s10, s1, s0
	s_add_i32 s10, s10, s6
	s_cmp_ge_u32 s10, s20
	s_cbranch_scc1 .LBB264_60
; %bb.1:
	s_load_dword s8, s[4:5], 0x1b8
	s_load_dwordx2 s[0:1], s[4:5], 0x0
	s_add_u32 s2, s4, 0xe8
	s_addc_u32 s3, s5, 0
	s_mov_b32 s7, 0
	s_waitcnt lgkmcnt(0)
	s_cmp_lt_i32 s8, 2
	s_mov_b32 s6, s10
	s_cbranch_scc1 .LBB264_4
; %bb.2:
	s_add_i32 s6, s8, -1
	s_add_i32 s11, s8, 1
	s_lshl_b64 s[8:9], s[6:7], 2
	s_add_u32 s6, s8, s2
	s_addc_u32 s9, s9, s3
	s_add_u32 s8, s6, 8
	s_addc_u32 s9, s9, 0
	s_mov_b32 s6, s10
.LBB264_3:                              ; =>This Inner Loop Header: Depth=1
	s_load_dword s12, s[8:9], 0x0
	s_load_dword s14, s[8:9], 0x64
	s_mov_b32 s13, s6
	s_waitcnt lgkmcnt(0)
	v_cvt_f32_u32_e32 v1, s12
	s_sub_i32 s6, 0, s12
	v_rcp_iflag_f32_e32 v1, v1
	v_mul_f32_e32 v1, 0x4f7ffffe, v1
	v_cvt_u32_f32_e32 v1, v1
	v_readfirstlane_b32 s15, v1
	s_mul_i32 s6, s6, s15
	s_mul_hi_u32 s6, s15, s6
	s_add_i32 s15, s15, s6
	s_mul_hi_u32 s6, s13, s15
	s_mul_i32 s15, s6, s12
	s_sub_i32 s15, s13, s15
	s_add_i32 s16, s6, 1
	s_sub_i32 s17, s15, s12
	s_cmp_ge_u32 s15, s12
	s_cselect_b32 s6, s16, s6
	s_cselect_b32 s15, s17, s15
	s_add_i32 s16, s6, 1
	s_cmp_ge_u32 s15, s12
	s_cselect_b32 s6, s16, s6
	s_mul_i32 s12, s6, s12
	s_sub_i32 s12, s13, s12
	s_mul_i32 s12, s14, s12
	s_add_i32 s11, s11, -1
	s_add_i32 s7, s12, s7
	s_add_u32 s8, s8, -4
	s_addc_u32 s9, s9, -1
	s_cmp_gt_u32 s11, 2
	s_cbranch_scc1 .LBB264_3
.LBB264_4:
	s_load_dword s8, s[4:5], 0x6c
	s_load_dwordx2 s[24:25], s[4:5], 0x1c0
	v_mul_lo_u32 v20, v0, s22
	s_waitcnt lgkmcnt(0)
	s_mul_i32 s10, s8, s10
	s_bitcmp1_b32 s25, 0
	s_cselect_b64 s[4:5], -1, 0
	s_add_u32 s26, s0, s10
	s_load_dwordx2 s[8:9], s[2:3], 0x0
	s_addc_u32 s27, s1, 0
	s_xor_b64 s[4:5], s[4:5], -1
	v_cndmask_b32_e64 v2, 0, 1, s[4:5]
	v_lshlrev_b16_e32 v1, 8, v2
	v_or_b32_e32 v1, v2, v1
	v_and_b32_e32 v3, 0xffff, v1
	v_cmp_gt_u32_e64 s[0:1], s21, v0
	s_and_saveexec_b64 s[10:11], s[0:1]
	s_cbranch_execz .LBB264_6
; %bb.5:
	global_load_ubyte v2, v20, s[26:27]
	v_and_b32_e32 v1, 0x100, v3
	s_waitcnt vmcnt(0)
	v_or_b32_e32 v1, v2, v1
	v_and_b32_e32 v3, 0xffff, v1
.LBB264_6:
	s_or_b64 exec, exec, s[10:11]
	s_load_dword s12, s[2:3], 0x6c
	v_or_b32_e32 v1, 16, v0
	v_cmp_gt_u32_e64 s[2:3], s21, v1
	s_and_saveexec_b64 s[10:11], s[2:3]
	s_cbranch_execz .LBB264_8
; %bb.7:
	v_mul_lo_u32 v4, v1, s22
	global_load_ubyte v4, v4, s[26:27]
	s_waitcnt vmcnt(0)
	v_lshlrev_b16_e32 v4, 8, v4
	v_or_b32_sdwa v3, v3, v4 dst_sel:DWORD dst_unused:UNUSED_PAD src0_sel:BYTE_0 src1_sel:DWORD
	v_and_b32_e32 v3, 0xffff, v3
.LBB264_8:
	s_or_b64 exec, exec, s[10:11]
	ds_write_b8 v0, v2
	v_lshrrev_b16_e32 v2, 8, v3
	v_lshlrev_b32_e32 v21, 1, v0
	s_waitcnt lgkmcnt(0)
	s_mul_i32 s6, s12, s6
	ds_write_b8 v0, v2 offset:16
	s_waitcnt lgkmcnt(0)
	; wave barrier
	s_waitcnt lgkmcnt(0)
	ds_read_u8 v24, v21
	ds_read_u8 v23, v21 offset:1
	s_add_i32 s12, s6, s7
	s_mov_b32 s13, 0
	s_lshl_b64 s[6:7], s[12:13], 3
	s_mov_b32 s12, s13
	s_add_u32 s23, s8, s6
	s_mov_b32 s14, s13
	s_mov_b32 s15, s13
	v_pk_mov_b32 v[2:3], s[12:13], s[12:13] op_sel:[0,1]
	s_addc_u32 s25, s9, s7
	v_pk_mov_b32 v[4:5], s[14:15], s[14:15] op_sel:[0,1]
	v_pk_mov_b32 v[2:3], 0, 0
	v_mul_lo_u32 v10, v0, s24
	s_waitcnt lgkmcnt(0)
	; wave barrier
	s_waitcnt lgkmcnt(0)
	s_and_saveexec_b64 s[6:7], s[0:1]
	s_cbranch_execz .LBB264_10
; %bb.9:
	v_mov_b32_e32 v11, 0
	v_lshlrev_b64 v[2:3], 3, v[10:11]
	v_mov_b32_e32 v4, s25
	v_add_co_u32_e32 v2, vcc, s23, v2
	v_addc_co_u32_e32 v3, vcc, v4, v3, vcc
	global_load_dwordx2 v[2:3], v[2:3], off
	v_mov_b32_e32 v4, v11
	v_mov_b32_e32 v5, v11
.LBB264_10:
	s_or_b64 exec, exec, s[6:7]
	s_and_saveexec_b64 s[6:7], s[2:3]
	s_cbranch_execz .LBB264_12
; %bb.11:
	v_mul_lo_u32 v4, v1, s24
	v_mov_b32_e32 v5, 0
	v_lshlrev_b64 v[4:5], 3, v[4:5]
	v_mov_b32_e32 v6, s25
	v_add_co_u32_e32 v4, vcc, s23, v4
	v_addc_co_u32_e32 v5, vcc, v6, v5, vcc
	global_load_dwordx2 v[4:5], v[4:5], off
.LBB264_12:
	s_or_b64 exec, exec, s[6:7]
	v_lshlrev_b32_e32 v22, 3, v0
	v_lshlrev_b32_e32 v11, 3, v21
	s_waitcnt vmcnt(0)
	ds_write2_b64 v22, v[2:3], v[4:5] offset1:16
	s_waitcnt lgkmcnt(0)
	; wave barrier
	s_waitcnt lgkmcnt(0)
	ds_read2_b64 v[2:5], v11 offset1:1
	s_and_b64 vcc, exec, s[4:5]
	s_waitcnt lgkmcnt(0)
	; wave barrier
	s_waitcnt lgkmcnt(0)
	s_cbranch_vccz .LBB264_20
; %bb.13:
	s_movk_i32 s6, 0x80
	v_cmp_gt_u32_e32 vcc, s6, v0
	s_getpc_b64 s[4:5]
	s_add_u32 s4, s4, _ZN7rocprim17ROCPRIM_400000_NS16block_radix_sortIbLj16ELj2ElLj1ELj1ELj0ELNS0_26block_radix_rank_algorithmE1ELNS0_18block_padding_hintE2ELNS0_4arch9wavefront6targetE1EE19radix_bits_per_passE@rel32@lo+4
	s_addc_u32 s5, s5, _ZN7rocprim17ROCPRIM_400000_NS16block_radix_sortIbLj16ELj2ElLj1ELj1ELj0ELNS0_26block_radix_rank_algorithmE1ELNS0_18block_padding_hintE2ELNS0_4arch9wavefront6targetE1EE19radix_bits_per_passE@rel32@hi+12
	s_and_saveexec_b64 s[6:7], vcc
	s_cbranch_execz .LBB264_21
; %bb.14:
	s_mov_b32 s14, 0
	s_mov_b64 s[8:9], 0
	v_mov_b32_e32 v8, 0
	v_pk_mov_b32 v[6:7], v[0:1], v[0:1] op_sel:[0,1]
	s_branch .LBB264_16
.LBB264_15:                             ;   in Loop: Header=BB264_16 Depth=1
	s_or_b64 exec, exec, s[12:13]
	s_add_i32 s14, s14, 2
	v_cmp_eq_u32_e64 s[10:11], 8, s14
	v_add_u32_e32 v7, 32, v7
	s_or_b64 s[8:9], s[10:11], s[8:9]
	v_add_u32_e32 v6, 32, v6
	s_andn2_b64 exec, exec, s[8:9]
	s_cbranch_execz .LBB264_21
.LBB264_16:                             ; =>This Inner Loop Header: Depth=1
	s_or_b32 s10, s14, 1
	v_cmp_le_u32_e64 s[10:11], s10, 7
	v_cmp_le_u32_e64 s[16:17], s14, 7
	s_and_saveexec_b64 s[12:13], s[16:17]
	s_cbranch_execz .LBB264_18
; %bb.17:                               ;   in Loop: Header=BB264_16 Depth=1
	v_lshlrev_b32_e32 v9, 2, v6
	ds_write_b32 v9, v8
.LBB264_18:                             ;   in Loop: Header=BB264_16 Depth=1
	s_or_b64 exec, exec, s[12:13]
	s_and_saveexec_b64 s[12:13], s[10:11]
	s_cbranch_execz .LBB264_15
; %bb.19:                               ;   in Loop: Header=BB264_16 Depth=1
	v_lshlrev_b32_e32 v9, 2, v7
	ds_write_b32 v9, v8
	s_branch .LBB264_15
.LBB264_20:
                                        ; implicit-def: $vgpr8_vgpr9
                                        ; implicit-def: $vgpr12
	s_cbranch_execnz .LBB264_33
	s_branch .LBB264_52
.LBB264_21:
	s_or_b64 exec, exec, s[6:7]
	s_load_dword s4, s[4:5], 0x0
	v_lshlrev_b32_e32 v25, 1, v21
	v_lshlrev_b32_e32 v26, 5, v0
	s_waitcnt lgkmcnt(0)
	s_min_u32 s4, s4, 8
	s_lshl_b32 s4, -1, s4
	s_not_b32 s4, s4
	v_and_b32_e32 v6, s4, v24
	v_and_b32_e32 v6, 0xff, v6
	v_lshl_or_b32 v18, v6, 6, v25
	ds_read_u16 v17, v18
	v_and_b32_e32 v6, s4, v23
	v_and_b32_e32 v6, 0xff, v6
	v_lshl_or_b32 v19, v6, 6, v25
	v_cmp_eq_u32_e64 s[4:5], 15, v0
	s_waitcnt lgkmcnt(0)
	v_add_u16_e32 v6, 1, v17
	ds_write_b16 v18, v6
	ds_read_u16 v28, v19
	v_mbcnt_lo_u32_b32 v6, -1, 0
	v_mbcnt_hi_u32_b32 v29, -1, v6
	v_and_b32_e32 v16, 15, v29
	v_cmp_eq_u32_e64 s[6:7], 0, v16
	s_waitcnt lgkmcnt(0)
	v_add_u16_e32 v6, 1, v28
	ds_write_b16 v19, v6
	s_waitcnt lgkmcnt(0)
	; wave barrier
	s_waitcnt lgkmcnt(0)
	ds_read2_b32 v[14:15], v26 offset1:1
	ds_read2_b32 v[12:13], v26 offset0:2 offset1:3
	ds_read2_b32 v[6:7], v26 offset0:4 offset1:5
	;; [unrolled: 1-line block ×3, first 2 shown]
	v_cmp_lt_u32_e64 s[8:9], 1, v16
	s_waitcnt lgkmcnt(3)
	v_add_u32_e32 v27, v15, v14
	s_waitcnt lgkmcnt(2)
	v_add3_u32 v27, v27, v12, v13
	s_waitcnt lgkmcnt(1)
	v_add3_u32 v27, v27, v6, v7
	;; [unrolled: 2-line block ×3, first 2 shown]
	v_cmp_lt_u32_e64 s[10:11], 3, v16
	v_cmp_lt_u32_e64 s[14:15], 7, v16
	v_mov_b32_dpp v27, v9 row_shr:1 row_mask:0xf bank_mask:0xf
	v_cndmask_b32_e64 v27, v27, 0, s[6:7]
	v_add_u32_e32 v9, v27, v9
	s_nop 1
	v_mov_b32_dpp v27, v9 row_shr:2 row_mask:0xf bank_mask:0xf
	v_cndmask_b32_e64 v27, 0, v27, s[8:9]
	v_add_u32_e32 v9, v9, v27
	s_nop 1
	;; [unrolled: 4-line block ×3, first 2 shown]
	v_mov_b32_dpp v27, v9 row_shr:8 row_mask:0xf bank_mask:0xf
	v_cndmask_b32_e64 v16, 0, v27, s[14:15]
	v_add_u32_e32 v9, v9, v16
	s_and_saveexec_b64 s[12:13], s[4:5]
	s_cbranch_execz .LBB264_23
; %bb.22:
	v_mov_b32_e32 v16, 0
	ds_write_b32 v16, v9 offset:512
.LBB264_23:
	s_or_b64 exec, exec, s[12:13]
	v_add_u32_e32 v16, -1, v29
	v_and_b32_e32 v27, 0x70, v29
	v_cmp_lt_i32_e64 s[12:13], v16, v27
	v_cndmask_b32_e64 v16, v16, v29, s[12:13]
	v_lshlrev_b32_e32 v27, 2, v16
	ds_bpermute_b32 v9, v27, v9
	v_mov_b32_e32 v16, 0
	s_waitcnt lgkmcnt(0)
	; wave barrier
	s_waitcnt lgkmcnt(0)
	ds_read_b32 v30, v16 offset:512
	v_cmp_eq_u32_e64 s[12:13], 0, v29
	v_cndmask_b32_e64 v9, v9, 0, s[12:13]
	s_waitcnt lgkmcnt(0)
	v_lshl_add_u32 v9, v30, 16, v9
	v_add_u32_e32 v14, v9, v14
	v_add_u32_e32 v15, v14, v15
	;; [unrolled: 1-line block ×7, first 2 shown]
	ds_write2_b32 v26, v9, v14 offset1:1
	ds_write2_b32 v26, v15, v12 offset0:2 offset1:3
	ds_write2_b32 v26, v13, v6 offset0:4 offset1:5
	;; [unrolled: 1-line block ×3, first 2 shown]
	s_waitcnt lgkmcnt(0)
	; wave barrier
	s_waitcnt lgkmcnt(0)
	ds_read_u16 v6, v18
	ds_read_u16 v7, v19
	s_waitcnt lgkmcnt(0)
	; wave barrier
	s_waitcnt lgkmcnt(0)
	v_add_u32_sdwa v6, v6, v17 dst_sel:DWORD dst_unused:UNUSED_PAD src0_sel:DWORD src1_sel:WORD_0
	v_add_u32_sdwa v7, v7, v28 dst_sel:DWORD dst_unused:UNUSED_PAD src0_sel:DWORD src1_sel:WORD_0
	ds_write_b8 v6, v24
	ds_write_b8 v7, v23
	v_lshlrev_b32_e32 v6, 3, v6
	s_waitcnt lgkmcnt(0)
	; wave barrier
	s_waitcnt lgkmcnt(0)
	ds_read_u8 v28, v21
	ds_read_u8 v29, v21 offset:1
	s_waitcnt lgkmcnt(0)
	; wave barrier
	s_waitcnt lgkmcnt(0)
	ds_write_b64 v6, v[2:3]
	v_lshlrev_b32_e32 v6, 3, v7
	ds_write_b64 v6, v[4:5]
	s_waitcnt lgkmcnt(0)
	; wave barrier
	s_waitcnt lgkmcnt(0)
	ds_read2_b64 v[6:9], v11 offset1:1
	s_waitcnt lgkmcnt(0)
	; wave barrier
	s_waitcnt lgkmcnt(0)
	s_and_saveexec_b64 s[16:17], vcc
	s_cbranch_execz .LBB264_30
; %bb.24:
	s_mov_b32 s30, 0
	s_mov_b64 s[18:19], 0
	v_pk_mov_b32 v[12:13], v[0:1], v[0:1] op_sel:[0,1]
	s_branch .LBB264_26
.LBB264_25:                             ;   in Loop: Header=BB264_26 Depth=1
	s_or_b64 exec, exec, s[28:29]
	s_add_i32 s30, s30, 2
	v_cmp_eq_u32_e64 s[20:21], 8, s30
	v_add_u32_e32 v13, 32, v13
	s_or_b64 s[18:19], s[20:21], s[18:19]
	v_add_u32_e32 v12, 32, v12
	s_andn2_b64 exec, exec, s[18:19]
	s_cbranch_execz .LBB264_30
.LBB264_26:                             ; =>This Inner Loop Header: Depth=1
	s_or_b32 s20, s30, 1
	v_cmp_le_u32_e64 s[20:21], s20, 7
	v_cmp_le_u32_e64 s[34:35], s30, 7
	s_and_saveexec_b64 s[28:29], s[34:35]
	s_cbranch_execz .LBB264_28
; %bb.27:                               ;   in Loop: Header=BB264_26 Depth=1
	v_lshlrev_b32_e32 v14, 2, v12
	ds_write_b32 v14, v16
.LBB264_28:                             ;   in Loop: Header=BB264_26 Depth=1
	s_or_b64 exec, exec, s[28:29]
	s_and_saveexec_b64 s[28:29], s[20:21]
	s_cbranch_execz .LBB264_25
; %bb.29:                               ;   in Loop: Header=BB264_26 Depth=1
	v_lshlrev_b32_e32 v14, 2, v13
	ds_write_b32 v14, v16
	s_branch .LBB264_25
.LBB264_30:
	s_or_b64 exec, exec, s[16:17]
	ds_read_u16 v30, v25
	s_waitcnt lgkmcnt(0)
	v_add_u16_e32 v12, 2, v30
	ds_write_b16 v25, v12
	s_waitcnt lgkmcnt(0)
	; wave barrier
	s_waitcnt lgkmcnt(0)
	ds_read2_b32 v[18:19], v26 offset1:1
	ds_read2_b32 v[16:17], v26 offset0:2 offset1:3
	ds_read2_b32 v[12:13], v26 offset0:4 offset1:5
	;; [unrolled: 1-line block ×3, first 2 shown]
	s_waitcnt lgkmcnt(3)
	v_add_u32_e32 v31, v19, v18
	s_waitcnt lgkmcnt(2)
	v_add3_u32 v31, v31, v16, v17
	s_waitcnt lgkmcnt(1)
	v_add3_u32 v31, v31, v12, v13
	;; [unrolled: 2-line block ×3, first 2 shown]
	s_nop 1
	v_mov_b32_dpp v31, v15 row_shr:1 row_mask:0xf bank_mask:0xf
	v_cndmask_b32_e64 v31, v31, 0, s[6:7]
	v_add_u32_e32 v15, v31, v15
	s_nop 1
	v_mov_b32_dpp v31, v15 row_shr:2 row_mask:0xf bank_mask:0xf
	v_cndmask_b32_e64 v31, 0, v31, s[8:9]
	v_add_u32_e32 v15, v15, v31
	;; [unrolled: 4-line block ×4, first 2 shown]
	s_and_saveexec_b64 s[6:7], s[4:5]
	s_cbranch_execz .LBB264_32
; %bb.31:
	v_mov_b32_e32 v31, 0
	ds_write_b32 v31, v15 offset:512
.LBB264_32:
	s_or_b64 exec, exec, s[6:7]
	ds_bpermute_b32 v15, v27, v15
	v_mov_b32_e32 v27, 0
	s_waitcnt lgkmcnt(0)
	; wave barrier
	s_waitcnt lgkmcnt(0)
	ds_read_b32 v27, v27 offset:512
	v_cndmask_b32_e64 v15, v15, 0, s[12:13]
	s_waitcnt lgkmcnt(0)
	v_lshl_add_u32 v15, v27, 16, v15
	v_add_u32_e32 v18, v15, v18
	v_add_u32_e32 v19, v18, v19
	;; [unrolled: 1-line block ×7, first 2 shown]
	ds_write2_b32 v26, v15, v18 offset1:1
	ds_write2_b32 v26, v19, v16 offset0:2 offset1:3
	ds_write2_b32 v26, v17, v12 offset0:4 offset1:5
	;; [unrolled: 1-line block ×3, first 2 shown]
	s_waitcnt lgkmcnt(0)
	; wave barrier
	s_waitcnt lgkmcnt(0)
	ds_read_u16 v12, v25
	v_add_u16_e32 v13, 1, v30
	s_waitcnt lgkmcnt(0)
	; wave barrier
	s_waitcnt lgkmcnt(0)
	v_add_u32_e32 v13, v12, v13
	v_add_u32_sdwa v12, v12, v30 dst_sel:DWORD dst_unused:UNUSED_PAD src0_sel:DWORD src1_sel:WORD_0
	ds_write_b8 v12, v28
	ds_write_b8 v13, v29
	s_waitcnt lgkmcnt(0)
	; wave barrier
	s_waitcnt lgkmcnt(0)
	ds_read_u8 v14, v21
	ds_read_u8 v15, v21 offset:1
	v_lshlrev_b32_e32 v12, 3, v12
	s_waitcnt lgkmcnt(0)
	; wave barrier
	s_waitcnt lgkmcnt(0)
	ds_write_b64 v12, v[6:7]
	v_lshlrev_b32_e32 v6, 3, v13
	ds_write_b64 v6, v[8:9]
	s_waitcnt lgkmcnt(0)
	; wave barrier
	s_waitcnt lgkmcnt(0)
	ds_read2_b64 v[6:9], v11 offset1:1
	v_lshlrev_b16_e32 v12, 8, v15
	v_or_b32_e32 v12, v14, v12
	v_and_b32_e32 v12, 0xffff, v12
	s_branch .LBB264_52
.LBB264_33:
	s_movk_i32 s6, 0x80
	v_cmp_gt_u32_e32 vcc, s6, v0
	s_getpc_b64 s[4:5]
	s_add_u32 s4, s4, _ZN7rocprim17ROCPRIM_400000_NS16block_radix_sortIbLj16ELj2ElLj1ELj1ELj0ELNS0_26block_radix_rank_algorithmE1ELNS0_18block_padding_hintE2ELNS0_4arch9wavefront6targetE1EE19radix_bits_per_passE@rel32@lo+4
	s_addc_u32 s5, s5, _ZN7rocprim17ROCPRIM_400000_NS16block_radix_sortIbLj16ELj2ElLj1ELj1ELj0ELNS0_26block_radix_rank_algorithmE1ELNS0_18block_padding_hintE2ELNS0_4arch9wavefront6targetE1EE19radix_bits_per_passE@rel32@hi+12
	s_and_saveexec_b64 s[6:7], vcc
	s_cbranch_execz .LBB264_40
; %bb.34:
	s_mov_b32 s14, 0
	s_mov_b64 s[8:9], 0
	s_waitcnt lgkmcnt(0)
	v_mov_b32_e32 v8, 0
	v_pk_mov_b32 v[6:7], v[0:1], v[0:1] op_sel:[0,1]
	s_branch .LBB264_36
.LBB264_35:                             ;   in Loop: Header=BB264_36 Depth=1
	s_or_b64 exec, exec, s[12:13]
	s_add_i32 s14, s14, 2
	v_cmp_eq_u32_e64 s[10:11], 8, s14
	v_add_u32_e32 v7, 32, v7
	s_or_b64 s[8:9], s[10:11], s[8:9]
	v_add_u32_e32 v6, 32, v6
	s_andn2_b64 exec, exec, s[8:9]
	s_cbranch_execz .LBB264_40
.LBB264_36:                             ; =>This Inner Loop Header: Depth=1
	s_or_b32 s10, s14, 1
	v_cmp_le_u32_e64 s[10:11], s10, 7
	v_cmp_le_u32_e64 s[16:17], s14, 7
	s_and_saveexec_b64 s[12:13], s[16:17]
	s_cbranch_execz .LBB264_38
; %bb.37:                               ;   in Loop: Header=BB264_36 Depth=1
	v_lshlrev_b32_e32 v9, 2, v6
	ds_write_b32 v9, v8
.LBB264_38:                             ;   in Loop: Header=BB264_36 Depth=1
	s_or_b64 exec, exec, s[12:13]
	s_and_saveexec_b64 s[12:13], s[10:11]
	s_cbranch_execz .LBB264_35
; %bb.39:                               ;   in Loop: Header=BB264_36 Depth=1
	v_lshlrev_b32_e32 v9, 2, v7
	ds_write_b32 v9, v8
	s_branch .LBB264_35
.LBB264_40:
	s_or_b64 exec, exec, s[6:7]
	s_load_dword s4, s[4:5], 0x0
	s_waitcnt lgkmcnt(0)
	v_and_b32_e32 v6, 1, v24
	v_cmp_eq_u32_e64 s[16:17], 1, v6
	v_lshlrev_b32_e32 v16, 5, v0
	s_min_u32 s4, s4, 8
	s_lshl_b32 s4, -1, s4
	s_not_b32 s4, s4
	s_lshl_b32 s4, s4, 5
	s_and_b32 s4, s4, 32
	v_mov_b32_e32 v7, s4
	v_cndmask_b32_e64 v6, v7, 0, s[16:17]
	v_or_b32_e32 v6, v6, v21
	v_lshlrev_b32_e32 v19, 1, v6
	ds_read_u16 v18, v19
	v_and_b32_e32 v6, 1, v23
	v_cmp_eq_u32_e64 s[18:19], 1, v6
	v_cndmask_b32_e64 v6, v7, 0, s[18:19]
	v_or_b32_e32 v6, v6, v21
	s_waitcnt lgkmcnt(0)
	v_add_u16_e32 v8, 1, v18
	ds_write_b16 v19, v8
	v_lshlrev_b32_e32 v24, 1, v6
	ds_read_u16 v23, v24
	v_mbcnt_lo_u32_b32 v6, -1, 0
	v_mbcnt_hi_u32_b32 v25, -1, v6
	v_and_b32_e32 v17, 15, v25
	v_cmp_eq_u32_e64 s[6:7], 0, v17
	s_waitcnt lgkmcnt(0)
	v_add_u16_e32 v6, 1, v23
	ds_write_b16 v24, v6
	s_waitcnt lgkmcnt(0)
	; wave barrier
	s_waitcnt lgkmcnt(0)
	ds_read2_b32 v[14:15], v16 offset1:1
	ds_read2_b32 v[12:13], v16 offset0:2 offset1:3
	ds_read2_b32 v[6:7], v16 offset0:4 offset1:5
	;; [unrolled: 1-line block ×3, first 2 shown]
	v_cmp_lt_u32_e64 s[8:9], 1, v17
	s_waitcnt lgkmcnt(3)
	v_add_u32_e32 v26, v15, v14
	s_waitcnt lgkmcnt(2)
	v_add3_u32 v26, v26, v12, v13
	s_waitcnt lgkmcnt(1)
	v_add3_u32 v26, v26, v6, v7
	;; [unrolled: 2-line block ×3, first 2 shown]
	v_cmp_lt_u32_e64 s[10:11], 3, v17
	v_cmp_lt_u32_e64 s[12:13], 7, v17
	v_mov_b32_dpp v26, v9 row_shr:1 row_mask:0xf bank_mask:0xf
	v_cndmask_b32_e64 v26, v26, 0, s[6:7]
	v_add_u32_e32 v9, v26, v9
	v_cmp_eq_u32_e64 s[4:5], 15, v0
	s_nop 0
	v_mov_b32_dpp v26, v9 row_shr:2 row_mask:0xf bank_mask:0xf
	v_cndmask_b32_e64 v26, 0, v26, s[8:9]
	v_add_u32_e32 v9, v9, v26
	s_nop 1
	v_mov_b32_dpp v26, v9 row_shr:4 row_mask:0xf bank_mask:0xf
	v_cndmask_b32_e64 v26, 0, v26, s[10:11]
	v_add_u32_e32 v9, v9, v26
	;; [unrolled: 4-line block ×3, first 2 shown]
	s_and_saveexec_b64 s[14:15], s[4:5]
	s_cbranch_execz .LBB264_42
; %bb.41:
	v_mov_b32_e32 v17, 0
	ds_write_b32 v17, v9 offset:512
.LBB264_42:
	s_or_b64 exec, exec, s[14:15]
	v_add_u32_e32 v17, -1, v25
	v_and_b32_e32 v26, 0x70, v25
	v_cmp_lt_i32_e64 s[14:15], v17, v26
	v_cndmask_b32_e64 v17, v17, v25, s[14:15]
	v_lshlrev_b32_e32 v17, 2, v17
	ds_bpermute_b32 v26, v17, v9
	v_mov_b32_e32 v9, 0
	s_waitcnt lgkmcnt(0)
	; wave barrier
	s_waitcnt lgkmcnt(0)
	ds_read_b32 v27, v9 offset:512
	v_cmp_eq_u32_e64 s[14:15], 0, v25
	v_cndmask_b32_e64 v25, v26, 0, s[14:15]
	s_xor_b64 s[16:17], s[16:17], -1
	s_waitcnt lgkmcnt(0)
	v_lshl_add_u32 v25, v27, 16, v25
	v_add_u32_e32 v14, v25, v14
	v_add_u32_e32 v15, v14, v15
	;; [unrolled: 1-line block ×7, first 2 shown]
	ds_write2_b32 v16, v25, v14 offset1:1
	ds_write2_b32 v16, v15, v12 offset0:2 offset1:3
	ds_write2_b32 v16, v13, v6 offset0:4 offset1:5
	;; [unrolled: 1-line block ×3, first 2 shown]
	s_waitcnt lgkmcnt(0)
	; wave barrier
	s_waitcnt lgkmcnt(0)
	ds_read_u16 v6, v19
	ds_read_u16 v7, v24
	v_cndmask_b32_e64 v8, 0, 1, s[16:17]
	s_xor_b64 s[16:17], s[18:19], -1
	v_cndmask_b32_e64 v12, 0, 1, s[16:17]
	s_waitcnt lgkmcnt(1)
	v_add_u32_sdwa v6, v6, v18 dst_sel:DWORD dst_unused:UNUSED_PAD src0_sel:DWORD src1_sel:WORD_0
	s_waitcnt lgkmcnt(0)
	v_add_u32_sdwa v7, v7, v23 dst_sel:DWORD dst_unused:UNUSED_PAD src0_sel:DWORD src1_sel:WORD_0
	s_waitcnt lgkmcnt(0)
	; wave barrier
	ds_write_b8 v6, v8
	ds_write_b8 v7, v12
	v_lshlrev_b32_e32 v6, 3, v6
	s_waitcnt lgkmcnt(0)
	; wave barrier
	s_waitcnt lgkmcnt(0)
	ds_read_u8 v18, v21
	ds_read_u8 v19, v21 offset:1
	s_waitcnt lgkmcnt(0)
	; wave barrier
	s_waitcnt lgkmcnt(0)
	ds_write_b64 v6, v[2:3]
	v_lshlrev_b32_e32 v2, 3, v7
	ds_write_b64 v2, v[4:5]
	s_waitcnt lgkmcnt(0)
	; wave barrier
	s_waitcnt lgkmcnt(0)
	ds_read2_b64 v[2:5], v11 offset1:1
	s_waitcnt lgkmcnt(0)
	; wave barrier
	s_waitcnt lgkmcnt(0)
	s_and_saveexec_b64 s[16:17], vcc
	s_cbranch_execz .LBB264_49
; %bb.43:
	s_mov_b32 s30, 0
	s_mov_b64 s[18:19], 0
	v_pk_mov_b32 v[6:7], v[0:1], v[0:1] op_sel:[0,1]
	s_branch .LBB264_45
.LBB264_44:                             ;   in Loop: Header=BB264_45 Depth=1
	s_or_b64 exec, exec, s[28:29]
	s_add_i32 s30, s30, 2
	v_cmp_eq_u32_e64 s[20:21], 8, s30
	v_add_u32_e32 v7, 32, v7
	s_or_b64 s[18:19], s[20:21], s[18:19]
	v_add_u32_e32 v6, 32, v6
	s_andn2_b64 exec, exec, s[18:19]
	s_cbranch_execz .LBB264_49
.LBB264_45:                             ; =>This Inner Loop Header: Depth=1
	s_or_b32 s20, s30, 1
	v_cmp_le_u32_e64 s[20:21], s20, 7
	v_cmp_le_u32_e64 s[34:35], s30, 7
	s_and_saveexec_b64 s[28:29], s[34:35]
	s_cbranch_execz .LBB264_47
; %bb.46:                               ;   in Loop: Header=BB264_45 Depth=1
	v_lshlrev_b32_e32 v1, 2, v6
	ds_write_b32 v1, v9
.LBB264_47:                             ;   in Loop: Header=BB264_45 Depth=1
	s_or_b64 exec, exec, s[28:29]
	s_and_saveexec_b64 s[28:29], s[20:21]
	s_cbranch_execz .LBB264_44
; %bb.48:                               ;   in Loop: Header=BB264_45 Depth=1
	v_lshlrev_b32_e32 v1, 2, v7
	ds_write_b32 v1, v9
	s_branch .LBB264_44
.LBB264_49:
	s_or_b64 exec, exec, s[16:17]
	v_lshlrev_b32_e32 v23, 1, v21
	ds_read_u16 v1, v23
	s_waitcnt lgkmcnt(0)
	v_add_u16_e32 v6, 2, v1
	ds_write_b16 v23, v6
	s_waitcnt lgkmcnt(0)
	; wave barrier
	s_waitcnt lgkmcnt(0)
	ds_read2_b32 v[14:15], v16 offset1:1
	ds_read2_b32 v[12:13], v16 offset0:2 offset1:3
	ds_read2_b32 v[6:7], v16 offset0:4 offset1:5
	;; [unrolled: 1-line block ×3, first 2 shown]
	s_waitcnt lgkmcnt(3)
	v_add_u32_e32 v24, v15, v14
	s_waitcnt lgkmcnt(2)
	v_add3_u32 v24, v24, v12, v13
	s_waitcnt lgkmcnt(1)
	v_add3_u32 v24, v24, v6, v7
	;; [unrolled: 2-line block ×3, first 2 shown]
	s_nop 1
	v_mov_b32_dpp v24, v9 row_shr:1 row_mask:0xf bank_mask:0xf
	v_cndmask_b32_e64 v24, v24, 0, s[6:7]
	v_add_u32_e32 v9, v24, v9
	s_nop 1
	v_mov_b32_dpp v24, v9 row_shr:2 row_mask:0xf bank_mask:0xf
	v_cndmask_b32_e64 v24, 0, v24, s[8:9]
	v_add_u32_e32 v9, v9, v24
	;; [unrolled: 4-line block ×4, first 2 shown]
	s_and_saveexec_b64 s[6:7], s[4:5]
	s_cbranch_execz .LBB264_51
; %bb.50:
	v_mov_b32_e32 v24, 0
	ds_write_b32 v24, v9 offset:512
.LBB264_51:
	s_or_b64 exec, exec, s[6:7]
	ds_bpermute_b32 v9, v17, v9
	v_mov_b32_e32 v17, 0
	s_waitcnt lgkmcnt(0)
	; wave barrier
	s_waitcnt lgkmcnt(0)
	ds_read_b32 v17, v17 offset:512
	v_cndmask_b32_e64 v9, v9, 0, s[14:15]
	s_waitcnt lgkmcnt(0)
	v_lshl_add_u32 v9, v17, 16, v9
	v_add_u32_e32 v14, v9, v14
	v_add_u32_e32 v15, v14, v15
	;; [unrolled: 1-line block ×7, first 2 shown]
	ds_write2_b32 v16, v9, v14 offset1:1
	ds_write2_b32 v16, v15, v12 offset0:2 offset1:3
	ds_write2_b32 v16, v13, v6 offset0:4 offset1:5
	;; [unrolled: 1-line block ×3, first 2 shown]
	s_waitcnt lgkmcnt(0)
	; wave barrier
	s_waitcnt lgkmcnt(0)
	ds_read_u16 v6, v23
	v_add_u16_e32 v7, 1, v1
	s_waitcnt lgkmcnt(0)
	; wave barrier
	s_waitcnt lgkmcnt(0)
	v_add_u32_sdwa v1, v6, v1 dst_sel:DWORD dst_unused:UNUSED_PAD src0_sel:DWORD src1_sel:WORD_0
	v_add_u32_e32 v7, v6, v7
	ds_write_b8 v1, v18
	ds_write_b8 v7, v19
	s_waitcnt lgkmcnt(0)
	; wave barrier
	s_waitcnt lgkmcnt(0)
	ds_read_u8 v12, v21
	ds_read_u8 v13, v21 offset:1
	v_lshlrev_b32_e32 v1, 3, v1
	s_waitcnt lgkmcnt(0)
	; wave barrier
	s_waitcnt lgkmcnt(0)
	ds_write_b64 v1, v[2:3]
	v_lshlrev_b32_e32 v1, 3, v7
	ds_write_b64 v1, v[4:5]
	s_waitcnt lgkmcnt(0)
	; wave barrier
	s_waitcnt lgkmcnt(0)
	ds_read2_b64 v[6:9], v11 offset1:1
	v_mov_b32_e32 v2, 1
	v_xor_b32_e32 v1, 1, v12
	v_xor_b32_sdwa v2, v13, v2 dst_sel:BYTE_1 dst_unused:UNUSED_PAD src0_sel:DWORD src1_sel:DWORD
	v_or_b32_e32 v1, v1, v2
	v_and_b32_e32 v12, 0xffff, v1
.LBB264_52:
	v_lshrrev_b16_e32 v1, 8, v12
	s_waitcnt lgkmcnt(0)
	; wave barrier
	s_waitcnt lgkmcnt(0)
	ds_write_b8 v21, v12
	ds_write_b8 v21, v1 offset:1
	s_waitcnt lgkmcnt(0)
	; wave barrier
	s_waitcnt lgkmcnt(0)
	ds_read_u8 v1, v0 offset:16
	v_mov_b32_e32 v3, s27
	v_add_co_u32_e32 v2, vcc, s26, v20
	v_addc_co_u32_e32 v3, vcc, 0, v3, vcc
	s_and_saveexec_b64 s[4:5], s[0:1]
	s_cbranch_execz .LBB264_54
; %bb.53:
	ds_read_u8 v0, v0
	s_waitcnt lgkmcnt(0)
	global_store_byte v[2:3], v0, off
.LBB264_54:
	s_or_b64 exec, exec, s[4:5]
	s_and_saveexec_b64 s[4:5], s[2:3]
	s_cbranch_execz .LBB264_56
; %bb.55:
	s_lshl_b32 s6, s22, 4
	v_add_co_u32_e32 v2, vcc, s6, v2
	v_addc_co_u32_e32 v3, vcc, 0, v3, vcc
	s_waitcnt lgkmcnt(0)
	global_store_byte v[2:3], v1, off
.LBB264_56:
	s_or_b64 exec, exec, s[4:5]
	s_waitcnt lgkmcnt(0)
	; wave barrier
	s_waitcnt lgkmcnt(0)
	ds_write2_b64 v11, v[6:7], v[8:9] offset1:1
	s_waitcnt lgkmcnt(0)
	; wave barrier
	s_waitcnt lgkmcnt(0)
	ds_read_b64 v[0:1], v22 offset:128
	v_mov_b32_e32 v11, 0
	v_lshlrev_b64 v[2:3], 3, v[10:11]
	v_mov_b32_e32 v4, s25
	v_add_co_u32_e32 v2, vcc, s23, v2
	v_addc_co_u32_e32 v3, vcc, v4, v3, vcc
	s_and_saveexec_b64 s[4:5], s[0:1]
	s_cbranch_execz .LBB264_58
; %bb.57:
	ds_read_b64 v[4:5], v22
	s_waitcnt lgkmcnt(0)
	global_store_dwordx2 v[2:3], v[4:5], off
.LBB264_58:
	s_or_b64 exec, exec, s[4:5]
	s_and_saveexec_b64 s[0:1], s[2:3]
	s_cbranch_execz .LBB264_60
; %bb.59:
	s_lshl_b32 s0, s24, 4
	s_mov_b32 s1, 0
	s_lshl_b64 s[0:1], s[0:1], 3
	v_mov_b32_e32 v4, s1
	v_add_co_u32_e32 v2, vcc, s0, v2
	v_addc_co_u32_e32 v3, vcc, v3, v4, vcc
	s_waitcnt lgkmcnt(0)
	global_store_dwordx2 v[2:3], v[0:1], off
.LBB264_60:
	s_endpgm
	.section	.rodata,"a",@progbits
	.p2align	6, 0x0
	.amdhsa_kernel _ZN2at6native18radixSortKVInPlaceILin2ELin1ELi16ELi2EbljEEvNS_4cuda6detail10TensorInfoIT3_T5_EES6_S6_S6_NS4_IT4_S6_EES6_b
		.amdhsa_group_segment_fixed_size 528
		.amdhsa_private_segment_fixed_size 0
		.amdhsa_kernarg_size 712
		.amdhsa_user_sgpr_count 6
		.amdhsa_user_sgpr_private_segment_buffer 1
		.amdhsa_user_sgpr_dispatch_ptr 0
		.amdhsa_user_sgpr_queue_ptr 0
		.amdhsa_user_sgpr_kernarg_segment_ptr 1
		.amdhsa_user_sgpr_dispatch_id 0
		.amdhsa_user_sgpr_flat_scratch_init 0
		.amdhsa_user_sgpr_kernarg_preload_length 0
		.amdhsa_user_sgpr_kernarg_preload_offset 0
		.amdhsa_user_sgpr_private_segment_size 0
		.amdhsa_uses_dynamic_stack 0
		.amdhsa_system_sgpr_private_segment_wavefront_offset 0
		.amdhsa_system_sgpr_workgroup_id_x 1
		.amdhsa_system_sgpr_workgroup_id_y 1
		.amdhsa_system_sgpr_workgroup_id_z 1
		.amdhsa_system_sgpr_workgroup_info 0
		.amdhsa_system_vgpr_workitem_id 0
		.amdhsa_next_free_vgpr 32
		.amdhsa_next_free_sgpr 36
		.amdhsa_accum_offset 32
		.amdhsa_reserve_vcc 1
		.amdhsa_reserve_flat_scratch 0
		.amdhsa_float_round_mode_32 0
		.amdhsa_float_round_mode_16_64 0
		.amdhsa_float_denorm_mode_32 3
		.amdhsa_float_denorm_mode_16_64 3
		.amdhsa_dx10_clamp 1
		.amdhsa_ieee_mode 1
		.amdhsa_fp16_overflow 0
		.amdhsa_tg_split 0
		.amdhsa_exception_fp_ieee_invalid_op 0
		.amdhsa_exception_fp_denorm_src 0
		.amdhsa_exception_fp_ieee_div_zero 0
		.amdhsa_exception_fp_ieee_overflow 0
		.amdhsa_exception_fp_ieee_underflow 0
		.amdhsa_exception_fp_ieee_inexact 0
		.amdhsa_exception_int_div_zero 0
	.end_amdhsa_kernel
	.section	.text._ZN2at6native18radixSortKVInPlaceILin2ELin1ELi16ELi2EbljEEvNS_4cuda6detail10TensorInfoIT3_T5_EES6_S6_S6_NS4_IT4_S6_EES6_b,"axG",@progbits,_ZN2at6native18radixSortKVInPlaceILin2ELin1ELi16ELi2EbljEEvNS_4cuda6detail10TensorInfoIT3_T5_EES6_S6_S6_NS4_IT4_S6_EES6_b,comdat
.Lfunc_end264:
	.size	_ZN2at6native18radixSortKVInPlaceILin2ELin1ELi16ELi2EbljEEvNS_4cuda6detail10TensorInfoIT3_T5_EES6_S6_S6_NS4_IT4_S6_EES6_b, .Lfunc_end264-_ZN2at6native18radixSortKVInPlaceILin2ELin1ELi16ELi2EbljEEvNS_4cuda6detail10TensorInfoIT3_T5_EES6_S6_S6_NS4_IT4_S6_EES6_b
                                        ; -- End function
	.section	.AMDGPU.csdata,"",@progbits
; Kernel info:
; codeLenInByte = 4016
; NumSgprs: 40
; NumVgprs: 32
; NumAgprs: 0
; TotalNumVgprs: 32
; ScratchSize: 0
; MemoryBound: 0
; FloatMode: 240
; IeeeMode: 1
; LDSByteSize: 528 bytes/workgroup (compile time only)
; SGPRBlocks: 4
; VGPRBlocks: 3
; NumSGPRsForWavesPerEU: 40
; NumVGPRsForWavesPerEU: 32
; AccumOffset: 32
; Occupancy: 8
; WaveLimiterHint : 1
; COMPUTE_PGM_RSRC2:SCRATCH_EN: 0
; COMPUTE_PGM_RSRC2:USER_SGPR: 6
; COMPUTE_PGM_RSRC2:TRAP_HANDLER: 0
; COMPUTE_PGM_RSRC2:TGID_X_EN: 1
; COMPUTE_PGM_RSRC2:TGID_Y_EN: 1
; COMPUTE_PGM_RSRC2:TGID_Z_EN: 1
; COMPUTE_PGM_RSRC2:TIDIG_COMP_CNT: 0
; COMPUTE_PGM_RSRC3_GFX90A:ACCUM_OFFSET: 7
; COMPUTE_PGM_RSRC3_GFX90A:TG_SPLIT: 0
	.section	.text._ZN2at6native18radixSortKVInPlaceILi2ELin1ELi512ELi8EbljEEvNS_4cuda6detail10TensorInfoIT3_T5_EES6_S6_S6_NS4_IT4_S6_EES6_b,"axG",@progbits,_ZN2at6native18radixSortKVInPlaceILi2ELin1ELi512ELi8EbljEEvNS_4cuda6detail10TensorInfoIT3_T5_EES6_S6_S6_NS4_IT4_S6_EES6_b,comdat
	.protected	_ZN2at6native18radixSortKVInPlaceILi2ELin1ELi512ELi8EbljEEvNS_4cuda6detail10TensorInfoIT3_T5_EES6_S6_S6_NS4_IT4_S6_EES6_b ; -- Begin function _ZN2at6native18radixSortKVInPlaceILi2ELin1ELi512ELi8EbljEEvNS_4cuda6detail10TensorInfoIT3_T5_EES6_S6_S6_NS4_IT4_S6_EES6_b
	.globl	_ZN2at6native18radixSortKVInPlaceILi2ELin1ELi512ELi8EbljEEvNS_4cuda6detail10TensorInfoIT3_T5_EES6_S6_S6_NS4_IT4_S6_EES6_b
	.p2align	8
	.type	_ZN2at6native18radixSortKVInPlaceILi2ELin1ELi512ELi8EbljEEvNS_4cuda6detail10TensorInfoIT3_T5_EES6_S6_S6_NS4_IT4_S6_EES6_b,@function
_ZN2at6native18radixSortKVInPlaceILi2ELin1ELi512ELi8EbljEEvNS_4cuda6detail10TensorInfoIT3_T5_EES6_S6_S6_NS4_IT4_S6_EES6_b: ; @_ZN2at6native18radixSortKVInPlaceILi2ELin1ELi512ELi8EbljEEvNS_4cuda6detail10TensorInfoIT3_T5_EES6_S6_S6_NS4_IT4_S6_EES6_b
; %bb.0:
	s_load_dwordx2 s[0:1], s[4:5], 0x1c8
	s_load_dwordx4 s[36:39], s[4:5], 0xd8
	s_add_u32 s42, s4, 0x1c8
	s_addc_u32 s43, s5, 0
	s_waitcnt lgkmcnt(0)
	s_mul_i32 s1, s1, s8
	s_add_i32 s1, s1, s7
	s_mul_i32 s8, s1, s0
	s_add_i32 s8, s8, s6
	s_cmp_ge_u32 s8, s36
	s_cbranch_scc1 .LBB265_102
; %bb.1:
	s_load_dword s9, s[4:5], 0xc
	s_load_dwordx2 s[0:1], s[4:5], 0x6c
	s_load_dword s6, s[4:5], 0x1b8
	s_add_u32 s14, s4, 0xe8
	s_load_dwordx2 s[2:3], s[4:5], 0x0
	s_waitcnt lgkmcnt(0)
	v_cvt_f32_u32_e32 v1, s9
	s_addc_u32 s15, s5, 0
	s_sub_i32 s7, 0, s9
	s_mov_b32 s17, 0
	v_rcp_iflag_f32_e32 v1, v1
	s_mov_b32 s16, s8
	v_mul_f32_e32 v1, 0x4f7ffffe, v1
	v_cvt_u32_f32_e32 v1, v1
	v_readfirstlane_b32 s10, v1
	s_mul_i32 s7, s7, s10
	s_mul_hi_u32 s7, s10, s7
	s_add_i32 s10, s10, s7
	s_mul_hi_u32 s10, s8, s10
	s_cmp_lt_i32 s6, 2
	s_cbranch_scc1 .LBB265_4
; %bb.2:
	s_add_i32 s16, s6, -1
	s_add_i32 s11, s6, 1
	s_lshl_b64 s[6:7], s[16:17], 2
	s_add_u32 s6, s6, s14
	s_addc_u32 s7, s7, s15
	s_add_u32 s6, s6, 8
	s_addc_u32 s7, s7, 0
	s_mov_b32 s16, s8
.LBB265_3:                              ; =>This Inner Loop Header: Depth=1
	s_load_dword s12, s[6:7], 0x0
	s_load_dword s18, s[6:7], 0x64
	s_mov_b32 s13, s16
	s_waitcnt lgkmcnt(0)
	v_cvt_f32_u32_e32 v1, s12
	s_sub_i32 s16, 0, s12
	v_rcp_iflag_f32_e32 v1, v1
	v_mul_f32_e32 v1, 0x4f7ffffe, v1
	v_cvt_u32_f32_e32 v1, v1
	v_readfirstlane_b32 s19, v1
	s_mul_i32 s16, s16, s19
	s_mul_hi_u32 s16, s19, s16
	s_add_i32 s19, s19, s16
	s_mul_hi_u32 s16, s13, s19
	s_mul_i32 s19, s16, s12
	s_sub_i32 s19, s13, s19
	s_add_i32 s20, s16, 1
	s_sub_i32 s21, s19, s12
	s_cmp_ge_u32 s19, s12
	s_cselect_b32 s16, s20, s16
	s_cselect_b32 s19, s21, s19
	s_add_i32 s20, s16, 1
	s_cmp_ge_u32 s19, s12
	s_cselect_b32 s16, s20, s16
	s_mul_i32 s12, s16, s12
	s_sub_i32 s12, s13, s12
	s_mul_i32 s12, s18, s12
	s_add_i32 s11, s11, -1
	s_add_i32 s17, s12, s17
	s_add_u32 s6, s6, -4
	s_addc_u32 s7, s7, -1
	s_cmp_gt_u32 s11, 2
	s_cbranch_scc1 .LBB265_3
.LBB265_4:
	s_mul_i32 s6, s10, s9
	s_sub_i32 s6, s8, s6
	s_add_i32 s7, s10, 1
	s_sub_i32 s11, s6, s9
	s_cmp_ge_u32 s6, s9
	s_cselect_b32 s7, s7, s10
	s_cselect_b32 s6, s11, s6
	s_add_i32 s10, s7, 1
	s_cmp_ge_u32 s6, s9
	s_cselect_b32 s6, s10, s7
	s_load_dwordx2 s[34:35], s[4:5], 0x1c0
	s_mul_i32 s7, s6, s9
	s_sub_i32 s4, s8, s7
	s_mul_i32 s4, s4, s1
	s_mul_i32 s0, s6, s0
	s_add_i32 s4, s0, s4
	s_waitcnt lgkmcnt(0)
	s_bitcmp1_b32 s35, 0
	s_cselect_b64 s[0:1], -1, 0
	s_add_u32 s40, s2, s4
	s_addc_u32 s41, s3, 0
	s_xor_b64 s[44:45], s[0:1], -1
	v_cndmask_b32_e64 v1, 0, 1, s[44:45]
	v_lshlrev_b16_e32 v2, 8, v1
	v_or_b32_e32 v2, v1, v2
	v_lshlrev_b32_e32 v3, 16, v2
	v_and_b32_e32 v36, 0x3ff, v0
	v_or_b32_sdwa v2, v2, v3 dst_sel:DWORD dst_unused:UNUSED_PAD src0_sel:WORD_0 src1_sel:DWORD
	v_mov_b32_e32 v3, v2
	v_cmp_gt_u32_e64 s[0:1], s37, v36
	v_mul_lo_u32 v37, v36, s38
	s_and_saveexec_b64 s[2:3], s[0:1]
	s_cbranch_execz .LBB265_6
; %bb.5:
	global_load_ubyte v1, v37, s[40:41]
	s_mov_b32 s4, 0x3020104
	v_mov_b32_e32 v5, v2
	s_waitcnt vmcnt(0)
	v_perm_b32 v4, v1, v2, s4
	v_pk_mov_b32 v[2:3], v[4:5], v[4:5] op_sel:[0,1]
.LBB265_6:
	s_or_b64 exec, exec, s[2:3]
	v_add_u32_e32 v32, 0x200, v36
	v_cmp_gt_u32_e64 s[2:3], s37, v32
	s_and_saveexec_b64 s[4:5], s[2:3]
	s_cbranch_execz .LBB265_8
; %bb.7:
	v_mul_lo_u32 v4, v32, s38
	global_load_ubyte v4, v4, s[40:41]
	s_mov_b32 s6, 0x7060004
	s_waitcnt vmcnt(0)
	v_perm_b32 v2, v2, v4, s6
.LBB265_8:
	s_or_b64 exec, exec, s[4:5]
	v_or_b32_e32 v31, 0x400, v36
	v_cmp_gt_u32_e64 s[4:5], s37, v31
	s_and_saveexec_b64 s[6:7], s[4:5]
	s_cbranch_execz .LBB265_10
; %bb.9:
	v_mul_lo_u32 v4, v31, s38
	global_load_ubyte v4, v4, s[40:41]
	s_movk_i32 s8, 0xff00
	v_and_b32_sdwa v5, v2, s8 dst_sel:DWORD dst_unused:UNUSED_PAD src0_sel:WORD_1 src1_sel:DWORD
	s_mov_b32 s8, 0xffff
	s_waitcnt vmcnt(0)
	v_or_b32_sdwa v4, v4, v5 dst_sel:WORD_1 dst_unused:UNUSED_PAD src0_sel:DWORD src1_sel:DWORD
	v_and_or_b32 v2, v2, s8, v4
.LBB265_10:
	s_or_b64 exec, exec, s[6:7]
	v_add_u32_e32 v30, 0x600, v36
	v_cmp_gt_u32_e64 s[6:7], s37, v30
	s_and_saveexec_b64 s[8:9], s[6:7]
	s_cbranch_execz .LBB265_12
; %bb.11:
	v_mul_lo_u32 v4, v30, s38
	global_load_ubyte v4, v4, s[40:41]
	s_movk_i32 s10, 0xff
	v_and_b32_sdwa v5, v2, s10 dst_sel:DWORD dst_unused:UNUSED_PAD src0_sel:WORD_1 src1_sel:DWORD
	s_mov_b32 s10, 0xffff
	s_waitcnt vmcnt(0)
	v_lshlrev_b16_e32 v4, 8, v4
	v_or_b32_sdwa v4, v5, v4 dst_sel:WORD_1 dst_unused:UNUSED_PAD src0_sel:DWORD src1_sel:DWORD
	v_and_or_b32 v2, v2, s10, v4
.LBB265_12:
	s_or_b64 exec, exec, s[8:9]
	v_or_b32_e32 v29, 0x800, v36
	v_cmp_gt_u32_e64 s[8:9], s37, v29
	s_and_saveexec_b64 s[10:11], s[8:9]
	s_cbranch_execz .LBB265_14
; %bb.13:
	v_mul_lo_u32 v4, v29, s38
	global_load_ubyte v4, v4, s[40:41]
	s_mov_b32 s12, 0x3020104
	s_waitcnt vmcnt(0)
	v_perm_b32 v3, v4, v3, s12
.LBB265_14:
	s_or_b64 exec, exec, s[10:11]
	v_add_u32_e32 v28, 0xa00, v36
	v_cmp_gt_u32_e64 s[10:11], s37, v28
	s_and_saveexec_b64 s[12:13], s[10:11]
	s_cbranch_execz .LBB265_16
; %bb.15:
	v_mul_lo_u32 v4, v28, s38
	global_load_ubyte v4, v4, s[40:41]
	s_mov_b32 s18, 0x7060004
	s_waitcnt vmcnt(0)
	v_perm_b32 v3, v3, v4, s18
.LBB265_16:
	s_or_b64 exec, exec, s[12:13]
	s_load_dwordx2 s[18:19], s[14:15], 0x0
	v_or_b32_e32 v27, 0xc00, v36
	v_cmp_gt_u32_e64 s[12:13], s37, v27
	s_and_saveexec_b64 s[20:21], s[12:13]
	s_cbranch_execz .LBB265_18
; %bb.17:
	v_mul_lo_u32 v4, v27, s38
	global_load_ubyte v4, v4, s[40:41]
	s_mov_b32 s22, 0x7000504
	s_waitcnt vmcnt(0)
	v_perm_b32 v3, v3, v4, s22
.LBB265_18:
	s_or_b64 exec, exec, s[20:21]
	s_load_dword s22, s[14:15], 0x6c
	v_add_u32_e32 v22, 0xe00, v36
	v_cmp_gt_u32_e64 s[14:15], s37, v22
	s_and_saveexec_b64 s[20:21], s[14:15]
	s_cbranch_execz .LBB265_20
; %bb.19:
	v_mul_lo_u32 v4, v22, s38
	global_load_ubyte v4, v4, s[40:41]
	s_mov_b32 s23, 0x60504
	s_waitcnt vmcnt(0)
	v_perm_b32 v3, v3, v4, s23
.LBB265_20:
	s_or_b64 exec, exec, s[20:21]
	v_lshrrev_b32_e32 v26, 5, v36
	v_and_b32_e32 v4, 28, v26
	v_add_u32_e32 v44, v4, v36
	v_lshrrev_b32_e32 v25, 5, v32
	ds_write_b8 v44, v1
	v_and_b32_e32 v1, 60, v25
	v_lshrrev_b32_e32 v24, 5, v31
	v_add_u32_e32 v45, v1, v36
	v_and_b32_e32 v1, 60, v24
	v_lshrrev_b32_e32 v23, 5, v30
	v_add_u32_e32 v46, v1, v36
	;; [unrolled: 3-line block ×3, first 2 shown]
	v_and_b32_e32 v1, 0x5c, v21
	v_lshrrev_b32_e32 v19, 5, v28
	v_lshrrev_b32_e32 v4, 8, v2
	v_add_u32_e32 v48, v1, v36
	v_and_b32_e32 v1, 0x7c, v19
	v_lshrrev_b32_e32 v18, 5, v27
	ds_write_b8 v45, v4 offset:512
	ds_write_b8_d16_hi v46, v2 offset:1024
	v_lshrrev_b32_e32 v2, 24, v2
	v_add_u32_e32 v49, v1, v36
	v_and_b32_e32 v1, 0x7c, v18
	ds_write_b8 v47, v2 offset:1536
	v_lshrrev_b32_e32 v2, 8, v3
	v_add_u32_e32 v50, v1, v36
	v_lshrrev_b32_e32 v1, 5, v22
	ds_write_b8 v48, v3 offset:2048
	ds_write_b8 v49, v2 offset:2560
	v_and_b32_e32 v2, 0xfc, v1
	v_lshrrev_b32_e32 v20, 2, v36
	v_add_u32_e32 v51, v2, v36
	v_lshlrev_b32_e32 v53, 3, v36
	v_and_b32_e32 v2, 0xfc, v20
	s_waitcnt lgkmcnt(0)
	s_mul_i32 s16, s22, s16
	ds_write_b8_d16_hi v50, v3 offset:3072
	v_lshrrev_b32_e32 v3, 24, v3
	v_add_u32_e32 v52, v2, v53
	s_add_i32 s16, s16, s17
	s_mov_b32 s17, 0
	ds_write_b8 v51, v3 offset:3584
	s_waitcnt lgkmcnt(0)
	s_barrier
	ds_read_b64 v[38:39], v52
	s_lshl_b64 s[20:21], s[16:17], 3
	s_add_u32 s33, s18, s20
	s_mov_b32 s16, s17
	s_addc_u32 s35, s19, s21
	s_mov_b32 s18, s17
	s_mov_b32 s19, s17
	;; [unrolled: 1-line block ×14, first 2 shown]
	v_pk_mov_b32 v[2:3], s[16:17], s[16:17] op_sel:[0,1]
	v_pk_mov_b32 v[4:5], s[18:19], s[18:19] op_sel:[0,1]
	;; [unrolled: 1-line block ×8, first 2 shown]
	v_pk_mov_b32 v[2:3], 0, 0
	v_mul_lo_u32 v34, v36, s34
	s_waitcnt lgkmcnt(0)
	s_barrier
	s_and_saveexec_b64 s[16:17], s[0:1]
	s_cbranch_execnz .LBB265_53
; %bb.21:
	s_or_b64 exec, exec, s[16:17]
	s_and_saveexec_b64 s[16:17], s[2:3]
	s_cbranch_execnz .LBB265_54
.LBB265_22:
	s_or_b64 exec, exec, s[16:17]
	s_and_saveexec_b64 s[16:17], s[4:5]
	s_cbranch_execnz .LBB265_55
.LBB265_23:
	s_or_b64 exec, exec, s[16:17]
	s_and_saveexec_b64 s[16:17], s[6:7]
	s_cbranch_execnz .LBB265_56
.LBB265_24:
	s_or_b64 exec, exec, s[16:17]
	s_and_saveexec_b64 s[16:17], s[8:9]
	s_cbranch_execnz .LBB265_57
.LBB265_25:
	s_or_b64 exec, exec, s[16:17]
	s_and_saveexec_b64 s[16:17], s[10:11]
	s_cbranch_execnz .LBB265_58
.LBB265_26:
	s_or_b64 exec, exec, s[16:17]
	s_and_saveexec_b64 s[16:17], s[12:13]
	s_cbranch_execnz .LBB265_59
.LBB265_27:
	s_or_b64 exec, exec, s[16:17]
	s_and_saveexec_b64 s[16:17], s[14:15]
	s_cbranch_execz .LBB265_29
.LBB265_28:
	v_mul_lo_u32 v16, v22, s34
	v_mov_b32_e32 v17, 0
	v_lshlrev_b64 v[16:17], 3, v[16:17]
	v_mov_b32_e32 v22, s35
	v_add_co_u32_e32 v16, vcc, s33, v16
	v_addc_co_u32_e32 v17, vcc, v22, v17, vcc
	global_load_dwordx2 v[16:17], v[16:17], off
.LBB265_29:
	s_or_b64 exec, exec, s[16:17]
	v_lshrrev_b64 v[40:41], 24, v[38:39]
	v_add_lshl_u32 v41, v26, v36, 3
	v_add_lshl_u32 v35, v25, v36, 3
	;; [unrolled: 1-line block ×9, first 2 shown]
	s_waitcnt vmcnt(0)
	ds_write_b64 v41, v[2:3]
	ds_write_b64 v35, v[4:5] offset:4096
	ds_write_b64 v54, v[6:7] offset:8192
	;; [unrolled: 1-line block ×7, first 2 shown]
	s_waitcnt lgkmcnt(0)
	s_barrier
	ds_read2_b64 v[14:17], v60 offset1:1
	ds_read2_b64 v[10:13], v60 offset0:2 offset1:3
	ds_read2_b64 v[6:9], v60 offset0:4 offset1:5
	;; [unrolled: 1-line block ×3, first 2 shown]
	v_lshrrev_b32_e32 v64, 8, v38
	v_lshrrev_b32_e32 v65, 8, v39
	s_and_b64 vcc, exec, s[44:45]
	v_bfe_u32 v62, v0, 10, 10
	v_bfe_u32 v63, v0, 20, 10
	v_mbcnt_lo_u32_b32 v66, -1, 0
	v_lshlrev_b32_e32 v61, 4, v36
	s_waitcnt lgkmcnt(0)
	s_barrier
	s_cbranch_vccz .LBB265_60
; %bb.30:
	s_movk_i32 s16, 0xff
	v_mov_b32_e32 v1, 8
	v_lshlrev_b16_e32 v0, 8, v65
	v_lshlrev_b16_sdwa v1, v1, v39 dst_sel:DWORD dst_unused:UNUSED_PAD src0_sel:DWORD src1_sel:BYTE_3
	v_and_b32_sdwa v20, v39, s16 dst_sel:DWORD dst_unused:UNUSED_PAD src0_sel:WORD_1 src1_sel:DWORD
	v_or_b32_sdwa v0, v39, v0 dst_sel:DWORD dst_unused:UNUSED_PAD src0_sel:BYTE_0 src1_sel:DWORD
	v_or_b32_sdwa v1, v20, v1 dst_sel:WORD_1 dst_unused:UNUSED_PAD src0_sel:DWORD src1_sel:DWORD
	v_mbcnt_hi_u32_b32 v75, -1, v66
	v_and_b32_e32 v76, 0x3c0, v36
	v_or_b32_sdwa v1, v0, v1 dst_sel:DWORD dst_unused:UNUSED_PAD src0_sel:WORD_0 src1_sel:DWORD
	v_lshlrev_b16_e32 v0, 8, v64
	v_lshlrev_b16_e32 v20, 8, v40
	v_and_b32_sdwa v21, v38, s16 dst_sel:DWORD dst_unused:UNUSED_PAD src0_sel:WORD_1 src1_sel:DWORD
	v_add_u32_e32 v18, v75, v76
	v_or_b32_sdwa v0, v38, v0 dst_sel:DWORD dst_unused:UNUSED_PAD src0_sel:BYTE_0 src1_sel:DWORD
	v_or_b32_sdwa v20, v21, v20 dst_sel:WORD_1 dst_unused:UNUSED_PAD src0_sel:DWORD src1_sel:DWORD
	v_lshlrev_b32_e32 v19, 3, v18
	v_or_b32_sdwa v0, v0, v20 dst_sel:DWORD dst_unused:UNUSED_PAD src0_sel:WORD_0 src1_sel:DWORD
	s_movk_i32 s16, 0x1e00
	ds_write_b64 v19, v[0:1]
	v_and_or_b32 v0, v53, s16, v75
	; wave barrier
	ds_read_u8 v67, v0
	ds_read_u8 v68, v0 offset:64
	ds_read_u8 v69, v0 offset:128
	;; [unrolled: 1-line block ×7, first 2 shown]
	v_lshlrev_b32_e32 v1, 6, v18
	v_lshlrev_b32_e32 v0, 3, v0
	s_getpc_b64 s[16:17]
	s_add_u32 s16, s16, _ZN7rocprim17ROCPRIM_400000_NS16block_radix_sortIbLj512ELj8ElLj1ELj1ELj0ELNS0_26block_radix_rank_algorithmE1ELNS0_18block_padding_hintE2ELNS0_4arch9wavefront6targetE1EE19radix_bits_per_passE@rel32@lo+4
	s_addc_u32 s17, s17, _ZN7rocprim17ROCPRIM_400000_NS16block_radix_sortIbLj512ELj8ElLj1ELj1ELj0ELNS0_26block_radix_rank_algorithmE1ELNS0_18block_padding_hintE2ELNS0_4arch9wavefront6targetE1EE19radix_bits_per_passE@rel32@hi+12
	s_waitcnt lgkmcnt(0)
	s_barrier
	ds_write2_b64 v1, v[14:15], v[16:17] offset1:1
	ds_write2_b64 v1, v[10:11], v[12:13] offset0:2 offset1:3
	ds_write2_b64 v1, v[6:7], v[8:9] offset0:4 offset1:5
	;; [unrolled: 1-line block ×3, first 2 shown]
	; wave barrier
	ds_read2st64_b64 v[30:33], v0 offset1:1
	ds_read2st64_b64 v[26:29], v0 offset0:2 offset1:3
	ds_read2st64_b64 v[22:25], v0 offset0:4 offset1:5
	ds_read2st64_b64 v[18:21], v0 offset0:6 offset1:7
	s_waitcnt lgkmcnt(0)
	s_barrier
	s_load_dword s18, s[16:17], 0x0
	s_load_dword s19, s[42:43], 0xc
	s_waitcnt lgkmcnt(0)
	s_min_u32 s18, s18, 8
	s_lshr_b32 s16, s19, 16
	s_and_b32 s17, s19, 0xffff
	v_mad_u32_u24 v0, v63, s16, v62
	v_mad_u64_u32 v[0:1], s[16:17], v0, s17, v[36:37]
	s_lshl_b32 s16, -1, s18
	s_not_b32 s18, s16
	v_lshrrev_b32_e32 v42, 6, v0
	v_and_b32_e32 v0, s18, v67
	v_mov_b32_e32 v1, 0
	v_and_b32_e32 v0, 1, v0
	ds_write2_b32 v61, v1, v1 offset0:8 offset1:9
	ds_write2_b32 v61, v1, v1 offset0:10 offset1:11
	v_lshlrev_b32_e32 v1, 3, v0
	v_cmp_ne_u32_e32 vcc, 0, v0
	v_add_co_u32_e64 v0, s[16:17], -1, v0
	v_add_lshl_u32 v77, v42, v1, 2
	v_addc_co_u32_e64 v1, s[16:17], 0, -1, s[16:17]
	v_xor_b32_e32 v0, vcc_lo, v0
	v_xor_b32_e32 v1, vcc_hi, v1
	v_and_b32_e32 v0, exec_lo, v0
	v_and_b32_e32 v1, exec_hi, v1
	v_mbcnt_lo_u32_b32 v43, v0, 0
	v_mbcnt_hi_u32_b32 v78, v1, v43
	v_cmp_eq_u32_e32 vcc, 0, v78
	v_cmp_ne_u64_e64 s[16:17], 0, v[0:1]
	s_and_b64 s[20:21], s[16:17], vcc
	s_waitcnt lgkmcnt(0)
	s_barrier
	s_waitcnt lgkmcnt(0)
	; wave barrier
	s_and_saveexec_b64 s[16:17], s[20:21]
	s_cbranch_execz .LBB265_32
; %bb.31:
	v_bcnt_u32_b32 v0, v0, 0
	v_bcnt_u32_b32 v0, v1, v0
	ds_write_b32 v77, v0 offset:32
.LBB265_32:
	s_or_b64 exec, exec, s[16:17]
	v_and_b32_e32 v0, s18, v68
	v_and_b32_e32 v0, 0xff, v0
	v_lshlrev_b32_e32 v1, 3, v0
	v_cmp_ne_u32_e32 vcc, 0, v0
	v_add_co_u32_e64 v0, s[16:17], -1, v0
	v_add_lshl_u32 v80, v42, v1, 2
	v_addc_co_u32_e64 v1, s[16:17], 0, -1, s[16:17]
	v_xor_b32_e32 v0, vcc_lo, v0
	; wave barrier
	ds_read_b32 v79, v80 offset:32
	v_xor_b32_e32 v1, vcc_hi, v1
	v_and_b32_e32 v0, exec_lo, v0
	v_and_b32_e32 v1, exec_hi, v1
	v_mbcnt_lo_u32_b32 v43, v0, 0
	v_mbcnt_hi_u32_b32 v81, v1, v43
	v_cmp_eq_u32_e32 vcc, 0, v81
	v_cmp_ne_u64_e64 s[16:17], 0, v[0:1]
	s_and_b64 s[20:21], s[16:17], vcc
	; wave barrier
	s_and_saveexec_b64 s[16:17], s[20:21]
	s_cbranch_execz .LBB265_34
; %bb.33:
	v_bcnt_u32_b32 v0, v0, 0
	v_bcnt_u32_b32 v0, v1, v0
	s_waitcnt lgkmcnt(0)
	v_add_u32_e32 v0, v79, v0
	ds_write_b32 v80, v0 offset:32
.LBB265_34:
	s_or_b64 exec, exec, s[16:17]
	v_and_b32_e32 v0, s18, v69
	v_and_b32_e32 v0, 0xff, v0
	v_lshlrev_b32_e32 v1, 3, v0
	v_cmp_ne_u32_e32 vcc, 0, v0
	v_add_co_u32_e64 v0, s[16:17], -1, v0
	v_add_lshl_u32 v83, v42, v1, 2
	v_addc_co_u32_e64 v1, s[16:17], 0, -1, s[16:17]
	v_xor_b32_e32 v0, vcc_lo, v0
	; wave barrier
	ds_read_b32 v82, v83 offset:32
	v_xor_b32_e32 v1, vcc_hi, v1
	v_and_b32_e32 v0, exec_lo, v0
	v_and_b32_e32 v1, exec_hi, v1
	v_mbcnt_lo_u32_b32 v43, v0, 0
	v_mbcnt_hi_u32_b32 v84, v1, v43
	v_cmp_eq_u32_e32 vcc, 0, v84
	v_cmp_ne_u64_e64 s[16:17], 0, v[0:1]
	s_and_b64 s[20:21], s[16:17], vcc
	; wave barrier
	s_and_saveexec_b64 s[16:17], s[20:21]
	s_cbranch_execz .LBB265_36
; %bb.35:
	v_bcnt_u32_b32 v0, v0, 0
	v_bcnt_u32_b32 v0, v1, v0
	s_waitcnt lgkmcnt(0)
	v_add_u32_e32 v0, v82, v0
	ds_write_b32 v83, v0 offset:32
.LBB265_36:
	;; [unrolled: 29-line block ×6, first 2 shown]
	s_or_b64 exec, exec, s[16:17]
	v_and_b32_e32 v0, s18, v74
	v_and_b32_e32 v0, 0xff, v0
	v_lshlrev_b32_e32 v1, 3, v0
	v_cmp_ne_u32_e32 vcc, 0, v0
	v_add_co_u32_e64 v0, s[16:17], -1, v0
	v_add_lshl_u32 v98, v42, v1, 2
	v_addc_co_u32_e64 v1, s[16:17], 0, -1, s[16:17]
	v_xor_b32_e32 v0, vcc_lo, v0
	; wave barrier
	ds_read_b32 v97, v98 offset:32
	v_xor_b32_e32 v1, vcc_hi, v1
	v_and_b32_e32 v0, exec_lo, v0
	v_and_b32_e32 v1, exec_hi, v1
	v_mbcnt_lo_u32_b32 v42, v0, 0
	v_mbcnt_hi_u32_b32 v99, v1, v42
	v_cmp_eq_u32_e32 vcc, 0, v99
	v_cmp_ne_u64_e64 s[16:17], 0, v[0:1]
	v_add_u32_e32 v100, 32, v61
	s_and_b64 s[18:19], s[16:17], vcc
	; wave barrier
	s_and_saveexec_b64 s[16:17], s[18:19]
	s_cbranch_execz .LBB265_46
; %bb.45:
	v_bcnt_u32_b32 v0, v0, 0
	v_bcnt_u32_b32 v0, v1, v0
	s_waitcnt lgkmcnt(0)
	v_add_u32_e32 v0, v97, v0
	ds_write_b32 v98, v0 offset:32
.LBB265_46:
	s_or_b64 exec, exec, s[16:17]
	; wave barrier
	s_waitcnt lgkmcnt(0)
	s_barrier
	ds_read2_b32 v[0:1], v61 offset0:8 offset1:9
	ds_read2_b32 v[42:43], v100 offset0:2 offset1:3
	v_min_u32_e32 v76, 0x1c0, v76
	v_or_b32_e32 v76, 63, v76
	s_waitcnt lgkmcnt(1)
	v_add_u32_e32 v101, v1, v0
	s_waitcnt lgkmcnt(0)
	v_add3_u32 v43, v101, v42, v43
	v_and_b32_e32 v101, 15, v75
	v_cmp_ne_u32_e32 vcc, 0, v101
	v_mov_b32_dpp v102, v43 row_shr:1 row_mask:0xf bank_mask:0xf
	v_cndmask_b32_e32 v102, 0, v102, vcc
	v_add_u32_e32 v43, v102, v43
	v_cmp_lt_u32_e32 vcc, 1, v101
	s_nop 0
	v_mov_b32_dpp v102, v43 row_shr:2 row_mask:0xf bank_mask:0xf
	v_cndmask_b32_e32 v102, 0, v102, vcc
	v_add_u32_e32 v43, v43, v102
	v_cmp_lt_u32_e32 vcc, 3, v101
	s_nop 0
	v_mov_b32_dpp v102, v43 row_shr:4 row_mask:0xf bank_mask:0xf
	v_cndmask_b32_e32 v102, 0, v102, vcc
	v_add_u32_e32 v43, v43, v102
	v_cmp_lt_u32_e32 vcc, 7, v101
	s_nop 0
	v_mov_b32_dpp v102, v43 row_shr:8 row_mask:0xf bank_mask:0xf
	v_cndmask_b32_e32 v101, 0, v102, vcc
	v_add_u32_e32 v43, v43, v101
	v_bfe_i32 v102, v75, 4, 1
	v_cmp_lt_u32_e32 vcc, 31, v75
	v_mov_b32_dpp v101, v43 row_bcast:15 row_mask:0xf bank_mask:0xf
	v_and_b32_e32 v101, v102, v101
	v_add_u32_e32 v43, v43, v101
	s_nop 1
	v_mov_b32_dpp v101, v43 row_bcast:31 row_mask:0xf bank_mask:0xf
	v_cndmask_b32_e32 v101, 0, v101, vcc
	v_add_u32_e32 v43, v43, v101
	v_lshrrev_b32_e32 v101, 6, v36
	v_cmp_eq_u32_e32 vcc, v76, v36
	s_and_saveexec_b64 s[16:17], vcc
	s_cbranch_execz .LBB265_48
; %bb.47:
	v_lshlrev_b32_e32 v76, 2, v101
	ds_write_b32 v76, v43
.LBB265_48:
	s_or_b64 exec, exec, s[16:17]
	v_cmp_gt_u32_e32 vcc, 8, v36
	s_waitcnt lgkmcnt(0)
	s_barrier
	s_and_saveexec_b64 s[16:17], vcc
	s_cbranch_execz .LBB265_50
; %bb.49:
	v_lshlrev_b32_e32 v76, 2, v36
	ds_read_b32 v102, v76
	v_and_b32_e32 v103, 7, v75
	v_cmp_ne_u32_e32 vcc, 0, v103
	s_waitcnt lgkmcnt(0)
	v_mov_b32_dpp v104, v102 row_shr:1 row_mask:0xf bank_mask:0xf
	v_cndmask_b32_e32 v104, 0, v104, vcc
	v_add_u32_e32 v102, v104, v102
	v_cmp_lt_u32_e32 vcc, 1, v103
	s_nop 0
	v_mov_b32_dpp v104, v102 row_shr:2 row_mask:0xf bank_mask:0xf
	v_cndmask_b32_e32 v104, 0, v104, vcc
	v_add_u32_e32 v102, v102, v104
	v_cmp_lt_u32_e32 vcc, 3, v103
	s_nop 0
	v_mov_b32_dpp v104, v102 row_shr:4 row_mask:0xf bank_mask:0xf
	v_cndmask_b32_e32 v103, 0, v104, vcc
	v_add_u32_e32 v102, v102, v103
	ds_write_b32 v76, v102
.LBB265_50:
	s_or_b64 exec, exec, s[16:17]
	v_cmp_lt_u32_e32 vcc, 63, v36
	v_mov_b32_e32 v76, 0
	s_waitcnt lgkmcnt(0)
	s_barrier
	s_and_saveexec_b64 s[16:17], vcc
	s_cbranch_execz .LBB265_52
; %bb.51:
	v_lshl_add_u32 v76, v101, 2, -4
	ds_read_b32 v76, v76
.LBB265_52:
	s_or_b64 exec, exec, s[16:17]
	v_add_u32_e32 v101, -1, v75
	v_and_b32_e32 v102, 64, v75
	v_cmp_lt_i32_e32 vcc, v101, v102
	v_cndmask_b32_e32 v101, v101, v75, vcc
	s_waitcnt lgkmcnt(0)
	v_add_u32_e32 v43, v76, v43
	v_lshlrev_b32_e32 v101, 2, v101
	ds_bpermute_b32 v43, v101, v43
	v_cmp_eq_u32_e32 vcc, 0, v75
	s_waitcnt lgkmcnt(0)
	v_cndmask_b32_e32 v43, v43, v76, vcc
	v_cmp_ne_u32_e32 vcc, 0, v36
	v_cndmask_b32_e32 v43, 0, v43, vcc
	v_add_u32_e32 v0, v43, v0
	v_add_u32_e32 v1, v0, v1
	;; [unrolled: 1-line block ×3, first 2 shown]
	ds_write2_b32 v61, v43, v0 offset0:8 offset1:9
	ds_write2_b32 v100, v1, v42 offset0:2 offset1:3
	s_waitcnt lgkmcnt(0)
	s_barrier
	ds_read_b32 v0, v77 offset:32
	ds_read_b32 v1, v80 offset:32
	;; [unrolled: 1-line block ×8, first 2 shown]
	s_waitcnt lgkmcnt(7)
	v_add_u32_e32 v78, v0, v78
	s_waitcnt lgkmcnt(6)
	v_add3_u32 v79, v81, v79, v1
	s_waitcnt lgkmcnt(5)
	v_add3_u32 v42, v84, v82, v42
	;; [unrolled: 2-line block ×7, first 2 shown]
	s_barrier
	ds_write_b8 v78, v67
	ds_write_b8 v79, v68
	;; [unrolled: 1-line block ×8, first 2 shown]
	v_lshlrev_b32_e32 v67, 3, v78
	s_waitcnt lgkmcnt(0)
	s_barrier
	ds_read_b64 v[0:1], v53
	s_waitcnt lgkmcnt(0)
	s_barrier
	ds_write_b64 v67, v[30:31]
	v_lshlrev_b32_e32 v30, 3, v79
	ds_write_b64 v30, v[32:33]
	v_lshlrev_b32_e32 v30, 3, v42
	;; [unrolled: 2-line block ×7, first 2 shown]
	v_lshlrev_b32_e32 v30, 3, v53
	ds_write_b64 v18, v[20:21]
	s_waitcnt lgkmcnt(0)
	s_barrier
	ds_read2_b64 v[18:21], v30 offset1:1
	ds_read2_b64 v[22:25], v30 offset0:2 offset1:3
	ds_read2_b64 v[26:29], v30 offset0:4 offset1:5
	;; [unrolled: 1-line block ×3, first 2 shown]
	s_branch .LBB265_84
.LBB265_53:
	v_mov_b32_e32 v35, 0
	v_lshlrev_b64 v[2:3], 3, v[34:35]
	v_mov_b32_e32 v4, s35
	v_add_co_u32_e32 v2, vcc, s33, v2
	v_addc_co_u32_e32 v3, vcc, v4, v3, vcc
	global_load_dwordx2 v[2:3], v[2:3], off
	v_mov_b32_e32 v4, v35
	v_mov_b32_e32 v5, v35
	;; [unrolled: 1-line block ×14, first 2 shown]
	s_or_b64 exec, exec, s[16:17]
	s_and_saveexec_b64 s[16:17], s[2:3]
	s_cbranch_execz .LBB265_22
.LBB265_54:
	v_mul_lo_u32 v4, v32, s34
	v_mov_b32_e32 v5, 0
	v_lshlrev_b64 v[4:5], 3, v[4:5]
	v_mov_b32_e32 v32, s35
	v_add_co_u32_e32 v4, vcc, s33, v4
	v_addc_co_u32_e32 v5, vcc, v32, v5, vcc
	global_load_dwordx2 v[4:5], v[4:5], off
	s_or_b64 exec, exec, s[16:17]
	s_and_saveexec_b64 s[16:17], s[4:5]
	s_cbranch_execz .LBB265_23
.LBB265_55:
	v_mul_lo_u32 v6, v31, s34
	v_mov_b32_e32 v7, 0
	v_lshlrev_b64 v[6:7], 3, v[6:7]
	v_mov_b32_e32 v31, s35
	v_add_co_u32_e32 v6, vcc, s33, v6
	v_addc_co_u32_e32 v7, vcc, v31, v7, vcc
	global_load_dwordx2 v[6:7], v[6:7], off
	s_or_b64 exec, exec, s[16:17]
	s_and_saveexec_b64 s[16:17], s[6:7]
	s_cbranch_execz .LBB265_24
.LBB265_56:
	v_mul_lo_u32 v8, v30, s34
	v_mov_b32_e32 v9, 0
	v_lshlrev_b64 v[8:9], 3, v[8:9]
	v_mov_b32_e32 v30, s35
	v_add_co_u32_e32 v8, vcc, s33, v8
	v_addc_co_u32_e32 v9, vcc, v30, v9, vcc
	global_load_dwordx2 v[8:9], v[8:9], off
	s_or_b64 exec, exec, s[16:17]
	s_and_saveexec_b64 s[16:17], s[8:9]
	s_cbranch_execz .LBB265_25
.LBB265_57:
	v_mul_lo_u32 v10, v29, s34
	v_mov_b32_e32 v11, 0
	v_lshlrev_b64 v[10:11], 3, v[10:11]
	v_mov_b32_e32 v29, s35
	v_add_co_u32_e32 v10, vcc, s33, v10
	v_addc_co_u32_e32 v11, vcc, v29, v11, vcc
	global_load_dwordx2 v[10:11], v[10:11], off
	s_or_b64 exec, exec, s[16:17]
	s_and_saveexec_b64 s[16:17], s[10:11]
	s_cbranch_execz .LBB265_26
.LBB265_58:
	v_mul_lo_u32 v12, v28, s34
	v_mov_b32_e32 v13, 0
	v_lshlrev_b64 v[12:13], 3, v[12:13]
	v_mov_b32_e32 v28, s35
	v_add_co_u32_e32 v12, vcc, s33, v12
	v_addc_co_u32_e32 v13, vcc, v28, v13, vcc
	global_load_dwordx2 v[12:13], v[12:13], off
	s_or_b64 exec, exec, s[16:17]
	s_and_saveexec_b64 s[16:17], s[12:13]
	s_cbranch_execz .LBB265_27
.LBB265_59:
	v_mul_lo_u32 v14, v27, s34
	v_mov_b32_e32 v15, 0
	v_lshlrev_b64 v[14:15], 3, v[14:15]
	v_mov_b32_e32 v27, s35
	v_add_co_u32_e32 v14, vcc, s33, v14
	v_addc_co_u32_e32 v15, vcc, v27, v15, vcc
	global_load_dwordx2 v[14:15], v[14:15], off
	s_or_b64 exec, exec, s[16:17]
	s_and_saveexec_b64 s[16:17], s[14:15]
	s_cbranch_execnz .LBB265_28
	s_branch .LBB265_29
.LBB265_60:
                                        ; implicit-def: $vgpr1
                                        ; implicit-def: $vgpr32_vgpr33
                                        ; implicit-def: $vgpr28_vgpr29
                                        ; implicit-def: $vgpr24_vgpr25
                                        ; implicit-def: $vgpr20_vgpr21
	s_cbranch_execz .LBB265_84
; %bb.61:
	v_and_b32_e32 v0, 1, v65
	v_cmp_eq_u32_e32 vcc, 1, v0
	v_and_b32_e32 v0, 1, v39
	v_cmp_eq_u32_e64 s[16:17], 1, v0
	v_mov_b32_e32 v0, 1
	v_and_b32_sdwa v1, v0, v39 dst_sel:DWORD dst_unused:UNUSED_PAD src0_sel:DWORD src1_sel:BYTE_3
	v_cmp_eq_u32_e64 s[18:19], 1, v1
	v_and_b32_sdwa v1, v0, v39 dst_sel:DWORD dst_unused:UNUSED_PAD src0_sel:DWORD src1_sel:WORD_1
	v_cmp_eq_u32_e64 s[20:21], 1, v1
	v_and_b32_e32 v1, 1, v64
	v_cmp_eq_u32_e64 s[22:23], 1, v1
	v_and_b32_e32 v1, 1, v38
	v_and_b32_sdwa v0, v0, v38 dst_sel:DWORD dst_unused:UNUSED_PAD src0_sel:DWORD src1_sel:WORD_1
	s_xor_b64 s[30:31], vcc, -1
	v_cmp_eq_u32_e64 s[24:25], 1, v1
	v_and_b32_e32 v1, 1, v40
	v_cmp_eq_u32_e64 s[28:29], 1, v0
	v_cndmask_b32_e64 v0, 0, 1, s[30:31]
	s_xor_b64 s[16:17], s[16:17], -1
	v_cmp_eq_u32_e64 s[26:27], 1, v1
	v_lshlrev_b16_e32 v0, 8, v0
	v_cndmask_b32_e64 v1, 0, 1, s[16:17]
	s_xor_b64 s[16:17], s[18:19], -1
	v_or_b32_e32 v0, v1, v0
	v_cndmask_b32_e64 v1, 0, 1, s[16:17]
	s_xor_b64 s[16:17], s[20:21], -1
	v_lshlrev_b16_e32 v1, 8, v1
	s_waitcnt lgkmcnt(3)
	v_cndmask_b32_e64 v21, 0, 1, s[16:17]
	v_or_b32_sdwa v1, v21, v1 dst_sel:WORD_1 dst_unused:UNUSED_PAD src0_sel:DWORD src1_sel:DWORD
	s_xor_b64 s[16:17], s[22:23], -1
	v_or_b32_sdwa v1, v0, v1 dst_sel:DWORD dst_unused:UNUSED_PAD src0_sel:WORD_0 src1_sel:DWORD
	v_cndmask_b32_e64 v0, 0, 1, s[16:17]
	s_xor_b64 s[16:17], s[24:25], -1
	v_lshlrev_b16_e32 v0, 8, v0
	v_cndmask_b32_e64 v21, 0, 1, s[16:17]
	s_xor_b64 s[16:17], s[26:27], -1
	v_or_b32_e32 v0, v21, v0
	v_cndmask_b32_e64 v21, 0, 1, s[16:17]
	s_xor_b64 s[16:17], s[28:29], -1
	v_mbcnt_hi_u32_b32 v20, -1, v66
	s_waitcnt lgkmcnt(1)
	v_and_b32_e32 v29, 0x3c0, v36
	v_lshlrev_b16_e32 v21, 8, v21
	v_cndmask_b32_e64 v22, 0, 1, s[16:17]
	v_add_u32_e32 v18, v20, v29
	v_or_b32_sdwa v21, v22, v21 dst_sel:WORD_1 dst_unused:UNUSED_PAD src0_sel:DWORD src1_sel:DWORD
	v_lshlrev_b32_e32 v19, 3, v18
	v_or_b32_sdwa v0, v0, v21 dst_sel:DWORD dst_unused:UNUSED_PAD src0_sel:WORD_0 src1_sel:DWORD
	s_movk_i32 s16, 0x1e00
	ds_write_b64 v19, v[0:1]
	v_and_or_b32 v0, v53, s16, v20
	; wave barrier
	ds_read_u8 v21, v0
	ds_read_u8 v22, v0 offset:64
	ds_read_u8 v23, v0 offset:128
	;; [unrolled: 1-line block ×7, first 2 shown]
	v_lshlrev_b32_e32 v1, 6, v18
	v_lshlrev_b32_e32 v0, 3, v0
	s_getpc_b64 s[16:17]
	s_add_u32 s16, s16, _ZN7rocprim17ROCPRIM_400000_NS16block_radix_sortIbLj512ELj8ElLj1ELj1ELj0ELNS0_26block_radix_rank_algorithmE1ELNS0_18block_padding_hintE2ELNS0_4arch9wavefront6targetE1EE19radix_bits_per_passE@rel32@lo+4
	s_addc_u32 s17, s17, _ZN7rocprim17ROCPRIM_400000_NS16block_radix_sortIbLj512ELj8ElLj1ELj1ELj0ELNS0_26block_radix_rank_algorithmE1ELNS0_18block_padding_hintE2ELNS0_4arch9wavefront6targetE1EE19radix_bits_per_passE@rel32@hi+12
	s_waitcnt lgkmcnt(0)
	s_barrier
	ds_write2_b64 v1, v[14:15], v[16:17] offset1:1
	ds_write2_b64 v1, v[10:11], v[12:13] offset0:2 offset1:3
	ds_write2_b64 v1, v[6:7], v[8:9] offset0:4 offset1:5
	;; [unrolled: 1-line block ×3, first 2 shown]
	; wave barrier
	ds_read2st64_b64 v[12:15], v0 offset1:1
	ds_read2st64_b64 v[8:11], v0 offset0:2 offset1:3
	ds_read2st64_b64 v[4:7], v0 offset0:4 offset1:5
	;; [unrolled: 1-line block ×3, first 2 shown]
	s_waitcnt lgkmcnt(0)
	s_barrier
	s_load_dword s18, s[16:17], 0x0
	s_load_dword s19, s[42:43], 0xc
	s_waitcnt lgkmcnt(0)
	s_min_u32 s18, s18, 8
	s_lshr_b32 s16, s19, 16
	s_and_b32 s17, s19, 0xffff
	v_mad_u32_u24 v16, v63, s16, v62
	v_mad_u64_u32 v[16:17], s[16:17], v16, s17, v[36:37]
	s_lshl_b32 s16, -1, s18
	s_not_b32 s18, s16
	v_lshrrev_b32_e32 v18, 6, v16
	v_and_b32_e32 v16, s18, v21
	v_mov_b32_e32 v17, 0
	v_and_b32_e32 v16, 1, v16
	ds_write2_b32 v61, v17, v17 offset0:8 offset1:9
	ds_write2_b32 v61, v17, v17 offset0:10 offset1:11
	v_lshlrev_b32_e32 v17, 3, v16
	v_cmp_ne_u32_e32 vcc, 0, v16
	v_add_co_u32_e64 v16, s[16:17], -1, v16
	v_add_lshl_u32 v30, v18, v17, 2
	v_addc_co_u32_e64 v17, s[16:17], 0, -1, s[16:17]
	v_xor_b32_e32 v16, vcc_lo, v16
	v_xor_b32_e32 v17, vcc_hi, v17
	v_and_b32_e32 v16, exec_lo, v16
	v_and_b32_e32 v17, exec_hi, v17
	v_mbcnt_lo_u32_b32 v19, v16, 0
	v_mbcnt_hi_u32_b32 v31, v17, v19
	v_cmp_eq_u32_e32 vcc, 0, v31
	v_cmp_ne_u64_e64 s[16:17], 0, v[16:17]
	s_and_b64 s[20:21], s[16:17], vcc
	s_waitcnt lgkmcnt(0)
	s_barrier
	s_waitcnt lgkmcnt(0)
	; wave barrier
	s_and_saveexec_b64 s[16:17], s[20:21]
	s_cbranch_execz .LBB265_63
; %bb.62:
	v_bcnt_u32_b32 v16, v16, 0
	v_bcnt_u32_b32 v16, v17, v16
	ds_write_b32 v30, v16 offset:32
.LBB265_63:
	s_or_b64 exec, exec, s[16:17]
	v_and_b32_e32 v16, s18, v22
	v_and_b32_e32 v16, 0xff, v16
	v_lshlrev_b32_e32 v17, 3, v16
	v_cmp_ne_u32_e32 vcc, 0, v16
	v_add_co_u32_e64 v16, s[16:17], -1, v16
	v_add_lshl_u32 v33, v18, v17, 2
	v_addc_co_u32_e64 v17, s[16:17], 0, -1, s[16:17]
	v_xor_b32_e32 v16, vcc_lo, v16
	; wave barrier
	ds_read_b32 v32, v33 offset:32
	v_xor_b32_e32 v17, vcc_hi, v17
	v_and_b32_e32 v16, exec_lo, v16
	v_and_b32_e32 v17, exec_hi, v17
	v_mbcnt_lo_u32_b32 v19, v16, 0
	v_mbcnt_hi_u32_b32 v38, v17, v19
	v_cmp_eq_u32_e32 vcc, 0, v38
	v_cmp_ne_u64_e64 s[16:17], 0, v[16:17]
	s_and_b64 s[20:21], s[16:17], vcc
	; wave barrier
	s_and_saveexec_b64 s[16:17], s[20:21]
	s_cbranch_execz .LBB265_65
; %bb.64:
	v_bcnt_u32_b32 v16, v16, 0
	v_bcnt_u32_b32 v16, v17, v16
	s_waitcnt lgkmcnt(0)
	v_add_u32_e32 v16, v32, v16
	ds_write_b32 v33, v16 offset:32
.LBB265_65:
	s_or_b64 exec, exec, s[16:17]
	v_and_b32_e32 v16, s18, v23
	v_and_b32_e32 v16, 0xff, v16
	v_lshlrev_b32_e32 v17, 3, v16
	v_cmp_ne_u32_e32 vcc, 0, v16
	v_add_co_u32_e64 v16, s[16:17], -1, v16
	v_add_lshl_u32 v40, v18, v17, 2
	v_addc_co_u32_e64 v17, s[16:17], 0, -1, s[16:17]
	v_xor_b32_e32 v16, vcc_lo, v16
	; wave barrier
	ds_read_b32 v39, v40 offset:32
	v_xor_b32_e32 v17, vcc_hi, v17
	v_and_b32_e32 v16, exec_lo, v16
	v_and_b32_e32 v17, exec_hi, v17
	v_mbcnt_lo_u32_b32 v19, v16, 0
	v_mbcnt_hi_u32_b32 v42, v17, v19
	v_cmp_eq_u32_e32 vcc, 0, v42
	v_cmp_ne_u64_e64 s[16:17], 0, v[16:17]
	s_and_b64 s[20:21], s[16:17], vcc
	; wave barrier
	s_and_saveexec_b64 s[16:17], s[20:21]
	s_cbranch_execz .LBB265_67
; %bb.66:
	v_bcnt_u32_b32 v16, v16, 0
	v_bcnt_u32_b32 v16, v17, v16
	s_waitcnt lgkmcnt(0)
	v_add_u32_e32 v16, v39, v16
	ds_write_b32 v40, v16 offset:32
.LBB265_67:
	s_or_b64 exec, exec, s[16:17]
	v_and_b32_e32 v16, s18, v24
	v_and_b32_e32 v16, 0xff, v16
	v_lshlrev_b32_e32 v17, 3, v16
	v_cmp_ne_u32_e32 vcc, 0, v16
	v_add_co_u32_e64 v16, s[16:17], -1, v16
	v_add_lshl_u32 v62, v18, v17, 2
	v_addc_co_u32_e64 v17, s[16:17], 0, -1, s[16:17]
	v_xor_b32_e32 v16, vcc_lo, v16
	; wave barrier
	ds_read_b32 v43, v62 offset:32
	v_xor_b32_e32 v17, vcc_hi, v17
	v_and_b32_e32 v16, exec_lo, v16
	v_and_b32_e32 v17, exec_hi, v17
	v_mbcnt_lo_u32_b32 v19, v16, 0
	v_mbcnt_hi_u32_b32 v63, v17, v19
	v_cmp_eq_u32_e32 vcc, 0, v63
	v_cmp_ne_u64_e64 s[16:17], 0, v[16:17]
	s_and_b64 s[20:21], s[16:17], vcc
	; wave barrier
	s_and_saveexec_b64 s[16:17], s[20:21]
	s_cbranch_execz .LBB265_69
; %bb.68:
	v_bcnt_u32_b32 v16, v16, 0
	v_bcnt_u32_b32 v16, v17, v16
	s_waitcnt lgkmcnt(0)
	v_add_u32_e32 v16, v43, v16
	ds_write_b32 v62, v16 offset:32
.LBB265_69:
	s_or_b64 exec, exec, s[16:17]
	v_and_b32_e32 v16, s18, v25
	v_and_b32_e32 v16, 0xff, v16
	v_lshlrev_b32_e32 v17, 3, v16
	v_cmp_ne_u32_e32 vcc, 0, v16
	v_add_co_u32_e64 v16, s[16:17], -1, v16
	v_add_lshl_u32 v65, v18, v17, 2
	v_addc_co_u32_e64 v17, s[16:17], 0, -1, s[16:17]
	v_xor_b32_e32 v16, vcc_lo, v16
	; wave barrier
	ds_read_b32 v64, v65 offset:32
	v_xor_b32_e32 v17, vcc_hi, v17
	v_and_b32_e32 v16, exec_lo, v16
	v_and_b32_e32 v17, exec_hi, v17
	v_mbcnt_lo_u32_b32 v19, v16, 0
	v_mbcnt_hi_u32_b32 v66, v17, v19
	v_cmp_eq_u32_e32 vcc, 0, v66
	v_cmp_ne_u64_e64 s[16:17], 0, v[16:17]
	s_and_b64 s[20:21], s[16:17], vcc
	; wave barrier
	s_and_saveexec_b64 s[16:17], s[20:21]
	s_cbranch_execz .LBB265_71
; %bb.70:
	v_bcnt_u32_b32 v16, v16, 0
	v_bcnt_u32_b32 v16, v17, v16
	s_waitcnt lgkmcnt(0)
	v_add_u32_e32 v16, v64, v16
	ds_write_b32 v65, v16 offset:32
.LBB265_71:
	s_or_b64 exec, exec, s[16:17]
	v_and_b32_e32 v16, s18, v26
	v_and_b32_e32 v16, 0xff, v16
	v_lshlrev_b32_e32 v17, 3, v16
	v_cmp_ne_u32_e32 vcc, 0, v16
	v_add_co_u32_e64 v16, s[16:17], -1, v16
	v_add_lshl_u32 v68, v18, v17, 2
	v_addc_co_u32_e64 v17, s[16:17], 0, -1, s[16:17]
	v_xor_b32_e32 v16, vcc_lo, v16
	; wave barrier
	ds_read_b32 v67, v68 offset:32
	v_xor_b32_e32 v17, vcc_hi, v17
	v_and_b32_e32 v16, exec_lo, v16
	v_and_b32_e32 v17, exec_hi, v17
	v_mbcnt_lo_u32_b32 v19, v16, 0
	v_mbcnt_hi_u32_b32 v69, v17, v19
	v_cmp_eq_u32_e32 vcc, 0, v69
	v_cmp_ne_u64_e64 s[16:17], 0, v[16:17]
	s_and_b64 s[20:21], s[16:17], vcc
	; wave barrier
	s_and_saveexec_b64 s[16:17], s[20:21]
	s_cbranch_execz .LBB265_73
; %bb.72:
	v_bcnt_u32_b32 v16, v16, 0
	v_bcnt_u32_b32 v16, v17, v16
	s_waitcnt lgkmcnt(0)
	v_add_u32_e32 v16, v67, v16
	ds_write_b32 v68, v16 offset:32
.LBB265_73:
	s_or_b64 exec, exec, s[16:17]
	v_and_b32_e32 v16, s18, v27
	v_and_b32_e32 v16, 0xff, v16
	v_lshlrev_b32_e32 v17, 3, v16
	v_cmp_ne_u32_e32 vcc, 0, v16
	v_add_co_u32_e64 v16, s[16:17], -1, v16
	v_add_lshl_u32 v71, v18, v17, 2
	v_addc_co_u32_e64 v17, s[16:17], 0, -1, s[16:17]
	v_xor_b32_e32 v16, vcc_lo, v16
	; wave barrier
	ds_read_b32 v70, v71 offset:32
	v_xor_b32_e32 v17, vcc_hi, v17
	v_and_b32_e32 v16, exec_lo, v16
	v_and_b32_e32 v17, exec_hi, v17
	v_mbcnt_lo_u32_b32 v19, v16, 0
	v_mbcnt_hi_u32_b32 v72, v17, v19
	v_cmp_eq_u32_e32 vcc, 0, v72
	v_cmp_ne_u64_e64 s[16:17], 0, v[16:17]
	s_and_b64 s[20:21], s[16:17], vcc
	; wave barrier
	s_and_saveexec_b64 s[16:17], s[20:21]
	s_cbranch_execz .LBB265_75
; %bb.74:
	v_bcnt_u32_b32 v16, v16, 0
	v_bcnt_u32_b32 v16, v17, v16
	s_waitcnt lgkmcnt(0)
	v_add_u32_e32 v16, v70, v16
	ds_write_b32 v71, v16 offset:32
.LBB265_75:
	s_or_b64 exec, exec, s[16:17]
	v_and_b32_e32 v16, s18, v28
	v_and_b32_e32 v16, 0xff, v16
	v_lshlrev_b32_e32 v17, 3, v16
	v_cmp_ne_u32_e32 vcc, 0, v16
	v_add_co_u32_e64 v16, s[16:17], -1, v16
	v_add_lshl_u32 v74, v18, v17, 2
	v_addc_co_u32_e64 v17, s[16:17], 0, -1, s[16:17]
	v_xor_b32_e32 v16, vcc_lo, v16
	; wave barrier
	ds_read_b32 v73, v74 offset:32
	v_xor_b32_e32 v17, vcc_hi, v17
	v_and_b32_e32 v16, exec_lo, v16
	v_and_b32_e32 v17, exec_hi, v17
	v_mbcnt_lo_u32_b32 v18, v16, 0
	v_mbcnt_hi_u32_b32 v75, v17, v18
	v_cmp_eq_u32_e32 vcc, 0, v75
	v_cmp_ne_u64_e64 s[16:17], 0, v[16:17]
	v_add_u32_e32 v76, 32, v61
	s_and_b64 s[18:19], s[16:17], vcc
	; wave barrier
	s_and_saveexec_b64 s[16:17], s[18:19]
	s_cbranch_execz .LBB265_77
; %bb.76:
	v_bcnt_u32_b32 v16, v16, 0
	v_bcnt_u32_b32 v16, v17, v16
	s_waitcnt lgkmcnt(0)
	v_add_u32_e32 v16, v73, v16
	ds_write_b32 v74, v16 offset:32
.LBB265_77:
	s_or_b64 exec, exec, s[16:17]
	; wave barrier
	s_waitcnt lgkmcnt(0)
	s_barrier
	ds_read2_b32 v[16:17], v61 offset0:8 offset1:9
	ds_read2_b32 v[18:19], v76 offset0:2 offset1:3
	v_min_u32_e32 v29, 0x1c0, v29
	v_or_b32_e32 v29, 63, v29
	s_waitcnt lgkmcnt(1)
	v_add_u32_e32 v77, v17, v16
	s_waitcnt lgkmcnt(0)
	v_add3_u32 v19, v77, v18, v19
	v_and_b32_e32 v77, 15, v20
	v_cmp_ne_u32_e32 vcc, 0, v77
	v_mov_b32_dpp v78, v19 row_shr:1 row_mask:0xf bank_mask:0xf
	v_cndmask_b32_e32 v78, 0, v78, vcc
	v_add_u32_e32 v19, v78, v19
	v_cmp_lt_u32_e32 vcc, 1, v77
	s_nop 0
	v_mov_b32_dpp v78, v19 row_shr:2 row_mask:0xf bank_mask:0xf
	v_cndmask_b32_e32 v78, 0, v78, vcc
	v_add_u32_e32 v19, v19, v78
	v_cmp_lt_u32_e32 vcc, 3, v77
	s_nop 0
	;; [unrolled: 5-line block ×3, first 2 shown]
	v_mov_b32_dpp v78, v19 row_shr:8 row_mask:0xf bank_mask:0xf
	v_cndmask_b32_e32 v77, 0, v78, vcc
	v_add_u32_e32 v19, v19, v77
	v_bfe_i32 v78, v20, 4, 1
	v_cmp_lt_u32_e32 vcc, 31, v20
	v_mov_b32_dpp v77, v19 row_bcast:15 row_mask:0xf bank_mask:0xf
	v_and_b32_e32 v77, v78, v77
	v_add_u32_e32 v19, v19, v77
	s_nop 1
	v_mov_b32_dpp v77, v19 row_bcast:31 row_mask:0xf bank_mask:0xf
	v_cndmask_b32_e32 v77, 0, v77, vcc
	v_add_u32_e32 v19, v19, v77
	v_lshrrev_b32_e32 v77, 6, v36
	v_cmp_eq_u32_e32 vcc, v29, v36
	s_and_saveexec_b64 s[16:17], vcc
	s_cbranch_execz .LBB265_79
; %bb.78:
	v_lshlrev_b32_e32 v29, 2, v77
	ds_write_b32 v29, v19
.LBB265_79:
	s_or_b64 exec, exec, s[16:17]
	v_cmp_gt_u32_e32 vcc, 8, v36
	s_waitcnt lgkmcnt(0)
	s_barrier
	s_and_saveexec_b64 s[16:17], vcc
	s_cbranch_execz .LBB265_81
; %bb.80:
	v_lshlrev_b32_e32 v29, 2, v36
	ds_read_b32 v78, v29
	v_and_b32_e32 v79, 7, v20
	v_cmp_ne_u32_e32 vcc, 0, v79
	s_waitcnt lgkmcnt(0)
	v_mov_b32_dpp v80, v78 row_shr:1 row_mask:0xf bank_mask:0xf
	v_cndmask_b32_e32 v80, 0, v80, vcc
	v_add_u32_e32 v78, v80, v78
	v_cmp_lt_u32_e32 vcc, 1, v79
	s_nop 0
	v_mov_b32_dpp v80, v78 row_shr:2 row_mask:0xf bank_mask:0xf
	v_cndmask_b32_e32 v80, 0, v80, vcc
	v_add_u32_e32 v78, v78, v80
	v_cmp_lt_u32_e32 vcc, 3, v79
	s_nop 0
	v_mov_b32_dpp v80, v78 row_shr:4 row_mask:0xf bank_mask:0xf
	v_cndmask_b32_e32 v79, 0, v80, vcc
	v_add_u32_e32 v78, v78, v79
	ds_write_b32 v29, v78
.LBB265_81:
	s_or_b64 exec, exec, s[16:17]
	v_cmp_lt_u32_e32 vcc, 63, v36
	v_mov_b32_e32 v29, 0
	s_waitcnt lgkmcnt(0)
	s_barrier
	s_and_saveexec_b64 s[16:17], vcc
	s_cbranch_execz .LBB265_83
; %bb.82:
	v_lshl_add_u32 v29, v77, 2, -4
	ds_read_b32 v29, v29
.LBB265_83:
	s_or_b64 exec, exec, s[16:17]
	v_add_u32_e32 v77, -1, v20
	v_and_b32_e32 v78, 64, v20
	v_cmp_lt_i32_e32 vcc, v77, v78
	v_cndmask_b32_e32 v77, v77, v20, vcc
	s_waitcnt lgkmcnt(0)
	v_add_u32_e32 v19, v29, v19
	v_lshlrev_b32_e32 v77, 2, v77
	ds_bpermute_b32 v19, v77, v19
	v_cmp_eq_u32_e32 vcc, 0, v20
	s_waitcnt lgkmcnt(0)
	v_cndmask_b32_e32 v19, v19, v29, vcc
	v_cmp_ne_u32_e32 vcc, 0, v36
	v_cndmask_b32_e32 v19, 0, v19, vcc
	v_add_u32_e32 v16, v19, v16
	v_add_u32_e32 v17, v16, v17
	;; [unrolled: 1-line block ×3, first 2 shown]
	ds_write2_b32 v61, v19, v16 offset0:8 offset1:9
	ds_write2_b32 v76, v17, v18 offset0:2 offset1:3
	s_waitcnt lgkmcnt(0)
	s_barrier
	ds_read_b32 v16, v30 offset:32
	ds_read_b32 v17, v33 offset:32
	ds_read_b32 v18, v40 offset:32
	ds_read_b32 v19, v62 offset:32
	ds_read_b32 v20, v65 offset:32
	ds_read_b32 v29, v68 offset:32
	ds_read_b32 v30, v71 offset:32
	ds_read_b32 v33, v74 offset:32
	s_waitcnt lgkmcnt(7)
	v_add_u32_e32 v31, v16, v31
	s_waitcnt lgkmcnt(6)
	v_add3_u32 v32, v38, v32, v17
	s_waitcnt lgkmcnt(5)
	v_add3_u32 v18, v42, v39, v18
	;; [unrolled: 2-line block ×7, first 2 shown]
	s_barrier
	ds_write_b8 v31, v21
	ds_write_b8 v32, v22
	;; [unrolled: 1-line block ×8, first 2 shown]
	v_lshlrev_b32_e32 v21, 3, v31
	s_waitcnt lgkmcnt(0)
	s_barrier
	ds_read_b64 v[16:17], v53
	s_waitcnt lgkmcnt(0)
	s_barrier
	ds_write_b64 v21, v[12:13]
	v_lshlrev_b32_e32 v12, 3, v32
	ds_write_b64 v12, v[14:15]
	v_lshlrev_b32_e32 v12, 3, v18
	;; [unrolled: 2-line block ×8, first 2 shown]
	s_waitcnt lgkmcnt(0)
	s_barrier
	ds_read2_b64 v[18:21], v0 offset1:1
	ds_read2_b64 v[22:25], v0 offset0:2 offset1:3
	ds_read2_b64 v[26:29], v0 offset0:4 offset1:5
	;; [unrolled: 1-line block ×3, first 2 shown]
	v_lshrrev_b32_e32 v36, 8, v16
	v_mov_b32_e32 v1, 1
	v_lshrrev_b32_e32 v38, 8, v17
	v_xor_b32_e32 v0, 1, v16
	v_xor_b32_sdwa v2, v36, v1 dst_sel:BYTE_1 dst_unused:UNUSED_PAD src0_sel:DWORD src1_sel:DWORD
	v_xor_b32_sdwa v3, v16, v1 dst_sel:DWORD dst_unused:UNUSED_PAD src0_sel:WORD_1 src1_sel:DWORD
	v_xor_b32_sdwa v4, v16, v1 dst_sel:BYTE_1 dst_unused:UNUSED_PAD src0_sel:BYTE_3 src1_sel:DWORD
	v_xor_b32_e32 v5, 1, v17
	v_xor_b32_sdwa v6, v38, v1 dst_sel:BYTE_1 dst_unused:UNUSED_PAD src0_sel:DWORD src1_sel:DWORD
	v_xor_b32_sdwa v7, v17, v1 dst_sel:DWORD dst_unused:UNUSED_PAD src0_sel:WORD_1 src1_sel:DWORD
	v_xor_b32_sdwa v1, v17, v1 dst_sel:BYTE_1 dst_unused:UNUSED_PAD src0_sel:BYTE_3 src1_sel:DWORD
	v_or_b32_sdwa v0, v0, v2 dst_sel:DWORD dst_unused:UNUSED_PAD src0_sel:BYTE_0 src1_sel:DWORD
	v_or_b32_sdwa v2, v3, v4 dst_sel:WORD_1 dst_unused:UNUSED_PAD src0_sel:BYTE_0 src1_sel:DWORD
	v_or_b32_sdwa v0, v0, v2 dst_sel:DWORD dst_unused:UNUSED_PAD src0_sel:WORD_0 src1_sel:DWORD
	v_or_b32_sdwa v2, v5, v6 dst_sel:DWORD dst_unused:UNUSED_PAD src0_sel:BYTE_0 src1_sel:DWORD
	v_or_b32_sdwa v1, v7, v1 dst_sel:WORD_1 dst_unused:UNUSED_PAD src0_sel:BYTE_0 src1_sel:DWORD
	v_or_b32_sdwa v1, v2, v1 dst_sel:DWORD dst_unused:UNUSED_PAD src0_sel:WORD_0 src1_sel:DWORD
.LBB265_84:
	s_waitcnt lgkmcnt(0)
	s_barrier
	ds_write_b64 v52, v[0:1]
	s_waitcnt lgkmcnt(0)
	s_barrier
	ds_read_u8 v8, v45 offset:512
	ds_read_u8 v7, v46 offset:1024
	;; [unrolled: 1-line block ×7, first 2 shown]
	v_mov_b32_e32 v1, s41
	v_add_co_u32_e32 v0, vcc, s40, v37
	v_addc_co_u32_e32 v1, vcc, 0, v1, vcc
	s_and_saveexec_b64 s[16:17], s[0:1]
	s_cbranch_execnz .LBB265_103
; %bb.85:
	s_or_b64 exec, exec, s[16:17]
	s_and_saveexec_b64 s[16:17], s[2:3]
	s_cbranch_execnz .LBB265_104
.LBB265_86:
	s_or_b64 exec, exec, s[16:17]
	s_and_saveexec_b64 s[16:17], s[4:5]
	s_cbranch_execnz .LBB265_105
.LBB265_87:
	s_or_b64 exec, exec, s[16:17]
	s_and_saveexec_b64 s[16:17], s[6:7]
	s_cbranch_execnz .LBB265_106
.LBB265_88:
	s_or_b64 exec, exec, s[16:17]
	s_and_saveexec_b64 s[16:17], s[8:9]
	s_cbranch_execnz .LBB265_107
.LBB265_89:
	s_or_b64 exec, exec, s[16:17]
	s_and_saveexec_b64 s[16:17], s[10:11]
	s_cbranch_execnz .LBB265_108
.LBB265_90:
	s_or_b64 exec, exec, s[16:17]
	s_and_saveexec_b64 s[16:17], s[12:13]
	s_cbranch_execnz .LBB265_109
.LBB265_91:
	s_or_b64 exec, exec, s[16:17]
	s_and_saveexec_b64 s[16:17], s[14:15]
	s_cbranch_execz .LBB265_93
.LBB265_92:
	s_mul_i32 s18, s38, 0xe00
	v_add_co_u32_e32 v0, vcc, s18, v0
	v_addc_co_u32_e32 v1, vcc, 0, v1, vcc
	s_waitcnt lgkmcnt(0)
	global_store_byte v[0:1], v2, off
.LBB265_93:
	s_or_b64 exec, exec, s[16:17]
	s_waitcnt lgkmcnt(0)
	s_barrier
	ds_write2_b64 v60, v[18:19], v[20:21] offset1:1
	ds_write2_b64 v60, v[22:23], v[24:25] offset0:2 offset1:3
	ds_write2_b64 v60, v[26:27], v[28:29] offset0:4 offset1:5
	ds_write2_b64 v60, v[30:31], v[32:33] offset0:6 offset1:7
	s_waitcnt lgkmcnt(0)
	s_barrier
	ds_read_b64 v[14:15], v35 offset:4096
	ds_read_b64 v[12:13], v54 offset:8192
	;; [unrolled: 1-line block ×7, first 2 shown]
	v_mov_b32_e32 v35, 0
	v_lshlrev_b64 v[2:3], 3, v[34:35]
	v_mov_b32_e32 v16, s35
	v_add_co_u32_e32 v2, vcc, s33, v2
	v_addc_co_u32_e32 v3, vcc, v16, v3, vcc
	s_and_saveexec_b64 s[16:17], s[0:1]
	s_cbranch_execnz .LBB265_110
; %bb.94:
	s_or_b64 exec, exec, s[16:17]
	s_and_saveexec_b64 s[0:1], s[2:3]
	s_cbranch_execnz .LBB265_111
.LBB265_95:
	s_or_b64 exec, exec, s[0:1]
	s_and_saveexec_b64 s[0:1], s[4:5]
	s_cbranch_execnz .LBB265_112
.LBB265_96:
	s_or_b64 exec, exec, s[0:1]
	s_and_saveexec_b64 s[0:1], s[6:7]
	s_cbranch_execnz .LBB265_113
.LBB265_97:
	s_or_b64 exec, exec, s[0:1]
	s_and_saveexec_b64 s[0:1], s[8:9]
	s_cbranch_execnz .LBB265_114
.LBB265_98:
	s_or_b64 exec, exec, s[0:1]
	s_and_saveexec_b64 s[0:1], s[10:11]
	s_cbranch_execnz .LBB265_115
.LBB265_99:
	s_or_b64 exec, exec, s[0:1]
	s_and_saveexec_b64 s[0:1], s[12:13]
	s_cbranch_execnz .LBB265_116
.LBB265_100:
	s_or_b64 exec, exec, s[0:1]
	s_and_saveexec_b64 s[0:1], s[14:15]
	s_cbranch_execz .LBB265_102
.LBB265_101:
	s_mul_i32 s0, s34, 0xe00
	s_mov_b32 s1, 0
	s_lshl_b64 s[0:1], s[0:1], 3
	s_waitcnt lgkmcnt(1)
	v_mov_b32_e32 v4, s1
	v_add_co_u32_e32 v2, vcc, s0, v2
	v_addc_co_u32_e32 v3, vcc, v3, v4, vcc
	s_waitcnt lgkmcnt(0)
	global_store_dwordx2 v[2:3], v[0:1], off
.LBB265_102:
	s_endpgm
.LBB265_103:
	ds_read_u8 v9, v44
	s_waitcnt lgkmcnt(0)
	global_store_byte v[0:1], v9, off
	s_or_b64 exec, exec, s[16:17]
	s_and_saveexec_b64 s[16:17], s[2:3]
	s_cbranch_execz .LBB265_86
.LBB265_104:
	s_lshl_b32 s18, s38, 9
	v_add_co_u32_e32 v10, vcc, s18, v0
	v_addc_co_u32_e32 v11, vcc, 0, v1, vcc
	s_waitcnt lgkmcnt(6)
	global_store_byte v[10:11], v8, off
	s_or_b64 exec, exec, s[16:17]
	s_and_saveexec_b64 s[16:17], s[4:5]
	s_cbranch_execz .LBB265_87
.LBB265_105:
	s_lshl_b32 s18, s38, 10
	s_waitcnt lgkmcnt(6)
	v_add_co_u32_e32 v8, vcc, s18, v0
	v_addc_co_u32_e32 v9, vcc, 0, v1, vcc
	s_waitcnt lgkmcnt(5)
	global_store_byte v[8:9], v7, off
	s_or_b64 exec, exec, s[16:17]
	s_and_saveexec_b64 s[16:17], s[6:7]
	s_cbranch_execz .LBB265_88
.LBB265_106:
	s_mul_i32 s18, s38, 0x600
	s_waitcnt lgkmcnt(6)
	v_add_co_u32_e32 v8, vcc, s18, v0
	v_addc_co_u32_e32 v9, vcc, 0, v1, vcc
	s_waitcnt lgkmcnt(4)
	global_store_byte v[8:9], v6, off
	s_or_b64 exec, exec, s[16:17]
	s_and_saveexec_b64 s[16:17], s[8:9]
	s_cbranch_execz .LBB265_89
.LBB265_107:
	s_lshl_b32 s18, s38, 11
	s_waitcnt lgkmcnt(4)
	v_add_co_u32_e32 v6, vcc, s18, v0
	v_addc_co_u32_e32 v7, vcc, 0, v1, vcc
	s_waitcnt lgkmcnt(3)
	global_store_byte v[6:7], v5, off
	s_or_b64 exec, exec, s[16:17]
	s_and_saveexec_b64 s[16:17], s[10:11]
	s_cbranch_execz .LBB265_90
.LBB265_108:
	s_mul_i32 s18, s38, 0xa00
	s_waitcnt lgkmcnt(4)
	v_add_co_u32_e32 v6, vcc, s18, v0
	v_addc_co_u32_e32 v7, vcc, 0, v1, vcc
	s_waitcnt lgkmcnt(2)
	global_store_byte v[6:7], v4, off
	s_or_b64 exec, exec, s[16:17]
	s_and_saveexec_b64 s[16:17], s[12:13]
	s_cbranch_execz .LBB265_91
.LBB265_109:
	s_mul_i32 s18, s38, 0xc00
	s_waitcnt lgkmcnt(2)
	v_add_co_u32_e32 v4, vcc, s18, v0
	v_addc_co_u32_e32 v5, vcc, 0, v1, vcc
	s_waitcnt lgkmcnt(1)
	global_store_byte v[4:5], v3, off
	s_or_b64 exec, exec, s[16:17]
	s_and_saveexec_b64 s[16:17], s[14:15]
	s_cbranch_execnz .LBB265_92
	s_branch .LBB265_93
.LBB265_110:
	ds_read_b64 v[16:17], v41
	s_waitcnt lgkmcnt(0)
	global_store_dwordx2 v[2:3], v[16:17], off
	s_or_b64 exec, exec, s[16:17]
	s_and_saveexec_b64 s[0:1], s[2:3]
	s_cbranch_execz .LBB265_95
.LBB265_111:
	s_lshl_b32 s2, s34, 9
	s_mov_b32 s3, 0
	s_lshl_b64 s[2:3], s[2:3], 3
	v_mov_b32_e32 v17, s3
	v_add_co_u32_e32 v16, vcc, s2, v2
	v_addc_co_u32_e32 v17, vcc, v3, v17, vcc
	s_waitcnt lgkmcnt(6)
	global_store_dwordx2 v[16:17], v[14:15], off
	s_or_b64 exec, exec, s[0:1]
	s_and_saveexec_b64 s[0:1], s[4:5]
	s_cbranch_execz .LBB265_96
.LBB265_112:
	s_lshl_b32 s2, s34, 10
	s_mov_b32 s3, 0
	s_lshl_b64 s[2:3], s[2:3], 3
	s_waitcnt lgkmcnt(6)
	v_mov_b32_e32 v15, s3
	v_add_co_u32_e32 v14, vcc, s2, v2
	v_addc_co_u32_e32 v15, vcc, v3, v15, vcc
	s_waitcnt lgkmcnt(5)
	global_store_dwordx2 v[14:15], v[12:13], off
	s_or_b64 exec, exec, s[0:1]
	s_and_saveexec_b64 s[0:1], s[6:7]
	s_cbranch_execz .LBB265_97
.LBB265_113:
	s_mul_i32 s2, s34, 0x600
	s_mov_b32 s3, 0
	s_lshl_b64 s[2:3], s[2:3], 3
	s_waitcnt lgkmcnt(5)
	v_mov_b32_e32 v13, s3
	v_add_co_u32_e32 v12, vcc, s2, v2
	v_addc_co_u32_e32 v13, vcc, v3, v13, vcc
	s_waitcnt lgkmcnt(4)
	global_store_dwordx2 v[12:13], v[10:11], off
	s_or_b64 exec, exec, s[0:1]
	s_and_saveexec_b64 s[0:1], s[8:9]
	s_cbranch_execz .LBB265_98
.LBB265_114:
	s_lshl_b32 s2, s34, 11
	s_mov_b32 s3, 0
	s_lshl_b64 s[2:3], s[2:3], 3
	s_waitcnt lgkmcnt(4)
	v_mov_b32_e32 v11, s3
	v_add_co_u32_e32 v10, vcc, s2, v2
	v_addc_co_u32_e32 v11, vcc, v3, v11, vcc
	s_waitcnt lgkmcnt(3)
	global_store_dwordx2 v[10:11], v[8:9], off
	s_or_b64 exec, exec, s[0:1]
	s_and_saveexec_b64 s[0:1], s[10:11]
	s_cbranch_execz .LBB265_99
.LBB265_115:
	s_mul_i32 s2, s34, 0xa00
	s_mov_b32 s3, 0
	s_lshl_b64 s[2:3], s[2:3], 3
	s_waitcnt lgkmcnt(3)
	v_mov_b32_e32 v9, s3
	v_add_co_u32_e32 v8, vcc, s2, v2
	v_addc_co_u32_e32 v9, vcc, v3, v9, vcc
	s_waitcnt lgkmcnt(2)
	global_store_dwordx2 v[8:9], v[6:7], off
	s_or_b64 exec, exec, s[0:1]
	s_and_saveexec_b64 s[0:1], s[12:13]
	s_cbranch_execz .LBB265_100
.LBB265_116:
	s_mul_i32 s2, s34, 0xc00
	s_mov_b32 s3, 0
	s_lshl_b64 s[2:3], s[2:3], 3
	s_waitcnt lgkmcnt(2)
	v_mov_b32_e32 v7, s3
	v_add_co_u32_e32 v6, vcc, s2, v2
	v_addc_co_u32_e32 v7, vcc, v3, v7, vcc
	s_waitcnt lgkmcnt(1)
	global_store_dwordx2 v[6:7], v[4:5], off
	s_or_b64 exec, exec, s[0:1]
	s_and_saveexec_b64 s[0:1], s[14:15]
	s_cbranch_execnz .LBB265_101
	s_branch .LBB265_102
	.section	.rodata,"a",@progbits
	.p2align	6, 0x0
	.amdhsa_kernel _ZN2at6native18radixSortKVInPlaceILi2ELin1ELi512ELi8EbljEEvNS_4cuda6detail10TensorInfoIT3_T5_EES6_S6_S6_NS4_IT4_S6_EES6_b
		.amdhsa_group_segment_fixed_size 33792
		.amdhsa_private_segment_fixed_size 0
		.amdhsa_kernarg_size 712
		.amdhsa_user_sgpr_count 6
		.amdhsa_user_sgpr_private_segment_buffer 1
		.amdhsa_user_sgpr_dispatch_ptr 0
		.amdhsa_user_sgpr_queue_ptr 0
		.amdhsa_user_sgpr_kernarg_segment_ptr 1
		.amdhsa_user_sgpr_dispatch_id 0
		.amdhsa_user_sgpr_flat_scratch_init 0
		.amdhsa_user_sgpr_kernarg_preload_length 0
		.amdhsa_user_sgpr_kernarg_preload_offset 0
		.amdhsa_user_sgpr_private_segment_size 0
		.amdhsa_uses_dynamic_stack 0
		.amdhsa_system_sgpr_private_segment_wavefront_offset 0
		.amdhsa_system_sgpr_workgroup_id_x 1
		.amdhsa_system_sgpr_workgroup_id_y 1
		.amdhsa_system_sgpr_workgroup_id_z 1
		.amdhsa_system_sgpr_workgroup_info 0
		.amdhsa_system_vgpr_workitem_id 2
		.amdhsa_next_free_vgpr 105
		.amdhsa_next_free_sgpr 46
		.amdhsa_accum_offset 108
		.amdhsa_reserve_vcc 1
		.amdhsa_reserve_flat_scratch 0
		.amdhsa_float_round_mode_32 0
		.amdhsa_float_round_mode_16_64 0
		.amdhsa_float_denorm_mode_32 3
		.amdhsa_float_denorm_mode_16_64 3
		.amdhsa_dx10_clamp 1
		.amdhsa_ieee_mode 1
		.amdhsa_fp16_overflow 0
		.amdhsa_tg_split 0
		.amdhsa_exception_fp_ieee_invalid_op 0
		.amdhsa_exception_fp_denorm_src 0
		.amdhsa_exception_fp_ieee_div_zero 0
		.amdhsa_exception_fp_ieee_overflow 0
		.amdhsa_exception_fp_ieee_underflow 0
		.amdhsa_exception_fp_ieee_inexact 0
		.amdhsa_exception_int_div_zero 0
	.end_amdhsa_kernel
	.section	.text._ZN2at6native18radixSortKVInPlaceILi2ELin1ELi512ELi8EbljEEvNS_4cuda6detail10TensorInfoIT3_T5_EES6_S6_S6_NS4_IT4_S6_EES6_b,"axG",@progbits,_ZN2at6native18radixSortKVInPlaceILi2ELin1ELi512ELi8EbljEEvNS_4cuda6detail10TensorInfoIT3_T5_EES6_S6_S6_NS4_IT4_S6_EES6_b,comdat
.Lfunc_end265:
	.size	_ZN2at6native18radixSortKVInPlaceILi2ELin1ELi512ELi8EbljEEvNS_4cuda6detail10TensorInfoIT3_T5_EES6_S6_S6_NS4_IT4_S6_EES6_b, .Lfunc_end265-_ZN2at6native18radixSortKVInPlaceILi2ELin1ELi512ELi8EbljEEvNS_4cuda6detail10TensorInfoIT3_T5_EES6_S6_S6_NS4_IT4_S6_EES6_b
                                        ; -- End function
	.section	.AMDGPU.csdata,"",@progbits
; Kernel info:
; codeLenInByte = 8504
; NumSgprs: 50
; NumVgprs: 105
; NumAgprs: 0
; TotalNumVgprs: 105
; ScratchSize: 0
; MemoryBound: 0
; FloatMode: 240
; IeeeMode: 1
; LDSByteSize: 33792 bytes/workgroup (compile time only)
; SGPRBlocks: 6
; VGPRBlocks: 13
; NumSGPRsForWavesPerEU: 50
; NumVGPRsForWavesPerEU: 105
; AccumOffset: 108
; Occupancy: 2
; WaveLimiterHint : 1
; COMPUTE_PGM_RSRC2:SCRATCH_EN: 0
; COMPUTE_PGM_RSRC2:USER_SGPR: 6
; COMPUTE_PGM_RSRC2:TRAP_HANDLER: 0
; COMPUTE_PGM_RSRC2:TGID_X_EN: 1
; COMPUTE_PGM_RSRC2:TGID_Y_EN: 1
; COMPUTE_PGM_RSRC2:TGID_Z_EN: 1
; COMPUTE_PGM_RSRC2:TIDIG_COMP_CNT: 2
; COMPUTE_PGM_RSRC3_GFX90A:ACCUM_OFFSET: 26
; COMPUTE_PGM_RSRC3_GFX90A:TG_SPLIT: 0
	.section	.text._ZN2at6native18radixSortKVInPlaceILi2ELin1ELi256ELi8EbljEEvNS_4cuda6detail10TensorInfoIT3_T5_EES6_S6_S6_NS4_IT4_S6_EES6_b,"axG",@progbits,_ZN2at6native18radixSortKVInPlaceILi2ELin1ELi256ELi8EbljEEvNS_4cuda6detail10TensorInfoIT3_T5_EES6_S6_S6_NS4_IT4_S6_EES6_b,comdat
	.protected	_ZN2at6native18radixSortKVInPlaceILi2ELin1ELi256ELi8EbljEEvNS_4cuda6detail10TensorInfoIT3_T5_EES6_S6_S6_NS4_IT4_S6_EES6_b ; -- Begin function _ZN2at6native18radixSortKVInPlaceILi2ELin1ELi256ELi8EbljEEvNS_4cuda6detail10TensorInfoIT3_T5_EES6_S6_S6_NS4_IT4_S6_EES6_b
	.globl	_ZN2at6native18radixSortKVInPlaceILi2ELin1ELi256ELi8EbljEEvNS_4cuda6detail10TensorInfoIT3_T5_EES6_S6_S6_NS4_IT4_S6_EES6_b
	.p2align	8
	.type	_ZN2at6native18radixSortKVInPlaceILi2ELin1ELi256ELi8EbljEEvNS_4cuda6detail10TensorInfoIT3_T5_EES6_S6_S6_NS4_IT4_S6_EES6_b,@function
_ZN2at6native18radixSortKVInPlaceILi2ELin1ELi256ELi8EbljEEvNS_4cuda6detail10TensorInfoIT3_T5_EES6_S6_S6_NS4_IT4_S6_EES6_b: ; @_ZN2at6native18radixSortKVInPlaceILi2ELin1ELi256ELi8EbljEEvNS_4cuda6detail10TensorInfoIT3_T5_EES6_S6_S6_NS4_IT4_S6_EES6_b
; %bb.0:
	s_load_dwordx2 s[0:1], s[4:5], 0x1c8
	s_load_dwordx4 s[36:39], s[4:5], 0xd8
	s_add_u32 s42, s4, 0x1c8
	s_addc_u32 s43, s5, 0
	s_waitcnt lgkmcnt(0)
	s_mul_i32 s1, s1, s8
	s_add_i32 s1, s1, s7
	s_mul_i32 s8, s1, s0
	s_add_i32 s8, s8, s6
	s_cmp_ge_u32 s8, s36
	s_cbranch_scc1 .LBB266_102
; %bb.1:
	s_load_dword s9, s[4:5], 0xc
	s_load_dwordx2 s[0:1], s[4:5], 0x6c
	s_load_dword s6, s[4:5], 0x1b8
	s_add_u32 s14, s4, 0xe8
	s_load_dwordx2 s[2:3], s[4:5], 0x0
	s_waitcnt lgkmcnt(0)
	v_cvt_f32_u32_e32 v1, s9
	s_addc_u32 s15, s5, 0
	s_sub_i32 s7, 0, s9
	s_mov_b32 s17, 0
	v_rcp_iflag_f32_e32 v1, v1
	s_mov_b32 s16, s8
	v_mul_f32_e32 v1, 0x4f7ffffe, v1
	v_cvt_u32_f32_e32 v1, v1
	v_readfirstlane_b32 s10, v1
	s_mul_i32 s7, s7, s10
	s_mul_hi_u32 s7, s10, s7
	s_add_i32 s10, s10, s7
	s_mul_hi_u32 s10, s8, s10
	s_cmp_lt_i32 s6, 2
	s_cbranch_scc1 .LBB266_4
; %bb.2:
	s_add_i32 s16, s6, -1
	s_add_i32 s11, s6, 1
	s_lshl_b64 s[6:7], s[16:17], 2
	s_add_u32 s6, s6, s14
	s_addc_u32 s7, s7, s15
	s_add_u32 s6, s6, 8
	s_addc_u32 s7, s7, 0
	s_mov_b32 s16, s8
.LBB266_3:                              ; =>This Inner Loop Header: Depth=1
	s_load_dword s12, s[6:7], 0x0
	s_load_dword s18, s[6:7], 0x64
	s_mov_b32 s13, s16
	s_waitcnt lgkmcnt(0)
	v_cvt_f32_u32_e32 v1, s12
	s_sub_i32 s16, 0, s12
	v_rcp_iflag_f32_e32 v1, v1
	v_mul_f32_e32 v1, 0x4f7ffffe, v1
	v_cvt_u32_f32_e32 v1, v1
	v_readfirstlane_b32 s19, v1
	s_mul_i32 s16, s16, s19
	s_mul_hi_u32 s16, s19, s16
	s_add_i32 s19, s19, s16
	s_mul_hi_u32 s16, s13, s19
	s_mul_i32 s19, s16, s12
	s_sub_i32 s19, s13, s19
	s_add_i32 s20, s16, 1
	s_sub_i32 s21, s19, s12
	s_cmp_ge_u32 s19, s12
	s_cselect_b32 s16, s20, s16
	s_cselect_b32 s19, s21, s19
	s_add_i32 s20, s16, 1
	s_cmp_ge_u32 s19, s12
	s_cselect_b32 s16, s20, s16
	s_mul_i32 s12, s16, s12
	s_sub_i32 s12, s13, s12
	s_mul_i32 s12, s18, s12
	s_add_i32 s11, s11, -1
	s_add_i32 s17, s12, s17
	s_add_u32 s6, s6, -4
	s_addc_u32 s7, s7, -1
	s_cmp_gt_u32 s11, 2
	s_cbranch_scc1 .LBB266_3
.LBB266_4:
	s_mul_i32 s6, s10, s9
	s_sub_i32 s6, s8, s6
	s_add_i32 s7, s10, 1
	s_sub_i32 s11, s6, s9
	s_cmp_ge_u32 s6, s9
	s_cselect_b32 s7, s7, s10
	s_cselect_b32 s6, s11, s6
	s_add_i32 s10, s7, 1
	s_cmp_ge_u32 s6, s9
	s_cselect_b32 s6, s10, s7
	s_load_dwordx2 s[34:35], s[4:5], 0x1c0
	s_mul_i32 s7, s6, s9
	s_sub_i32 s4, s8, s7
	s_mul_i32 s4, s4, s1
	s_mul_i32 s0, s6, s0
	s_add_i32 s4, s0, s4
	s_waitcnt lgkmcnt(0)
	s_bitcmp1_b32 s35, 0
	s_cselect_b64 s[0:1], -1, 0
	s_add_u32 s40, s2, s4
	s_addc_u32 s41, s3, 0
	s_xor_b64 s[44:45], s[0:1], -1
	v_cndmask_b32_e64 v1, 0, 1, s[44:45]
	v_lshlrev_b16_e32 v2, 8, v1
	v_or_b32_e32 v2, v1, v2
	v_lshlrev_b32_e32 v3, 16, v2
	v_and_b32_e32 v36, 0x3ff, v0
	v_or_b32_sdwa v2, v2, v3 dst_sel:DWORD dst_unused:UNUSED_PAD src0_sel:WORD_0 src1_sel:DWORD
	v_mov_b32_e32 v3, v2
	v_cmp_gt_u32_e64 s[0:1], s37, v36
	v_mul_lo_u32 v37, v36, s38
	s_and_saveexec_b64 s[2:3], s[0:1]
	s_cbranch_execz .LBB266_6
; %bb.5:
	global_load_ubyte v1, v37, s[40:41]
	s_mov_b32 s4, 0x3020104
	v_mov_b32_e32 v5, v2
	s_waitcnt vmcnt(0)
	v_perm_b32 v4, v1, v2, s4
	v_pk_mov_b32 v[2:3], v[4:5], v[4:5] op_sel:[0,1]
.LBB266_6:
	s_or_b64 exec, exec, s[2:3]
	v_add_u32_e32 v32, 0x100, v36
	v_cmp_gt_u32_e64 s[2:3], s37, v32
	s_and_saveexec_b64 s[4:5], s[2:3]
	s_cbranch_execz .LBB266_8
; %bb.7:
	v_mul_lo_u32 v4, v32, s38
	global_load_ubyte v4, v4, s[40:41]
	s_mov_b32 s6, 0x7060004
	s_waitcnt vmcnt(0)
	v_perm_b32 v2, v2, v4, s6
.LBB266_8:
	s_or_b64 exec, exec, s[4:5]
	v_add_u32_e32 v31, 0x200, v36
	v_cmp_gt_u32_e64 s[4:5], s37, v31
	s_and_saveexec_b64 s[6:7], s[4:5]
	s_cbranch_execz .LBB266_10
; %bb.9:
	v_mul_lo_u32 v4, v31, s38
	global_load_ubyte v4, v4, s[40:41]
	s_movk_i32 s8, 0xff00
	v_and_b32_sdwa v5, v2, s8 dst_sel:DWORD dst_unused:UNUSED_PAD src0_sel:WORD_1 src1_sel:DWORD
	s_mov_b32 s8, 0xffff
	s_waitcnt vmcnt(0)
	v_or_b32_sdwa v4, v4, v5 dst_sel:WORD_1 dst_unused:UNUSED_PAD src0_sel:DWORD src1_sel:DWORD
	v_and_or_b32 v2, v2, s8, v4
.LBB266_10:
	s_or_b64 exec, exec, s[6:7]
	v_add_u32_e32 v30, 0x300, v36
	v_cmp_gt_u32_e64 s[6:7], s37, v30
	s_and_saveexec_b64 s[8:9], s[6:7]
	s_cbranch_execz .LBB266_12
; %bb.11:
	v_mul_lo_u32 v4, v30, s38
	global_load_ubyte v4, v4, s[40:41]
	s_movk_i32 s10, 0xff
	v_and_b32_sdwa v5, v2, s10 dst_sel:DWORD dst_unused:UNUSED_PAD src0_sel:WORD_1 src1_sel:DWORD
	s_mov_b32 s10, 0xffff
	s_waitcnt vmcnt(0)
	v_lshlrev_b16_e32 v4, 8, v4
	v_or_b32_sdwa v4, v5, v4 dst_sel:WORD_1 dst_unused:UNUSED_PAD src0_sel:DWORD src1_sel:DWORD
	v_and_or_b32 v2, v2, s10, v4
.LBB266_12:
	s_or_b64 exec, exec, s[8:9]
	v_or_b32_e32 v29, 0x400, v36
	v_cmp_gt_u32_e64 s[8:9], s37, v29
	s_and_saveexec_b64 s[10:11], s[8:9]
	s_cbranch_execz .LBB266_14
; %bb.13:
	v_mul_lo_u32 v4, v29, s38
	global_load_ubyte v4, v4, s[40:41]
	s_mov_b32 s12, 0x3020104
	s_waitcnt vmcnt(0)
	v_perm_b32 v3, v4, v3, s12
.LBB266_14:
	s_or_b64 exec, exec, s[10:11]
	v_add_u32_e32 v28, 0x500, v36
	v_cmp_gt_u32_e64 s[10:11], s37, v28
	s_and_saveexec_b64 s[12:13], s[10:11]
	s_cbranch_execz .LBB266_16
; %bb.15:
	v_mul_lo_u32 v4, v28, s38
	global_load_ubyte v4, v4, s[40:41]
	s_mov_b32 s18, 0x7060004
	s_waitcnt vmcnt(0)
	v_perm_b32 v3, v3, v4, s18
.LBB266_16:
	s_or_b64 exec, exec, s[12:13]
	s_load_dwordx2 s[18:19], s[14:15], 0x0
	v_add_u32_e32 v27, 0x600, v36
	v_cmp_gt_u32_e64 s[12:13], s37, v27
	s_and_saveexec_b64 s[20:21], s[12:13]
	s_cbranch_execz .LBB266_18
; %bb.17:
	v_mul_lo_u32 v4, v27, s38
	global_load_ubyte v4, v4, s[40:41]
	s_mov_b32 s22, 0x7000504
	s_waitcnt vmcnt(0)
	v_perm_b32 v3, v3, v4, s22
.LBB266_18:
	s_or_b64 exec, exec, s[20:21]
	s_load_dword s22, s[14:15], 0x6c
	v_add_u32_e32 v22, 0x700, v36
	v_cmp_gt_u32_e64 s[14:15], s37, v22
	s_and_saveexec_b64 s[20:21], s[14:15]
	s_cbranch_execz .LBB266_20
; %bb.19:
	v_mul_lo_u32 v4, v22, s38
	global_load_ubyte v4, v4, s[40:41]
	s_mov_b32 s23, 0x60504
	s_waitcnt vmcnt(0)
	v_perm_b32 v3, v3, v4, s23
.LBB266_20:
	s_or_b64 exec, exec, s[20:21]
	v_lshrrev_b32_e32 v26, 5, v36
	v_and_b32_e32 v4, 28, v26
	v_add_u32_e32 v44, v4, v36
	v_lshrrev_b32_e32 v25, 5, v32
	ds_write_b8 v44, v1
	v_and_b32_e32 v1, 60, v25
	v_lshrrev_b32_e32 v24, 5, v31
	v_add_u32_e32 v45, v1, v36
	v_and_b32_e32 v1, 60, v24
	v_lshrrev_b32_e32 v23, 5, v30
	v_add_u32_e32 v46, v1, v36
	;; [unrolled: 3-line block ×3, first 2 shown]
	v_and_b32_e32 v1, 60, v21
	v_lshrrev_b32_e32 v19, 5, v28
	v_lshrrev_b32_e32 v4, 8, v2
	v_add_u32_e32 v48, v1, v36
	v_and_b32_e32 v1, 0x7c, v19
	v_lshrrev_b32_e32 v18, 5, v27
	ds_write_b8 v45, v4 offset:256
	ds_write_b8_d16_hi v46, v2 offset:512
	v_lshrrev_b32_e32 v2, 24, v2
	v_add_u32_e32 v49, v1, v36
	v_and_b32_e32 v1, 0x7c, v18
	ds_write_b8 v47, v2 offset:768
	v_lshrrev_b32_e32 v2, 8, v3
	v_add_u32_e32 v50, v1, v36
	v_lshrrev_b32_e32 v1, 5, v22
	ds_write_b8 v48, v3 offset:1024
	ds_write_b8 v49, v2 offset:1280
	v_and_b32_e32 v2, 0x7c, v1
	v_lshrrev_b32_e32 v20, 2, v36
	v_add_u32_e32 v51, v2, v36
	v_lshlrev_b32_e32 v53, 3, v36
	v_and_b32_e32 v2, 0xfc, v20
	s_waitcnt lgkmcnt(0)
	s_mul_i32 s16, s22, s16
	ds_write_b8_d16_hi v50, v3 offset:1536
	v_lshrrev_b32_e32 v3, 24, v3
	v_add_u32_e32 v52, v2, v53
	s_add_i32 s16, s16, s17
	s_mov_b32 s17, 0
	ds_write_b8 v51, v3 offset:1792
	s_waitcnt lgkmcnt(0)
	s_barrier
	ds_read_b64 v[38:39], v52
	s_lshl_b64 s[20:21], s[16:17], 3
	s_add_u32 s33, s18, s20
	s_mov_b32 s16, s17
	s_addc_u32 s35, s19, s21
	s_mov_b32 s18, s17
	s_mov_b32 s19, s17
	;; [unrolled: 1-line block ×14, first 2 shown]
	v_pk_mov_b32 v[2:3], s[16:17], s[16:17] op_sel:[0,1]
	v_pk_mov_b32 v[4:5], s[18:19], s[18:19] op_sel:[0,1]
	;; [unrolled: 1-line block ×8, first 2 shown]
	v_pk_mov_b32 v[2:3], 0, 0
	v_mul_lo_u32 v34, v36, s34
	s_waitcnt lgkmcnt(0)
	s_barrier
	s_and_saveexec_b64 s[16:17], s[0:1]
	s_cbranch_execnz .LBB266_53
; %bb.21:
	s_or_b64 exec, exec, s[16:17]
	s_and_saveexec_b64 s[16:17], s[2:3]
	s_cbranch_execnz .LBB266_54
.LBB266_22:
	s_or_b64 exec, exec, s[16:17]
	s_and_saveexec_b64 s[16:17], s[4:5]
	s_cbranch_execnz .LBB266_55
.LBB266_23:
	s_or_b64 exec, exec, s[16:17]
	s_and_saveexec_b64 s[16:17], s[6:7]
	s_cbranch_execnz .LBB266_56
.LBB266_24:
	s_or_b64 exec, exec, s[16:17]
	s_and_saveexec_b64 s[16:17], s[8:9]
	s_cbranch_execnz .LBB266_57
.LBB266_25:
	s_or_b64 exec, exec, s[16:17]
	s_and_saveexec_b64 s[16:17], s[10:11]
	s_cbranch_execnz .LBB266_58
.LBB266_26:
	s_or_b64 exec, exec, s[16:17]
	s_and_saveexec_b64 s[16:17], s[12:13]
	s_cbranch_execnz .LBB266_59
.LBB266_27:
	s_or_b64 exec, exec, s[16:17]
	s_and_saveexec_b64 s[16:17], s[14:15]
	s_cbranch_execz .LBB266_29
.LBB266_28:
	v_mul_lo_u32 v16, v22, s34
	v_mov_b32_e32 v17, 0
	v_lshlrev_b64 v[16:17], 3, v[16:17]
	v_mov_b32_e32 v22, s35
	v_add_co_u32_e32 v16, vcc, s33, v16
	v_addc_co_u32_e32 v17, vcc, v22, v17, vcc
	global_load_dwordx2 v[16:17], v[16:17], off
.LBB266_29:
	s_or_b64 exec, exec, s[16:17]
	v_lshrrev_b64 v[40:41], 24, v[38:39]
	v_add_lshl_u32 v41, v26, v36, 3
	v_add_lshl_u32 v35, v25, v36, 3
	;; [unrolled: 1-line block ×9, first 2 shown]
	s_waitcnt vmcnt(0)
	ds_write_b64 v41, v[2:3]
	ds_write_b64 v35, v[4:5] offset:2048
	ds_write_b64 v54, v[6:7] offset:4096
	;; [unrolled: 1-line block ×7, first 2 shown]
	s_waitcnt lgkmcnt(0)
	s_barrier
	ds_read2_b64 v[14:17], v60 offset1:1
	ds_read2_b64 v[10:13], v60 offset0:2 offset1:3
	ds_read2_b64 v[6:9], v60 offset0:4 offset1:5
	;; [unrolled: 1-line block ×3, first 2 shown]
	v_lshrrev_b32_e32 v64, 8, v38
	v_lshrrev_b32_e32 v65, 8, v39
	s_and_b64 vcc, exec, s[44:45]
	v_bfe_u32 v62, v0, 10, 10
	v_bfe_u32 v63, v0, 20, 10
	v_mbcnt_lo_u32_b32 v66, -1, 0
	v_lshlrev_b32_e32 v61, 4, v36
	s_waitcnt lgkmcnt(0)
	s_barrier
	s_cbranch_vccz .LBB266_60
; %bb.30:
	s_movk_i32 s16, 0xff
	v_mov_b32_e32 v1, 8
	v_lshlrev_b16_e32 v0, 8, v65
	v_lshlrev_b16_sdwa v1, v1, v39 dst_sel:DWORD dst_unused:UNUSED_PAD src0_sel:DWORD src1_sel:BYTE_3
	v_and_b32_sdwa v20, v39, s16 dst_sel:DWORD dst_unused:UNUSED_PAD src0_sel:WORD_1 src1_sel:DWORD
	v_or_b32_sdwa v0, v39, v0 dst_sel:DWORD dst_unused:UNUSED_PAD src0_sel:BYTE_0 src1_sel:DWORD
	v_or_b32_sdwa v1, v20, v1 dst_sel:WORD_1 dst_unused:UNUSED_PAD src0_sel:DWORD src1_sel:DWORD
	v_mbcnt_hi_u32_b32 v75, -1, v66
	v_and_b32_e32 v76, 0x3c0, v36
	v_or_b32_sdwa v1, v0, v1 dst_sel:DWORD dst_unused:UNUSED_PAD src0_sel:WORD_0 src1_sel:DWORD
	v_lshlrev_b16_e32 v0, 8, v64
	v_lshlrev_b16_e32 v20, 8, v40
	v_and_b32_sdwa v21, v38, s16 dst_sel:DWORD dst_unused:UNUSED_PAD src0_sel:WORD_1 src1_sel:DWORD
	v_add_u32_e32 v18, v75, v76
	v_or_b32_sdwa v0, v38, v0 dst_sel:DWORD dst_unused:UNUSED_PAD src0_sel:BYTE_0 src1_sel:DWORD
	v_or_b32_sdwa v20, v21, v20 dst_sel:WORD_1 dst_unused:UNUSED_PAD src0_sel:DWORD src1_sel:DWORD
	v_lshlrev_b32_e32 v19, 3, v18
	v_or_b32_sdwa v0, v0, v20 dst_sel:DWORD dst_unused:UNUSED_PAD src0_sel:WORD_0 src1_sel:DWORD
	s_movk_i32 s16, 0x1e00
	ds_write_b64 v19, v[0:1]
	v_and_or_b32 v0, v53, s16, v75
	; wave barrier
	ds_read_u8 v67, v0
	ds_read_u8 v68, v0 offset:64
	ds_read_u8 v69, v0 offset:128
	;; [unrolled: 1-line block ×7, first 2 shown]
	v_lshlrev_b32_e32 v1, 6, v18
	v_lshlrev_b32_e32 v0, 3, v0
	s_getpc_b64 s[16:17]
	s_add_u32 s16, s16, _ZN7rocprim17ROCPRIM_400000_NS16block_radix_sortIbLj256ELj8ElLj1ELj1ELj0ELNS0_26block_radix_rank_algorithmE1ELNS0_18block_padding_hintE2ELNS0_4arch9wavefront6targetE1EE19radix_bits_per_passE@rel32@lo+4
	s_addc_u32 s17, s17, _ZN7rocprim17ROCPRIM_400000_NS16block_radix_sortIbLj256ELj8ElLj1ELj1ELj0ELNS0_26block_radix_rank_algorithmE1ELNS0_18block_padding_hintE2ELNS0_4arch9wavefront6targetE1EE19radix_bits_per_passE@rel32@hi+12
	s_waitcnt lgkmcnt(0)
	s_barrier
	ds_write2_b64 v1, v[14:15], v[16:17] offset1:1
	ds_write2_b64 v1, v[10:11], v[12:13] offset0:2 offset1:3
	ds_write2_b64 v1, v[6:7], v[8:9] offset0:4 offset1:5
	;; [unrolled: 1-line block ×3, first 2 shown]
	; wave barrier
	ds_read2st64_b64 v[30:33], v0 offset1:1
	ds_read2st64_b64 v[26:29], v0 offset0:2 offset1:3
	ds_read2st64_b64 v[22:25], v0 offset0:4 offset1:5
	;; [unrolled: 1-line block ×3, first 2 shown]
	s_waitcnt lgkmcnt(0)
	s_barrier
	s_load_dword s18, s[16:17], 0x0
	s_load_dword s19, s[42:43], 0xc
	s_waitcnt lgkmcnt(0)
	s_min_u32 s18, s18, 8
	s_lshr_b32 s16, s19, 16
	s_and_b32 s17, s19, 0xffff
	v_mad_u32_u24 v0, v63, s16, v62
	v_mad_u64_u32 v[0:1], s[16:17], v0, s17, v[36:37]
	s_lshl_b32 s16, -1, s18
	s_not_b32 s18, s16
	v_lshrrev_b32_e32 v42, 6, v0
	v_and_b32_e32 v0, s18, v67
	v_mov_b32_e32 v1, 0
	v_and_b32_e32 v0, 1, v0
	ds_write2_b32 v61, v1, v1 offset0:4 offset1:5
	ds_write2_b32 v61, v1, v1 offset0:6 offset1:7
	v_lshlrev_b32_e32 v1, 2, v0
	v_cmp_ne_u32_e32 vcc, 0, v0
	v_add_co_u32_e64 v0, s[16:17], -1, v0
	v_add_lshl_u32 v77, v42, v1, 2
	v_addc_co_u32_e64 v1, s[16:17], 0, -1, s[16:17]
	v_xor_b32_e32 v0, vcc_lo, v0
	v_xor_b32_e32 v1, vcc_hi, v1
	v_and_b32_e32 v0, exec_lo, v0
	v_and_b32_e32 v1, exec_hi, v1
	v_mbcnt_lo_u32_b32 v43, v0, 0
	v_mbcnt_hi_u32_b32 v78, v1, v43
	v_cmp_eq_u32_e32 vcc, 0, v78
	v_cmp_ne_u64_e64 s[16:17], 0, v[0:1]
	s_and_b64 s[20:21], s[16:17], vcc
	s_waitcnt lgkmcnt(0)
	s_barrier
	s_waitcnt lgkmcnt(0)
	; wave barrier
	s_and_saveexec_b64 s[16:17], s[20:21]
	s_cbranch_execz .LBB266_32
; %bb.31:
	v_bcnt_u32_b32 v0, v0, 0
	v_bcnt_u32_b32 v0, v1, v0
	ds_write_b32 v77, v0 offset:16
.LBB266_32:
	s_or_b64 exec, exec, s[16:17]
	v_and_b32_e32 v0, s18, v68
	v_and_b32_e32 v0, 0xff, v0
	v_lshlrev_b32_e32 v1, 2, v0
	v_cmp_ne_u32_e32 vcc, 0, v0
	v_add_co_u32_e64 v0, s[16:17], -1, v0
	v_add_lshl_u32 v80, v42, v1, 2
	v_addc_co_u32_e64 v1, s[16:17], 0, -1, s[16:17]
	v_xor_b32_e32 v0, vcc_lo, v0
	; wave barrier
	ds_read_b32 v79, v80 offset:16
	v_xor_b32_e32 v1, vcc_hi, v1
	v_and_b32_e32 v0, exec_lo, v0
	v_and_b32_e32 v1, exec_hi, v1
	v_mbcnt_lo_u32_b32 v43, v0, 0
	v_mbcnt_hi_u32_b32 v81, v1, v43
	v_cmp_eq_u32_e32 vcc, 0, v81
	v_cmp_ne_u64_e64 s[16:17], 0, v[0:1]
	s_and_b64 s[20:21], s[16:17], vcc
	; wave barrier
	s_and_saveexec_b64 s[16:17], s[20:21]
	s_cbranch_execz .LBB266_34
; %bb.33:
	v_bcnt_u32_b32 v0, v0, 0
	v_bcnt_u32_b32 v0, v1, v0
	s_waitcnt lgkmcnt(0)
	v_add_u32_e32 v0, v79, v0
	ds_write_b32 v80, v0 offset:16
.LBB266_34:
	s_or_b64 exec, exec, s[16:17]
	v_and_b32_e32 v0, s18, v69
	v_and_b32_e32 v0, 0xff, v0
	v_lshlrev_b32_e32 v1, 2, v0
	v_cmp_ne_u32_e32 vcc, 0, v0
	v_add_co_u32_e64 v0, s[16:17], -1, v0
	v_add_lshl_u32 v83, v42, v1, 2
	v_addc_co_u32_e64 v1, s[16:17], 0, -1, s[16:17]
	v_xor_b32_e32 v0, vcc_lo, v0
	; wave barrier
	ds_read_b32 v82, v83 offset:16
	v_xor_b32_e32 v1, vcc_hi, v1
	v_and_b32_e32 v0, exec_lo, v0
	v_and_b32_e32 v1, exec_hi, v1
	v_mbcnt_lo_u32_b32 v43, v0, 0
	v_mbcnt_hi_u32_b32 v84, v1, v43
	v_cmp_eq_u32_e32 vcc, 0, v84
	v_cmp_ne_u64_e64 s[16:17], 0, v[0:1]
	s_and_b64 s[20:21], s[16:17], vcc
	; wave barrier
	s_and_saveexec_b64 s[16:17], s[20:21]
	s_cbranch_execz .LBB266_36
; %bb.35:
	v_bcnt_u32_b32 v0, v0, 0
	v_bcnt_u32_b32 v0, v1, v0
	s_waitcnt lgkmcnt(0)
	v_add_u32_e32 v0, v82, v0
	ds_write_b32 v83, v0 offset:16
.LBB266_36:
	;; [unrolled: 29-line block ×6, first 2 shown]
	s_or_b64 exec, exec, s[16:17]
	v_and_b32_e32 v0, s18, v74
	v_and_b32_e32 v0, 0xff, v0
	v_lshlrev_b32_e32 v1, 2, v0
	v_cmp_ne_u32_e32 vcc, 0, v0
	v_add_co_u32_e64 v0, s[16:17], -1, v0
	v_add_lshl_u32 v98, v42, v1, 2
	v_addc_co_u32_e64 v1, s[16:17], 0, -1, s[16:17]
	v_xor_b32_e32 v0, vcc_lo, v0
	; wave barrier
	ds_read_b32 v97, v98 offset:16
	v_xor_b32_e32 v1, vcc_hi, v1
	v_and_b32_e32 v0, exec_lo, v0
	v_and_b32_e32 v1, exec_hi, v1
	v_mbcnt_lo_u32_b32 v42, v0, 0
	v_mbcnt_hi_u32_b32 v99, v1, v42
	v_cmp_eq_u32_e32 vcc, 0, v99
	v_cmp_ne_u64_e64 s[16:17], 0, v[0:1]
	v_add_u32_e32 v100, 16, v61
	s_and_b64 s[18:19], s[16:17], vcc
	; wave barrier
	s_and_saveexec_b64 s[16:17], s[18:19]
	s_cbranch_execz .LBB266_46
; %bb.45:
	v_bcnt_u32_b32 v0, v0, 0
	v_bcnt_u32_b32 v0, v1, v0
	s_waitcnt lgkmcnt(0)
	v_add_u32_e32 v0, v97, v0
	ds_write_b32 v98, v0 offset:16
.LBB266_46:
	s_or_b64 exec, exec, s[16:17]
	; wave barrier
	s_waitcnt lgkmcnt(0)
	s_barrier
	ds_read2_b32 v[0:1], v61 offset0:4 offset1:5
	ds_read2_b32 v[42:43], v100 offset0:2 offset1:3
	v_min_u32_e32 v76, 0xc0, v76
	v_or_b32_e32 v76, 63, v76
	s_waitcnt lgkmcnt(1)
	v_add_u32_e32 v101, v1, v0
	s_waitcnt lgkmcnt(0)
	v_add3_u32 v43, v101, v42, v43
	v_and_b32_e32 v101, 15, v75
	v_cmp_ne_u32_e32 vcc, 0, v101
	v_mov_b32_dpp v102, v43 row_shr:1 row_mask:0xf bank_mask:0xf
	v_cndmask_b32_e32 v102, 0, v102, vcc
	v_add_u32_e32 v43, v102, v43
	v_cmp_lt_u32_e32 vcc, 1, v101
	s_nop 0
	v_mov_b32_dpp v102, v43 row_shr:2 row_mask:0xf bank_mask:0xf
	v_cndmask_b32_e32 v102, 0, v102, vcc
	v_add_u32_e32 v43, v43, v102
	v_cmp_lt_u32_e32 vcc, 3, v101
	s_nop 0
	;; [unrolled: 5-line block ×3, first 2 shown]
	v_mov_b32_dpp v102, v43 row_shr:8 row_mask:0xf bank_mask:0xf
	v_cndmask_b32_e32 v101, 0, v102, vcc
	v_add_u32_e32 v43, v43, v101
	v_bfe_i32 v102, v75, 4, 1
	v_cmp_lt_u32_e32 vcc, 31, v75
	v_mov_b32_dpp v101, v43 row_bcast:15 row_mask:0xf bank_mask:0xf
	v_and_b32_e32 v101, v102, v101
	v_add_u32_e32 v43, v43, v101
	s_nop 1
	v_mov_b32_dpp v101, v43 row_bcast:31 row_mask:0xf bank_mask:0xf
	v_cndmask_b32_e32 v101, 0, v101, vcc
	v_add_u32_e32 v43, v43, v101
	v_lshrrev_b32_e32 v101, 6, v36
	v_cmp_eq_u32_e32 vcc, v76, v36
	s_and_saveexec_b64 s[16:17], vcc
	s_cbranch_execz .LBB266_48
; %bb.47:
	v_lshlrev_b32_e32 v76, 2, v101
	ds_write_b32 v76, v43
.LBB266_48:
	s_or_b64 exec, exec, s[16:17]
	v_cmp_gt_u32_e32 vcc, 4, v36
	s_waitcnt lgkmcnt(0)
	s_barrier
	s_and_saveexec_b64 s[16:17], vcc
	s_cbranch_execz .LBB266_50
; %bb.49:
	v_lshlrev_b32_e32 v76, 2, v36
	ds_read_b32 v102, v76
	v_and_b32_e32 v103, 3, v75
	v_cmp_ne_u32_e32 vcc, 0, v103
	s_waitcnt lgkmcnt(0)
	v_mov_b32_dpp v104, v102 row_shr:1 row_mask:0xf bank_mask:0xf
	v_cndmask_b32_e32 v104, 0, v104, vcc
	v_add_u32_e32 v102, v104, v102
	v_cmp_lt_u32_e32 vcc, 1, v103
	s_nop 0
	v_mov_b32_dpp v104, v102 row_shr:2 row_mask:0xf bank_mask:0xf
	v_cndmask_b32_e32 v103, 0, v104, vcc
	v_add_u32_e32 v102, v102, v103
	ds_write_b32 v76, v102
.LBB266_50:
	s_or_b64 exec, exec, s[16:17]
	v_cmp_lt_u32_e32 vcc, 63, v36
	v_mov_b32_e32 v76, 0
	s_waitcnt lgkmcnt(0)
	s_barrier
	s_and_saveexec_b64 s[16:17], vcc
	s_cbranch_execz .LBB266_52
; %bb.51:
	v_lshl_add_u32 v76, v101, 2, -4
	ds_read_b32 v76, v76
.LBB266_52:
	s_or_b64 exec, exec, s[16:17]
	v_add_u32_e32 v101, -1, v75
	v_and_b32_e32 v102, 64, v75
	v_cmp_lt_i32_e32 vcc, v101, v102
	v_cndmask_b32_e32 v101, v101, v75, vcc
	s_waitcnt lgkmcnt(0)
	v_add_u32_e32 v43, v76, v43
	v_lshlrev_b32_e32 v101, 2, v101
	ds_bpermute_b32 v43, v101, v43
	v_cmp_eq_u32_e32 vcc, 0, v75
	s_waitcnt lgkmcnt(0)
	v_cndmask_b32_e32 v43, v43, v76, vcc
	v_cmp_ne_u32_e32 vcc, 0, v36
	v_cndmask_b32_e32 v43, 0, v43, vcc
	v_add_u32_e32 v0, v43, v0
	v_add_u32_e32 v1, v0, v1
	;; [unrolled: 1-line block ×3, first 2 shown]
	ds_write2_b32 v61, v43, v0 offset0:4 offset1:5
	ds_write2_b32 v100, v1, v42 offset0:2 offset1:3
	s_waitcnt lgkmcnt(0)
	s_barrier
	ds_read_b32 v0, v77 offset:16
	ds_read_b32 v1, v80 offset:16
	ds_read_b32 v42, v83 offset:16
	ds_read_b32 v43, v86 offset:16
	ds_read_b32 v75, v89 offset:16
	ds_read_b32 v76, v92 offset:16
	ds_read_b32 v77, v95 offset:16
	ds_read_b32 v80, v98 offset:16
	s_waitcnt lgkmcnt(7)
	v_add_u32_e32 v78, v0, v78
	s_waitcnt lgkmcnt(6)
	v_add3_u32 v79, v81, v79, v1
	s_waitcnt lgkmcnt(5)
	v_add3_u32 v42, v84, v82, v42
	;; [unrolled: 2-line block ×7, first 2 shown]
	s_barrier
	ds_write_b8 v78, v67
	ds_write_b8 v79, v68
	;; [unrolled: 1-line block ×8, first 2 shown]
	v_lshlrev_b32_e32 v67, 3, v78
	s_waitcnt lgkmcnt(0)
	s_barrier
	ds_read_b64 v[0:1], v53
	s_waitcnt lgkmcnt(0)
	s_barrier
	ds_write_b64 v67, v[30:31]
	v_lshlrev_b32_e32 v30, 3, v79
	ds_write_b64 v30, v[32:33]
	v_lshlrev_b32_e32 v30, 3, v42
	;; [unrolled: 2-line block ×7, first 2 shown]
	v_lshlrev_b32_e32 v30, 3, v53
	ds_write_b64 v18, v[20:21]
	s_waitcnt lgkmcnt(0)
	s_barrier
	ds_read2_b64 v[18:21], v30 offset1:1
	ds_read2_b64 v[22:25], v30 offset0:2 offset1:3
	ds_read2_b64 v[26:29], v30 offset0:4 offset1:5
	;; [unrolled: 1-line block ×3, first 2 shown]
	s_branch .LBB266_84
.LBB266_53:
	v_mov_b32_e32 v35, 0
	v_lshlrev_b64 v[2:3], 3, v[34:35]
	v_mov_b32_e32 v4, s35
	v_add_co_u32_e32 v2, vcc, s33, v2
	v_addc_co_u32_e32 v3, vcc, v4, v3, vcc
	global_load_dwordx2 v[2:3], v[2:3], off
	v_mov_b32_e32 v4, v35
	v_mov_b32_e32 v5, v35
	;; [unrolled: 1-line block ×14, first 2 shown]
	s_or_b64 exec, exec, s[16:17]
	s_and_saveexec_b64 s[16:17], s[2:3]
	s_cbranch_execz .LBB266_22
.LBB266_54:
	v_mul_lo_u32 v4, v32, s34
	v_mov_b32_e32 v5, 0
	v_lshlrev_b64 v[4:5], 3, v[4:5]
	v_mov_b32_e32 v32, s35
	v_add_co_u32_e32 v4, vcc, s33, v4
	v_addc_co_u32_e32 v5, vcc, v32, v5, vcc
	global_load_dwordx2 v[4:5], v[4:5], off
	s_or_b64 exec, exec, s[16:17]
	s_and_saveexec_b64 s[16:17], s[4:5]
	s_cbranch_execz .LBB266_23
.LBB266_55:
	v_mul_lo_u32 v6, v31, s34
	v_mov_b32_e32 v7, 0
	v_lshlrev_b64 v[6:7], 3, v[6:7]
	v_mov_b32_e32 v31, s35
	v_add_co_u32_e32 v6, vcc, s33, v6
	v_addc_co_u32_e32 v7, vcc, v31, v7, vcc
	global_load_dwordx2 v[6:7], v[6:7], off
	s_or_b64 exec, exec, s[16:17]
	s_and_saveexec_b64 s[16:17], s[6:7]
	s_cbranch_execz .LBB266_24
.LBB266_56:
	v_mul_lo_u32 v8, v30, s34
	v_mov_b32_e32 v9, 0
	v_lshlrev_b64 v[8:9], 3, v[8:9]
	v_mov_b32_e32 v30, s35
	v_add_co_u32_e32 v8, vcc, s33, v8
	v_addc_co_u32_e32 v9, vcc, v30, v9, vcc
	global_load_dwordx2 v[8:9], v[8:9], off
	s_or_b64 exec, exec, s[16:17]
	s_and_saveexec_b64 s[16:17], s[8:9]
	s_cbranch_execz .LBB266_25
.LBB266_57:
	v_mul_lo_u32 v10, v29, s34
	v_mov_b32_e32 v11, 0
	v_lshlrev_b64 v[10:11], 3, v[10:11]
	v_mov_b32_e32 v29, s35
	v_add_co_u32_e32 v10, vcc, s33, v10
	v_addc_co_u32_e32 v11, vcc, v29, v11, vcc
	global_load_dwordx2 v[10:11], v[10:11], off
	s_or_b64 exec, exec, s[16:17]
	s_and_saveexec_b64 s[16:17], s[10:11]
	s_cbranch_execz .LBB266_26
.LBB266_58:
	v_mul_lo_u32 v12, v28, s34
	v_mov_b32_e32 v13, 0
	v_lshlrev_b64 v[12:13], 3, v[12:13]
	v_mov_b32_e32 v28, s35
	v_add_co_u32_e32 v12, vcc, s33, v12
	v_addc_co_u32_e32 v13, vcc, v28, v13, vcc
	global_load_dwordx2 v[12:13], v[12:13], off
	s_or_b64 exec, exec, s[16:17]
	s_and_saveexec_b64 s[16:17], s[12:13]
	s_cbranch_execz .LBB266_27
.LBB266_59:
	v_mul_lo_u32 v14, v27, s34
	v_mov_b32_e32 v15, 0
	v_lshlrev_b64 v[14:15], 3, v[14:15]
	v_mov_b32_e32 v27, s35
	v_add_co_u32_e32 v14, vcc, s33, v14
	v_addc_co_u32_e32 v15, vcc, v27, v15, vcc
	global_load_dwordx2 v[14:15], v[14:15], off
	s_or_b64 exec, exec, s[16:17]
	s_and_saveexec_b64 s[16:17], s[14:15]
	s_cbranch_execnz .LBB266_28
	s_branch .LBB266_29
.LBB266_60:
                                        ; implicit-def: $vgpr1
                                        ; implicit-def: $vgpr32_vgpr33
                                        ; implicit-def: $vgpr28_vgpr29
                                        ; implicit-def: $vgpr24_vgpr25
                                        ; implicit-def: $vgpr20_vgpr21
	s_cbranch_execz .LBB266_84
; %bb.61:
	v_and_b32_e32 v0, 1, v65
	v_cmp_eq_u32_e32 vcc, 1, v0
	v_and_b32_e32 v0, 1, v39
	v_cmp_eq_u32_e64 s[16:17], 1, v0
	v_mov_b32_e32 v0, 1
	v_and_b32_sdwa v1, v0, v39 dst_sel:DWORD dst_unused:UNUSED_PAD src0_sel:DWORD src1_sel:BYTE_3
	v_cmp_eq_u32_e64 s[18:19], 1, v1
	v_and_b32_sdwa v1, v0, v39 dst_sel:DWORD dst_unused:UNUSED_PAD src0_sel:DWORD src1_sel:WORD_1
	v_cmp_eq_u32_e64 s[20:21], 1, v1
	v_and_b32_e32 v1, 1, v64
	v_cmp_eq_u32_e64 s[22:23], 1, v1
	v_and_b32_e32 v1, 1, v38
	v_and_b32_sdwa v0, v0, v38 dst_sel:DWORD dst_unused:UNUSED_PAD src0_sel:DWORD src1_sel:WORD_1
	s_xor_b64 s[30:31], vcc, -1
	v_cmp_eq_u32_e64 s[24:25], 1, v1
	v_and_b32_e32 v1, 1, v40
	v_cmp_eq_u32_e64 s[28:29], 1, v0
	v_cndmask_b32_e64 v0, 0, 1, s[30:31]
	s_xor_b64 s[16:17], s[16:17], -1
	v_cmp_eq_u32_e64 s[26:27], 1, v1
	v_lshlrev_b16_e32 v0, 8, v0
	v_cndmask_b32_e64 v1, 0, 1, s[16:17]
	s_xor_b64 s[16:17], s[18:19], -1
	v_or_b32_e32 v0, v1, v0
	v_cndmask_b32_e64 v1, 0, 1, s[16:17]
	s_xor_b64 s[16:17], s[20:21], -1
	v_lshlrev_b16_e32 v1, 8, v1
	s_waitcnt lgkmcnt(3)
	v_cndmask_b32_e64 v21, 0, 1, s[16:17]
	v_or_b32_sdwa v1, v21, v1 dst_sel:WORD_1 dst_unused:UNUSED_PAD src0_sel:DWORD src1_sel:DWORD
	s_xor_b64 s[16:17], s[22:23], -1
	v_or_b32_sdwa v1, v0, v1 dst_sel:DWORD dst_unused:UNUSED_PAD src0_sel:WORD_0 src1_sel:DWORD
	v_cndmask_b32_e64 v0, 0, 1, s[16:17]
	s_xor_b64 s[16:17], s[24:25], -1
	v_lshlrev_b16_e32 v0, 8, v0
	v_cndmask_b32_e64 v21, 0, 1, s[16:17]
	s_xor_b64 s[16:17], s[26:27], -1
	v_or_b32_e32 v0, v21, v0
	v_cndmask_b32_e64 v21, 0, 1, s[16:17]
	s_xor_b64 s[16:17], s[28:29], -1
	v_mbcnt_hi_u32_b32 v20, -1, v66
	s_waitcnt lgkmcnt(1)
	v_and_b32_e32 v29, 0x3c0, v36
	v_lshlrev_b16_e32 v21, 8, v21
	v_cndmask_b32_e64 v22, 0, 1, s[16:17]
	v_add_u32_e32 v18, v20, v29
	v_or_b32_sdwa v21, v22, v21 dst_sel:WORD_1 dst_unused:UNUSED_PAD src0_sel:DWORD src1_sel:DWORD
	v_lshlrev_b32_e32 v19, 3, v18
	v_or_b32_sdwa v0, v0, v21 dst_sel:DWORD dst_unused:UNUSED_PAD src0_sel:WORD_0 src1_sel:DWORD
	s_movk_i32 s16, 0x1e00
	ds_write_b64 v19, v[0:1]
	v_and_or_b32 v0, v53, s16, v20
	; wave barrier
	ds_read_u8 v21, v0
	ds_read_u8 v22, v0 offset:64
	ds_read_u8 v23, v0 offset:128
	;; [unrolled: 1-line block ×7, first 2 shown]
	v_lshlrev_b32_e32 v1, 6, v18
	v_lshlrev_b32_e32 v0, 3, v0
	s_getpc_b64 s[16:17]
	s_add_u32 s16, s16, _ZN7rocprim17ROCPRIM_400000_NS16block_radix_sortIbLj256ELj8ElLj1ELj1ELj0ELNS0_26block_radix_rank_algorithmE1ELNS0_18block_padding_hintE2ELNS0_4arch9wavefront6targetE1EE19radix_bits_per_passE@rel32@lo+4
	s_addc_u32 s17, s17, _ZN7rocprim17ROCPRIM_400000_NS16block_radix_sortIbLj256ELj8ElLj1ELj1ELj0ELNS0_26block_radix_rank_algorithmE1ELNS0_18block_padding_hintE2ELNS0_4arch9wavefront6targetE1EE19radix_bits_per_passE@rel32@hi+12
	s_waitcnt lgkmcnt(0)
	s_barrier
	ds_write2_b64 v1, v[14:15], v[16:17] offset1:1
	ds_write2_b64 v1, v[10:11], v[12:13] offset0:2 offset1:3
	ds_write2_b64 v1, v[6:7], v[8:9] offset0:4 offset1:5
	;; [unrolled: 1-line block ×3, first 2 shown]
	; wave barrier
	ds_read2st64_b64 v[12:15], v0 offset1:1
	ds_read2st64_b64 v[8:11], v0 offset0:2 offset1:3
	ds_read2st64_b64 v[4:7], v0 offset0:4 offset1:5
	;; [unrolled: 1-line block ×3, first 2 shown]
	s_waitcnt lgkmcnt(0)
	s_barrier
	s_load_dword s18, s[16:17], 0x0
	s_load_dword s19, s[42:43], 0xc
	s_waitcnt lgkmcnt(0)
	s_min_u32 s18, s18, 8
	s_lshr_b32 s16, s19, 16
	s_and_b32 s17, s19, 0xffff
	v_mad_u32_u24 v16, v63, s16, v62
	v_mad_u64_u32 v[16:17], s[16:17], v16, s17, v[36:37]
	s_lshl_b32 s16, -1, s18
	s_not_b32 s18, s16
	v_lshrrev_b32_e32 v18, 6, v16
	v_and_b32_e32 v16, s18, v21
	v_mov_b32_e32 v17, 0
	v_and_b32_e32 v16, 1, v16
	ds_write2_b32 v61, v17, v17 offset0:4 offset1:5
	ds_write2_b32 v61, v17, v17 offset0:6 offset1:7
	v_lshlrev_b32_e32 v17, 2, v16
	v_cmp_ne_u32_e32 vcc, 0, v16
	v_add_co_u32_e64 v16, s[16:17], -1, v16
	v_add_lshl_u32 v30, v18, v17, 2
	v_addc_co_u32_e64 v17, s[16:17], 0, -1, s[16:17]
	v_xor_b32_e32 v16, vcc_lo, v16
	v_xor_b32_e32 v17, vcc_hi, v17
	v_and_b32_e32 v16, exec_lo, v16
	v_and_b32_e32 v17, exec_hi, v17
	v_mbcnt_lo_u32_b32 v19, v16, 0
	v_mbcnt_hi_u32_b32 v31, v17, v19
	v_cmp_eq_u32_e32 vcc, 0, v31
	v_cmp_ne_u64_e64 s[16:17], 0, v[16:17]
	s_and_b64 s[20:21], s[16:17], vcc
	s_waitcnt lgkmcnt(0)
	s_barrier
	s_waitcnt lgkmcnt(0)
	; wave barrier
	s_and_saveexec_b64 s[16:17], s[20:21]
	s_cbranch_execz .LBB266_63
; %bb.62:
	v_bcnt_u32_b32 v16, v16, 0
	v_bcnt_u32_b32 v16, v17, v16
	ds_write_b32 v30, v16 offset:16
.LBB266_63:
	s_or_b64 exec, exec, s[16:17]
	v_and_b32_e32 v16, s18, v22
	v_and_b32_e32 v16, 0xff, v16
	v_lshlrev_b32_e32 v17, 2, v16
	v_cmp_ne_u32_e32 vcc, 0, v16
	v_add_co_u32_e64 v16, s[16:17], -1, v16
	v_add_lshl_u32 v33, v18, v17, 2
	v_addc_co_u32_e64 v17, s[16:17], 0, -1, s[16:17]
	v_xor_b32_e32 v16, vcc_lo, v16
	; wave barrier
	ds_read_b32 v32, v33 offset:16
	v_xor_b32_e32 v17, vcc_hi, v17
	v_and_b32_e32 v16, exec_lo, v16
	v_and_b32_e32 v17, exec_hi, v17
	v_mbcnt_lo_u32_b32 v19, v16, 0
	v_mbcnt_hi_u32_b32 v38, v17, v19
	v_cmp_eq_u32_e32 vcc, 0, v38
	v_cmp_ne_u64_e64 s[16:17], 0, v[16:17]
	s_and_b64 s[20:21], s[16:17], vcc
	; wave barrier
	s_and_saveexec_b64 s[16:17], s[20:21]
	s_cbranch_execz .LBB266_65
; %bb.64:
	v_bcnt_u32_b32 v16, v16, 0
	v_bcnt_u32_b32 v16, v17, v16
	s_waitcnt lgkmcnt(0)
	v_add_u32_e32 v16, v32, v16
	ds_write_b32 v33, v16 offset:16
.LBB266_65:
	s_or_b64 exec, exec, s[16:17]
	v_and_b32_e32 v16, s18, v23
	v_and_b32_e32 v16, 0xff, v16
	v_lshlrev_b32_e32 v17, 2, v16
	v_cmp_ne_u32_e32 vcc, 0, v16
	v_add_co_u32_e64 v16, s[16:17], -1, v16
	v_add_lshl_u32 v40, v18, v17, 2
	v_addc_co_u32_e64 v17, s[16:17], 0, -1, s[16:17]
	v_xor_b32_e32 v16, vcc_lo, v16
	; wave barrier
	ds_read_b32 v39, v40 offset:16
	v_xor_b32_e32 v17, vcc_hi, v17
	v_and_b32_e32 v16, exec_lo, v16
	v_and_b32_e32 v17, exec_hi, v17
	v_mbcnt_lo_u32_b32 v19, v16, 0
	v_mbcnt_hi_u32_b32 v42, v17, v19
	v_cmp_eq_u32_e32 vcc, 0, v42
	v_cmp_ne_u64_e64 s[16:17], 0, v[16:17]
	s_and_b64 s[20:21], s[16:17], vcc
	; wave barrier
	s_and_saveexec_b64 s[16:17], s[20:21]
	s_cbranch_execz .LBB266_67
; %bb.66:
	v_bcnt_u32_b32 v16, v16, 0
	v_bcnt_u32_b32 v16, v17, v16
	s_waitcnt lgkmcnt(0)
	v_add_u32_e32 v16, v39, v16
	ds_write_b32 v40, v16 offset:16
.LBB266_67:
	s_or_b64 exec, exec, s[16:17]
	v_and_b32_e32 v16, s18, v24
	v_and_b32_e32 v16, 0xff, v16
	v_lshlrev_b32_e32 v17, 2, v16
	v_cmp_ne_u32_e32 vcc, 0, v16
	v_add_co_u32_e64 v16, s[16:17], -1, v16
	v_add_lshl_u32 v62, v18, v17, 2
	v_addc_co_u32_e64 v17, s[16:17], 0, -1, s[16:17]
	v_xor_b32_e32 v16, vcc_lo, v16
	; wave barrier
	ds_read_b32 v43, v62 offset:16
	v_xor_b32_e32 v17, vcc_hi, v17
	v_and_b32_e32 v16, exec_lo, v16
	v_and_b32_e32 v17, exec_hi, v17
	v_mbcnt_lo_u32_b32 v19, v16, 0
	v_mbcnt_hi_u32_b32 v63, v17, v19
	v_cmp_eq_u32_e32 vcc, 0, v63
	v_cmp_ne_u64_e64 s[16:17], 0, v[16:17]
	s_and_b64 s[20:21], s[16:17], vcc
	; wave barrier
	s_and_saveexec_b64 s[16:17], s[20:21]
	s_cbranch_execz .LBB266_69
; %bb.68:
	v_bcnt_u32_b32 v16, v16, 0
	v_bcnt_u32_b32 v16, v17, v16
	s_waitcnt lgkmcnt(0)
	v_add_u32_e32 v16, v43, v16
	ds_write_b32 v62, v16 offset:16
.LBB266_69:
	s_or_b64 exec, exec, s[16:17]
	v_and_b32_e32 v16, s18, v25
	v_and_b32_e32 v16, 0xff, v16
	v_lshlrev_b32_e32 v17, 2, v16
	v_cmp_ne_u32_e32 vcc, 0, v16
	v_add_co_u32_e64 v16, s[16:17], -1, v16
	v_add_lshl_u32 v65, v18, v17, 2
	v_addc_co_u32_e64 v17, s[16:17], 0, -1, s[16:17]
	v_xor_b32_e32 v16, vcc_lo, v16
	; wave barrier
	ds_read_b32 v64, v65 offset:16
	v_xor_b32_e32 v17, vcc_hi, v17
	v_and_b32_e32 v16, exec_lo, v16
	v_and_b32_e32 v17, exec_hi, v17
	v_mbcnt_lo_u32_b32 v19, v16, 0
	v_mbcnt_hi_u32_b32 v66, v17, v19
	v_cmp_eq_u32_e32 vcc, 0, v66
	v_cmp_ne_u64_e64 s[16:17], 0, v[16:17]
	s_and_b64 s[20:21], s[16:17], vcc
	; wave barrier
	s_and_saveexec_b64 s[16:17], s[20:21]
	s_cbranch_execz .LBB266_71
; %bb.70:
	v_bcnt_u32_b32 v16, v16, 0
	v_bcnt_u32_b32 v16, v17, v16
	s_waitcnt lgkmcnt(0)
	v_add_u32_e32 v16, v64, v16
	ds_write_b32 v65, v16 offset:16
.LBB266_71:
	s_or_b64 exec, exec, s[16:17]
	v_and_b32_e32 v16, s18, v26
	v_and_b32_e32 v16, 0xff, v16
	v_lshlrev_b32_e32 v17, 2, v16
	v_cmp_ne_u32_e32 vcc, 0, v16
	v_add_co_u32_e64 v16, s[16:17], -1, v16
	v_add_lshl_u32 v68, v18, v17, 2
	v_addc_co_u32_e64 v17, s[16:17], 0, -1, s[16:17]
	v_xor_b32_e32 v16, vcc_lo, v16
	; wave barrier
	ds_read_b32 v67, v68 offset:16
	v_xor_b32_e32 v17, vcc_hi, v17
	v_and_b32_e32 v16, exec_lo, v16
	v_and_b32_e32 v17, exec_hi, v17
	v_mbcnt_lo_u32_b32 v19, v16, 0
	v_mbcnt_hi_u32_b32 v69, v17, v19
	v_cmp_eq_u32_e32 vcc, 0, v69
	v_cmp_ne_u64_e64 s[16:17], 0, v[16:17]
	s_and_b64 s[20:21], s[16:17], vcc
	; wave barrier
	s_and_saveexec_b64 s[16:17], s[20:21]
	s_cbranch_execz .LBB266_73
; %bb.72:
	v_bcnt_u32_b32 v16, v16, 0
	v_bcnt_u32_b32 v16, v17, v16
	s_waitcnt lgkmcnt(0)
	v_add_u32_e32 v16, v67, v16
	ds_write_b32 v68, v16 offset:16
.LBB266_73:
	s_or_b64 exec, exec, s[16:17]
	v_and_b32_e32 v16, s18, v27
	v_and_b32_e32 v16, 0xff, v16
	v_lshlrev_b32_e32 v17, 2, v16
	v_cmp_ne_u32_e32 vcc, 0, v16
	v_add_co_u32_e64 v16, s[16:17], -1, v16
	v_add_lshl_u32 v71, v18, v17, 2
	v_addc_co_u32_e64 v17, s[16:17], 0, -1, s[16:17]
	v_xor_b32_e32 v16, vcc_lo, v16
	; wave barrier
	ds_read_b32 v70, v71 offset:16
	v_xor_b32_e32 v17, vcc_hi, v17
	v_and_b32_e32 v16, exec_lo, v16
	v_and_b32_e32 v17, exec_hi, v17
	v_mbcnt_lo_u32_b32 v19, v16, 0
	v_mbcnt_hi_u32_b32 v72, v17, v19
	v_cmp_eq_u32_e32 vcc, 0, v72
	v_cmp_ne_u64_e64 s[16:17], 0, v[16:17]
	s_and_b64 s[20:21], s[16:17], vcc
	; wave barrier
	s_and_saveexec_b64 s[16:17], s[20:21]
	s_cbranch_execz .LBB266_75
; %bb.74:
	v_bcnt_u32_b32 v16, v16, 0
	v_bcnt_u32_b32 v16, v17, v16
	s_waitcnt lgkmcnt(0)
	v_add_u32_e32 v16, v70, v16
	ds_write_b32 v71, v16 offset:16
.LBB266_75:
	s_or_b64 exec, exec, s[16:17]
	v_and_b32_e32 v16, s18, v28
	v_and_b32_e32 v16, 0xff, v16
	v_lshlrev_b32_e32 v17, 2, v16
	v_cmp_ne_u32_e32 vcc, 0, v16
	v_add_co_u32_e64 v16, s[16:17], -1, v16
	v_add_lshl_u32 v74, v18, v17, 2
	v_addc_co_u32_e64 v17, s[16:17], 0, -1, s[16:17]
	v_xor_b32_e32 v16, vcc_lo, v16
	; wave barrier
	ds_read_b32 v73, v74 offset:16
	v_xor_b32_e32 v17, vcc_hi, v17
	v_and_b32_e32 v16, exec_lo, v16
	v_and_b32_e32 v17, exec_hi, v17
	v_mbcnt_lo_u32_b32 v18, v16, 0
	v_mbcnt_hi_u32_b32 v75, v17, v18
	v_cmp_eq_u32_e32 vcc, 0, v75
	v_cmp_ne_u64_e64 s[16:17], 0, v[16:17]
	v_add_u32_e32 v76, 16, v61
	s_and_b64 s[18:19], s[16:17], vcc
	; wave barrier
	s_and_saveexec_b64 s[16:17], s[18:19]
	s_cbranch_execz .LBB266_77
; %bb.76:
	v_bcnt_u32_b32 v16, v16, 0
	v_bcnt_u32_b32 v16, v17, v16
	s_waitcnt lgkmcnt(0)
	v_add_u32_e32 v16, v73, v16
	ds_write_b32 v74, v16 offset:16
.LBB266_77:
	s_or_b64 exec, exec, s[16:17]
	; wave barrier
	s_waitcnt lgkmcnt(0)
	s_barrier
	ds_read2_b32 v[16:17], v61 offset0:4 offset1:5
	ds_read2_b32 v[18:19], v76 offset0:2 offset1:3
	v_min_u32_e32 v29, 0xc0, v29
	v_or_b32_e32 v29, 63, v29
	s_waitcnt lgkmcnt(1)
	v_add_u32_e32 v77, v17, v16
	s_waitcnt lgkmcnt(0)
	v_add3_u32 v19, v77, v18, v19
	v_and_b32_e32 v77, 15, v20
	v_cmp_ne_u32_e32 vcc, 0, v77
	v_mov_b32_dpp v78, v19 row_shr:1 row_mask:0xf bank_mask:0xf
	v_cndmask_b32_e32 v78, 0, v78, vcc
	v_add_u32_e32 v19, v78, v19
	v_cmp_lt_u32_e32 vcc, 1, v77
	s_nop 0
	v_mov_b32_dpp v78, v19 row_shr:2 row_mask:0xf bank_mask:0xf
	v_cndmask_b32_e32 v78, 0, v78, vcc
	v_add_u32_e32 v19, v19, v78
	v_cmp_lt_u32_e32 vcc, 3, v77
	s_nop 0
	;; [unrolled: 5-line block ×3, first 2 shown]
	v_mov_b32_dpp v78, v19 row_shr:8 row_mask:0xf bank_mask:0xf
	v_cndmask_b32_e32 v77, 0, v78, vcc
	v_add_u32_e32 v19, v19, v77
	v_bfe_i32 v78, v20, 4, 1
	v_cmp_lt_u32_e32 vcc, 31, v20
	v_mov_b32_dpp v77, v19 row_bcast:15 row_mask:0xf bank_mask:0xf
	v_and_b32_e32 v77, v78, v77
	v_add_u32_e32 v19, v19, v77
	s_nop 1
	v_mov_b32_dpp v77, v19 row_bcast:31 row_mask:0xf bank_mask:0xf
	v_cndmask_b32_e32 v77, 0, v77, vcc
	v_add_u32_e32 v19, v19, v77
	v_lshrrev_b32_e32 v77, 6, v36
	v_cmp_eq_u32_e32 vcc, v29, v36
	s_and_saveexec_b64 s[16:17], vcc
	s_cbranch_execz .LBB266_79
; %bb.78:
	v_lshlrev_b32_e32 v29, 2, v77
	ds_write_b32 v29, v19
.LBB266_79:
	s_or_b64 exec, exec, s[16:17]
	v_cmp_gt_u32_e32 vcc, 4, v36
	s_waitcnt lgkmcnt(0)
	s_barrier
	s_and_saveexec_b64 s[16:17], vcc
	s_cbranch_execz .LBB266_81
; %bb.80:
	v_lshlrev_b32_e32 v29, 2, v36
	ds_read_b32 v78, v29
	v_and_b32_e32 v79, 3, v20
	v_cmp_ne_u32_e32 vcc, 0, v79
	s_waitcnt lgkmcnt(0)
	v_mov_b32_dpp v80, v78 row_shr:1 row_mask:0xf bank_mask:0xf
	v_cndmask_b32_e32 v80, 0, v80, vcc
	v_add_u32_e32 v78, v80, v78
	v_cmp_lt_u32_e32 vcc, 1, v79
	s_nop 0
	v_mov_b32_dpp v80, v78 row_shr:2 row_mask:0xf bank_mask:0xf
	v_cndmask_b32_e32 v79, 0, v80, vcc
	v_add_u32_e32 v78, v78, v79
	ds_write_b32 v29, v78
.LBB266_81:
	s_or_b64 exec, exec, s[16:17]
	v_cmp_lt_u32_e32 vcc, 63, v36
	v_mov_b32_e32 v29, 0
	s_waitcnt lgkmcnt(0)
	s_barrier
	s_and_saveexec_b64 s[16:17], vcc
	s_cbranch_execz .LBB266_83
; %bb.82:
	v_lshl_add_u32 v29, v77, 2, -4
	ds_read_b32 v29, v29
.LBB266_83:
	s_or_b64 exec, exec, s[16:17]
	v_add_u32_e32 v77, -1, v20
	v_and_b32_e32 v78, 64, v20
	v_cmp_lt_i32_e32 vcc, v77, v78
	v_cndmask_b32_e32 v77, v77, v20, vcc
	s_waitcnt lgkmcnt(0)
	v_add_u32_e32 v19, v29, v19
	v_lshlrev_b32_e32 v77, 2, v77
	ds_bpermute_b32 v19, v77, v19
	v_cmp_eq_u32_e32 vcc, 0, v20
	s_waitcnt lgkmcnt(0)
	v_cndmask_b32_e32 v19, v19, v29, vcc
	v_cmp_ne_u32_e32 vcc, 0, v36
	v_cndmask_b32_e32 v19, 0, v19, vcc
	v_add_u32_e32 v16, v19, v16
	v_add_u32_e32 v17, v16, v17
	;; [unrolled: 1-line block ×3, first 2 shown]
	ds_write2_b32 v61, v19, v16 offset0:4 offset1:5
	ds_write2_b32 v76, v17, v18 offset0:2 offset1:3
	s_waitcnt lgkmcnt(0)
	s_barrier
	ds_read_b32 v16, v30 offset:16
	ds_read_b32 v17, v33 offset:16
	;; [unrolled: 1-line block ×8, first 2 shown]
	s_waitcnt lgkmcnt(7)
	v_add_u32_e32 v31, v16, v31
	s_waitcnt lgkmcnt(6)
	v_add3_u32 v32, v38, v32, v17
	s_waitcnt lgkmcnt(5)
	v_add3_u32 v18, v42, v39, v18
	;; [unrolled: 2-line block ×7, first 2 shown]
	s_barrier
	ds_write_b8 v31, v21
	ds_write_b8 v32, v22
	;; [unrolled: 1-line block ×8, first 2 shown]
	v_lshlrev_b32_e32 v21, 3, v31
	s_waitcnt lgkmcnt(0)
	s_barrier
	ds_read_b64 v[16:17], v53
	s_waitcnt lgkmcnt(0)
	s_barrier
	ds_write_b64 v21, v[12:13]
	v_lshlrev_b32_e32 v12, 3, v32
	ds_write_b64 v12, v[14:15]
	v_lshlrev_b32_e32 v12, 3, v18
	;; [unrolled: 2-line block ×8, first 2 shown]
	s_waitcnt lgkmcnt(0)
	s_barrier
	ds_read2_b64 v[18:21], v0 offset1:1
	ds_read2_b64 v[22:25], v0 offset0:2 offset1:3
	ds_read2_b64 v[26:29], v0 offset0:4 offset1:5
	;; [unrolled: 1-line block ×3, first 2 shown]
	v_lshrrev_b32_e32 v36, 8, v16
	v_mov_b32_e32 v1, 1
	v_lshrrev_b32_e32 v38, 8, v17
	v_xor_b32_e32 v0, 1, v16
	v_xor_b32_sdwa v2, v36, v1 dst_sel:BYTE_1 dst_unused:UNUSED_PAD src0_sel:DWORD src1_sel:DWORD
	v_xor_b32_sdwa v3, v16, v1 dst_sel:DWORD dst_unused:UNUSED_PAD src0_sel:WORD_1 src1_sel:DWORD
	v_xor_b32_sdwa v4, v16, v1 dst_sel:BYTE_1 dst_unused:UNUSED_PAD src0_sel:BYTE_3 src1_sel:DWORD
	v_xor_b32_e32 v5, 1, v17
	v_xor_b32_sdwa v6, v38, v1 dst_sel:BYTE_1 dst_unused:UNUSED_PAD src0_sel:DWORD src1_sel:DWORD
	v_xor_b32_sdwa v7, v17, v1 dst_sel:DWORD dst_unused:UNUSED_PAD src0_sel:WORD_1 src1_sel:DWORD
	v_xor_b32_sdwa v1, v17, v1 dst_sel:BYTE_1 dst_unused:UNUSED_PAD src0_sel:BYTE_3 src1_sel:DWORD
	v_or_b32_sdwa v0, v0, v2 dst_sel:DWORD dst_unused:UNUSED_PAD src0_sel:BYTE_0 src1_sel:DWORD
	v_or_b32_sdwa v2, v3, v4 dst_sel:WORD_1 dst_unused:UNUSED_PAD src0_sel:BYTE_0 src1_sel:DWORD
	v_or_b32_sdwa v0, v0, v2 dst_sel:DWORD dst_unused:UNUSED_PAD src0_sel:WORD_0 src1_sel:DWORD
	v_or_b32_sdwa v2, v5, v6 dst_sel:DWORD dst_unused:UNUSED_PAD src0_sel:BYTE_0 src1_sel:DWORD
	v_or_b32_sdwa v1, v7, v1 dst_sel:WORD_1 dst_unused:UNUSED_PAD src0_sel:BYTE_0 src1_sel:DWORD
	v_or_b32_sdwa v1, v2, v1 dst_sel:DWORD dst_unused:UNUSED_PAD src0_sel:WORD_0 src1_sel:DWORD
.LBB266_84:
	s_waitcnt lgkmcnt(0)
	s_barrier
	ds_write_b64 v52, v[0:1]
	s_waitcnt lgkmcnt(0)
	s_barrier
	ds_read_u8 v8, v45 offset:256
	ds_read_u8 v7, v46 offset:512
	;; [unrolled: 1-line block ×7, first 2 shown]
	v_mov_b32_e32 v1, s41
	v_add_co_u32_e32 v0, vcc, s40, v37
	v_addc_co_u32_e32 v1, vcc, 0, v1, vcc
	s_and_saveexec_b64 s[16:17], s[0:1]
	s_cbranch_execnz .LBB266_103
; %bb.85:
	s_or_b64 exec, exec, s[16:17]
	s_and_saveexec_b64 s[16:17], s[2:3]
	s_cbranch_execnz .LBB266_104
.LBB266_86:
	s_or_b64 exec, exec, s[16:17]
	s_and_saveexec_b64 s[16:17], s[4:5]
	s_cbranch_execnz .LBB266_105
.LBB266_87:
	s_or_b64 exec, exec, s[16:17]
	s_and_saveexec_b64 s[16:17], s[6:7]
	s_cbranch_execnz .LBB266_106
.LBB266_88:
	s_or_b64 exec, exec, s[16:17]
	s_and_saveexec_b64 s[16:17], s[8:9]
	s_cbranch_execnz .LBB266_107
.LBB266_89:
	s_or_b64 exec, exec, s[16:17]
	s_and_saveexec_b64 s[16:17], s[10:11]
	s_cbranch_execnz .LBB266_108
.LBB266_90:
	s_or_b64 exec, exec, s[16:17]
	s_and_saveexec_b64 s[16:17], s[12:13]
	s_cbranch_execnz .LBB266_109
.LBB266_91:
	s_or_b64 exec, exec, s[16:17]
	s_and_saveexec_b64 s[16:17], s[14:15]
	s_cbranch_execz .LBB266_93
.LBB266_92:
	s_mul_i32 s18, s38, 0x700
	v_add_co_u32_e32 v0, vcc, s18, v0
	v_addc_co_u32_e32 v1, vcc, 0, v1, vcc
	s_waitcnt lgkmcnt(0)
	global_store_byte v[0:1], v2, off
.LBB266_93:
	s_or_b64 exec, exec, s[16:17]
	s_waitcnt lgkmcnt(0)
	s_barrier
	ds_write2_b64 v60, v[18:19], v[20:21] offset1:1
	ds_write2_b64 v60, v[22:23], v[24:25] offset0:2 offset1:3
	ds_write2_b64 v60, v[26:27], v[28:29] offset0:4 offset1:5
	;; [unrolled: 1-line block ×3, first 2 shown]
	s_waitcnt lgkmcnt(0)
	s_barrier
	ds_read_b64 v[14:15], v35 offset:2048
	ds_read_b64 v[12:13], v54 offset:4096
	;; [unrolled: 1-line block ×7, first 2 shown]
	v_mov_b32_e32 v35, 0
	v_lshlrev_b64 v[2:3], 3, v[34:35]
	v_mov_b32_e32 v16, s35
	v_add_co_u32_e32 v2, vcc, s33, v2
	v_addc_co_u32_e32 v3, vcc, v16, v3, vcc
	s_and_saveexec_b64 s[16:17], s[0:1]
	s_cbranch_execnz .LBB266_110
; %bb.94:
	s_or_b64 exec, exec, s[16:17]
	s_and_saveexec_b64 s[0:1], s[2:3]
	s_cbranch_execnz .LBB266_111
.LBB266_95:
	s_or_b64 exec, exec, s[0:1]
	s_and_saveexec_b64 s[0:1], s[4:5]
	s_cbranch_execnz .LBB266_112
.LBB266_96:
	s_or_b64 exec, exec, s[0:1]
	s_and_saveexec_b64 s[0:1], s[6:7]
	s_cbranch_execnz .LBB266_113
.LBB266_97:
	s_or_b64 exec, exec, s[0:1]
	s_and_saveexec_b64 s[0:1], s[8:9]
	s_cbranch_execnz .LBB266_114
.LBB266_98:
	s_or_b64 exec, exec, s[0:1]
	s_and_saveexec_b64 s[0:1], s[10:11]
	s_cbranch_execnz .LBB266_115
.LBB266_99:
	s_or_b64 exec, exec, s[0:1]
	s_and_saveexec_b64 s[0:1], s[12:13]
	s_cbranch_execnz .LBB266_116
.LBB266_100:
	s_or_b64 exec, exec, s[0:1]
	s_and_saveexec_b64 s[0:1], s[14:15]
	s_cbranch_execz .LBB266_102
.LBB266_101:
	s_mul_i32 s0, s34, 0x700
	s_mov_b32 s1, 0
	s_lshl_b64 s[0:1], s[0:1], 3
	s_waitcnt lgkmcnt(1)
	v_mov_b32_e32 v4, s1
	v_add_co_u32_e32 v2, vcc, s0, v2
	v_addc_co_u32_e32 v3, vcc, v3, v4, vcc
	s_waitcnt lgkmcnt(0)
	global_store_dwordx2 v[2:3], v[0:1], off
.LBB266_102:
	s_endpgm
.LBB266_103:
	ds_read_u8 v9, v44
	s_waitcnt lgkmcnt(0)
	global_store_byte v[0:1], v9, off
	s_or_b64 exec, exec, s[16:17]
	s_and_saveexec_b64 s[16:17], s[2:3]
	s_cbranch_execz .LBB266_86
.LBB266_104:
	s_lshl_b32 s18, s38, 8
	v_add_co_u32_e32 v10, vcc, s18, v0
	v_addc_co_u32_e32 v11, vcc, 0, v1, vcc
	s_waitcnt lgkmcnt(6)
	global_store_byte v[10:11], v8, off
	s_or_b64 exec, exec, s[16:17]
	s_and_saveexec_b64 s[16:17], s[4:5]
	s_cbranch_execz .LBB266_87
.LBB266_105:
	s_lshl_b32 s18, s38, 9
	s_waitcnt lgkmcnt(6)
	v_add_co_u32_e32 v8, vcc, s18, v0
	v_addc_co_u32_e32 v9, vcc, 0, v1, vcc
	s_waitcnt lgkmcnt(5)
	global_store_byte v[8:9], v7, off
	s_or_b64 exec, exec, s[16:17]
	s_and_saveexec_b64 s[16:17], s[6:7]
	s_cbranch_execz .LBB266_88
.LBB266_106:
	s_mul_i32 s18, s38, 0x300
	s_waitcnt lgkmcnt(6)
	v_add_co_u32_e32 v8, vcc, s18, v0
	v_addc_co_u32_e32 v9, vcc, 0, v1, vcc
	s_waitcnt lgkmcnt(4)
	global_store_byte v[8:9], v6, off
	s_or_b64 exec, exec, s[16:17]
	s_and_saveexec_b64 s[16:17], s[8:9]
	s_cbranch_execz .LBB266_89
.LBB266_107:
	s_lshl_b32 s18, s38, 10
	s_waitcnt lgkmcnt(4)
	v_add_co_u32_e32 v6, vcc, s18, v0
	v_addc_co_u32_e32 v7, vcc, 0, v1, vcc
	s_waitcnt lgkmcnt(3)
	global_store_byte v[6:7], v5, off
	s_or_b64 exec, exec, s[16:17]
	s_and_saveexec_b64 s[16:17], s[10:11]
	s_cbranch_execz .LBB266_90
.LBB266_108:
	s_mul_i32 s18, s38, 0x500
	s_waitcnt lgkmcnt(4)
	v_add_co_u32_e32 v6, vcc, s18, v0
	v_addc_co_u32_e32 v7, vcc, 0, v1, vcc
	s_waitcnt lgkmcnt(2)
	global_store_byte v[6:7], v4, off
	s_or_b64 exec, exec, s[16:17]
	s_and_saveexec_b64 s[16:17], s[12:13]
	s_cbranch_execz .LBB266_91
.LBB266_109:
	s_mul_i32 s18, s38, 0x600
	s_waitcnt lgkmcnt(2)
	v_add_co_u32_e32 v4, vcc, s18, v0
	v_addc_co_u32_e32 v5, vcc, 0, v1, vcc
	s_waitcnt lgkmcnt(1)
	global_store_byte v[4:5], v3, off
	s_or_b64 exec, exec, s[16:17]
	s_and_saveexec_b64 s[16:17], s[14:15]
	s_cbranch_execnz .LBB266_92
	s_branch .LBB266_93
.LBB266_110:
	ds_read_b64 v[16:17], v41
	s_waitcnt lgkmcnt(0)
	global_store_dwordx2 v[2:3], v[16:17], off
	s_or_b64 exec, exec, s[16:17]
	s_and_saveexec_b64 s[0:1], s[2:3]
	s_cbranch_execz .LBB266_95
.LBB266_111:
	s_lshl_b32 s2, s34, 8
	s_mov_b32 s3, 0
	s_lshl_b64 s[2:3], s[2:3], 3
	v_mov_b32_e32 v17, s3
	v_add_co_u32_e32 v16, vcc, s2, v2
	v_addc_co_u32_e32 v17, vcc, v3, v17, vcc
	s_waitcnt lgkmcnt(6)
	global_store_dwordx2 v[16:17], v[14:15], off
	s_or_b64 exec, exec, s[0:1]
	s_and_saveexec_b64 s[0:1], s[4:5]
	s_cbranch_execz .LBB266_96
.LBB266_112:
	s_lshl_b32 s2, s34, 9
	s_mov_b32 s3, 0
	s_lshl_b64 s[2:3], s[2:3], 3
	s_waitcnt lgkmcnt(6)
	v_mov_b32_e32 v15, s3
	v_add_co_u32_e32 v14, vcc, s2, v2
	v_addc_co_u32_e32 v15, vcc, v3, v15, vcc
	s_waitcnt lgkmcnt(5)
	global_store_dwordx2 v[14:15], v[12:13], off
	s_or_b64 exec, exec, s[0:1]
	s_and_saveexec_b64 s[0:1], s[6:7]
	s_cbranch_execz .LBB266_97
.LBB266_113:
	s_mul_i32 s2, s34, 0x300
	s_mov_b32 s3, 0
	s_lshl_b64 s[2:3], s[2:3], 3
	s_waitcnt lgkmcnt(5)
	v_mov_b32_e32 v13, s3
	v_add_co_u32_e32 v12, vcc, s2, v2
	v_addc_co_u32_e32 v13, vcc, v3, v13, vcc
	s_waitcnt lgkmcnt(4)
	global_store_dwordx2 v[12:13], v[10:11], off
	s_or_b64 exec, exec, s[0:1]
	s_and_saveexec_b64 s[0:1], s[8:9]
	s_cbranch_execz .LBB266_98
.LBB266_114:
	s_lshl_b32 s2, s34, 10
	s_mov_b32 s3, 0
	s_lshl_b64 s[2:3], s[2:3], 3
	s_waitcnt lgkmcnt(4)
	v_mov_b32_e32 v11, s3
	v_add_co_u32_e32 v10, vcc, s2, v2
	v_addc_co_u32_e32 v11, vcc, v3, v11, vcc
	s_waitcnt lgkmcnt(3)
	global_store_dwordx2 v[10:11], v[8:9], off
	s_or_b64 exec, exec, s[0:1]
	s_and_saveexec_b64 s[0:1], s[10:11]
	s_cbranch_execz .LBB266_99
.LBB266_115:
	s_mul_i32 s2, s34, 0x500
	s_mov_b32 s3, 0
	s_lshl_b64 s[2:3], s[2:3], 3
	s_waitcnt lgkmcnt(3)
	v_mov_b32_e32 v9, s3
	v_add_co_u32_e32 v8, vcc, s2, v2
	v_addc_co_u32_e32 v9, vcc, v3, v9, vcc
	s_waitcnt lgkmcnt(2)
	global_store_dwordx2 v[8:9], v[6:7], off
	s_or_b64 exec, exec, s[0:1]
	s_and_saveexec_b64 s[0:1], s[12:13]
	s_cbranch_execz .LBB266_100
.LBB266_116:
	s_mul_i32 s2, s34, 0x600
	s_mov_b32 s3, 0
	s_lshl_b64 s[2:3], s[2:3], 3
	s_waitcnt lgkmcnt(2)
	v_mov_b32_e32 v7, s3
	v_add_co_u32_e32 v6, vcc, s2, v2
	v_addc_co_u32_e32 v7, vcc, v3, v7, vcc
	s_waitcnt lgkmcnt(1)
	global_store_dwordx2 v[6:7], v[4:5], off
	s_or_b64 exec, exec, s[0:1]
	s_and_saveexec_b64 s[0:1], s[14:15]
	s_cbranch_execnz .LBB266_101
	s_branch .LBB266_102
	.section	.rodata,"a",@progbits
	.p2align	6, 0x0
	.amdhsa_kernel _ZN2at6native18radixSortKVInPlaceILi2ELin1ELi256ELi8EbljEEvNS_4cuda6detail10TensorInfoIT3_T5_EES6_S6_S6_NS4_IT4_S6_EES6_b
		.amdhsa_group_segment_fixed_size 16896
		.amdhsa_private_segment_fixed_size 0
		.amdhsa_kernarg_size 712
		.amdhsa_user_sgpr_count 6
		.amdhsa_user_sgpr_private_segment_buffer 1
		.amdhsa_user_sgpr_dispatch_ptr 0
		.amdhsa_user_sgpr_queue_ptr 0
		.amdhsa_user_sgpr_kernarg_segment_ptr 1
		.amdhsa_user_sgpr_dispatch_id 0
		.amdhsa_user_sgpr_flat_scratch_init 0
		.amdhsa_user_sgpr_kernarg_preload_length 0
		.amdhsa_user_sgpr_kernarg_preload_offset 0
		.amdhsa_user_sgpr_private_segment_size 0
		.amdhsa_uses_dynamic_stack 0
		.amdhsa_system_sgpr_private_segment_wavefront_offset 0
		.amdhsa_system_sgpr_workgroup_id_x 1
		.amdhsa_system_sgpr_workgroup_id_y 1
		.amdhsa_system_sgpr_workgroup_id_z 1
		.amdhsa_system_sgpr_workgroup_info 0
		.amdhsa_system_vgpr_workitem_id 2
		.amdhsa_next_free_vgpr 105
		.amdhsa_next_free_sgpr 46
		.amdhsa_accum_offset 108
		.amdhsa_reserve_vcc 1
		.amdhsa_reserve_flat_scratch 0
		.amdhsa_float_round_mode_32 0
		.amdhsa_float_round_mode_16_64 0
		.amdhsa_float_denorm_mode_32 3
		.amdhsa_float_denorm_mode_16_64 3
		.amdhsa_dx10_clamp 1
		.amdhsa_ieee_mode 1
		.amdhsa_fp16_overflow 0
		.amdhsa_tg_split 0
		.amdhsa_exception_fp_ieee_invalid_op 0
		.amdhsa_exception_fp_denorm_src 0
		.amdhsa_exception_fp_ieee_div_zero 0
		.amdhsa_exception_fp_ieee_overflow 0
		.amdhsa_exception_fp_ieee_underflow 0
		.amdhsa_exception_fp_ieee_inexact 0
		.amdhsa_exception_int_div_zero 0
	.end_amdhsa_kernel
	.section	.text._ZN2at6native18radixSortKVInPlaceILi2ELin1ELi256ELi8EbljEEvNS_4cuda6detail10TensorInfoIT3_T5_EES6_S6_S6_NS4_IT4_S6_EES6_b,"axG",@progbits,_ZN2at6native18radixSortKVInPlaceILi2ELin1ELi256ELi8EbljEEvNS_4cuda6detail10TensorInfoIT3_T5_EES6_S6_S6_NS4_IT4_S6_EES6_b,comdat
.Lfunc_end266:
	.size	_ZN2at6native18radixSortKVInPlaceILi2ELin1ELi256ELi8EbljEEvNS_4cuda6detail10TensorInfoIT3_T5_EES6_S6_S6_NS4_IT4_S6_EES6_b, .Lfunc_end266-_ZN2at6native18radixSortKVInPlaceILi2ELin1ELi256ELi8EbljEEvNS_4cuda6detail10TensorInfoIT3_T5_EES6_S6_S6_NS4_IT4_S6_EES6_b
                                        ; -- End function
	.section	.AMDGPU.csdata,"",@progbits
; Kernel info:
; codeLenInByte = 8448
; NumSgprs: 50
; NumVgprs: 105
; NumAgprs: 0
; TotalNumVgprs: 105
; ScratchSize: 0
; MemoryBound: 0
; FloatMode: 240
; IeeeMode: 1
; LDSByteSize: 16896 bytes/workgroup (compile time only)
; SGPRBlocks: 6
; VGPRBlocks: 13
; NumSGPRsForWavesPerEU: 50
; NumVGPRsForWavesPerEU: 105
; AccumOffset: 108
; Occupancy: 3
; WaveLimiterHint : 1
; COMPUTE_PGM_RSRC2:SCRATCH_EN: 0
; COMPUTE_PGM_RSRC2:USER_SGPR: 6
; COMPUTE_PGM_RSRC2:TRAP_HANDLER: 0
; COMPUTE_PGM_RSRC2:TGID_X_EN: 1
; COMPUTE_PGM_RSRC2:TGID_Y_EN: 1
; COMPUTE_PGM_RSRC2:TGID_Z_EN: 1
; COMPUTE_PGM_RSRC2:TIDIG_COMP_CNT: 2
; COMPUTE_PGM_RSRC3_GFX90A:ACCUM_OFFSET: 26
; COMPUTE_PGM_RSRC3_GFX90A:TG_SPLIT: 0
	.section	.text._ZN2at6native18radixSortKVInPlaceILi2ELin1ELi128ELi8EbljEEvNS_4cuda6detail10TensorInfoIT3_T5_EES6_S6_S6_NS4_IT4_S6_EES6_b,"axG",@progbits,_ZN2at6native18radixSortKVInPlaceILi2ELin1ELi128ELi8EbljEEvNS_4cuda6detail10TensorInfoIT3_T5_EES6_S6_S6_NS4_IT4_S6_EES6_b,comdat
	.protected	_ZN2at6native18radixSortKVInPlaceILi2ELin1ELi128ELi8EbljEEvNS_4cuda6detail10TensorInfoIT3_T5_EES6_S6_S6_NS4_IT4_S6_EES6_b ; -- Begin function _ZN2at6native18radixSortKVInPlaceILi2ELin1ELi128ELi8EbljEEvNS_4cuda6detail10TensorInfoIT3_T5_EES6_S6_S6_NS4_IT4_S6_EES6_b
	.globl	_ZN2at6native18radixSortKVInPlaceILi2ELin1ELi128ELi8EbljEEvNS_4cuda6detail10TensorInfoIT3_T5_EES6_S6_S6_NS4_IT4_S6_EES6_b
	.p2align	8
	.type	_ZN2at6native18radixSortKVInPlaceILi2ELin1ELi128ELi8EbljEEvNS_4cuda6detail10TensorInfoIT3_T5_EES6_S6_S6_NS4_IT4_S6_EES6_b,@function
_ZN2at6native18radixSortKVInPlaceILi2ELin1ELi128ELi8EbljEEvNS_4cuda6detail10TensorInfoIT3_T5_EES6_S6_S6_NS4_IT4_S6_EES6_b: ; @_ZN2at6native18radixSortKVInPlaceILi2ELin1ELi128ELi8EbljEEvNS_4cuda6detail10TensorInfoIT3_T5_EES6_S6_S6_NS4_IT4_S6_EES6_b
; %bb.0:
	s_load_dwordx2 s[0:1], s[4:5], 0x1c8
	s_load_dwordx4 s[36:39], s[4:5], 0xd8
	s_add_u32 s42, s4, 0x1c8
	s_addc_u32 s43, s5, 0
	s_waitcnt lgkmcnt(0)
	s_mul_i32 s1, s1, s8
	s_add_i32 s1, s1, s7
	s_mul_i32 s8, s1, s0
	s_add_i32 s8, s8, s6
	s_cmp_ge_u32 s8, s36
	s_cbranch_scc1 .LBB267_102
; %bb.1:
	s_load_dword s9, s[4:5], 0xc
	s_load_dwordx2 s[0:1], s[4:5], 0x6c
	s_load_dword s6, s[4:5], 0x1b8
	s_add_u32 s14, s4, 0xe8
	s_load_dwordx2 s[2:3], s[4:5], 0x0
	s_waitcnt lgkmcnt(0)
	v_cvt_f32_u32_e32 v1, s9
	s_addc_u32 s15, s5, 0
	s_sub_i32 s7, 0, s9
	s_mov_b32 s17, 0
	v_rcp_iflag_f32_e32 v1, v1
	s_mov_b32 s16, s8
	v_mul_f32_e32 v1, 0x4f7ffffe, v1
	v_cvt_u32_f32_e32 v1, v1
	v_readfirstlane_b32 s10, v1
	s_mul_i32 s7, s7, s10
	s_mul_hi_u32 s7, s10, s7
	s_add_i32 s10, s10, s7
	s_mul_hi_u32 s10, s8, s10
	s_cmp_lt_i32 s6, 2
	s_cbranch_scc1 .LBB267_4
; %bb.2:
	s_add_i32 s16, s6, -1
	s_add_i32 s11, s6, 1
	s_lshl_b64 s[6:7], s[16:17], 2
	s_add_u32 s6, s6, s14
	s_addc_u32 s7, s7, s15
	s_add_u32 s6, s6, 8
	s_addc_u32 s7, s7, 0
	s_mov_b32 s16, s8
.LBB267_3:                              ; =>This Inner Loop Header: Depth=1
	s_load_dword s12, s[6:7], 0x0
	s_load_dword s18, s[6:7], 0x64
	s_mov_b32 s13, s16
	s_waitcnt lgkmcnt(0)
	v_cvt_f32_u32_e32 v1, s12
	s_sub_i32 s16, 0, s12
	v_rcp_iflag_f32_e32 v1, v1
	v_mul_f32_e32 v1, 0x4f7ffffe, v1
	v_cvt_u32_f32_e32 v1, v1
	v_readfirstlane_b32 s19, v1
	s_mul_i32 s16, s16, s19
	s_mul_hi_u32 s16, s19, s16
	s_add_i32 s19, s19, s16
	s_mul_hi_u32 s16, s13, s19
	s_mul_i32 s19, s16, s12
	s_sub_i32 s19, s13, s19
	s_add_i32 s20, s16, 1
	s_sub_i32 s21, s19, s12
	s_cmp_ge_u32 s19, s12
	s_cselect_b32 s16, s20, s16
	s_cselect_b32 s19, s21, s19
	s_add_i32 s20, s16, 1
	s_cmp_ge_u32 s19, s12
	s_cselect_b32 s16, s20, s16
	s_mul_i32 s12, s16, s12
	s_sub_i32 s12, s13, s12
	s_mul_i32 s12, s18, s12
	s_add_i32 s11, s11, -1
	s_add_i32 s17, s12, s17
	s_add_u32 s6, s6, -4
	s_addc_u32 s7, s7, -1
	s_cmp_gt_u32 s11, 2
	s_cbranch_scc1 .LBB267_3
.LBB267_4:
	s_mul_i32 s6, s10, s9
	s_sub_i32 s6, s8, s6
	s_add_i32 s7, s10, 1
	s_sub_i32 s11, s6, s9
	s_cmp_ge_u32 s6, s9
	s_cselect_b32 s7, s7, s10
	s_cselect_b32 s6, s11, s6
	s_add_i32 s10, s7, 1
	s_cmp_ge_u32 s6, s9
	s_cselect_b32 s6, s10, s7
	s_load_dwordx2 s[34:35], s[4:5], 0x1c0
	s_mul_i32 s7, s6, s9
	s_sub_i32 s4, s8, s7
	s_mul_i32 s4, s4, s1
	s_mul_i32 s0, s6, s0
	s_add_i32 s4, s0, s4
	s_waitcnt lgkmcnt(0)
	s_bitcmp1_b32 s35, 0
	s_cselect_b64 s[0:1], -1, 0
	s_add_u32 s40, s2, s4
	s_addc_u32 s41, s3, 0
	s_xor_b64 s[44:45], s[0:1], -1
	v_cndmask_b32_e64 v1, 0, 1, s[44:45]
	v_lshlrev_b16_e32 v2, 8, v1
	v_or_b32_e32 v2, v1, v2
	v_lshlrev_b32_e32 v3, 16, v2
	v_and_b32_e32 v36, 0x3ff, v0
	v_or_b32_sdwa v2, v2, v3 dst_sel:DWORD dst_unused:UNUSED_PAD src0_sel:WORD_0 src1_sel:DWORD
	v_mov_b32_e32 v3, v2
	v_cmp_gt_u32_e64 s[0:1], s37, v36
	v_mul_lo_u32 v37, v36, s38
	s_and_saveexec_b64 s[2:3], s[0:1]
	s_cbranch_execz .LBB267_6
; %bb.5:
	global_load_ubyte v1, v37, s[40:41]
	s_mov_b32 s4, 0x3020104
	v_mov_b32_e32 v5, v2
	s_waitcnt vmcnt(0)
	v_perm_b32 v4, v1, v2, s4
	v_pk_mov_b32 v[2:3], v[4:5], v[4:5] op_sel:[0,1]
.LBB267_6:
	s_or_b64 exec, exec, s[2:3]
	v_add_u32_e32 v32, 0x80, v36
	v_cmp_gt_u32_e64 s[2:3], s37, v32
	s_and_saveexec_b64 s[4:5], s[2:3]
	s_cbranch_execz .LBB267_8
; %bb.7:
	v_mul_lo_u32 v4, v32, s38
	global_load_ubyte v4, v4, s[40:41]
	s_mov_b32 s6, 0x7060004
	s_waitcnt vmcnt(0)
	v_perm_b32 v2, v2, v4, s6
.LBB267_8:
	s_or_b64 exec, exec, s[4:5]
	v_add_u32_e32 v31, 0x100, v36
	v_cmp_gt_u32_e64 s[4:5], s37, v31
	s_and_saveexec_b64 s[6:7], s[4:5]
	s_cbranch_execz .LBB267_10
; %bb.9:
	v_mul_lo_u32 v4, v31, s38
	global_load_ubyte v4, v4, s[40:41]
	s_movk_i32 s8, 0xff00
	v_and_b32_sdwa v5, v2, s8 dst_sel:DWORD dst_unused:UNUSED_PAD src0_sel:WORD_1 src1_sel:DWORD
	s_mov_b32 s8, 0xffff
	s_waitcnt vmcnt(0)
	v_or_b32_sdwa v4, v4, v5 dst_sel:WORD_1 dst_unused:UNUSED_PAD src0_sel:DWORD src1_sel:DWORD
	v_and_or_b32 v2, v2, s8, v4
.LBB267_10:
	s_or_b64 exec, exec, s[6:7]
	v_add_u32_e32 v30, 0x180, v36
	v_cmp_gt_u32_e64 s[6:7], s37, v30
	s_and_saveexec_b64 s[8:9], s[6:7]
	s_cbranch_execz .LBB267_12
; %bb.11:
	v_mul_lo_u32 v4, v30, s38
	global_load_ubyte v4, v4, s[40:41]
	s_movk_i32 s10, 0xff
	v_and_b32_sdwa v5, v2, s10 dst_sel:DWORD dst_unused:UNUSED_PAD src0_sel:WORD_1 src1_sel:DWORD
	s_mov_b32 s10, 0xffff
	s_waitcnt vmcnt(0)
	v_lshlrev_b16_e32 v4, 8, v4
	v_or_b32_sdwa v4, v5, v4 dst_sel:WORD_1 dst_unused:UNUSED_PAD src0_sel:DWORD src1_sel:DWORD
	v_and_or_b32 v2, v2, s10, v4
.LBB267_12:
	s_or_b64 exec, exec, s[8:9]
	v_add_u32_e32 v29, 0x200, v36
	v_cmp_gt_u32_e64 s[8:9], s37, v29
	s_and_saveexec_b64 s[10:11], s[8:9]
	s_cbranch_execz .LBB267_14
; %bb.13:
	v_mul_lo_u32 v4, v29, s38
	global_load_ubyte v4, v4, s[40:41]
	s_mov_b32 s12, 0x3020104
	s_waitcnt vmcnt(0)
	v_perm_b32 v3, v4, v3, s12
.LBB267_14:
	s_or_b64 exec, exec, s[10:11]
	v_add_u32_e32 v28, 0x280, v36
	v_cmp_gt_u32_e64 s[10:11], s37, v28
	s_and_saveexec_b64 s[12:13], s[10:11]
	s_cbranch_execz .LBB267_16
; %bb.15:
	v_mul_lo_u32 v4, v28, s38
	global_load_ubyte v4, v4, s[40:41]
	s_mov_b32 s18, 0x7060004
	s_waitcnt vmcnt(0)
	v_perm_b32 v3, v3, v4, s18
.LBB267_16:
	s_or_b64 exec, exec, s[12:13]
	s_load_dwordx2 s[18:19], s[14:15], 0x0
	v_add_u32_e32 v27, 0x300, v36
	v_cmp_gt_u32_e64 s[12:13], s37, v27
	s_and_saveexec_b64 s[20:21], s[12:13]
	s_cbranch_execz .LBB267_18
; %bb.17:
	v_mul_lo_u32 v4, v27, s38
	global_load_ubyte v4, v4, s[40:41]
	s_mov_b32 s22, 0x7000504
	s_waitcnt vmcnt(0)
	v_perm_b32 v3, v3, v4, s22
.LBB267_18:
	s_or_b64 exec, exec, s[20:21]
	s_load_dword s22, s[14:15], 0x6c
	v_add_u32_e32 v22, 0x380, v36
	v_cmp_gt_u32_e64 s[14:15], s37, v22
	s_and_saveexec_b64 s[20:21], s[14:15]
	s_cbranch_execz .LBB267_20
; %bb.19:
	v_mul_lo_u32 v4, v22, s38
	global_load_ubyte v4, v4, s[40:41]
	s_mov_b32 s23, 0x60504
	s_waitcnt vmcnt(0)
	v_perm_b32 v3, v3, v4, s23
.LBB267_20:
	s_or_b64 exec, exec, s[20:21]
	v_lshrrev_b32_e32 v26, 5, v36
	v_and_b32_e32 v4, 28, v26
	v_add_u32_e32 v44, v4, v36
	v_lshrrev_b32_e32 v25, 5, v32
	ds_write_b8 v44, v1
	v_and_b32_e32 v1, 60, v25
	v_lshrrev_b32_e32 v24, 5, v31
	v_add_u32_e32 v45, v1, v36
	v_and_b32_e32 v1, 60, v24
	v_lshrrev_b32_e32 v23, 5, v30
	v_add_u32_e32 v46, v1, v36
	;; [unrolled: 3-line block ×3, first 2 shown]
	v_and_b32_e32 v1, 60, v21
	v_lshrrev_b32_e32 v19, 5, v28
	v_lshrrev_b32_e32 v4, 8, v2
	v_add_u32_e32 v48, v1, v36
	v_and_b32_e32 v1, 60, v19
	v_lshrrev_b32_e32 v18, 5, v27
	ds_write_b8 v45, v4 offset:128
	ds_write_b8_d16_hi v46, v2 offset:256
	v_lshrrev_b32_e32 v2, 24, v2
	v_add_u32_e32 v49, v1, v36
	v_and_b32_e32 v1, 60, v18
	ds_write_b8 v47, v2 offset:384
	v_lshrrev_b32_e32 v2, 8, v3
	v_add_u32_e32 v50, v1, v36
	v_lshrrev_b32_e32 v1, 5, v22
	ds_write_b8 v48, v3 offset:512
	ds_write_b8 v49, v2 offset:640
	v_and_b32_e32 v2, 60, v1
	v_lshrrev_b32_e32 v20, 2, v36
	v_add_u32_e32 v51, v2, v36
	v_lshlrev_b32_e32 v53, 3, v36
	v_and_b32_e32 v2, 0xfc, v20
	s_waitcnt lgkmcnt(0)
	s_mul_i32 s16, s22, s16
	ds_write_b8_d16_hi v50, v3 offset:768
	v_lshrrev_b32_e32 v3, 24, v3
	v_add_u32_e32 v52, v2, v53
	s_add_i32 s16, s16, s17
	s_mov_b32 s17, 0
	ds_write_b8 v51, v3 offset:896
	s_waitcnt lgkmcnt(0)
	s_barrier
	ds_read_b64 v[38:39], v52
	s_lshl_b64 s[20:21], s[16:17], 3
	s_add_u32 s33, s18, s20
	s_mov_b32 s16, s17
	s_addc_u32 s35, s19, s21
	s_mov_b32 s18, s17
	s_mov_b32 s19, s17
	;; [unrolled: 1-line block ×14, first 2 shown]
	v_pk_mov_b32 v[2:3], s[16:17], s[16:17] op_sel:[0,1]
	v_pk_mov_b32 v[4:5], s[18:19], s[18:19] op_sel:[0,1]
	;; [unrolled: 1-line block ×8, first 2 shown]
	v_pk_mov_b32 v[2:3], 0, 0
	v_mul_lo_u32 v34, v36, s34
	s_waitcnt lgkmcnt(0)
	s_barrier
	s_and_saveexec_b64 s[16:17], s[0:1]
	s_cbranch_execnz .LBB267_53
; %bb.21:
	s_or_b64 exec, exec, s[16:17]
	s_and_saveexec_b64 s[16:17], s[2:3]
	s_cbranch_execnz .LBB267_54
.LBB267_22:
	s_or_b64 exec, exec, s[16:17]
	s_and_saveexec_b64 s[16:17], s[4:5]
	s_cbranch_execnz .LBB267_55
.LBB267_23:
	s_or_b64 exec, exec, s[16:17]
	s_and_saveexec_b64 s[16:17], s[6:7]
	s_cbranch_execnz .LBB267_56
.LBB267_24:
	s_or_b64 exec, exec, s[16:17]
	s_and_saveexec_b64 s[16:17], s[8:9]
	s_cbranch_execnz .LBB267_57
.LBB267_25:
	s_or_b64 exec, exec, s[16:17]
	s_and_saveexec_b64 s[16:17], s[10:11]
	s_cbranch_execnz .LBB267_58
.LBB267_26:
	s_or_b64 exec, exec, s[16:17]
	s_and_saveexec_b64 s[16:17], s[12:13]
	s_cbranch_execnz .LBB267_59
.LBB267_27:
	s_or_b64 exec, exec, s[16:17]
	s_and_saveexec_b64 s[16:17], s[14:15]
	s_cbranch_execz .LBB267_29
.LBB267_28:
	v_mul_lo_u32 v16, v22, s34
	v_mov_b32_e32 v17, 0
	v_lshlrev_b64 v[16:17], 3, v[16:17]
	v_mov_b32_e32 v22, s35
	v_add_co_u32_e32 v16, vcc, s33, v16
	v_addc_co_u32_e32 v17, vcc, v22, v17, vcc
	global_load_dwordx2 v[16:17], v[16:17], off
.LBB267_29:
	s_or_b64 exec, exec, s[16:17]
	v_lshrrev_b64 v[40:41], 24, v[38:39]
	v_add_lshl_u32 v41, v26, v36, 3
	v_add_lshl_u32 v35, v25, v36, 3
	;; [unrolled: 1-line block ×9, first 2 shown]
	s_waitcnt vmcnt(0)
	ds_write_b64 v41, v[2:3]
	ds_write_b64 v35, v[4:5] offset:1024
	ds_write_b64 v54, v[6:7] offset:2048
	;; [unrolled: 1-line block ×7, first 2 shown]
	s_waitcnt lgkmcnt(0)
	s_barrier
	ds_read2_b64 v[14:17], v60 offset1:1
	ds_read2_b64 v[10:13], v60 offset0:2 offset1:3
	ds_read2_b64 v[6:9], v60 offset0:4 offset1:5
	;; [unrolled: 1-line block ×3, first 2 shown]
	v_lshrrev_b32_e32 v64, 8, v38
	v_lshrrev_b32_e32 v65, 8, v39
	s_and_b64 vcc, exec, s[44:45]
	v_bfe_u32 v62, v0, 10, 10
	v_bfe_u32 v63, v0, 20, 10
	v_mbcnt_lo_u32_b32 v66, -1, 0
	v_lshlrev_b32_e32 v61, 4, v36
	s_waitcnt lgkmcnt(0)
	s_barrier
	s_cbranch_vccz .LBB267_60
; %bb.30:
	s_movk_i32 s16, 0xff
	v_mov_b32_e32 v1, 8
	v_lshlrev_b16_e32 v0, 8, v65
	v_lshlrev_b16_sdwa v1, v1, v39 dst_sel:DWORD dst_unused:UNUSED_PAD src0_sel:DWORD src1_sel:BYTE_3
	v_and_b32_sdwa v20, v39, s16 dst_sel:DWORD dst_unused:UNUSED_PAD src0_sel:WORD_1 src1_sel:DWORD
	v_or_b32_sdwa v0, v39, v0 dst_sel:DWORD dst_unused:UNUSED_PAD src0_sel:BYTE_0 src1_sel:DWORD
	v_or_b32_sdwa v1, v20, v1 dst_sel:WORD_1 dst_unused:UNUSED_PAD src0_sel:DWORD src1_sel:DWORD
	v_mbcnt_hi_u32_b32 v75, -1, v66
	v_and_b32_e32 v76, 0x3c0, v36
	v_or_b32_sdwa v1, v0, v1 dst_sel:DWORD dst_unused:UNUSED_PAD src0_sel:WORD_0 src1_sel:DWORD
	v_lshlrev_b16_e32 v0, 8, v64
	v_lshlrev_b16_e32 v20, 8, v40
	v_and_b32_sdwa v21, v38, s16 dst_sel:DWORD dst_unused:UNUSED_PAD src0_sel:WORD_1 src1_sel:DWORD
	v_add_u32_e32 v18, v75, v76
	v_or_b32_sdwa v0, v38, v0 dst_sel:DWORD dst_unused:UNUSED_PAD src0_sel:BYTE_0 src1_sel:DWORD
	v_or_b32_sdwa v20, v21, v20 dst_sel:WORD_1 dst_unused:UNUSED_PAD src0_sel:DWORD src1_sel:DWORD
	v_lshlrev_b32_e32 v19, 3, v18
	v_or_b32_sdwa v0, v0, v20 dst_sel:DWORD dst_unused:UNUSED_PAD src0_sel:WORD_0 src1_sel:DWORD
	s_movk_i32 s16, 0x1e00
	ds_write_b64 v19, v[0:1]
	v_and_or_b32 v0, v53, s16, v75
	; wave barrier
	ds_read_u8 v67, v0
	ds_read_u8 v68, v0 offset:64
	ds_read_u8 v69, v0 offset:128
	;; [unrolled: 1-line block ×7, first 2 shown]
	v_lshlrev_b32_e32 v1, 6, v18
	v_lshlrev_b32_e32 v0, 3, v0
	s_getpc_b64 s[16:17]
	s_add_u32 s16, s16, _ZN7rocprim17ROCPRIM_400000_NS16block_radix_sortIbLj128ELj8ElLj1ELj1ELj0ELNS0_26block_radix_rank_algorithmE1ELNS0_18block_padding_hintE2ELNS0_4arch9wavefront6targetE1EE19radix_bits_per_passE@rel32@lo+4
	s_addc_u32 s17, s17, _ZN7rocprim17ROCPRIM_400000_NS16block_radix_sortIbLj128ELj8ElLj1ELj1ELj0ELNS0_26block_radix_rank_algorithmE1ELNS0_18block_padding_hintE2ELNS0_4arch9wavefront6targetE1EE19radix_bits_per_passE@rel32@hi+12
	s_waitcnt lgkmcnt(0)
	s_barrier
	ds_write2_b64 v1, v[14:15], v[16:17] offset1:1
	ds_write2_b64 v1, v[10:11], v[12:13] offset0:2 offset1:3
	ds_write2_b64 v1, v[6:7], v[8:9] offset0:4 offset1:5
	;; [unrolled: 1-line block ×3, first 2 shown]
	; wave barrier
	ds_read2st64_b64 v[30:33], v0 offset1:1
	ds_read2st64_b64 v[26:29], v0 offset0:2 offset1:3
	ds_read2st64_b64 v[22:25], v0 offset0:4 offset1:5
	;; [unrolled: 1-line block ×3, first 2 shown]
	s_waitcnt lgkmcnt(0)
	s_barrier
	s_load_dword s18, s[16:17], 0x0
	s_load_dword s19, s[42:43], 0xc
	s_waitcnt lgkmcnt(0)
	s_min_u32 s18, s18, 8
	s_lshr_b32 s16, s19, 16
	s_and_b32 s17, s19, 0xffff
	v_mad_u32_u24 v0, v63, s16, v62
	v_mad_u64_u32 v[0:1], s[16:17], v0, s17, v[36:37]
	s_lshl_b32 s16, -1, s18
	s_not_b32 s18, s16
	v_lshrrev_b32_e32 v42, 6, v0
	v_and_b32_e32 v0, s18, v67
	v_mov_b32_e32 v1, 0
	v_and_b32_e32 v0, 1, v0
	ds_write2_b32 v61, v1, v1 offset0:2 offset1:3
	ds_write2_b32 v61, v1, v1 offset0:4 offset1:5
	v_lshlrev_b32_e32 v1, 1, v0
	v_cmp_ne_u32_e32 vcc, 0, v0
	v_add_co_u32_e64 v0, s[16:17], -1, v0
	v_add_lshl_u32 v77, v42, v1, 2
	v_addc_co_u32_e64 v1, s[16:17], 0, -1, s[16:17]
	v_xor_b32_e32 v0, vcc_lo, v0
	v_xor_b32_e32 v1, vcc_hi, v1
	v_and_b32_e32 v0, exec_lo, v0
	v_and_b32_e32 v1, exec_hi, v1
	v_mbcnt_lo_u32_b32 v43, v0, 0
	v_mbcnt_hi_u32_b32 v78, v1, v43
	v_cmp_eq_u32_e32 vcc, 0, v78
	v_cmp_ne_u64_e64 s[16:17], 0, v[0:1]
	s_and_b64 s[20:21], s[16:17], vcc
	s_waitcnt lgkmcnt(0)
	s_barrier
	s_waitcnt lgkmcnt(0)
	; wave barrier
	s_and_saveexec_b64 s[16:17], s[20:21]
	s_cbranch_execz .LBB267_32
; %bb.31:
	v_bcnt_u32_b32 v0, v0, 0
	v_bcnt_u32_b32 v0, v1, v0
	ds_write_b32 v77, v0 offset:8
.LBB267_32:
	s_or_b64 exec, exec, s[16:17]
	v_and_b32_e32 v0, s18, v68
	v_and_b32_e32 v0, 0xff, v0
	v_lshlrev_b32_e32 v1, 1, v0
	v_cmp_ne_u32_e32 vcc, 0, v0
	v_add_co_u32_e64 v0, s[16:17], -1, v0
	v_add_lshl_u32 v80, v42, v1, 2
	v_addc_co_u32_e64 v1, s[16:17], 0, -1, s[16:17]
	v_xor_b32_e32 v0, vcc_lo, v0
	; wave barrier
	ds_read_b32 v79, v80 offset:8
	v_xor_b32_e32 v1, vcc_hi, v1
	v_and_b32_e32 v0, exec_lo, v0
	v_and_b32_e32 v1, exec_hi, v1
	v_mbcnt_lo_u32_b32 v43, v0, 0
	v_mbcnt_hi_u32_b32 v81, v1, v43
	v_cmp_eq_u32_e32 vcc, 0, v81
	v_cmp_ne_u64_e64 s[16:17], 0, v[0:1]
	s_and_b64 s[20:21], s[16:17], vcc
	; wave barrier
	s_and_saveexec_b64 s[16:17], s[20:21]
	s_cbranch_execz .LBB267_34
; %bb.33:
	v_bcnt_u32_b32 v0, v0, 0
	v_bcnt_u32_b32 v0, v1, v0
	s_waitcnt lgkmcnt(0)
	v_add_u32_e32 v0, v79, v0
	ds_write_b32 v80, v0 offset:8
.LBB267_34:
	s_or_b64 exec, exec, s[16:17]
	v_and_b32_e32 v0, s18, v69
	v_and_b32_e32 v0, 0xff, v0
	v_lshlrev_b32_e32 v1, 1, v0
	v_cmp_ne_u32_e32 vcc, 0, v0
	v_add_co_u32_e64 v0, s[16:17], -1, v0
	v_add_lshl_u32 v83, v42, v1, 2
	v_addc_co_u32_e64 v1, s[16:17], 0, -1, s[16:17]
	v_xor_b32_e32 v0, vcc_lo, v0
	; wave barrier
	ds_read_b32 v82, v83 offset:8
	v_xor_b32_e32 v1, vcc_hi, v1
	v_and_b32_e32 v0, exec_lo, v0
	v_and_b32_e32 v1, exec_hi, v1
	v_mbcnt_lo_u32_b32 v43, v0, 0
	v_mbcnt_hi_u32_b32 v84, v1, v43
	v_cmp_eq_u32_e32 vcc, 0, v84
	v_cmp_ne_u64_e64 s[16:17], 0, v[0:1]
	s_and_b64 s[20:21], s[16:17], vcc
	; wave barrier
	s_and_saveexec_b64 s[16:17], s[20:21]
	s_cbranch_execz .LBB267_36
; %bb.35:
	v_bcnt_u32_b32 v0, v0, 0
	v_bcnt_u32_b32 v0, v1, v0
	s_waitcnt lgkmcnt(0)
	v_add_u32_e32 v0, v82, v0
	ds_write_b32 v83, v0 offset:8
.LBB267_36:
	;; [unrolled: 29-line block ×6, first 2 shown]
	s_or_b64 exec, exec, s[16:17]
	v_and_b32_e32 v0, s18, v74
	v_and_b32_e32 v0, 0xff, v0
	v_lshlrev_b32_e32 v1, 1, v0
	v_cmp_ne_u32_e32 vcc, 0, v0
	v_add_co_u32_e64 v0, s[16:17], -1, v0
	v_add_lshl_u32 v98, v42, v1, 2
	v_addc_co_u32_e64 v1, s[16:17], 0, -1, s[16:17]
	v_xor_b32_e32 v0, vcc_lo, v0
	; wave barrier
	ds_read_b32 v97, v98 offset:8
	v_xor_b32_e32 v1, vcc_hi, v1
	v_and_b32_e32 v0, exec_lo, v0
	v_and_b32_e32 v1, exec_hi, v1
	v_mbcnt_lo_u32_b32 v42, v0, 0
	v_mbcnt_hi_u32_b32 v99, v1, v42
	v_cmp_eq_u32_e32 vcc, 0, v99
	v_cmp_ne_u64_e64 s[16:17], 0, v[0:1]
	v_or_b32_e32 v100, 8, v61
	s_and_b64 s[18:19], s[16:17], vcc
	; wave barrier
	s_and_saveexec_b64 s[16:17], s[18:19]
	s_cbranch_execz .LBB267_46
; %bb.45:
	v_bcnt_u32_b32 v0, v0, 0
	v_bcnt_u32_b32 v0, v1, v0
	s_waitcnt lgkmcnt(0)
	v_add_u32_e32 v0, v97, v0
	ds_write_b32 v98, v0 offset:8
.LBB267_46:
	s_or_b64 exec, exec, s[16:17]
	; wave barrier
	s_waitcnt lgkmcnt(0)
	s_barrier
	ds_read2_b32 v[0:1], v61 offset0:2 offset1:3
	ds_read2_b32 v[42:43], v100 offset0:2 offset1:3
	v_min_u32_e32 v76, 64, v76
	v_or_b32_e32 v76, 63, v76
	s_waitcnt lgkmcnt(1)
	v_add_u32_e32 v101, v1, v0
	s_waitcnt lgkmcnt(0)
	v_add3_u32 v43, v101, v42, v43
	v_and_b32_e32 v101, 15, v75
	v_cmp_ne_u32_e32 vcc, 0, v101
	v_mov_b32_dpp v102, v43 row_shr:1 row_mask:0xf bank_mask:0xf
	v_cndmask_b32_e32 v102, 0, v102, vcc
	v_add_u32_e32 v43, v102, v43
	v_cmp_lt_u32_e32 vcc, 1, v101
	s_nop 0
	v_mov_b32_dpp v102, v43 row_shr:2 row_mask:0xf bank_mask:0xf
	v_cndmask_b32_e32 v102, 0, v102, vcc
	v_add_u32_e32 v43, v43, v102
	v_cmp_lt_u32_e32 vcc, 3, v101
	s_nop 0
	;; [unrolled: 5-line block ×3, first 2 shown]
	v_mov_b32_dpp v102, v43 row_shr:8 row_mask:0xf bank_mask:0xf
	v_cndmask_b32_e32 v101, 0, v102, vcc
	v_add_u32_e32 v43, v43, v101
	v_bfe_i32 v102, v75, 4, 1
	v_cmp_lt_u32_e32 vcc, 31, v75
	v_mov_b32_dpp v101, v43 row_bcast:15 row_mask:0xf bank_mask:0xf
	v_and_b32_e32 v101, v102, v101
	v_add_u32_e32 v43, v43, v101
	s_nop 1
	v_mov_b32_dpp v101, v43 row_bcast:31 row_mask:0xf bank_mask:0xf
	v_cndmask_b32_e32 v101, 0, v101, vcc
	v_add_u32_e32 v43, v43, v101
	v_lshrrev_b32_e32 v101, 6, v36
	v_cmp_eq_u32_e32 vcc, v76, v36
	s_and_saveexec_b64 s[16:17], vcc
	s_cbranch_execz .LBB267_48
; %bb.47:
	v_lshlrev_b32_e32 v76, 2, v101
	ds_write_b32 v76, v43
.LBB267_48:
	s_or_b64 exec, exec, s[16:17]
	v_cmp_gt_u32_e32 vcc, 2, v36
	s_waitcnt lgkmcnt(0)
	s_barrier
	s_and_saveexec_b64 s[16:17], vcc
	s_cbranch_execz .LBB267_50
; %bb.49:
	v_lshlrev_b32_e32 v76, 2, v36
	ds_read_b32 v102, v76
	v_bfe_i32 v103, v75, 0, 1
	s_waitcnt lgkmcnt(0)
	v_mov_b32_dpp v104, v102 row_shr:1 row_mask:0xf bank_mask:0xf
	v_and_b32_e32 v103, v103, v104
	v_add_u32_e32 v102, v103, v102
	ds_write_b32 v76, v102
.LBB267_50:
	s_or_b64 exec, exec, s[16:17]
	v_cmp_lt_u32_e32 vcc, 63, v36
	v_mov_b32_e32 v76, 0
	s_waitcnt lgkmcnt(0)
	s_barrier
	s_and_saveexec_b64 s[16:17], vcc
	s_cbranch_execz .LBB267_52
; %bb.51:
	v_lshl_add_u32 v76, v101, 2, -4
	ds_read_b32 v76, v76
.LBB267_52:
	s_or_b64 exec, exec, s[16:17]
	v_add_u32_e32 v101, -1, v75
	v_and_b32_e32 v102, 64, v75
	v_cmp_lt_i32_e32 vcc, v101, v102
	v_cndmask_b32_e32 v101, v101, v75, vcc
	s_waitcnt lgkmcnt(0)
	v_add_u32_e32 v43, v76, v43
	v_lshlrev_b32_e32 v101, 2, v101
	ds_bpermute_b32 v43, v101, v43
	v_cmp_eq_u32_e32 vcc, 0, v75
	s_waitcnt lgkmcnt(0)
	v_cndmask_b32_e32 v43, v43, v76, vcc
	v_cmp_ne_u32_e32 vcc, 0, v36
	v_cndmask_b32_e32 v43, 0, v43, vcc
	v_add_u32_e32 v0, v43, v0
	v_add_u32_e32 v1, v0, v1
	v_add_u32_e32 v42, v1, v42
	ds_write2_b32 v61, v43, v0 offset0:2 offset1:3
	ds_write2_b32 v100, v1, v42 offset0:2 offset1:3
	s_waitcnt lgkmcnt(0)
	s_barrier
	ds_read_b32 v0, v77 offset:8
	ds_read_b32 v1, v80 offset:8
	;; [unrolled: 1-line block ×8, first 2 shown]
	s_waitcnt lgkmcnt(7)
	v_add_u32_e32 v78, v0, v78
	s_waitcnt lgkmcnt(6)
	v_add3_u32 v79, v81, v79, v1
	s_waitcnt lgkmcnt(5)
	v_add3_u32 v42, v84, v82, v42
	;; [unrolled: 2-line block ×7, first 2 shown]
	s_barrier
	ds_write_b8 v78, v67
	ds_write_b8 v79, v68
	;; [unrolled: 1-line block ×8, first 2 shown]
	v_lshlrev_b32_e32 v67, 3, v78
	s_waitcnt lgkmcnt(0)
	s_barrier
	ds_read_b64 v[0:1], v53
	s_waitcnt lgkmcnt(0)
	s_barrier
	ds_write_b64 v67, v[30:31]
	v_lshlrev_b32_e32 v30, 3, v79
	ds_write_b64 v30, v[32:33]
	v_lshlrev_b32_e32 v30, 3, v42
	;; [unrolled: 2-line block ×7, first 2 shown]
	v_lshlrev_b32_e32 v30, 3, v53
	ds_write_b64 v18, v[20:21]
	s_waitcnt lgkmcnt(0)
	s_barrier
	ds_read2_b64 v[18:21], v30 offset1:1
	ds_read2_b64 v[22:25], v30 offset0:2 offset1:3
	ds_read2_b64 v[26:29], v30 offset0:4 offset1:5
	;; [unrolled: 1-line block ×3, first 2 shown]
	s_branch .LBB267_84
.LBB267_53:
	v_mov_b32_e32 v35, 0
	v_lshlrev_b64 v[2:3], 3, v[34:35]
	v_mov_b32_e32 v4, s35
	v_add_co_u32_e32 v2, vcc, s33, v2
	v_addc_co_u32_e32 v3, vcc, v4, v3, vcc
	global_load_dwordx2 v[2:3], v[2:3], off
	v_mov_b32_e32 v4, v35
	v_mov_b32_e32 v5, v35
	;; [unrolled: 1-line block ×14, first 2 shown]
	s_or_b64 exec, exec, s[16:17]
	s_and_saveexec_b64 s[16:17], s[2:3]
	s_cbranch_execz .LBB267_22
.LBB267_54:
	v_mul_lo_u32 v4, v32, s34
	v_mov_b32_e32 v5, 0
	v_lshlrev_b64 v[4:5], 3, v[4:5]
	v_mov_b32_e32 v32, s35
	v_add_co_u32_e32 v4, vcc, s33, v4
	v_addc_co_u32_e32 v5, vcc, v32, v5, vcc
	global_load_dwordx2 v[4:5], v[4:5], off
	s_or_b64 exec, exec, s[16:17]
	s_and_saveexec_b64 s[16:17], s[4:5]
	s_cbranch_execz .LBB267_23
.LBB267_55:
	v_mul_lo_u32 v6, v31, s34
	v_mov_b32_e32 v7, 0
	v_lshlrev_b64 v[6:7], 3, v[6:7]
	v_mov_b32_e32 v31, s35
	v_add_co_u32_e32 v6, vcc, s33, v6
	v_addc_co_u32_e32 v7, vcc, v31, v7, vcc
	global_load_dwordx2 v[6:7], v[6:7], off
	s_or_b64 exec, exec, s[16:17]
	s_and_saveexec_b64 s[16:17], s[6:7]
	s_cbranch_execz .LBB267_24
.LBB267_56:
	v_mul_lo_u32 v8, v30, s34
	v_mov_b32_e32 v9, 0
	v_lshlrev_b64 v[8:9], 3, v[8:9]
	v_mov_b32_e32 v30, s35
	v_add_co_u32_e32 v8, vcc, s33, v8
	v_addc_co_u32_e32 v9, vcc, v30, v9, vcc
	global_load_dwordx2 v[8:9], v[8:9], off
	s_or_b64 exec, exec, s[16:17]
	s_and_saveexec_b64 s[16:17], s[8:9]
	s_cbranch_execz .LBB267_25
.LBB267_57:
	v_mul_lo_u32 v10, v29, s34
	v_mov_b32_e32 v11, 0
	v_lshlrev_b64 v[10:11], 3, v[10:11]
	v_mov_b32_e32 v29, s35
	v_add_co_u32_e32 v10, vcc, s33, v10
	v_addc_co_u32_e32 v11, vcc, v29, v11, vcc
	global_load_dwordx2 v[10:11], v[10:11], off
	s_or_b64 exec, exec, s[16:17]
	s_and_saveexec_b64 s[16:17], s[10:11]
	s_cbranch_execz .LBB267_26
.LBB267_58:
	v_mul_lo_u32 v12, v28, s34
	v_mov_b32_e32 v13, 0
	v_lshlrev_b64 v[12:13], 3, v[12:13]
	v_mov_b32_e32 v28, s35
	v_add_co_u32_e32 v12, vcc, s33, v12
	v_addc_co_u32_e32 v13, vcc, v28, v13, vcc
	global_load_dwordx2 v[12:13], v[12:13], off
	s_or_b64 exec, exec, s[16:17]
	s_and_saveexec_b64 s[16:17], s[12:13]
	s_cbranch_execz .LBB267_27
.LBB267_59:
	v_mul_lo_u32 v14, v27, s34
	v_mov_b32_e32 v15, 0
	v_lshlrev_b64 v[14:15], 3, v[14:15]
	v_mov_b32_e32 v27, s35
	v_add_co_u32_e32 v14, vcc, s33, v14
	v_addc_co_u32_e32 v15, vcc, v27, v15, vcc
	global_load_dwordx2 v[14:15], v[14:15], off
	s_or_b64 exec, exec, s[16:17]
	s_and_saveexec_b64 s[16:17], s[14:15]
	s_cbranch_execnz .LBB267_28
	s_branch .LBB267_29
.LBB267_60:
                                        ; implicit-def: $vgpr1
                                        ; implicit-def: $vgpr32_vgpr33
                                        ; implicit-def: $vgpr28_vgpr29
                                        ; implicit-def: $vgpr24_vgpr25
                                        ; implicit-def: $vgpr20_vgpr21
	s_cbranch_execz .LBB267_84
; %bb.61:
	v_and_b32_e32 v0, 1, v65
	v_cmp_eq_u32_e32 vcc, 1, v0
	v_and_b32_e32 v0, 1, v39
	v_cmp_eq_u32_e64 s[16:17], 1, v0
	v_mov_b32_e32 v0, 1
	v_and_b32_sdwa v1, v0, v39 dst_sel:DWORD dst_unused:UNUSED_PAD src0_sel:DWORD src1_sel:BYTE_3
	v_cmp_eq_u32_e64 s[18:19], 1, v1
	v_and_b32_sdwa v1, v0, v39 dst_sel:DWORD dst_unused:UNUSED_PAD src0_sel:DWORD src1_sel:WORD_1
	v_cmp_eq_u32_e64 s[20:21], 1, v1
	v_and_b32_e32 v1, 1, v64
	v_cmp_eq_u32_e64 s[22:23], 1, v1
	v_and_b32_e32 v1, 1, v38
	v_and_b32_sdwa v0, v0, v38 dst_sel:DWORD dst_unused:UNUSED_PAD src0_sel:DWORD src1_sel:WORD_1
	s_xor_b64 s[30:31], vcc, -1
	v_cmp_eq_u32_e64 s[24:25], 1, v1
	v_and_b32_e32 v1, 1, v40
	v_cmp_eq_u32_e64 s[28:29], 1, v0
	v_cndmask_b32_e64 v0, 0, 1, s[30:31]
	s_xor_b64 s[16:17], s[16:17], -1
	v_cmp_eq_u32_e64 s[26:27], 1, v1
	v_lshlrev_b16_e32 v0, 8, v0
	v_cndmask_b32_e64 v1, 0, 1, s[16:17]
	s_xor_b64 s[16:17], s[18:19], -1
	v_or_b32_e32 v0, v1, v0
	v_cndmask_b32_e64 v1, 0, 1, s[16:17]
	s_xor_b64 s[16:17], s[20:21], -1
	v_lshlrev_b16_e32 v1, 8, v1
	s_waitcnt lgkmcnt(3)
	v_cndmask_b32_e64 v21, 0, 1, s[16:17]
	v_or_b32_sdwa v1, v21, v1 dst_sel:WORD_1 dst_unused:UNUSED_PAD src0_sel:DWORD src1_sel:DWORD
	s_xor_b64 s[16:17], s[22:23], -1
	v_or_b32_sdwa v1, v0, v1 dst_sel:DWORD dst_unused:UNUSED_PAD src0_sel:WORD_0 src1_sel:DWORD
	v_cndmask_b32_e64 v0, 0, 1, s[16:17]
	s_xor_b64 s[16:17], s[24:25], -1
	v_lshlrev_b16_e32 v0, 8, v0
	v_cndmask_b32_e64 v21, 0, 1, s[16:17]
	s_xor_b64 s[16:17], s[26:27], -1
	v_or_b32_e32 v0, v21, v0
	v_cndmask_b32_e64 v21, 0, 1, s[16:17]
	s_xor_b64 s[16:17], s[28:29], -1
	v_mbcnt_hi_u32_b32 v20, -1, v66
	s_waitcnt lgkmcnt(1)
	v_and_b32_e32 v29, 0x3c0, v36
	v_lshlrev_b16_e32 v21, 8, v21
	v_cndmask_b32_e64 v22, 0, 1, s[16:17]
	v_add_u32_e32 v18, v20, v29
	v_or_b32_sdwa v21, v22, v21 dst_sel:WORD_1 dst_unused:UNUSED_PAD src0_sel:DWORD src1_sel:DWORD
	v_lshlrev_b32_e32 v19, 3, v18
	v_or_b32_sdwa v0, v0, v21 dst_sel:DWORD dst_unused:UNUSED_PAD src0_sel:WORD_0 src1_sel:DWORD
	s_movk_i32 s16, 0x1e00
	ds_write_b64 v19, v[0:1]
	v_and_or_b32 v0, v53, s16, v20
	; wave barrier
	ds_read_u8 v21, v0
	ds_read_u8 v22, v0 offset:64
	ds_read_u8 v23, v0 offset:128
	;; [unrolled: 1-line block ×7, first 2 shown]
	v_lshlrev_b32_e32 v1, 6, v18
	v_lshlrev_b32_e32 v0, 3, v0
	s_getpc_b64 s[16:17]
	s_add_u32 s16, s16, _ZN7rocprim17ROCPRIM_400000_NS16block_radix_sortIbLj128ELj8ElLj1ELj1ELj0ELNS0_26block_radix_rank_algorithmE1ELNS0_18block_padding_hintE2ELNS0_4arch9wavefront6targetE1EE19radix_bits_per_passE@rel32@lo+4
	s_addc_u32 s17, s17, _ZN7rocprim17ROCPRIM_400000_NS16block_radix_sortIbLj128ELj8ElLj1ELj1ELj0ELNS0_26block_radix_rank_algorithmE1ELNS0_18block_padding_hintE2ELNS0_4arch9wavefront6targetE1EE19radix_bits_per_passE@rel32@hi+12
	s_waitcnt lgkmcnt(0)
	s_barrier
	ds_write2_b64 v1, v[14:15], v[16:17] offset1:1
	ds_write2_b64 v1, v[10:11], v[12:13] offset0:2 offset1:3
	ds_write2_b64 v1, v[6:7], v[8:9] offset0:4 offset1:5
	;; [unrolled: 1-line block ×3, first 2 shown]
	; wave barrier
	ds_read2st64_b64 v[12:15], v0 offset1:1
	ds_read2st64_b64 v[8:11], v0 offset0:2 offset1:3
	ds_read2st64_b64 v[4:7], v0 offset0:4 offset1:5
	;; [unrolled: 1-line block ×3, first 2 shown]
	s_waitcnt lgkmcnt(0)
	s_barrier
	s_load_dword s18, s[16:17], 0x0
	s_load_dword s19, s[42:43], 0xc
	s_waitcnt lgkmcnt(0)
	s_min_u32 s18, s18, 8
	s_lshr_b32 s16, s19, 16
	s_and_b32 s17, s19, 0xffff
	v_mad_u32_u24 v16, v63, s16, v62
	v_mad_u64_u32 v[16:17], s[16:17], v16, s17, v[36:37]
	s_lshl_b32 s16, -1, s18
	s_not_b32 s18, s16
	v_lshrrev_b32_e32 v18, 6, v16
	v_and_b32_e32 v16, s18, v21
	v_mov_b32_e32 v17, 0
	v_and_b32_e32 v16, 1, v16
	ds_write2_b32 v61, v17, v17 offset0:2 offset1:3
	ds_write2_b32 v61, v17, v17 offset0:4 offset1:5
	v_lshlrev_b32_e32 v17, 1, v16
	v_cmp_ne_u32_e32 vcc, 0, v16
	v_add_co_u32_e64 v16, s[16:17], -1, v16
	v_add_lshl_u32 v30, v18, v17, 2
	v_addc_co_u32_e64 v17, s[16:17], 0, -1, s[16:17]
	v_xor_b32_e32 v16, vcc_lo, v16
	v_xor_b32_e32 v17, vcc_hi, v17
	v_and_b32_e32 v16, exec_lo, v16
	v_and_b32_e32 v17, exec_hi, v17
	v_mbcnt_lo_u32_b32 v19, v16, 0
	v_mbcnt_hi_u32_b32 v31, v17, v19
	v_cmp_eq_u32_e32 vcc, 0, v31
	v_cmp_ne_u64_e64 s[16:17], 0, v[16:17]
	s_and_b64 s[20:21], s[16:17], vcc
	s_waitcnt lgkmcnt(0)
	s_barrier
	s_waitcnt lgkmcnt(0)
	; wave barrier
	s_and_saveexec_b64 s[16:17], s[20:21]
	s_cbranch_execz .LBB267_63
; %bb.62:
	v_bcnt_u32_b32 v16, v16, 0
	v_bcnt_u32_b32 v16, v17, v16
	ds_write_b32 v30, v16 offset:8
.LBB267_63:
	s_or_b64 exec, exec, s[16:17]
	v_and_b32_e32 v16, s18, v22
	v_and_b32_e32 v16, 0xff, v16
	v_lshlrev_b32_e32 v17, 1, v16
	v_cmp_ne_u32_e32 vcc, 0, v16
	v_add_co_u32_e64 v16, s[16:17], -1, v16
	v_add_lshl_u32 v33, v18, v17, 2
	v_addc_co_u32_e64 v17, s[16:17], 0, -1, s[16:17]
	v_xor_b32_e32 v16, vcc_lo, v16
	; wave barrier
	ds_read_b32 v32, v33 offset:8
	v_xor_b32_e32 v17, vcc_hi, v17
	v_and_b32_e32 v16, exec_lo, v16
	v_and_b32_e32 v17, exec_hi, v17
	v_mbcnt_lo_u32_b32 v19, v16, 0
	v_mbcnt_hi_u32_b32 v38, v17, v19
	v_cmp_eq_u32_e32 vcc, 0, v38
	v_cmp_ne_u64_e64 s[16:17], 0, v[16:17]
	s_and_b64 s[20:21], s[16:17], vcc
	; wave barrier
	s_and_saveexec_b64 s[16:17], s[20:21]
	s_cbranch_execz .LBB267_65
; %bb.64:
	v_bcnt_u32_b32 v16, v16, 0
	v_bcnt_u32_b32 v16, v17, v16
	s_waitcnt lgkmcnt(0)
	v_add_u32_e32 v16, v32, v16
	ds_write_b32 v33, v16 offset:8
.LBB267_65:
	s_or_b64 exec, exec, s[16:17]
	v_and_b32_e32 v16, s18, v23
	v_and_b32_e32 v16, 0xff, v16
	v_lshlrev_b32_e32 v17, 1, v16
	v_cmp_ne_u32_e32 vcc, 0, v16
	v_add_co_u32_e64 v16, s[16:17], -1, v16
	v_add_lshl_u32 v40, v18, v17, 2
	v_addc_co_u32_e64 v17, s[16:17], 0, -1, s[16:17]
	v_xor_b32_e32 v16, vcc_lo, v16
	; wave barrier
	ds_read_b32 v39, v40 offset:8
	v_xor_b32_e32 v17, vcc_hi, v17
	v_and_b32_e32 v16, exec_lo, v16
	v_and_b32_e32 v17, exec_hi, v17
	v_mbcnt_lo_u32_b32 v19, v16, 0
	v_mbcnt_hi_u32_b32 v42, v17, v19
	v_cmp_eq_u32_e32 vcc, 0, v42
	v_cmp_ne_u64_e64 s[16:17], 0, v[16:17]
	s_and_b64 s[20:21], s[16:17], vcc
	; wave barrier
	s_and_saveexec_b64 s[16:17], s[20:21]
	s_cbranch_execz .LBB267_67
; %bb.66:
	v_bcnt_u32_b32 v16, v16, 0
	v_bcnt_u32_b32 v16, v17, v16
	s_waitcnt lgkmcnt(0)
	v_add_u32_e32 v16, v39, v16
	ds_write_b32 v40, v16 offset:8
.LBB267_67:
	;; [unrolled: 29-line block ×6, first 2 shown]
	s_or_b64 exec, exec, s[16:17]
	v_and_b32_e32 v16, s18, v28
	v_and_b32_e32 v16, 0xff, v16
	v_lshlrev_b32_e32 v17, 1, v16
	v_cmp_ne_u32_e32 vcc, 0, v16
	v_add_co_u32_e64 v16, s[16:17], -1, v16
	v_add_lshl_u32 v74, v18, v17, 2
	v_addc_co_u32_e64 v17, s[16:17], 0, -1, s[16:17]
	v_xor_b32_e32 v16, vcc_lo, v16
	; wave barrier
	ds_read_b32 v73, v74 offset:8
	v_xor_b32_e32 v17, vcc_hi, v17
	v_and_b32_e32 v16, exec_lo, v16
	v_and_b32_e32 v17, exec_hi, v17
	v_mbcnt_lo_u32_b32 v18, v16, 0
	v_mbcnt_hi_u32_b32 v75, v17, v18
	v_cmp_eq_u32_e32 vcc, 0, v75
	v_cmp_ne_u64_e64 s[16:17], 0, v[16:17]
	v_or_b32_e32 v76, 8, v61
	s_and_b64 s[18:19], s[16:17], vcc
	; wave barrier
	s_and_saveexec_b64 s[16:17], s[18:19]
	s_cbranch_execz .LBB267_77
; %bb.76:
	v_bcnt_u32_b32 v16, v16, 0
	v_bcnt_u32_b32 v16, v17, v16
	s_waitcnt lgkmcnt(0)
	v_add_u32_e32 v16, v73, v16
	ds_write_b32 v74, v16 offset:8
.LBB267_77:
	s_or_b64 exec, exec, s[16:17]
	; wave barrier
	s_waitcnt lgkmcnt(0)
	s_barrier
	ds_read2_b32 v[16:17], v61 offset0:2 offset1:3
	ds_read2_b32 v[18:19], v76 offset0:2 offset1:3
	v_min_u32_e32 v29, 64, v29
	v_or_b32_e32 v29, 63, v29
	s_waitcnt lgkmcnt(1)
	v_add_u32_e32 v77, v17, v16
	s_waitcnt lgkmcnt(0)
	v_add3_u32 v19, v77, v18, v19
	v_and_b32_e32 v77, 15, v20
	v_cmp_ne_u32_e32 vcc, 0, v77
	v_mov_b32_dpp v78, v19 row_shr:1 row_mask:0xf bank_mask:0xf
	v_cndmask_b32_e32 v78, 0, v78, vcc
	v_add_u32_e32 v19, v78, v19
	v_cmp_lt_u32_e32 vcc, 1, v77
	s_nop 0
	v_mov_b32_dpp v78, v19 row_shr:2 row_mask:0xf bank_mask:0xf
	v_cndmask_b32_e32 v78, 0, v78, vcc
	v_add_u32_e32 v19, v19, v78
	v_cmp_lt_u32_e32 vcc, 3, v77
	s_nop 0
	;; [unrolled: 5-line block ×3, first 2 shown]
	v_mov_b32_dpp v78, v19 row_shr:8 row_mask:0xf bank_mask:0xf
	v_cndmask_b32_e32 v77, 0, v78, vcc
	v_add_u32_e32 v19, v19, v77
	v_bfe_i32 v78, v20, 4, 1
	v_cmp_lt_u32_e32 vcc, 31, v20
	v_mov_b32_dpp v77, v19 row_bcast:15 row_mask:0xf bank_mask:0xf
	v_and_b32_e32 v77, v78, v77
	v_add_u32_e32 v19, v19, v77
	s_nop 1
	v_mov_b32_dpp v77, v19 row_bcast:31 row_mask:0xf bank_mask:0xf
	v_cndmask_b32_e32 v77, 0, v77, vcc
	v_add_u32_e32 v19, v19, v77
	v_lshrrev_b32_e32 v77, 6, v36
	v_cmp_eq_u32_e32 vcc, v29, v36
	s_and_saveexec_b64 s[16:17], vcc
	s_cbranch_execz .LBB267_79
; %bb.78:
	v_lshlrev_b32_e32 v29, 2, v77
	ds_write_b32 v29, v19
.LBB267_79:
	s_or_b64 exec, exec, s[16:17]
	v_cmp_gt_u32_e32 vcc, 2, v36
	s_waitcnt lgkmcnt(0)
	s_barrier
	s_and_saveexec_b64 s[16:17], vcc
	s_cbranch_execz .LBB267_81
; %bb.80:
	v_lshlrev_b32_e32 v29, 2, v36
	ds_read_b32 v78, v29
	v_bfe_i32 v79, v20, 0, 1
	s_waitcnt lgkmcnt(0)
	v_mov_b32_dpp v80, v78 row_shr:1 row_mask:0xf bank_mask:0xf
	v_and_b32_e32 v79, v79, v80
	v_add_u32_e32 v78, v79, v78
	ds_write_b32 v29, v78
.LBB267_81:
	s_or_b64 exec, exec, s[16:17]
	v_cmp_lt_u32_e32 vcc, 63, v36
	v_mov_b32_e32 v29, 0
	s_waitcnt lgkmcnt(0)
	s_barrier
	s_and_saveexec_b64 s[16:17], vcc
	s_cbranch_execz .LBB267_83
; %bb.82:
	v_lshl_add_u32 v29, v77, 2, -4
	ds_read_b32 v29, v29
.LBB267_83:
	s_or_b64 exec, exec, s[16:17]
	v_add_u32_e32 v77, -1, v20
	v_and_b32_e32 v78, 64, v20
	v_cmp_lt_i32_e32 vcc, v77, v78
	v_cndmask_b32_e32 v77, v77, v20, vcc
	s_waitcnt lgkmcnt(0)
	v_add_u32_e32 v19, v29, v19
	v_lshlrev_b32_e32 v77, 2, v77
	ds_bpermute_b32 v19, v77, v19
	v_cmp_eq_u32_e32 vcc, 0, v20
	s_waitcnt lgkmcnt(0)
	v_cndmask_b32_e32 v19, v19, v29, vcc
	v_cmp_ne_u32_e32 vcc, 0, v36
	v_cndmask_b32_e32 v19, 0, v19, vcc
	v_add_u32_e32 v16, v19, v16
	v_add_u32_e32 v17, v16, v17
	;; [unrolled: 1-line block ×3, first 2 shown]
	ds_write2_b32 v61, v19, v16 offset0:2 offset1:3
	ds_write2_b32 v76, v17, v18 offset0:2 offset1:3
	s_waitcnt lgkmcnt(0)
	s_barrier
	ds_read_b32 v16, v30 offset:8
	ds_read_b32 v17, v33 offset:8
	;; [unrolled: 1-line block ×8, first 2 shown]
	s_waitcnt lgkmcnt(7)
	v_add_u32_e32 v31, v16, v31
	s_waitcnt lgkmcnt(6)
	v_add3_u32 v32, v38, v32, v17
	s_waitcnt lgkmcnt(5)
	v_add3_u32 v18, v42, v39, v18
	;; [unrolled: 2-line block ×7, first 2 shown]
	s_barrier
	ds_write_b8 v31, v21
	ds_write_b8 v32, v22
	;; [unrolled: 1-line block ×8, first 2 shown]
	v_lshlrev_b32_e32 v21, 3, v31
	s_waitcnt lgkmcnt(0)
	s_barrier
	ds_read_b64 v[16:17], v53
	s_waitcnt lgkmcnt(0)
	s_barrier
	ds_write_b64 v21, v[12:13]
	v_lshlrev_b32_e32 v12, 3, v32
	ds_write_b64 v12, v[14:15]
	v_lshlrev_b32_e32 v12, 3, v18
	;; [unrolled: 2-line block ×8, first 2 shown]
	s_waitcnt lgkmcnt(0)
	s_barrier
	ds_read2_b64 v[18:21], v0 offset1:1
	ds_read2_b64 v[22:25], v0 offset0:2 offset1:3
	ds_read2_b64 v[26:29], v0 offset0:4 offset1:5
	;; [unrolled: 1-line block ×3, first 2 shown]
	v_lshrrev_b32_e32 v36, 8, v16
	v_mov_b32_e32 v1, 1
	v_lshrrev_b32_e32 v38, 8, v17
	v_xor_b32_e32 v0, 1, v16
	v_xor_b32_sdwa v2, v36, v1 dst_sel:BYTE_1 dst_unused:UNUSED_PAD src0_sel:DWORD src1_sel:DWORD
	v_xor_b32_sdwa v3, v16, v1 dst_sel:DWORD dst_unused:UNUSED_PAD src0_sel:WORD_1 src1_sel:DWORD
	v_xor_b32_sdwa v4, v16, v1 dst_sel:BYTE_1 dst_unused:UNUSED_PAD src0_sel:BYTE_3 src1_sel:DWORD
	v_xor_b32_e32 v5, 1, v17
	v_xor_b32_sdwa v6, v38, v1 dst_sel:BYTE_1 dst_unused:UNUSED_PAD src0_sel:DWORD src1_sel:DWORD
	v_xor_b32_sdwa v7, v17, v1 dst_sel:DWORD dst_unused:UNUSED_PAD src0_sel:WORD_1 src1_sel:DWORD
	v_xor_b32_sdwa v1, v17, v1 dst_sel:BYTE_1 dst_unused:UNUSED_PAD src0_sel:BYTE_3 src1_sel:DWORD
	v_or_b32_sdwa v0, v0, v2 dst_sel:DWORD dst_unused:UNUSED_PAD src0_sel:BYTE_0 src1_sel:DWORD
	v_or_b32_sdwa v2, v3, v4 dst_sel:WORD_1 dst_unused:UNUSED_PAD src0_sel:BYTE_0 src1_sel:DWORD
	v_or_b32_sdwa v0, v0, v2 dst_sel:DWORD dst_unused:UNUSED_PAD src0_sel:WORD_0 src1_sel:DWORD
	v_or_b32_sdwa v2, v5, v6 dst_sel:DWORD dst_unused:UNUSED_PAD src0_sel:BYTE_0 src1_sel:DWORD
	v_or_b32_sdwa v1, v7, v1 dst_sel:WORD_1 dst_unused:UNUSED_PAD src0_sel:BYTE_0 src1_sel:DWORD
	v_or_b32_sdwa v1, v2, v1 dst_sel:DWORD dst_unused:UNUSED_PAD src0_sel:WORD_0 src1_sel:DWORD
.LBB267_84:
	s_waitcnt lgkmcnt(0)
	s_barrier
	ds_write_b64 v52, v[0:1]
	s_waitcnt lgkmcnt(0)
	s_barrier
	ds_read_u8 v8, v45 offset:128
	ds_read_u8 v7, v46 offset:256
	;; [unrolled: 1-line block ×7, first 2 shown]
	v_mov_b32_e32 v1, s41
	v_add_co_u32_e32 v0, vcc, s40, v37
	v_addc_co_u32_e32 v1, vcc, 0, v1, vcc
	s_and_saveexec_b64 s[16:17], s[0:1]
	s_cbranch_execnz .LBB267_103
; %bb.85:
	s_or_b64 exec, exec, s[16:17]
	s_and_saveexec_b64 s[16:17], s[2:3]
	s_cbranch_execnz .LBB267_104
.LBB267_86:
	s_or_b64 exec, exec, s[16:17]
	s_and_saveexec_b64 s[16:17], s[4:5]
	s_cbranch_execnz .LBB267_105
.LBB267_87:
	s_or_b64 exec, exec, s[16:17]
	s_and_saveexec_b64 s[16:17], s[6:7]
	s_cbranch_execnz .LBB267_106
.LBB267_88:
	s_or_b64 exec, exec, s[16:17]
	s_and_saveexec_b64 s[16:17], s[8:9]
	s_cbranch_execnz .LBB267_107
.LBB267_89:
	s_or_b64 exec, exec, s[16:17]
	s_and_saveexec_b64 s[16:17], s[10:11]
	s_cbranch_execnz .LBB267_108
.LBB267_90:
	s_or_b64 exec, exec, s[16:17]
	s_and_saveexec_b64 s[16:17], s[12:13]
	s_cbranch_execnz .LBB267_109
.LBB267_91:
	s_or_b64 exec, exec, s[16:17]
	s_and_saveexec_b64 s[16:17], s[14:15]
	s_cbranch_execz .LBB267_93
.LBB267_92:
	s_mul_i32 s18, s38, 0x380
	v_add_co_u32_e32 v0, vcc, s18, v0
	v_addc_co_u32_e32 v1, vcc, 0, v1, vcc
	s_waitcnt lgkmcnt(0)
	global_store_byte v[0:1], v2, off
.LBB267_93:
	s_or_b64 exec, exec, s[16:17]
	s_waitcnt lgkmcnt(0)
	s_barrier
	ds_write2_b64 v60, v[18:19], v[20:21] offset1:1
	ds_write2_b64 v60, v[22:23], v[24:25] offset0:2 offset1:3
	ds_write2_b64 v60, v[26:27], v[28:29] offset0:4 offset1:5
	ds_write2_b64 v60, v[30:31], v[32:33] offset0:6 offset1:7
	s_waitcnt lgkmcnt(0)
	s_barrier
	ds_read_b64 v[14:15], v35 offset:1024
	ds_read_b64 v[12:13], v54 offset:2048
	;; [unrolled: 1-line block ×7, first 2 shown]
	v_mov_b32_e32 v35, 0
	v_lshlrev_b64 v[2:3], 3, v[34:35]
	v_mov_b32_e32 v16, s35
	v_add_co_u32_e32 v2, vcc, s33, v2
	v_addc_co_u32_e32 v3, vcc, v16, v3, vcc
	s_and_saveexec_b64 s[16:17], s[0:1]
	s_cbranch_execnz .LBB267_110
; %bb.94:
	s_or_b64 exec, exec, s[16:17]
	s_and_saveexec_b64 s[0:1], s[2:3]
	s_cbranch_execnz .LBB267_111
.LBB267_95:
	s_or_b64 exec, exec, s[0:1]
	s_and_saveexec_b64 s[0:1], s[4:5]
	s_cbranch_execnz .LBB267_112
.LBB267_96:
	s_or_b64 exec, exec, s[0:1]
	s_and_saveexec_b64 s[0:1], s[6:7]
	s_cbranch_execnz .LBB267_113
.LBB267_97:
	s_or_b64 exec, exec, s[0:1]
	s_and_saveexec_b64 s[0:1], s[8:9]
	s_cbranch_execnz .LBB267_114
.LBB267_98:
	s_or_b64 exec, exec, s[0:1]
	s_and_saveexec_b64 s[0:1], s[10:11]
	s_cbranch_execnz .LBB267_115
.LBB267_99:
	s_or_b64 exec, exec, s[0:1]
	s_and_saveexec_b64 s[0:1], s[12:13]
	s_cbranch_execnz .LBB267_116
.LBB267_100:
	s_or_b64 exec, exec, s[0:1]
	s_and_saveexec_b64 s[0:1], s[14:15]
	s_cbranch_execz .LBB267_102
.LBB267_101:
	s_mul_i32 s0, s34, 0x380
	s_mov_b32 s1, 0
	s_lshl_b64 s[0:1], s[0:1], 3
	s_waitcnt lgkmcnt(1)
	v_mov_b32_e32 v4, s1
	v_add_co_u32_e32 v2, vcc, s0, v2
	v_addc_co_u32_e32 v3, vcc, v3, v4, vcc
	s_waitcnt lgkmcnt(0)
	global_store_dwordx2 v[2:3], v[0:1], off
.LBB267_102:
	s_endpgm
.LBB267_103:
	ds_read_u8 v9, v44
	s_waitcnt lgkmcnt(0)
	global_store_byte v[0:1], v9, off
	s_or_b64 exec, exec, s[16:17]
	s_and_saveexec_b64 s[16:17], s[2:3]
	s_cbranch_execz .LBB267_86
.LBB267_104:
	s_lshl_b32 s18, s38, 7
	v_add_co_u32_e32 v10, vcc, s18, v0
	v_addc_co_u32_e32 v11, vcc, 0, v1, vcc
	s_waitcnt lgkmcnt(6)
	global_store_byte v[10:11], v8, off
	s_or_b64 exec, exec, s[16:17]
	s_and_saveexec_b64 s[16:17], s[4:5]
	s_cbranch_execz .LBB267_87
.LBB267_105:
	s_lshl_b32 s18, s38, 8
	s_waitcnt lgkmcnt(6)
	v_add_co_u32_e32 v8, vcc, s18, v0
	v_addc_co_u32_e32 v9, vcc, 0, v1, vcc
	s_waitcnt lgkmcnt(5)
	global_store_byte v[8:9], v7, off
	s_or_b64 exec, exec, s[16:17]
	s_and_saveexec_b64 s[16:17], s[6:7]
	s_cbranch_execz .LBB267_88
.LBB267_106:
	s_mul_i32 s18, s38, 0x180
	s_waitcnt lgkmcnt(6)
	v_add_co_u32_e32 v8, vcc, s18, v0
	v_addc_co_u32_e32 v9, vcc, 0, v1, vcc
	s_waitcnt lgkmcnt(4)
	global_store_byte v[8:9], v6, off
	s_or_b64 exec, exec, s[16:17]
	s_and_saveexec_b64 s[16:17], s[8:9]
	s_cbranch_execz .LBB267_89
.LBB267_107:
	s_lshl_b32 s18, s38, 9
	s_waitcnt lgkmcnt(4)
	v_add_co_u32_e32 v6, vcc, s18, v0
	v_addc_co_u32_e32 v7, vcc, 0, v1, vcc
	s_waitcnt lgkmcnt(3)
	global_store_byte v[6:7], v5, off
	s_or_b64 exec, exec, s[16:17]
	s_and_saveexec_b64 s[16:17], s[10:11]
	s_cbranch_execz .LBB267_90
.LBB267_108:
	s_mul_i32 s18, s38, 0x280
	s_waitcnt lgkmcnt(4)
	v_add_co_u32_e32 v6, vcc, s18, v0
	v_addc_co_u32_e32 v7, vcc, 0, v1, vcc
	s_waitcnt lgkmcnt(2)
	global_store_byte v[6:7], v4, off
	s_or_b64 exec, exec, s[16:17]
	s_and_saveexec_b64 s[16:17], s[12:13]
	s_cbranch_execz .LBB267_91
.LBB267_109:
	s_mul_i32 s18, s38, 0x300
	s_waitcnt lgkmcnt(2)
	v_add_co_u32_e32 v4, vcc, s18, v0
	v_addc_co_u32_e32 v5, vcc, 0, v1, vcc
	s_waitcnt lgkmcnt(1)
	global_store_byte v[4:5], v3, off
	s_or_b64 exec, exec, s[16:17]
	s_and_saveexec_b64 s[16:17], s[14:15]
	s_cbranch_execnz .LBB267_92
	s_branch .LBB267_93
.LBB267_110:
	ds_read_b64 v[16:17], v41
	s_waitcnt lgkmcnt(0)
	global_store_dwordx2 v[2:3], v[16:17], off
	s_or_b64 exec, exec, s[16:17]
	s_and_saveexec_b64 s[0:1], s[2:3]
	s_cbranch_execz .LBB267_95
.LBB267_111:
	s_lshl_b32 s2, s34, 7
	s_mov_b32 s3, 0
	s_lshl_b64 s[2:3], s[2:3], 3
	v_mov_b32_e32 v17, s3
	v_add_co_u32_e32 v16, vcc, s2, v2
	v_addc_co_u32_e32 v17, vcc, v3, v17, vcc
	s_waitcnt lgkmcnt(6)
	global_store_dwordx2 v[16:17], v[14:15], off
	s_or_b64 exec, exec, s[0:1]
	s_and_saveexec_b64 s[0:1], s[4:5]
	s_cbranch_execz .LBB267_96
.LBB267_112:
	s_lshl_b32 s2, s34, 8
	s_mov_b32 s3, 0
	s_lshl_b64 s[2:3], s[2:3], 3
	s_waitcnt lgkmcnt(6)
	v_mov_b32_e32 v15, s3
	v_add_co_u32_e32 v14, vcc, s2, v2
	v_addc_co_u32_e32 v15, vcc, v3, v15, vcc
	s_waitcnt lgkmcnt(5)
	global_store_dwordx2 v[14:15], v[12:13], off
	s_or_b64 exec, exec, s[0:1]
	s_and_saveexec_b64 s[0:1], s[6:7]
	s_cbranch_execz .LBB267_97
.LBB267_113:
	s_mul_i32 s2, s34, 0x180
	s_mov_b32 s3, 0
	s_lshl_b64 s[2:3], s[2:3], 3
	s_waitcnt lgkmcnt(5)
	v_mov_b32_e32 v13, s3
	v_add_co_u32_e32 v12, vcc, s2, v2
	v_addc_co_u32_e32 v13, vcc, v3, v13, vcc
	s_waitcnt lgkmcnt(4)
	global_store_dwordx2 v[12:13], v[10:11], off
	s_or_b64 exec, exec, s[0:1]
	s_and_saveexec_b64 s[0:1], s[8:9]
	s_cbranch_execz .LBB267_98
.LBB267_114:
	s_lshl_b32 s2, s34, 9
	s_mov_b32 s3, 0
	s_lshl_b64 s[2:3], s[2:3], 3
	s_waitcnt lgkmcnt(4)
	v_mov_b32_e32 v11, s3
	v_add_co_u32_e32 v10, vcc, s2, v2
	v_addc_co_u32_e32 v11, vcc, v3, v11, vcc
	s_waitcnt lgkmcnt(3)
	global_store_dwordx2 v[10:11], v[8:9], off
	s_or_b64 exec, exec, s[0:1]
	s_and_saveexec_b64 s[0:1], s[10:11]
	s_cbranch_execz .LBB267_99
.LBB267_115:
	s_mul_i32 s2, s34, 0x280
	s_mov_b32 s3, 0
	s_lshl_b64 s[2:3], s[2:3], 3
	s_waitcnt lgkmcnt(3)
	v_mov_b32_e32 v9, s3
	v_add_co_u32_e32 v8, vcc, s2, v2
	v_addc_co_u32_e32 v9, vcc, v3, v9, vcc
	s_waitcnt lgkmcnt(2)
	global_store_dwordx2 v[8:9], v[6:7], off
	s_or_b64 exec, exec, s[0:1]
	s_and_saveexec_b64 s[0:1], s[12:13]
	s_cbranch_execz .LBB267_100
.LBB267_116:
	s_mul_i32 s2, s34, 0x300
	s_mov_b32 s3, 0
	s_lshl_b64 s[2:3], s[2:3], 3
	s_waitcnt lgkmcnt(2)
	v_mov_b32_e32 v7, s3
	v_add_co_u32_e32 v6, vcc, s2, v2
	v_addc_co_u32_e32 v7, vcc, v3, v7, vcc
	s_waitcnt lgkmcnt(1)
	global_store_dwordx2 v[6:7], v[4:5], off
	s_or_b64 exec, exec, s[0:1]
	s_and_saveexec_b64 s[0:1], s[14:15]
	s_cbranch_execnz .LBB267_101
	s_branch .LBB267_102
	.section	.rodata,"a",@progbits
	.p2align	6, 0x0
	.amdhsa_kernel _ZN2at6native18radixSortKVInPlaceILi2ELin1ELi128ELi8EbljEEvNS_4cuda6detail10TensorInfoIT3_T5_EES6_S6_S6_NS4_IT4_S6_EES6_b
		.amdhsa_group_segment_fixed_size 8448
		.amdhsa_private_segment_fixed_size 0
		.amdhsa_kernarg_size 712
		.amdhsa_user_sgpr_count 6
		.amdhsa_user_sgpr_private_segment_buffer 1
		.amdhsa_user_sgpr_dispatch_ptr 0
		.amdhsa_user_sgpr_queue_ptr 0
		.amdhsa_user_sgpr_kernarg_segment_ptr 1
		.amdhsa_user_sgpr_dispatch_id 0
		.amdhsa_user_sgpr_flat_scratch_init 0
		.amdhsa_user_sgpr_kernarg_preload_length 0
		.amdhsa_user_sgpr_kernarg_preload_offset 0
		.amdhsa_user_sgpr_private_segment_size 0
		.amdhsa_uses_dynamic_stack 0
		.amdhsa_system_sgpr_private_segment_wavefront_offset 0
		.amdhsa_system_sgpr_workgroup_id_x 1
		.amdhsa_system_sgpr_workgroup_id_y 1
		.amdhsa_system_sgpr_workgroup_id_z 1
		.amdhsa_system_sgpr_workgroup_info 0
		.amdhsa_system_vgpr_workitem_id 2
		.amdhsa_next_free_vgpr 105
		.amdhsa_next_free_sgpr 46
		.amdhsa_accum_offset 108
		.amdhsa_reserve_vcc 1
		.amdhsa_reserve_flat_scratch 0
		.amdhsa_float_round_mode_32 0
		.amdhsa_float_round_mode_16_64 0
		.amdhsa_float_denorm_mode_32 3
		.amdhsa_float_denorm_mode_16_64 3
		.amdhsa_dx10_clamp 1
		.amdhsa_ieee_mode 1
		.amdhsa_fp16_overflow 0
		.amdhsa_tg_split 0
		.amdhsa_exception_fp_ieee_invalid_op 0
		.amdhsa_exception_fp_denorm_src 0
		.amdhsa_exception_fp_ieee_div_zero 0
		.amdhsa_exception_fp_ieee_overflow 0
		.amdhsa_exception_fp_ieee_underflow 0
		.amdhsa_exception_fp_ieee_inexact 0
		.amdhsa_exception_int_div_zero 0
	.end_amdhsa_kernel
	.section	.text._ZN2at6native18radixSortKVInPlaceILi2ELin1ELi128ELi8EbljEEvNS_4cuda6detail10TensorInfoIT3_T5_EES6_S6_S6_NS4_IT4_S6_EES6_b,"axG",@progbits,_ZN2at6native18radixSortKVInPlaceILi2ELin1ELi128ELi8EbljEEvNS_4cuda6detail10TensorInfoIT3_T5_EES6_S6_S6_NS4_IT4_S6_EES6_b,comdat
.Lfunc_end267:
	.size	_ZN2at6native18radixSortKVInPlaceILi2ELin1ELi128ELi8EbljEEvNS_4cuda6detail10TensorInfoIT3_T5_EES6_S6_S6_NS4_IT4_S6_EES6_b, .Lfunc_end267-_ZN2at6native18radixSortKVInPlaceILi2ELin1ELi128ELi8EbljEEvNS_4cuda6detail10TensorInfoIT3_T5_EES6_S6_S6_NS4_IT4_S6_EES6_b
                                        ; -- End function
	.section	.AMDGPU.csdata,"",@progbits
; Kernel info:
; codeLenInByte = 8380
; NumSgprs: 50
; NumVgprs: 105
; NumAgprs: 0
; TotalNumVgprs: 105
; ScratchSize: 0
; MemoryBound: 0
; FloatMode: 240
; IeeeMode: 1
; LDSByteSize: 8448 bytes/workgroup (compile time only)
; SGPRBlocks: 6
; VGPRBlocks: 13
; NumSGPRsForWavesPerEU: 50
; NumVGPRsForWavesPerEU: 105
; AccumOffset: 108
; Occupancy: 4
; WaveLimiterHint : 1
; COMPUTE_PGM_RSRC2:SCRATCH_EN: 0
; COMPUTE_PGM_RSRC2:USER_SGPR: 6
; COMPUTE_PGM_RSRC2:TRAP_HANDLER: 0
; COMPUTE_PGM_RSRC2:TGID_X_EN: 1
; COMPUTE_PGM_RSRC2:TGID_Y_EN: 1
; COMPUTE_PGM_RSRC2:TGID_Z_EN: 1
; COMPUTE_PGM_RSRC2:TIDIG_COMP_CNT: 2
; COMPUTE_PGM_RSRC3_GFX90A:ACCUM_OFFSET: 26
; COMPUTE_PGM_RSRC3_GFX90A:TG_SPLIT: 0
	.section	.text._ZN2at6native18radixSortKVInPlaceILi2ELin1ELi32ELi4EbljEEvNS_4cuda6detail10TensorInfoIT3_T5_EES6_S6_S6_NS4_IT4_S6_EES6_b,"axG",@progbits,_ZN2at6native18radixSortKVInPlaceILi2ELin1ELi32ELi4EbljEEvNS_4cuda6detail10TensorInfoIT3_T5_EES6_S6_S6_NS4_IT4_S6_EES6_b,comdat
	.protected	_ZN2at6native18radixSortKVInPlaceILi2ELin1ELi32ELi4EbljEEvNS_4cuda6detail10TensorInfoIT3_T5_EES6_S6_S6_NS4_IT4_S6_EES6_b ; -- Begin function _ZN2at6native18radixSortKVInPlaceILi2ELin1ELi32ELi4EbljEEvNS_4cuda6detail10TensorInfoIT3_T5_EES6_S6_S6_NS4_IT4_S6_EES6_b
	.globl	_ZN2at6native18radixSortKVInPlaceILi2ELin1ELi32ELi4EbljEEvNS_4cuda6detail10TensorInfoIT3_T5_EES6_S6_S6_NS4_IT4_S6_EES6_b
	.p2align	8
	.type	_ZN2at6native18radixSortKVInPlaceILi2ELin1ELi32ELi4EbljEEvNS_4cuda6detail10TensorInfoIT3_T5_EES6_S6_S6_NS4_IT4_S6_EES6_b,@function
_ZN2at6native18radixSortKVInPlaceILi2ELin1ELi32ELi4EbljEEvNS_4cuda6detail10TensorInfoIT3_T5_EES6_S6_S6_NS4_IT4_S6_EES6_b: ; @_ZN2at6native18radixSortKVInPlaceILi2ELin1ELi32ELi4EbljEEvNS_4cuda6detail10TensorInfoIT3_T5_EES6_S6_S6_NS4_IT4_S6_EES6_b
; %bb.0:
	s_load_dwordx2 s[0:1], s[4:5], 0x1c8
	s_load_dwordx4 s[28:31], s[4:5], 0xd8
	s_waitcnt lgkmcnt(0)
	s_mul_i32 s1, s1, s8
	s_add_i32 s1, s1, s7
	s_mul_i32 s12, s1, s0
	s_add_i32 s12, s12, s6
	s_cmp_ge_u32 s12, s28
	s_cbranch_scc1 .LBB268_70
; %bb.1:
	s_load_dword s13, s[4:5], 0xc
	s_load_dwordx2 s[0:1], s[4:5], 0x6c
	s_load_dword s8, s[4:5], 0x1b8
	s_add_u32 s2, s4, 0xe8
	s_load_dwordx2 s[6:7], s[4:5], 0x0
	s_waitcnt lgkmcnt(0)
	v_cvt_f32_u32_e32 v1, s13
	s_addc_u32 s3, s5, 0
	s_sub_i32 s9, 0, s13
	s_mov_b32 s11, 0
	v_rcp_iflag_f32_e32 v1, v1
	v_mul_f32_e32 v1, 0x4f7ffffe, v1
	v_cvt_u32_f32_e32 v1, v1
	v_readfirstlane_b32 s10, v1
	s_mul_i32 s9, s9, s10
	s_mul_hi_u32 s9, s10, s9
	s_add_i32 s10, s10, s9
	s_mul_hi_u32 s14, s12, s10
	s_cmp_lt_i32 s8, 2
	s_mov_b32 s10, s12
	s_cbranch_scc1 .LBB268_4
; %bb.2:
	s_add_i32 s10, s8, -1
	s_add_i32 s15, s8, 1
	s_lshl_b64 s[8:9], s[10:11], 2
	s_add_u32 s8, s8, s2
	s_addc_u32 s9, s9, s3
	s_add_u32 s8, s8, 8
	s_addc_u32 s9, s9, 0
	s_mov_b32 s10, s12
.LBB268_3:                              ; =>This Inner Loop Header: Depth=1
	s_load_dword s16, s[8:9], 0x0
	s_load_dword s18, s[8:9], 0x64
	s_mov_b32 s17, s10
	s_waitcnt lgkmcnt(0)
	v_cvt_f32_u32_e32 v1, s16
	s_sub_i32 s10, 0, s16
	v_rcp_iflag_f32_e32 v1, v1
	v_mul_f32_e32 v1, 0x4f7ffffe, v1
	v_cvt_u32_f32_e32 v1, v1
	v_readfirstlane_b32 s19, v1
	s_mul_i32 s10, s10, s19
	s_mul_hi_u32 s10, s19, s10
	s_add_i32 s19, s19, s10
	s_mul_hi_u32 s10, s17, s19
	s_mul_i32 s19, s10, s16
	s_sub_i32 s19, s17, s19
	s_add_i32 s20, s10, 1
	s_sub_i32 s21, s19, s16
	s_cmp_ge_u32 s19, s16
	s_cselect_b32 s10, s20, s10
	s_cselect_b32 s19, s21, s19
	s_add_i32 s20, s10, 1
	s_cmp_ge_u32 s19, s16
	s_cselect_b32 s10, s20, s10
	s_mul_i32 s16, s10, s16
	s_sub_i32 s16, s17, s16
	s_mul_i32 s16, s18, s16
	s_add_i32 s15, s15, -1
	s_add_i32 s11, s16, s11
	s_add_u32 s8, s8, -4
	s_addc_u32 s9, s9, -1
	s_cmp_gt_u32 s15, 2
	s_cbranch_scc1 .LBB268_3
.LBB268_4:
	s_mul_i32 s8, s14, s13
	s_sub_i32 s8, s12, s8
	s_add_i32 s9, s14, 1
	s_sub_i32 s15, s8, s13
	s_cmp_ge_u32 s8, s13
	s_cselect_b32 s9, s9, s14
	s_cselect_b32 s8, s15, s8
	s_add_i32 s14, s9, 1
	s_cmp_ge_u32 s8, s13
	s_cselect_b32 s8, s14, s9
	s_load_dwordx2 s[34:35], s[4:5], 0x1c0
	s_mul_i32 s9, s8, s13
	s_sub_i32 s4, s12, s9
	s_mul_i32 s4, s4, s1
	s_mul_i32 s0, s8, s0
	s_add_i32 s4, s0, s4
	s_waitcnt lgkmcnt(0)
	s_bitcmp1_b32 s35, 0
	s_cselect_b64 s[0:1], -1, 0
	s_add_u32 s36, s6, s4
	s_addc_u32 s37, s7, 0
	s_xor_b64 s[8:9], s[0:1], -1
	v_cndmask_b32_e64 v3, 0, 1, s[8:9]
	v_lshlrev_b16_e32 v1, 8, v3
	v_or_b32_e32 v1, v3, v1
	v_lshlrev_b32_e32 v2, 16, v1
	v_or_b32_sdwa v2, v1, v2 dst_sel:DWORD dst_unused:UNUSED_PAD src0_sel:WORD_0 src1_sel:DWORD
	v_cmp_gt_u32_e64 s[0:1], s29, v0
	v_mul_lo_u32 v28, v0, s30
	s_and_saveexec_b64 s[4:5], s[0:1]
	s_cbranch_execz .LBB268_6
; %bb.5:
	global_load_ubyte v3, v28, s[36:37]
	s_mov_b32 s6, 0x3020104
	s_waitcnt vmcnt(0)
	v_perm_b32 v2, v3, v2, s6
.LBB268_6:
	s_or_b64 exec, exec, s[4:5]
	v_or_b32_e32 v1, 32, v0
	v_cmp_gt_u32_e64 s[6:7], s29, v1
	s_and_saveexec_b64 s[4:5], s[6:7]
	s_cbranch_execz .LBB268_8
; %bb.7:
	v_mul_lo_u32 v4, v1, s30
	global_load_ubyte v4, v4, s[36:37]
	s_mov_b32 s12, 0x7060004
	s_waitcnt vmcnt(0)
	v_perm_b32 v2, v2, v4, s12
.LBB268_8:
	s_or_b64 exec, exec, s[4:5]
	s_load_dwordx2 s[12:13], s[2:3], 0x0
	v_or_b32_e32 v10, 64, v0
	v_cmp_gt_u32_e64 s[4:5], s29, v10
	s_and_saveexec_b64 s[14:15], s[4:5]
	s_cbranch_execz .LBB268_10
; %bb.9:
	v_mul_lo_u32 v4, v10, s30
	global_load_ubyte v4, v4, s[36:37]
	s_mov_b32 s16, 0x7000504
	s_waitcnt vmcnt(0)
	v_perm_b32 v2, v2, v4, s16
.LBB268_10:
	s_or_b64 exec, exec, s[14:15]
	s_load_dword s16, s[2:3], 0x6c
	v_or_b32_e32 v11, 0x60, v0
	v_cmp_gt_u32_e64 s[2:3], s29, v11
	s_and_saveexec_b64 s[14:15], s[2:3]
	s_cbranch_execz .LBB268_12
; %bb.11:
	v_mul_lo_u32 v4, v11, s30
	global_load_ubyte v4, v4, s[36:37]
	s_mov_b32 s17, 0x60504
	s_waitcnt vmcnt(0)
	v_perm_b32 v2, v2, v4, s17
.LBB268_12:
	s_or_b64 exec, exec, s[14:15]
	ds_write_b8 v0, v3
	v_lshrrev_b32_e32 v3, 8, v2
	ds_write_b8 v0, v3 offset:32
	ds_write_b8_d16_hi v0, v2 offset:64
	v_lshrrev_b32_e32 v2, 24, v2
	v_lshlrev_b32_e32 v29, 2, v0
	ds_write_b8 v0, v2 offset:96
	s_waitcnt lgkmcnt(0)
	; wave barrier
	s_waitcnt lgkmcnt(0)
	ds_read_u8 v37, v29
	ds_read_u8 v36, v29 offset:1
	ds_read_u8 v35, v29 offset:2
	;; [unrolled: 1-line block ×3, first 2 shown]
	s_mul_i32 s10, s16, s10
	s_add_i32 s16, s10, s11
	s_mov_b32 s17, 0
	s_lshl_b64 s[10:11], s[16:17], 3
	s_mov_b32 s16, s17
	s_add_u32 s31, s12, s10
	s_mov_b32 s18, s17
	s_mov_b32 s19, s17
	;; [unrolled: 1-line block ×6, first 2 shown]
	v_pk_mov_b32 v[2:3], s[16:17], s[16:17] op_sel:[0,1]
	s_addc_u32 s33, s13, s11
	v_pk_mov_b32 v[4:5], s[18:19], s[18:19] op_sel:[0,1]
	v_pk_mov_b32 v[6:7], s[20:21], s[20:21] op_sel:[0,1]
	;; [unrolled: 1-line block ×3, first 2 shown]
	v_pk_mov_b32 v[2:3], 0, 0
	v_mul_lo_u32 v18, v0, s34
	s_waitcnt lgkmcnt(0)
	; wave barrier
	s_waitcnt lgkmcnt(0)
	s_and_saveexec_b64 s[10:11], s[0:1]
	s_cbranch_execnz .LBB268_26
; %bb.13:
	s_or_b64 exec, exec, s[10:11]
	s_and_saveexec_b64 s[10:11], s[6:7]
	s_cbranch_execnz .LBB268_27
.LBB268_14:
	s_or_b64 exec, exec, s[10:11]
	s_and_saveexec_b64 s[10:11], s[4:5]
	s_cbranch_execz .LBB268_16
.LBB268_15:
	v_mul_lo_u32 v6, v10, s34
	v_mov_b32_e32 v7, 0
	v_lshlrev_b64 v[6:7], 3, v[6:7]
	v_mov_b32_e32 v12, s33
	v_add_co_u32_e32 v6, vcc, s31, v6
	v_addc_co_u32_e32 v7, vcc, v12, v7, vcc
	global_load_dwordx2 v[6:7], v[6:7], off
.LBB268_16:
	s_or_b64 exec, exec, s[10:11]
	v_lshrrev_b32_e32 v14, 5, v1
	v_lshrrev_b32_e32 v13, 5, v10
	;; [unrolled: 1-line block ×4, first 2 shown]
	s_and_saveexec_b64 s[10:11], s[2:3]
	s_cbranch_execz .LBB268_18
; %bb.17:
	v_mul_lo_u32 v8, v11, s34
	v_mov_b32_e32 v9, 0
	v_lshlrev_b64 v[8:9], 3, v[8:9]
	v_mov_b32_e32 v11, s33
	v_add_co_u32_e32 v8, vcc, s31, v8
	v_addc_co_u32_e32 v9, vcc, v11, v9, vcc
	global_load_dwordx2 v[8:9], v[8:9], off
.LBB268_18:
	s_or_b64 exec, exec, s[10:11]
	v_lshlrev_b32_e32 v30, 3, v0
	v_add_lshl_u32 v19, v14, v0, 3
	v_add_lshl_u32 v31, v13, v0, 3
	;; [unrolled: 1-line block ×4, first 2 shown]
	s_waitcnt vmcnt(0)
	ds_write_b64 v30, v[2:3]
	ds_write_b64 v19, v[4:5] offset:256
	ds_write_b64 v31, v[6:7] offset:512
	;; [unrolled: 1-line block ×3, first 2 shown]
	s_waitcnt lgkmcnt(0)
	; wave barrier
	s_waitcnt lgkmcnt(0)
	ds_read2_b64 v[2:5], v33 offset1:1
	ds_read2_b64 v[6:9], v33 offset0:2 offset1:3
	s_and_b64 vcc, exec, s[8:9]
	s_waitcnt lgkmcnt(0)
	; wave barrier
	s_waitcnt lgkmcnt(0)
	s_cbranch_vccz .LBB268_28
; %bb.19:
	s_movk_i32 s10, 0x100
	v_cmp_gt_u32_e32 vcc, s10, v0
	s_getpc_b64 s[8:9]
	s_add_u32 s8, s8, _ZN7rocprim17ROCPRIM_400000_NS16block_radix_sortIbLj32ELj4ElLj1ELj1ELj0ELNS0_26block_radix_rank_algorithmE1ELNS0_18block_padding_hintE2ELNS0_4arch9wavefront6targetE1EE19radix_bits_per_passE@rel32@lo+4
	s_addc_u32 s9, s9, _ZN7rocprim17ROCPRIM_400000_NS16block_radix_sortIbLj32ELj4ElLj1ELj1ELj0ELNS0_26block_radix_rank_algorithmE1ELNS0_18block_padding_hintE2ELNS0_4arch9wavefront6targetE1EE19radix_bits_per_passE@rel32@hi+12
	s_and_saveexec_b64 s[10:11], vcc
	s_cbranch_execz .LBB268_29
; %bb.20:
	s_mov_b32 s18, 0
	s_mov_b64 s[12:13], 0
	v_mov_b32_e32 v12, 0
	v_pk_mov_b32 v[10:11], v[0:1], v[0:1] op_sel:[0,1]
	s_branch .LBB268_22
.LBB268_21:                             ;   in Loop: Header=BB268_22 Depth=1
	s_or_b64 exec, exec, s[16:17]
	s_add_i32 s18, s18, 2
	v_cmp_eq_u32_e64 s[14:15], 8, s18
	v_add_u32_e32 v11, 64, v11
	s_or_b64 s[12:13], s[14:15], s[12:13]
	v_add_u32_e32 v10, 64, v10
	s_andn2_b64 exec, exec, s[12:13]
	s_cbranch_execz .LBB268_29
.LBB268_22:                             ; =>This Inner Loop Header: Depth=1
	s_or_b32 s14, s18, 1
	v_cmp_le_u32_e64 s[14:15], s14, 7
	v_cmp_le_u32_e64 s[20:21], s18, 7
	s_and_saveexec_b64 s[16:17], s[20:21]
	s_cbranch_execz .LBB268_24
; %bb.23:                               ;   in Loop: Header=BB268_22 Depth=1
	v_lshlrev_b32_e32 v13, 2, v10
	ds_write_b32 v13, v12
.LBB268_24:                             ;   in Loop: Header=BB268_22 Depth=1
	s_or_b64 exec, exec, s[16:17]
	s_and_saveexec_b64 s[16:17], s[14:15]
	s_cbranch_execz .LBB268_21
; %bb.25:                               ;   in Loop: Header=BB268_22 Depth=1
	v_lshlrev_b32_e32 v13, 2, v11
	ds_write_b32 v13, v12
	s_branch .LBB268_21
.LBB268_26:
	v_mov_b32_e32 v19, 0
	v_lshlrev_b64 v[2:3], 3, v[18:19]
	v_mov_b32_e32 v4, s33
	v_add_co_u32_e32 v2, vcc, s31, v2
	v_addc_co_u32_e32 v3, vcc, v4, v3, vcc
	global_load_dwordx2 v[2:3], v[2:3], off
	v_mov_b32_e32 v4, v19
	v_mov_b32_e32 v5, v19
	;; [unrolled: 1-line block ×6, first 2 shown]
	s_or_b64 exec, exec, s[10:11]
	s_and_saveexec_b64 s[10:11], s[6:7]
	s_cbranch_execz .LBB268_14
.LBB268_27:
	v_mul_lo_u32 v4, v1, s34
	v_mov_b32_e32 v5, 0
	v_lshlrev_b64 v[4:5], 3, v[4:5]
	v_mov_b32_e32 v12, s33
	v_add_co_u32_e32 v4, vcc, s31, v4
	v_addc_co_u32_e32 v5, vcc, v12, v5, vcc
	global_load_dwordx2 v[4:5], v[4:5], off
	s_or_b64 exec, exec, s[10:11]
	s_and_saveexec_b64 s[10:11], s[4:5]
	s_cbranch_execnz .LBB268_15
	s_branch .LBB268_16
.LBB268_28:
                                        ; implicit-def: $vgpr16_vgpr17
                                        ; implicit-def: $vgpr12_vgpr13
                                        ; implicit-def: $vgpr20
	s_cbranch_execnz .LBB268_41
	s_branch .LBB268_60
.LBB268_29:
	s_or_b64 exec, exec, s[10:11]
	s_load_dword s8, s[8:9], 0x0
	v_lshlrev_b32_e32 v38, 5, v0
	v_cmp_eq_u32_e64 s[10:11], 31, v0
	s_waitcnt lgkmcnt(0)
	s_min_u32 s8, s8, 8
	s_lshl_b32 s8, -1, s8
	s_not_b32 s8, s8
	v_and_b32_e32 v10, s8, v37
	v_and_b32_e32 v10, 0xff, v10
	v_lshl_or_b32 v21, v10, 7, v29
	ds_read_u16 v20, v21
	v_and_b32_e32 v10, s8, v36
	v_and_b32_e32 v10, 0xff, v10
	v_lshl_or_b32 v24, v10, 7, v29
	v_and_b32_e32 v11, s8, v35
	s_waitcnt lgkmcnt(0)
	v_add_u16_e32 v10, 1, v20
	ds_write_b16 v21, v10
	ds_read_u16 v23, v24
	v_and_b32_e32 v11, 0xff, v11
	v_lshl_or_b32 v26, v11, 7, v29
	v_mbcnt_lo_u32_b32 v10, -1, 0
	v_mbcnt_hi_u32_b32 v41, -1, v10
	s_waitcnt lgkmcnt(0)
	v_add_u16_e32 v11, 1, v23
	ds_write_b16 v24, v11
	ds_read_u16 v25, v26
	v_and_b32_e32 v10, s8, v34
	v_and_b32_e32 v10, 0xff, v10
	v_lshl_or_b32 v39, v10, 7, v29
	v_and_b32_e32 v22, 15, v41
	s_waitcnt lgkmcnt(0)
	v_add_u16_e32 v10, 1, v25
	ds_write_b16 v26, v10
	ds_read_u16 v27, v39
	v_and_b32_e32 v10, 16, v41
	v_cmp_eq_u32_e64 s[8:9], 0, v10
	v_cmp_eq_u32_e64 s[14:15], 0, v22
	v_cmp_lt_u32_e64 s[16:17], 1, v22
	s_waitcnt lgkmcnt(0)
	v_add_u16_e32 v10, 1, v27
	ds_write_b16 v39, v10
	s_waitcnt lgkmcnt(0)
	; wave barrier
	s_waitcnt lgkmcnt(0)
	ds_read2_b32 v[16:17], v38 offset1:1
	ds_read2_b32 v[14:15], v38 offset0:2 offset1:3
	ds_read2_b32 v[10:11], v38 offset0:4 offset1:5
	;; [unrolled: 1-line block ×3, first 2 shown]
	v_cmp_lt_u32_e64 s[18:19], 3, v22
	s_waitcnt lgkmcnt(3)
	v_add_u32_e32 v42, v17, v16
	s_waitcnt lgkmcnt(2)
	v_add3_u32 v42, v42, v14, v15
	s_waitcnt lgkmcnt(1)
	v_add3_u32 v42, v42, v10, v11
	;; [unrolled: 2-line block ×3, first 2 shown]
	v_cmp_lt_u32_e64 s[20:21], 7, v22
	v_bfe_i32 v40, v41, 4, 1
	v_mov_b32_dpp v42, v13 row_shr:1 row_mask:0xf bank_mask:0xf
	v_cndmask_b32_e64 v42, v42, 0, s[14:15]
	v_add_u32_e32 v13, v42, v13
	s_nop 1
	v_mov_b32_dpp v42, v13 row_shr:2 row_mask:0xf bank_mask:0xf
	v_cndmask_b32_e64 v42, 0, v42, s[16:17]
	v_add_u32_e32 v13, v13, v42
	s_nop 1
	;; [unrolled: 4-line block ×4, first 2 shown]
	v_mov_b32_dpp v22, v13 row_bcast:15 row_mask:0xf bank_mask:0xf
	v_and_b32_e32 v22, v40, v22
	v_add_u32_e32 v13, v13, v22
	s_and_saveexec_b64 s[12:13], s[10:11]
	s_cbranch_execz .LBB268_31
; %bb.30:
	v_mov_b32_e32 v22, 0
	ds_write_b32 v22, v13 offset:1024
.LBB268_31:
	s_or_b64 exec, exec, s[12:13]
	v_add_u32_e32 v22, -1, v41
	v_and_b32_e32 v40, 0x60, v41
	v_cmp_lt_i32_e64 s[12:13], v22, v40
	v_cndmask_b32_e64 v22, v22, v41, s[12:13]
	v_lshlrev_b32_e32 v40, 2, v22
	ds_bpermute_b32 v13, v40, v13
	v_mov_b32_e32 v22, 0
	s_waitcnt lgkmcnt(0)
	; wave barrier
	s_waitcnt lgkmcnt(0)
	ds_read_b32 v42, v22 offset:1024
	v_cmp_eq_u32_e64 s[12:13], 0, v41
	v_cndmask_b32_e64 v13, v13, 0, s[12:13]
	s_waitcnt lgkmcnt(0)
	v_lshl_add_u32 v13, v42, 16, v13
	v_add_u32_e32 v16, v13, v16
	v_add_u32_e32 v17, v16, v17
	;; [unrolled: 1-line block ×7, first 2 shown]
	ds_write2_b32 v38, v13, v16 offset1:1
	ds_write2_b32 v38, v17, v14 offset0:2 offset1:3
	ds_write2_b32 v38, v15, v10 offset0:4 offset1:5
	;; [unrolled: 1-line block ×3, first 2 shown]
	s_waitcnt lgkmcnt(0)
	; wave barrier
	s_waitcnt lgkmcnt(0)
	ds_read_u16 v10, v21
	ds_read_u16 v11, v24
	;; [unrolled: 1-line block ×4, first 2 shown]
	s_waitcnt lgkmcnt(0)
	v_add_u32_sdwa v10, v10, v20 dst_sel:DWORD dst_unused:UNUSED_PAD src0_sel:DWORD src1_sel:WORD_0
	v_add_u32_sdwa v11, v11, v23 dst_sel:DWORD dst_unused:UNUSED_PAD src0_sel:DWORD src1_sel:WORD_0
	;; [unrolled: 1-line block ×4, first 2 shown]
	; wave barrier
	ds_write_b8 v10, v37
	ds_write_b8 v11, v36
	;; [unrolled: 1-line block ×4, first 2 shown]
	v_lshlrev_b32_e32 v10, 3, v10
	s_waitcnt lgkmcnt(0)
	; wave barrier
	s_waitcnt lgkmcnt(0)
	ds_read_u8 v41, v29
	ds_read_u8 v42, v29 offset:1
	ds_read_u8 v43, v29 offset:2
	;; [unrolled: 1-line block ×3, first 2 shown]
	s_waitcnt lgkmcnt(0)
	; wave barrier
	s_waitcnt lgkmcnt(0)
	ds_write_b64 v10, v[2:3]
	v_lshlrev_b32_e32 v10, 3, v11
	ds_write_b64 v10, v[4:5]
	v_lshlrev_b32_e32 v10, 3, v12
	v_lshlrev_b32_e32 v39, 3, v29
	ds_write_b64 v10, v[6:7]
	v_lshlrev_b32_e32 v10, 3, v13
	ds_write_b64 v10, v[8:9]
	s_waitcnt lgkmcnt(0)
	; wave barrier
	s_waitcnt lgkmcnt(0)
	ds_read2_b64 v[14:17], v39 offset1:1
	ds_read2_b64 v[10:13], v39 offset0:2 offset1:3
	s_waitcnt lgkmcnt(0)
	; wave barrier
	s_waitcnt lgkmcnt(0)
	s_and_saveexec_b64 s[22:23], vcc
	s_cbranch_execz .LBB268_38
; %bb.32:
	s_mov_b32 s35, 0
	s_mov_b64 s[24:25], 0
	v_pk_mov_b32 v[20:21], v[0:1], v[0:1] op_sel:[0,1]
	s_branch .LBB268_34
.LBB268_33:                             ;   in Loop: Header=BB268_34 Depth=1
	s_or_b64 exec, exec, s[28:29]
	s_add_i32 s35, s35, 2
	v_cmp_eq_u32_e64 s[26:27], 8, s35
	v_add_u32_e32 v21, 64, v21
	s_or_b64 s[24:25], s[26:27], s[24:25]
	v_add_u32_e32 v20, 64, v20
	s_andn2_b64 exec, exec, s[24:25]
	s_cbranch_execz .LBB268_38
.LBB268_34:                             ; =>This Inner Loop Header: Depth=1
	s_or_b32 s26, s35, 1
	v_cmp_le_u32_e64 s[26:27], s26, 7
	v_cmp_le_u32_e64 s[38:39], s35, 7
	s_and_saveexec_b64 s[28:29], s[38:39]
	s_cbranch_execz .LBB268_36
; %bb.35:                               ;   in Loop: Header=BB268_34 Depth=1
	v_lshlrev_b32_e32 v23, 2, v20
	ds_write_b32 v23, v22
.LBB268_36:                             ;   in Loop: Header=BB268_34 Depth=1
	s_or_b64 exec, exec, s[28:29]
	s_and_saveexec_b64 s[28:29], s[26:27]
	s_cbranch_execz .LBB268_33
; %bb.37:                               ;   in Loop: Header=BB268_34 Depth=1
	v_lshlrev_b32_e32 v23, 2, v21
	ds_write_b32 v23, v22
	s_branch .LBB268_33
.LBB268_38:
	s_or_b64 exec, exec, s[22:23]
	v_lshlrev_b32_e32 v20, 1, v0
	v_lshlrev_b32_e32 v46, 1, v20
	ds_read_u16 v45, v46
	s_waitcnt lgkmcnt(0)
	v_add_u16_e32 v20, 4, v45
	ds_write_b16 v46, v20
	s_waitcnt lgkmcnt(0)
	; wave barrier
	s_waitcnt lgkmcnt(0)
	ds_read2_b32 v[26:27], v38 offset1:1
	ds_read2_b32 v[24:25], v38 offset0:2 offset1:3
	ds_read2_b32 v[20:21], v38 offset0:4 offset1:5
	;; [unrolled: 1-line block ×3, first 2 shown]
	s_waitcnt lgkmcnt(3)
	v_add_u32_e32 v47, v27, v26
	s_waitcnt lgkmcnt(2)
	v_add3_u32 v47, v47, v24, v25
	s_waitcnt lgkmcnt(1)
	v_add3_u32 v47, v47, v20, v21
	s_waitcnt lgkmcnt(0)
	v_add3_u32 v23, v47, v22, v23
	s_nop 1
	v_mov_b32_dpp v47, v23 row_shr:1 row_mask:0xf bank_mask:0xf
	v_cndmask_b32_e64 v47, v47, 0, s[14:15]
	v_add_u32_e32 v23, v47, v23
	s_nop 1
	v_mov_b32_dpp v47, v23 row_shr:2 row_mask:0xf bank_mask:0xf
	v_cndmask_b32_e64 v47, 0, v47, s[16:17]
	v_add_u32_e32 v23, v23, v47
	;; [unrolled: 4-line block ×4, first 2 shown]
	s_nop 1
	v_mov_b32_dpp v47, v23 row_bcast:15 row_mask:0xf bank_mask:0xf
	v_cndmask_b32_e64 v47, v47, 0, s[8:9]
	v_add_u32_e32 v23, v23, v47
	s_and_saveexec_b64 s[8:9], s[10:11]
	s_cbranch_execz .LBB268_40
; %bb.39:
	v_mov_b32_e32 v47, 0
	ds_write_b32 v47, v23 offset:1024
.LBB268_40:
	s_or_b64 exec, exec, s[8:9]
	ds_bpermute_b32 v23, v40, v23
	v_mov_b32_e32 v40, 0
	s_waitcnt lgkmcnt(0)
	; wave barrier
	s_waitcnt lgkmcnt(0)
	ds_read_b32 v40, v40 offset:1024
	v_cndmask_b32_e64 v23, v23, 0, s[12:13]
	s_waitcnt lgkmcnt(0)
	v_lshl_add_u32 v23, v40, 16, v23
	v_add_u32_e32 v26, v23, v26
	v_add_u32_e32 v27, v26, v27
	;; [unrolled: 1-line block ×7, first 2 shown]
	ds_write2_b32 v38, v23, v26 offset1:1
	ds_write2_b32 v38, v27, v24 offset0:2 offset1:3
	ds_write2_b32 v38, v25, v20 offset0:4 offset1:5
	;; [unrolled: 1-line block ×3, first 2 shown]
	s_waitcnt lgkmcnt(0)
	; wave barrier
	s_waitcnt lgkmcnt(0)
	ds_read_u16 v20, v46
	v_pk_sub_u16 v21, v45, -2 op_sel:[0,1] op_sel_hi:[0,0]
	v_add_u16_e32 v22, 3, v45
	s_waitcnt lgkmcnt(0)
	; wave barrier
	s_waitcnt lgkmcnt(0)
	v_add_u32_e32 v22, v20, v22
	v_add_u32_sdwa v23, v20, v21 dst_sel:DWORD dst_unused:UNUSED_PAD src0_sel:DWORD src1_sel:WORD_1
	v_add_u32_sdwa v21, v20, v21 dst_sel:DWORD dst_unused:UNUSED_PAD src0_sel:DWORD src1_sel:WORD_0
	v_add_u32_sdwa v20, v20, v45 dst_sel:DWORD dst_unused:UNUSED_PAD src0_sel:DWORD src1_sel:WORD_0
	ds_write_b8 v20, v41
	ds_write_b8 v21, v42
	;; [unrolled: 1-line block ×4, first 2 shown]
	v_lshlrev_b32_e32 v20, 3, v20
	s_waitcnt lgkmcnt(0)
	; wave barrier
	s_waitcnt lgkmcnt(0)
	ds_read_u8 v24, v29
	ds_read_u8 v25, v29 offset:1
	ds_read_u8 v26, v29 offset:2
	;; [unrolled: 1-line block ×3, first 2 shown]
	s_waitcnt lgkmcnt(0)
	; wave barrier
	s_waitcnt lgkmcnt(0)
	ds_write_b64 v20, v[14:15]
	v_lshlrev_b32_e32 v14, 3, v21
	ds_write_b64 v14, v[16:17]
	v_lshlrev_b32_e32 v14, 3, v23
	;; [unrolled: 2-line block ×3, first 2 shown]
	ds_write_b64 v10, v[12:13]
	s_waitcnt lgkmcnt(0)
	; wave barrier
	s_waitcnt lgkmcnt(0)
	ds_read2_b64 v[10:13], v39 offset1:1
	ds_read2_b64 v[14:17], v39 offset0:2 offset1:3
	v_lshlrev_b16_e32 v20, 8, v25
	v_lshlrev_b16_e32 v21, 8, v27
	v_or_b32_e32 v20, v24, v20
	v_or_b32_sdwa v21, v26, v21 dst_sel:WORD_1 dst_unused:UNUSED_PAD src0_sel:DWORD src1_sel:DWORD
	v_or_b32_sdwa v20, v20, v21 dst_sel:DWORD dst_unused:UNUSED_PAD src0_sel:WORD_0 src1_sel:DWORD
	s_branch .LBB268_60
.LBB268_41:
	s_movk_i32 s10, 0x100
	v_cmp_gt_u32_e32 vcc, s10, v0
	s_getpc_b64 s[8:9]
	s_add_u32 s8, s8, _ZN7rocprim17ROCPRIM_400000_NS16block_radix_sortIbLj32ELj4ElLj1ELj1ELj0ELNS0_26block_radix_rank_algorithmE1ELNS0_18block_padding_hintE2ELNS0_4arch9wavefront6targetE1EE19radix_bits_per_passE@rel32@lo+4
	s_addc_u32 s9, s9, _ZN7rocprim17ROCPRIM_400000_NS16block_radix_sortIbLj32ELj4ElLj1ELj1ELj0ELNS0_26block_radix_rank_algorithmE1ELNS0_18block_padding_hintE2ELNS0_4arch9wavefront6targetE1EE19radix_bits_per_passE@rel32@hi+12
	s_and_saveexec_b64 s[10:11], vcc
	s_cbranch_execz .LBB268_48
; %bb.42:
	s_mov_b32 s18, 0
	s_mov_b64 s[12:13], 0
	s_waitcnt lgkmcnt(1)
	v_mov_b32_e32 v12, 0
	v_pk_mov_b32 v[10:11], v[0:1], v[0:1] op_sel:[0,1]
	s_branch .LBB268_44
.LBB268_43:                             ;   in Loop: Header=BB268_44 Depth=1
	s_or_b64 exec, exec, s[16:17]
	s_add_i32 s18, s18, 2
	v_cmp_eq_u32_e64 s[14:15], 8, s18
	v_add_u32_e32 v11, 64, v11
	s_or_b64 s[12:13], s[14:15], s[12:13]
	v_add_u32_e32 v10, 64, v10
	s_andn2_b64 exec, exec, s[12:13]
	s_cbranch_execz .LBB268_48
.LBB268_44:                             ; =>This Inner Loop Header: Depth=1
	s_or_b32 s14, s18, 1
	v_cmp_le_u32_e64 s[14:15], s14, 7
	v_cmp_le_u32_e64 s[20:21], s18, 7
	s_and_saveexec_b64 s[16:17], s[20:21]
	s_cbranch_execz .LBB268_46
; %bb.45:                               ;   in Loop: Header=BB268_44 Depth=1
	v_lshlrev_b32_e32 v13, 2, v10
	ds_write_b32 v13, v12
.LBB268_46:                             ;   in Loop: Header=BB268_44 Depth=1
	s_or_b64 exec, exec, s[16:17]
	s_and_saveexec_b64 s[16:17], s[14:15]
	s_cbranch_execz .LBB268_43
; %bb.47:                               ;   in Loop: Header=BB268_44 Depth=1
	v_lshlrev_b32_e32 v13, 2, v11
	ds_write_b32 v13, v12
	s_branch .LBB268_43
.LBB268_48:
	s_or_b64 exec, exec, s[10:11]
	s_load_dword s8, s[8:9], 0x0
	s_waitcnt lgkmcnt(0)
	v_and_b32_e32 v10, 1, v37
	v_cmp_eq_u32_e64 s[20:21], 1, v10
	v_lshlrev_b32_e32 v20, 5, v0
	v_cmp_eq_u32_e64 s[10:11], 31, v0
	s_min_u32 s8, s8, 8
	s_lshl_b32 s8, -1, s8
	s_not_b32 s8, s8
	s_lshl_b32 s8, s8, 6
	s_and_b32 s8, s8, 64
	v_mov_b32_e32 v11, s8
	v_cndmask_b32_e64 v10, v11, 0, s[20:21]
	v_lshl_or_b32 v21, v10, 1, v29
	ds_read_u16 v23, v21
	v_and_b32_e32 v10, 1, v36
	v_cmp_eq_u32_e64 s[24:25], 1, v10
	v_cndmask_b32_e64 v10, v11, 0, s[24:25]
	v_lshl_or_b32 v25, v10, 1, v29
	s_waitcnt lgkmcnt(0)
	v_add_u16_e32 v12, 1, v23
	ds_write_b16 v21, v12
	ds_read_u16 v24, v25
	v_and_b32_e32 v10, 1, v35
	v_cmp_eq_u32_e64 s[26:27], 1, v10
	v_cndmask_b32_e64 v10, v11, 0, s[26:27]
	v_lshl_or_b32 v27, v10, 1, v29
	s_waitcnt lgkmcnt(0)
	v_add_u16_e32 v12, 1, v24
	ds_write_b16 v25, v12
	ds_read_u16 v26, v27
	v_and_b32_e32 v10, 1, v34
	v_mbcnt_lo_u32_b32 v12, -1, 0
	v_cmp_eq_u32_e64 s[22:23], 1, v10
	v_mbcnt_hi_u32_b32 v36, -1, v12
	s_waitcnt lgkmcnt(0)
	v_add_u16_e32 v12, 1, v26
	v_cndmask_b32_e64 v10, v11, 0, s[22:23]
	ds_write_b16 v27, v12
	v_lshl_or_b32 v35, v10, 1, v29
	ds_read_u16 v34, v35
	v_and_b32_e32 v10, 16, v36
	v_cmp_eq_u32_e64 s[8:9], 0, v10
	v_and_b32_e32 v22, 15, v36
	v_cmp_eq_u32_e64 s[12:13], 0, v22
	s_waitcnt lgkmcnt(0)
	v_add_u16_e32 v10, 1, v34
	ds_write_b16 v35, v10
	s_waitcnt lgkmcnt(0)
	; wave barrier
	s_waitcnt lgkmcnt(0)
	ds_read2_b32 v[16:17], v20 offset1:1
	ds_read2_b32 v[14:15], v20 offset0:2 offset1:3
	ds_read2_b32 v[10:11], v20 offset0:4 offset1:5
	ds_read2_b32 v[12:13], v20 offset0:6 offset1:7
	v_cmp_lt_u32_e64 s[14:15], 1, v22
	s_waitcnt lgkmcnt(3)
	v_add_u32_e32 v38, v17, v16
	s_waitcnt lgkmcnt(2)
	v_add3_u32 v38, v38, v14, v15
	s_waitcnt lgkmcnt(1)
	v_add3_u32 v38, v38, v10, v11
	;; [unrolled: 2-line block ×3, first 2 shown]
	v_cmp_lt_u32_e64 s[16:17], 3, v22
	v_cmp_lt_u32_e64 s[18:19], 7, v22
	v_mov_b32_dpp v38, v13 row_shr:1 row_mask:0xf bank_mask:0xf
	v_cndmask_b32_e64 v38, v38, 0, s[12:13]
	v_add_u32_e32 v13, v38, v13
	v_bfe_i32 v37, v36, 4, 1
	s_nop 0
	v_mov_b32_dpp v38, v13 row_shr:2 row_mask:0xf bank_mask:0xf
	v_cndmask_b32_e64 v38, 0, v38, s[14:15]
	v_add_u32_e32 v13, v13, v38
	s_nop 1
	v_mov_b32_dpp v38, v13 row_shr:4 row_mask:0xf bank_mask:0xf
	v_cndmask_b32_e64 v38, 0, v38, s[16:17]
	v_add_u32_e32 v13, v13, v38
	;; [unrolled: 4-line block ×3, first 2 shown]
	s_nop 1
	v_mov_b32_dpp v22, v13 row_bcast:15 row_mask:0xf bank_mask:0xf
	v_and_b32_e32 v22, v37, v22
	v_add_u32_e32 v13, v13, v22
	s_and_saveexec_b64 s[28:29], s[10:11]
	s_cbranch_execz .LBB268_50
; %bb.49:
	v_mov_b32_e32 v22, 0
	ds_write_b32 v22, v13 offset:1024
.LBB268_50:
	s_or_b64 exec, exec, s[28:29]
	s_xor_b64 s[20:21], s[20:21], -1
	v_cndmask_b32_e64 v37, 0, 1, s[20:21]
	s_xor_b64 s[20:21], s[24:25], -1
	v_cndmask_b32_e64 v38, 0, 1, s[20:21]
	s_xor_b64 s[20:21], s[26:27], -1
	v_add_u32_e32 v22, -1, v36
	v_and_b32_e32 v40, 0x60, v36
	v_cndmask_b32_e64 v39, 0, 1, s[20:21]
	v_cmp_lt_i32_e64 s[20:21], v22, v40
	v_cndmask_b32_e64 v22, v22, v36, s[20:21]
	v_lshlrev_b32_e32 v22, 2, v22
	ds_bpermute_b32 v40, v22, v13
	v_mov_b32_e32 v13, 0
	s_waitcnt lgkmcnt(0)
	; wave barrier
	s_waitcnt lgkmcnt(0)
	ds_read_b32 v41, v13 offset:1024
	s_xor_b64 s[20:21], s[22:23], -1
	v_cndmask_b32_e64 v42, 0, 1, s[20:21]
	v_cmp_eq_u32_e64 s[20:21], 0, v36
	v_cndmask_b32_e64 v36, v40, 0, s[20:21]
	s_waitcnt lgkmcnt(0)
	v_lshl_add_u32 v36, v41, 16, v36
	v_add_u32_e32 v16, v36, v16
	v_add_u32_e32 v17, v16, v17
	;; [unrolled: 1-line block ×7, first 2 shown]
	ds_write2_b32 v20, v36, v16 offset1:1
	ds_write2_b32 v20, v17, v14 offset0:2 offset1:3
	ds_write2_b32 v20, v15, v10 offset0:4 offset1:5
	;; [unrolled: 1-line block ×3, first 2 shown]
	s_waitcnt lgkmcnt(0)
	; wave barrier
	s_waitcnt lgkmcnt(0)
	ds_read_u16 v10, v21
	ds_read_u16 v11, v25
	;; [unrolled: 1-line block ×4, first 2 shown]
	s_waitcnt lgkmcnt(0)
	v_add_u32_sdwa v10, v10, v23 dst_sel:DWORD dst_unused:UNUSED_PAD src0_sel:DWORD src1_sel:WORD_0
	v_add_u32_sdwa v11, v11, v24 dst_sel:DWORD dst_unused:UNUSED_PAD src0_sel:DWORD src1_sel:WORD_0
	;; [unrolled: 1-line block ×4, first 2 shown]
	; wave barrier
	ds_write_b8 v10, v37
	ds_write_b8 v11, v38
	;; [unrolled: 1-line block ×4, first 2 shown]
	v_lshlrev_b32_e32 v10, 3, v10
	s_waitcnt lgkmcnt(0)
	; wave barrier
	s_waitcnt lgkmcnt(0)
	ds_read_u8 v23, v29
	ds_read_u8 v24, v29 offset:1
	ds_read_u8 v25, v29 offset:2
	;; [unrolled: 1-line block ×3, first 2 shown]
	s_waitcnt lgkmcnt(0)
	; wave barrier
	s_waitcnt lgkmcnt(0)
	ds_write_b64 v10, v[2:3]
	v_lshlrev_b32_e32 v2, 3, v11
	ds_write_b64 v2, v[4:5]
	v_lshlrev_b32_e32 v2, 3, v12
	v_lshlrev_b32_e32 v21, 3, v29
	ds_write_b64 v2, v[6:7]
	v_lshlrev_b32_e32 v2, 3, v14
	ds_write_b64 v2, v[8:9]
	s_waitcnt lgkmcnt(0)
	; wave barrier
	s_waitcnt lgkmcnt(0)
	ds_read2_b64 v[6:9], v21 offset1:1
	ds_read2_b64 v[2:5], v21 offset0:2 offset1:3
	s_waitcnt lgkmcnt(0)
	; wave barrier
	s_waitcnt lgkmcnt(0)
	s_and_saveexec_b64 s[22:23], vcc
	s_cbranch_execz .LBB268_57
; %bb.51:
	s_mov_b32 s35, 0
	s_mov_b64 s[24:25], 0
	v_pk_mov_b32 v[10:11], v[0:1], v[0:1] op_sel:[0,1]
	s_branch .LBB268_53
.LBB268_52:                             ;   in Loop: Header=BB268_53 Depth=1
	s_or_b64 exec, exec, s[28:29]
	s_add_i32 s35, s35, 2
	v_cmp_eq_u32_e64 s[26:27], 8, s35
	v_add_u32_e32 v11, 64, v11
	s_or_b64 s[24:25], s[26:27], s[24:25]
	v_add_u32_e32 v10, 64, v10
	s_andn2_b64 exec, exec, s[24:25]
	s_cbranch_execz .LBB268_57
.LBB268_53:                             ; =>This Inner Loop Header: Depth=1
	s_or_b32 s26, s35, 1
	v_cmp_le_u32_e64 s[26:27], s26, 7
	v_cmp_le_u32_e64 s[38:39], s35, 7
	s_and_saveexec_b64 s[28:29], s[38:39]
	s_cbranch_execz .LBB268_55
; %bb.54:                               ;   in Loop: Header=BB268_53 Depth=1
	v_lshlrev_b32_e32 v1, 2, v10
	ds_write_b32 v1, v13
.LBB268_55:                             ;   in Loop: Header=BB268_53 Depth=1
	s_or_b64 exec, exec, s[28:29]
	s_and_saveexec_b64 s[28:29], s[26:27]
	s_cbranch_execz .LBB268_52
; %bb.56:                               ;   in Loop: Header=BB268_53 Depth=1
	v_lshlrev_b32_e32 v1, 2, v11
	ds_write_b32 v1, v13
	s_branch .LBB268_52
.LBB268_57:
	s_or_b64 exec, exec, s[22:23]
	v_lshlrev_b32_e32 v1, 1, v0
	v_lshlrev_b32_e32 v27, 1, v1
	ds_read_u16 v1, v27
	s_waitcnt lgkmcnt(0)
	v_add_u16_e32 v10, 4, v1
	ds_write_b16 v27, v10
	s_waitcnt lgkmcnt(0)
	; wave barrier
	s_waitcnt lgkmcnt(0)
	ds_read2_b32 v[16:17], v20 offset1:1
	ds_read2_b32 v[14:15], v20 offset0:2 offset1:3
	ds_read2_b32 v[10:11], v20 offset0:4 offset1:5
	;; [unrolled: 1-line block ×3, first 2 shown]
	s_waitcnt lgkmcnt(3)
	v_add_u32_e32 v34, v17, v16
	s_waitcnt lgkmcnt(2)
	v_add3_u32 v34, v34, v14, v15
	s_waitcnt lgkmcnt(1)
	v_add3_u32 v34, v34, v10, v11
	;; [unrolled: 2-line block ×3, first 2 shown]
	s_nop 1
	v_mov_b32_dpp v34, v13 row_shr:1 row_mask:0xf bank_mask:0xf
	v_cndmask_b32_e64 v34, v34, 0, s[12:13]
	v_add_u32_e32 v13, v34, v13
	s_nop 1
	v_mov_b32_dpp v34, v13 row_shr:2 row_mask:0xf bank_mask:0xf
	v_cndmask_b32_e64 v34, 0, v34, s[14:15]
	v_add_u32_e32 v13, v13, v34
	s_nop 1
	v_mov_b32_dpp v34, v13 row_shr:4 row_mask:0xf bank_mask:0xf
	v_cndmask_b32_e64 v34, 0, v34, s[16:17]
	v_add_u32_e32 v13, v13, v34
	s_nop 1
	v_mov_b32_dpp v34, v13 row_shr:8 row_mask:0xf bank_mask:0xf
	v_cndmask_b32_e64 v34, 0, v34, s[18:19]
	v_add_u32_e32 v13, v13, v34
	s_nop 1
	v_mov_b32_dpp v34, v13 row_bcast:15 row_mask:0xf bank_mask:0xf
	v_cndmask_b32_e64 v34, v34, 0, s[8:9]
	v_add_u32_e32 v13, v13, v34
	s_and_saveexec_b64 s[8:9], s[10:11]
	s_cbranch_execz .LBB268_59
; %bb.58:
	v_mov_b32_e32 v34, 0
	ds_write_b32 v34, v13 offset:1024
.LBB268_59:
	s_or_b64 exec, exec, s[8:9]
	ds_bpermute_b32 v13, v22, v13
	v_mov_b32_e32 v22, 0
	s_waitcnt lgkmcnt(0)
	; wave barrier
	s_waitcnt lgkmcnt(0)
	ds_read_b32 v22, v22 offset:1024
	v_cndmask_b32_e64 v13, v13, 0, s[20:21]
	s_waitcnt lgkmcnt(0)
	v_lshl_add_u32 v13, v22, 16, v13
	v_add_u32_e32 v16, v13, v16
	v_add_u32_e32 v17, v16, v17
	;; [unrolled: 1-line block ×7, first 2 shown]
	ds_write2_b32 v20, v13, v16 offset1:1
	ds_write2_b32 v20, v17, v14 offset0:2 offset1:3
	ds_write2_b32 v20, v15, v10 offset0:4 offset1:5
	;; [unrolled: 1-line block ×3, first 2 shown]
	s_waitcnt lgkmcnt(0)
	; wave barrier
	s_waitcnt lgkmcnt(0)
	ds_read_u16 v10, v27
	v_pk_sub_u16 v11, v1, -2 op_sel:[0,1] op_sel_hi:[0,0]
	v_add_u16_e32 v12, 3, v1
	s_waitcnt lgkmcnt(0)
	; wave barrier
	s_waitcnt lgkmcnt(0)
	v_add_u32_sdwa v1, v10, v1 dst_sel:DWORD dst_unused:UNUSED_PAD src0_sel:DWORD src1_sel:WORD_0
	v_add_u32_e32 v12, v10, v12
	v_add_u32_sdwa v13, v10, v11 dst_sel:DWORD dst_unused:UNUSED_PAD src0_sel:DWORD src1_sel:WORD_1
	v_add_u32_sdwa v11, v10, v11 dst_sel:DWORD dst_unused:UNUSED_PAD src0_sel:DWORD src1_sel:WORD_0
	ds_write_b8 v1, v23
	ds_write_b8 v11, v24
	ds_write_b8 v13, v25
	ds_write_b8 v12, v26
	v_lshlrev_b32_e32 v1, 3, v1
	s_waitcnt lgkmcnt(0)
	; wave barrier
	s_waitcnt lgkmcnt(0)
	ds_read_u8 v20, v29
	ds_read_u8 v22, v29 offset:1
	ds_read_u8 v23, v29 offset:2
	;; [unrolled: 1-line block ×3, first 2 shown]
	s_waitcnt lgkmcnt(0)
	; wave barrier
	s_waitcnt lgkmcnt(0)
	ds_write_b64 v1, v[6:7]
	v_lshlrev_b32_e32 v1, 3, v11
	ds_write_b64 v1, v[8:9]
	v_lshlrev_b32_e32 v1, 3, v13
	;; [unrolled: 2-line block ×3, first 2 shown]
	ds_write_b64 v1, v[4:5]
	s_waitcnt lgkmcnt(0)
	; wave barrier
	s_waitcnt lgkmcnt(0)
	ds_read2_b64 v[10:13], v21 offset1:1
	ds_read2_b64 v[14:17], v21 offset0:2 offset1:3
	v_mov_b32_e32 v2, 1
	v_xor_b32_e32 v1, 1, v20
	v_xor_b32_sdwa v3, v22, v2 dst_sel:BYTE_1 dst_unused:UNUSED_PAD src0_sel:DWORD src1_sel:DWORD
	v_xor_b32_e32 v4, 1, v23
	v_xor_b32_sdwa v2, v24, v2 dst_sel:BYTE_1 dst_unused:UNUSED_PAD src0_sel:DWORD src1_sel:DWORD
	v_or_b32_e32 v1, v1, v3
	v_or_b32_sdwa v2, v4, v2 dst_sel:WORD_1 dst_unused:UNUSED_PAD src0_sel:DWORD src1_sel:DWORD
	v_or_b32_sdwa v20, v1, v2 dst_sel:DWORD dst_unused:UNUSED_PAD src0_sel:WORD_0 src1_sel:DWORD
.LBB268_60:
	s_waitcnt lgkmcnt(0)
	; wave barrier
	s_waitcnt lgkmcnt(0)
	ds_write_b32 v29, v20
	s_waitcnt lgkmcnt(0)
	; wave barrier
	s_waitcnt lgkmcnt(0)
	ds_read_u8 v5, v0 offset:32
	ds_read_u8 v4, v0 offset:64
	;; [unrolled: 1-line block ×3, first 2 shown]
	v_mov_b32_e32 v3, s37
	v_add_co_u32_e32 v2, vcc, s36, v28
	v_addc_co_u32_e32 v3, vcc, 0, v3, vcc
	s_and_saveexec_b64 s[8:9], s[0:1]
	s_cbranch_execnz .LBB268_71
; %bb.61:
	s_or_b64 exec, exec, s[8:9]
	s_and_saveexec_b64 s[8:9], s[6:7]
	s_cbranch_execnz .LBB268_72
.LBB268_62:
	s_or_b64 exec, exec, s[8:9]
	s_and_saveexec_b64 s[8:9], s[4:5]
	s_cbranch_execnz .LBB268_73
.LBB268_63:
	s_or_b64 exec, exec, s[8:9]
	s_and_saveexec_b64 s[8:9], s[2:3]
	s_cbranch_execz .LBB268_65
.LBB268_64:
	s_mul_i32 s10, s30, 0x60
	v_add_co_u32_e32 v2, vcc, s10, v2
	v_addc_co_u32_e32 v3, vcc, 0, v3, vcc
	s_waitcnt lgkmcnt(0)
	global_store_byte v[2:3], v1, off
.LBB268_65:
	s_or_b64 exec, exec, s[8:9]
	s_waitcnt lgkmcnt(0)
	; wave barrier
	s_waitcnt lgkmcnt(0)
	ds_write2_b64 v33, v[10:11], v[12:13] offset1:1
	ds_write2_b64 v33, v[14:15], v[16:17] offset0:2 offset1:3
	s_waitcnt lgkmcnt(0)
	; wave barrier
	s_waitcnt lgkmcnt(0)
	ds_read_b64 v[6:7], v19 offset:256
	ds_read_b64 v[4:5], v31 offset:512
	;; [unrolled: 1-line block ×3, first 2 shown]
	v_mov_b32_e32 v19, 0
	v_lshlrev_b64 v[2:3], 3, v[18:19]
	v_mov_b32_e32 v8, s33
	v_add_co_u32_e32 v2, vcc, s31, v2
	v_addc_co_u32_e32 v3, vcc, v8, v3, vcc
	s_and_saveexec_b64 s[8:9], s[0:1]
	s_cbranch_execnz .LBB268_74
; %bb.66:
	s_or_b64 exec, exec, s[8:9]
	s_and_saveexec_b64 s[0:1], s[6:7]
	s_cbranch_execnz .LBB268_75
.LBB268_67:
	s_or_b64 exec, exec, s[0:1]
	s_and_saveexec_b64 s[0:1], s[4:5]
	s_cbranch_execnz .LBB268_76
.LBB268_68:
	s_or_b64 exec, exec, s[0:1]
	s_and_saveexec_b64 s[0:1], s[2:3]
	s_cbranch_execz .LBB268_70
.LBB268_69:
	s_mul_i32 s0, s34, 0x60
	s_mov_b32 s1, 0
	s_lshl_b64 s[0:1], s[0:1], 3
	s_waitcnt lgkmcnt(1)
	v_mov_b32_e32 v4, s1
	v_add_co_u32_e32 v2, vcc, s0, v2
	v_addc_co_u32_e32 v3, vcc, v3, v4, vcc
	s_waitcnt lgkmcnt(0)
	global_store_dwordx2 v[2:3], v[0:1], off
.LBB268_70:
	s_endpgm
.LBB268_71:
	ds_read_u8 v0, v0
	s_waitcnt lgkmcnt(0)
	global_store_byte v[2:3], v0, off
	s_or_b64 exec, exec, s[8:9]
	s_and_saveexec_b64 s[8:9], s[6:7]
	s_cbranch_execz .LBB268_62
.LBB268_72:
	s_lshl_b32 s10, s30, 5
	v_add_co_u32_e32 v6, vcc, s10, v2
	v_addc_co_u32_e32 v7, vcc, 0, v3, vcc
	s_waitcnt lgkmcnt(2)
	global_store_byte v[6:7], v5, off
	s_or_b64 exec, exec, s[8:9]
	s_and_saveexec_b64 s[8:9], s[4:5]
	s_cbranch_execz .LBB268_63
.LBB268_73:
	s_lshl_b32 s10, s30, 6
	v_add_co_u32_e32 v6, vcc, s10, v2
	v_addc_co_u32_e32 v7, vcc, 0, v3, vcc
	s_waitcnt lgkmcnt(1)
	global_store_byte v[6:7], v4, off
	s_or_b64 exec, exec, s[8:9]
	s_and_saveexec_b64 s[8:9], s[2:3]
	s_cbranch_execnz .LBB268_64
	s_branch .LBB268_65
.LBB268_74:
	ds_read_b64 v[8:9], v30
	s_waitcnt lgkmcnt(0)
	global_store_dwordx2 v[2:3], v[8:9], off
	s_or_b64 exec, exec, s[8:9]
	s_and_saveexec_b64 s[0:1], s[6:7]
	s_cbranch_execz .LBB268_67
.LBB268_75:
	s_lshl_b32 s6, s34, 5
	s_mov_b32 s7, 0
	s_lshl_b64 s[6:7], s[6:7], 3
	v_mov_b32_e32 v9, s7
	v_add_co_u32_e32 v8, vcc, s6, v2
	v_addc_co_u32_e32 v9, vcc, v3, v9, vcc
	s_waitcnt lgkmcnt(2)
	global_store_dwordx2 v[8:9], v[6:7], off
	s_or_b64 exec, exec, s[0:1]
	s_and_saveexec_b64 s[0:1], s[4:5]
	s_cbranch_execz .LBB268_68
.LBB268_76:
	s_lshl_b32 s4, s34, 6
	s_mov_b32 s5, 0
	s_lshl_b64 s[4:5], s[4:5], 3
	s_waitcnt lgkmcnt(2)
	v_mov_b32_e32 v7, s5
	v_add_co_u32_e32 v6, vcc, s4, v2
	v_addc_co_u32_e32 v7, vcc, v3, v7, vcc
	s_waitcnt lgkmcnt(1)
	global_store_dwordx2 v[6:7], v[4:5], off
	s_or_b64 exec, exec, s[0:1]
	s_and_saveexec_b64 s[0:1], s[2:3]
	s_cbranch_execnz .LBB268_69
	s_branch .LBB268_70
	.section	.rodata,"a",@progbits
	.p2align	6, 0x0
	.amdhsa_kernel _ZN2at6native18radixSortKVInPlaceILi2ELin1ELi32ELi4EbljEEvNS_4cuda6detail10TensorInfoIT3_T5_EES6_S6_S6_NS4_IT4_S6_EES6_b
		.amdhsa_group_segment_fixed_size 1056
		.amdhsa_private_segment_fixed_size 0
		.amdhsa_kernarg_size 712
		.amdhsa_user_sgpr_count 6
		.amdhsa_user_sgpr_private_segment_buffer 1
		.amdhsa_user_sgpr_dispatch_ptr 0
		.amdhsa_user_sgpr_queue_ptr 0
		.amdhsa_user_sgpr_kernarg_segment_ptr 1
		.amdhsa_user_sgpr_dispatch_id 0
		.amdhsa_user_sgpr_flat_scratch_init 0
		.amdhsa_user_sgpr_kernarg_preload_length 0
		.amdhsa_user_sgpr_kernarg_preload_offset 0
		.amdhsa_user_sgpr_private_segment_size 0
		.amdhsa_uses_dynamic_stack 0
		.amdhsa_system_sgpr_private_segment_wavefront_offset 0
		.amdhsa_system_sgpr_workgroup_id_x 1
		.amdhsa_system_sgpr_workgroup_id_y 1
		.amdhsa_system_sgpr_workgroup_id_z 1
		.amdhsa_system_sgpr_workgroup_info 0
		.amdhsa_system_vgpr_workitem_id 0
		.amdhsa_next_free_vgpr 48
		.amdhsa_next_free_sgpr 40
		.amdhsa_accum_offset 48
		.amdhsa_reserve_vcc 1
		.amdhsa_reserve_flat_scratch 0
		.amdhsa_float_round_mode_32 0
		.amdhsa_float_round_mode_16_64 0
		.amdhsa_float_denorm_mode_32 3
		.amdhsa_float_denorm_mode_16_64 3
		.amdhsa_dx10_clamp 1
		.amdhsa_ieee_mode 1
		.amdhsa_fp16_overflow 0
		.amdhsa_tg_split 0
		.amdhsa_exception_fp_ieee_invalid_op 0
		.amdhsa_exception_fp_denorm_src 0
		.amdhsa_exception_fp_ieee_div_zero 0
		.amdhsa_exception_fp_ieee_overflow 0
		.amdhsa_exception_fp_ieee_underflow 0
		.amdhsa_exception_fp_ieee_inexact 0
		.amdhsa_exception_int_div_zero 0
	.end_amdhsa_kernel
	.section	.text._ZN2at6native18radixSortKVInPlaceILi2ELin1ELi32ELi4EbljEEvNS_4cuda6detail10TensorInfoIT3_T5_EES6_S6_S6_NS4_IT4_S6_EES6_b,"axG",@progbits,_ZN2at6native18radixSortKVInPlaceILi2ELin1ELi32ELi4EbljEEvNS_4cuda6detail10TensorInfoIT3_T5_EES6_S6_S6_NS4_IT4_S6_EES6_b,comdat
.Lfunc_end268:
	.size	_ZN2at6native18radixSortKVInPlaceILi2ELin1ELi32ELi4EbljEEvNS_4cuda6detail10TensorInfoIT3_T5_EES6_S6_S6_NS4_IT4_S6_EES6_b, .Lfunc_end268-_ZN2at6native18radixSortKVInPlaceILi2ELin1ELi32ELi4EbljEEvNS_4cuda6detail10TensorInfoIT3_T5_EES6_S6_S6_NS4_IT4_S6_EES6_b
                                        ; -- End function
	.section	.AMDGPU.csdata,"",@progbits
; Kernel info:
; codeLenInByte = 5572
; NumSgprs: 44
; NumVgprs: 48
; NumAgprs: 0
; TotalNumVgprs: 48
; ScratchSize: 0
; MemoryBound: 0
; FloatMode: 240
; IeeeMode: 1
; LDSByteSize: 1056 bytes/workgroup (compile time only)
; SGPRBlocks: 5
; VGPRBlocks: 5
; NumSGPRsForWavesPerEU: 44
; NumVGPRsForWavesPerEU: 48
; AccumOffset: 48
; Occupancy: 8
; WaveLimiterHint : 1
; COMPUTE_PGM_RSRC2:SCRATCH_EN: 0
; COMPUTE_PGM_RSRC2:USER_SGPR: 6
; COMPUTE_PGM_RSRC2:TRAP_HANDLER: 0
; COMPUTE_PGM_RSRC2:TGID_X_EN: 1
; COMPUTE_PGM_RSRC2:TGID_Y_EN: 1
; COMPUTE_PGM_RSRC2:TGID_Z_EN: 1
; COMPUTE_PGM_RSRC2:TIDIG_COMP_CNT: 0
; COMPUTE_PGM_RSRC3_GFX90A:ACCUM_OFFSET: 11
; COMPUTE_PGM_RSRC3_GFX90A:TG_SPLIT: 0
	.section	.text._ZN2at6native18radixSortKVInPlaceILi2ELin1ELi16ELi2EbljEEvNS_4cuda6detail10TensorInfoIT3_T5_EES6_S6_S6_NS4_IT4_S6_EES6_b,"axG",@progbits,_ZN2at6native18radixSortKVInPlaceILi2ELin1ELi16ELi2EbljEEvNS_4cuda6detail10TensorInfoIT3_T5_EES6_S6_S6_NS4_IT4_S6_EES6_b,comdat
	.protected	_ZN2at6native18radixSortKVInPlaceILi2ELin1ELi16ELi2EbljEEvNS_4cuda6detail10TensorInfoIT3_T5_EES6_S6_S6_NS4_IT4_S6_EES6_b ; -- Begin function _ZN2at6native18radixSortKVInPlaceILi2ELin1ELi16ELi2EbljEEvNS_4cuda6detail10TensorInfoIT3_T5_EES6_S6_S6_NS4_IT4_S6_EES6_b
	.globl	_ZN2at6native18radixSortKVInPlaceILi2ELin1ELi16ELi2EbljEEvNS_4cuda6detail10TensorInfoIT3_T5_EES6_S6_S6_NS4_IT4_S6_EES6_b
	.p2align	8
	.type	_ZN2at6native18radixSortKVInPlaceILi2ELin1ELi16ELi2EbljEEvNS_4cuda6detail10TensorInfoIT3_T5_EES6_S6_S6_NS4_IT4_S6_EES6_b,@function
_ZN2at6native18radixSortKVInPlaceILi2ELin1ELi16ELi2EbljEEvNS_4cuda6detail10TensorInfoIT3_T5_EES6_S6_S6_NS4_IT4_S6_EES6_b: ; @_ZN2at6native18radixSortKVInPlaceILi2ELin1ELi16ELi2EbljEEvNS_4cuda6detail10TensorInfoIT3_T5_EES6_S6_S6_NS4_IT4_S6_EES6_b
; %bb.0:
	s_load_dwordx2 s[0:1], s[4:5], 0x1c8
	s_load_dwordx4 s[20:23], s[4:5], 0xd8
	s_waitcnt lgkmcnt(0)
	s_mul_i32 s1, s1, s8
	s_add_i32 s1, s1, s7
	s_mul_i32 s12, s1, s0
	s_add_i32 s12, s12, s6
	s_cmp_ge_u32 s12, s20
	s_cbranch_scc1 .LBB269_60
; %bb.1:
	s_load_dword s13, s[4:5], 0xc
	s_load_dwordx2 s[0:1], s[4:5], 0x6c
	s_load_dword s10, s[4:5], 0x1b8
	s_add_u32 s2, s4, 0xe8
	s_load_dwordx2 s[8:9], s[4:5], 0x0
	s_waitcnt lgkmcnt(0)
	v_cvt_f32_u32_e32 v1, s13
	s_addc_u32 s3, s5, 0
	s_sub_i32 s6, 0, s13
	s_mov_b32 s7, 0
	v_rcp_iflag_f32_e32 v1, v1
	v_mul_f32_e32 v1, 0x4f7ffffe, v1
	v_cvt_u32_f32_e32 v1, v1
	v_readfirstlane_b32 s11, v1
	s_mul_i32 s6, s6, s11
	s_mul_hi_u32 s6, s11, s6
	s_add_i32 s11, s11, s6
	s_mul_hi_u32 s14, s12, s11
	s_cmp_lt_i32 s10, 2
	s_mov_b32 s6, s12
	s_cbranch_scc1 .LBB269_4
; %bb.2:
	s_add_i32 s6, s10, -1
	s_add_i32 s15, s10, 1
	s_lshl_b64 s[10:11], s[6:7], 2
	s_add_u32 s6, s10, s2
	s_addc_u32 s11, s11, s3
	s_add_u32 s10, s6, 8
	s_addc_u32 s11, s11, 0
	s_mov_b32 s6, s12
.LBB269_3:                              ; =>This Inner Loop Header: Depth=1
	s_load_dword s16, s[10:11], 0x0
	s_load_dword s18, s[10:11], 0x64
	s_mov_b32 s17, s6
	s_waitcnt lgkmcnt(0)
	v_cvt_f32_u32_e32 v1, s16
	s_sub_i32 s6, 0, s16
	v_rcp_iflag_f32_e32 v1, v1
	v_mul_f32_e32 v1, 0x4f7ffffe, v1
	v_cvt_u32_f32_e32 v1, v1
	v_readfirstlane_b32 s19, v1
	s_mul_i32 s6, s6, s19
	s_mul_hi_u32 s6, s19, s6
	s_add_i32 s19, s19, s6
	s_mul_hi_u32 s6, s17, s19
	s_mul_i32 s19, s6, s16
	s_sub_i32 s19, s17, s19
	s_add_i32 s20, s6, 1
	s_sub_i32 s23, s19, s16
	s_cmp_ge_u32 s19, s16
	s_cselect_b32 s6, s20, s6
	s_cselect_b32 s19, s23, s19
	s_add_i32 s20, s6, 1
	s_cmp_ge_u32 s19, s16
	s_cselect_b32 s6, s20, s6
	s_mul_i32 s16, s6, s16
	s_sub_i32 s16, s17, s16
	s_mul_i32 s16, s18, s16
	s_add_i32 s15, s15, -1
	s_add_i32 s7, s16, s7
	s_add_u32 s10, s10, -4
	s_addc_u32 s11, s11, -1
	s_cmp_gt_u32 s15, 2
	s_cbranch_scc1 .LBB269_3
.LBB269_4:
	s_mul_i32 s10, s14, s13
	s_sub_i32 s10, s12, s10
	s_add_i32 s11, s14, 1
	s_sub_i32 s15, s10, s13
	s_cmp_ge_u32 s10, s13
	s_cselect_b32 s11, s11, s14
	s_cselect_b32 s10, s15, s10
	s_add_i32 s14, s11, 1
	s_cmp_ge_u32 s10, s13
	s_cselect_b32 s10, s14, s11
	s_load_dwordx2 s[24:25], s[4:5], 0x1c0
	s_mul_i32 s11, s10, s13
	s_sub_i32 s11, s12, s11
	s_mul_i32 s11, s11, s1
	s_mul_i32 s0, s10, s0
	s_add_i32 s4, s0, s11
	s_waitcnt lgkmcnt(0)
	s_bitcmp1_b32 s25, 0
	s_cselect_b64 s[0:1], -1, 0
	s_add_u32 s26, s8, s4
	s_load_dwordx2 s[10:11], s[2:3], 0x0
	s_addc_u32 s27, s9, 0
	s_xor_b64 s[4:5], s[0:1], -1
	v_cndmask_b32_e64 v2, 0, 1, s[4:5]
	v_lshlrev_b16_e32 v1, 8, v2
	v_or_b32_e32 v1, v2, v1
	v_and_b32_e32 v3, 0xffff, v1
	v_cmp_gt_u32_e64 s[0:1], s21, v0
	v_mul_lo_u32 v20, v0, s22
	s_and_saveexec_b64 s[8:9], s[0:1]
	s_cbranch_execz .LBB269_6
; %bb.5:
	global_load_ubyte v2, v20, s[26:27]
	v_and_b32_e32 v1, 0x100, v3
	s_waitcnt vmcnt(0)
	v_or_b32_e32 v1, v2, v1
	v_and_b32_e32 v3, 0xffff, v1
.LBB269_6:
	s_or_b64 exec, exec, s[8:9]
	s_load_dword s12, s[2:3], 0x6c
	v_or_b32_e32 v1, 16, v0
	v_cmp_gt_u32_e64 s[2:3], s21, v1
	s_and_saveexec_b64 s[8:9], s[2:3]
	s_cbranch_execz .LBB269_8
; %bb.7:
	v_mul_lo_u32 v4, v1, s22
	global_load_ubyte v4, v4, s[26:27]
	s_waitcnt vmcnt(0)
	v_lshlrev_b16_e32 v4, 8, v4
	v_or_b32_sdwa v3, v3, v4 dst_sel:DWORD dst_unused:UNUSED_PAD src0_sel:BYTE_0 src1_sel:DWORD
	v_and_b32_e32 v3, 0xffff, v3
.LBB269_8:
	s_or_b64 exec, exec, s[8:9]
	s_waitcnt lgkmcnt(0)
	s_mul_i32 s6, s12, s6
	ds_write_b8 v0, v2
	v_lshrrev_b16_e32 v2, 8, v3
	v_lshlrev_b32_e32 v21, 1, v0
	s_add_i32 s8, s6, s7
	s_mov_b32 s9, 0
	ds_write_b8 v0, v2 offset:16
	s_waitcnt lgkmcnt(0)
	; wave barrier
	s_waitcnt lgkmcnt(0)
	ds_read_u8 v24, v21
	ds_read_u8 v23, v21 offset:1
	s_lshl_b64 s[6:7], s[8:9], 3
	s_add_u32 s23, s10, s6
	s_mov_b32 s8, s9
	s_addc_u32 s25, s11, s7
	s_mov_b32 s10, s9
	s_mov_b32 s11, s9
	v_pk_mov_b32 v[2:3], s[8:9], s[8:9] op_sel:[0,1]
	v_pk_mov_b32 v[4:5], s[10:11], s[10:11] op_sel:[0,1]
	v_pk_mov_b32 v[2:3], 0, 0
	v_mul_lo_u32 v10, v0, s24
	s_waitcnt lgkmcnt(0)
	; wave barrier
	s_waitcnt lgkmcnt(0)
	s_and_saveexec_b64 s[6:7], s[0:1]
	s_cbranch_execz .LBB269_10
; %bb.9:
	v_mov_b32_e32 v11, 0
	v_lshlrev_b64 v[2:3], 3, v[10:11]
	v_mov_b32_e32 v4, s25
	v_add_co_u32_e32 v2, vcc, s23, v2
	v_addc_co_u32_e32 v3, vcc, v4, v3, vcc
	global_load_dwordx2 v[2:3], v[2:3], off
	v_mov_b32_e32 v4, v11
	v_mov_b32_e32 v5, v11
.LBB269_10:
	s_or_b64 exec, exec, s[6:7]
	s_and_saveexec_b64 s[6:7], s[2:3]
	s_cbranch_execz .LBB269_12
; %bb.11:
	v_mul_lo_u32 v4, v1, s24
	v_mov_b32_e32 v5, 0
	v_lshlrev_b64 v[4:5], 3, v[4:5]
	v_mov_b32_e32 v6, s25
	v_add_co_u32_e32 v4, vcc, s23, v4
	v_addc_co_u32_e32 v5, vcc, v6, v5, vcc
	global_load_dwordx2 v[4:5], v[4:5], off
.LBB269_12:
	s_or_b64 exec, exec, s[6:7]
	v_lshlrev_b32_e32 v22, 3, v0
	v_lshlrev_b32_e32 v11, 3, v21
	s_waitcnt vmcnt(0)
	ds_write2_b64 v22, v[2:3], v[4:5] offset1:16
	s_waitcnt lgkmcnt(0)
	; wave barrier
	s_waitcnt lgkmcnt(0)
	ds_read2_b64 v[2:5], v11 offset1:1
	s_and_b64 vcc, exec, s[4:5]
	s_waitcnt lgkmcnt(0)
	; wave barrier
	s_waitcnt lgkmcnt(0)
	s_cbranch_vccz .LBB269_20
; %bb.13:
	s_movk_i32 s6, 0x80
	v_cmp_gt_u32_e32 vcc, s6, v0
	s_getpc_b64 s[4:5]
	s_add_u32 s4, s4, _ZN7rocprim17ROCPRIM_400000_NS16block_radix_sortIbLj16ELj2ElLj1ELj1ELj0ELNS0_26block_radix_rank_algorithmE1ELNS0_18block_padding_hintE2ELNS0_4arch9wavefront6targetE1EE19radix_bits_per_passE@rel32@lo+4
	s_addc_u32 s5, s5, _ZN7rocprim17ROCPRIM_400000_NS16block_radix_sortIbLj16ELj2ElLj1ELj1ELj0ELNS0_26block_radix_rank_algorithmE1ELNS0_18block_padding_hintE2ELNS0_4arch9wavefront6targetE1EE19radix_bits_per_passE@rel32@hi+12
	s_and_saveexec_b64 s[6:7], vcc
	s_cbranch_execz .LBB269_21
; %bb.14:
	s_mov_b32 s14, 0
	s_mov_b64 s[8:9], 0
	v_mov_b32_e32 v8, 0
	v_pk_mov_b32 v[6:7], v[0:1], v[0:1] op_sel:[0,1]
	s_branch .LBB269_16
.LBB269_15:                             ;   in Loop: Header=BB269_16 Depth=1
	s_or_b64 exec, exec, s[12:13]
	s_add_i32 s14, s14, 2
	v_cmp_eq_u32_e64 s[10:11], 8, s14
	v_add_u32_e32 v7, 32, v7
	s_or_b64 s[8:9], s[10:11], s[8:9]
	v_add_u32_e32 v6, 32, v6
	s_andn2_b64 exec, exec, s[8:9]
	s_cbranch_execz .LBB269_21
.LBB269_16:                             ; =>This Inner Loop Header: Depth=1
	s_or_b32 s10, s14, 1
	v_cmp_le_u32_e64 s[10:11], s10, 7
	v_cmp_le_u32_e64 s[16:17], s14, 7
	s_and_saveexec_b64 s[12:13], s[16:17]
	s_cbranch_execz .LBB269_18
; %bb.17:                               ;   in Loop: Header=BB269_16 Depth=1
	v_lshlrev_b32_e32 v9, 2, v6
	ds_write_b32 v9, v8
.LBB269_18:                             ;   in Loop: Header=BB269_16 Depth=1
	s_or_b64 exec, exec, s[12:13]
	s_and_saveexec_b64 s[12:13], s[10:11]
	s_cbranch_execz .LBB269_15
; %bb.19:                               ;   in Loop: Header=BB269_16 Depth=1
	v_lshlrev_b32_e32 v9, 2, v7
	ds_write_b32 v9, v8
	s_branch .LBB269_15
.LBB269_20:
                                        ; implicit-def: $vgpr8_vgpr9
                                        ; implicit-def: $vgpr12
	s_cbranch_execnz .LBB269_33
	s_branch .LBB269_52
.LBB269_21:
	s_or_b64 exec, exec, s[6:7]
	s_load_dword s4, s[4:5], 0x0
	v_lshlrev_b32_e32 v25, 1, v21
	v_lshlrev_b32_e32 v26, 5, v0
	s_waitcnt lgkmcnt(0)
	s_min_u32 s4, s4, 8
	s_lshl_b32 s4, -1, s4
	s_not_b32 s4, s4
	v_and_b32_e32 v6, s4, v24
	v_and_b32_e32 v6, 0xff, v6
	v_lshl_or_b32 v18, v6, 6, v25
	ds_read_u16 v17, v18
	v_and_b32_e32 v6, s4, v23
	v_and_b32_e32 v6, 0xff, v6
	v_lshl_or_b32 v19, v6, 6, v25
	v_cmp_eq_u32_e64 s[4:5], 15, v0
	s_waitcnt lgkmcnt(0)
	v_add_u16_e32 v6, 1, v17
	ds_write_b16 v18, v6
	ds_read_u16 v28, v19
	v_mbcnt_lo_u32_b32 v6, -1, 0
	v_mbcnt_hi_u32_b32 v29, -1, v6
	v_and_b32_e32 v16, 15, v29
	v_cmp_eq_u32_e64 s[6:7], 0, v16
	s_waitcnt lgkmcnt(0)
	v_add_u16_e32 v6, 1, v28
	ds_write_b16 v19, v6
	s_waitcnt lgkmcnt(0)
	; wave barrier
	s_waitcnt lgkmcnt(0)
	ds_read2_b32 v[14:15], v26 offset1:1
	ds_read2_b32 v[12:13], v26 offset0:2 offset1:3
	ds_read2_b32 v[6:7], v26 offset0:4 offset1:5
	;; [unrolled: 1-line block ×3, first 2 shown]
	v_cmp_lt_u32_e64 s[8:9], 1, v16
	s_waitcnt lgkmcnt(3)
	v_add_u32_e32 v27, v15, v14
	s_waitcnt lgkmcnt(2)
	v_add3_u32 v27, v27, v12, v13
	s_waitcnt lgkmcnt(1)
	v_add3_u32 v27, v27, v6, v7
	;; [unrolled: 2-line block ×3, first 2 shown]
	v_cmp_lt_u32_e64 s[10:11], 3, v16
	v_cmp_lt_u32_e64 s[14:15], 7, v16
	v_mov_b32_dpp v27, v9 row_shr:1 row_mask:0xf bank_mask:0xf
	v_cndmask_b32_e64 v27, v27, 0, s[6:7]
	v_add_u32_e32 v9, v27, v9
	s_nop 1
	v_mov_b32_dpp v27, v9 row_shr:2 row_mask:0xf bank_mask:0xf
	v_cndmask_b32_e64 v27, 0, v27, s[8:9]
	v_add_u32_e32 v9, v9, v27
	s_nop 1
	;; [unrolled: 4-line block ×3, first 2 shown]
	v_mov_b32_dpp v27, v9 row_shr:8 row_mask:0xf bank_mask:0xf
	v_cndmask_b32_e64 v16, 0, v27, s[14:15]
	v_add_u32_e32 v9, v9, v16
	s_and_saveexec_b64 s[12:13], s[4:5]
	s_cbranch_execz .LBB269_23
; %bb.22:
	v_mov_b32_e32 v16, 0
	ds_write_b32 v16, v9 offset:512
.LBB269_23:
	s_or_b64 exec, exec, s[12:13]
	v_add_u32_e32 v16, -1, v29
	v_and_b32_e32 v27, 0x70, v29
	v_cmp_lt_i32_e64 s[12:13], v16, v27
	v_cndmask_b32_e64 v16, v16, v29, s[12:13]
	v_lshlrev_b32_e32 v27, 2, v16
	ds_bpermute_b32 v9, v27, v9
	v_mov_b32_e32 v16, 0
	s_waitcnt lgkmcnt(0)
	; wave barrier
	s_waitcnt lgkmcnt(0)
	ds_read_b32 v30, v16 offset:512
	v_cmp_eq_u32_e64 s[12:13], 0, v29
	v_cndmask_b32_e64 v9, v9, 0, s[12:13]
	s_waitcnt lgkmcnt(0)
	v_lshl_add_u32 v9, v30, 16, v9
	v_add_u32_e32 v14, v9, v14
	v_add_u32_e32 v15, v14, v15
	;; [unrolled: 1-line block ×7, first 2 shown]
	ds_write2_b32 v26, v9, v14 offset1:1
	ds_write2_b32 v26, v15, v12 offset0:2 offset1:3
	ds_write2_b32 v26, v13, v6 offset0:4 offset1:5
	;; [unrolled: 1-line block ×3, first 2 shown]
	s_waitcnt lgkmcnt(0)
	; wave barrier
	s_waitcnt lgkmcnt(0)
	ds_read_u16 v6, v18
	ds_read_u16 v7, v19
	s_waitcnt lgkmcnt(0)
	; wave barrier
	s_waitcnt lgkmcnt(0)
	v_add_u32_sdwa v6, v6, v17 dst_sel:DWORD dst_unused:UNUSED_PAD src0_sel:DWORD src1_sel:WORD_0
	v_add_u32_sdwa v7, v7, v28 dst_sel:DWORD dst_unused:UNUSED_PAD src0_sel:DWORD src1_sel:WORD_0
	ds_write_b8 v6, v24
	ds_write_b8 v7, v23
	v_lshlrev_b32_e32 v6, 3, v6
	s_waitcnt lgkmcnt(0)
	; wave barrier
	s_waitcnt lgkmcnt(0)
	ds_read_u8 v28, v21
	ds_read_u8 v29, v21 offset:1
	s_waitcnt lgkmcnt(0)
	; wave barrier
	s_waitcnt lgkmcnt(0)
	ds_write_b64 v6, v[2:3]
	v_lshlrev_b32_e32 v6, 3, v7
	ds_write_b64 v6, v[4:5]
	s_waitcnt lgkmcnt(0)
	; wave barrier
	s_waitcnt lgkmcnt(0)
	ds_read2_b64 v[6:9], v11 offset1:1
	s_waitcnt lgkmcnt(0)
	; wave barrier
	s_waitcnt lgkmcnt(0)
	s_and_saveexec_b64 s[16:17], vcc
	s_cbranch_execz .LBB269_30
; %bb.24:
	s_mov_b32 s30, 0
	s_mov_b64 s[18:19], 0
	v_pk_mov_b32 v[12:13], v[0:1], v[0:1] op_sel:[0,1]
	s_branch .LBB269_26
.LBB269_25:                             ;   in Loop: Header=BB269_26 Depth=1
	s_or_b64 exec, exec, s[28:29]
	s_add_i32 s30, s30, 2
	v_cmp_eq_u32_e64 s[20:21], 8, s30
	v_add_u32_e32 v13, 32, v13
	s_or_b64 s[18:19], s[20:21], s[18:19]
	v_add_u32_e32 v12, 32, v12
	s_andn2_b64 exec, exec, s[18:19]
	s_cbranch_execz .LBB269_30
.LBB269_26:                             ; =>This Inner Loop Header: Depth=1
	s_or_b32 s20, s30, 1
	v_cmp_le_u32_e64 s[20:21], s20, 7
	v_cmp_le_u32_e64 s[34:35], s30, 7
	s_and_saveexec_b64 s[28:29], s[34:35]
	s_cbranch_execz .LBB269_28
; %bb.27:                               ;   in Loop: Header=BB269_26 Depth=1
	v_lshlrev_b32_e32 v14, 2, v12
	ds_write_b32 v14, v16
.LBB269_28:                             ;   in Loop: Header=BB269_26 Depth=1
	s_or_b64 exec, exec, s[28:29]
	s_and_saveexec_b64 s[28:29], s[20:21]
	s_cbranch_execz .LBB269_25
; %bb.29:                               ;   in Loop: Header=BB269_26 Depth=1
	v_lshlrev_b32_e32 v14, 2, v13
	ds_write_b32 v14, v16
	s_branch .LBB269_25
.LBB269_30:
	s_or_b64 exec, exec, s[16:17]
	ds_read_u16 v30, v25
	s_waitcnt lgkmcnt(0)
	v_add_u16_e32 v12, 2, v30
	ds_write_b16 v25, v12
	s_waitcnt lgkmcnt(0)
	; wave barrier
	s_waitcnt lgkmcnt(0)
	ds_read2_b32 v[18:19], v26 offset1:1
	ds_read2_b32 v[16:17], v26 offset0:2 offset1:3
	ds_read2_b32 v[12:13], v26 offset0:4 offset1:5
	;; [unrolled: 1-line block ×3, first 2 shown]
	s_waitcnt lgkmcnt(3)
	v_add_u32_e32 v31, v19, v18
	s_waitcnt lgkmcnt(2)
	v_add3_u32 v31, v31, v16, v17
	s_waitcnt lgkmcnt(1)
	v_add3_u32 v31, v31, v12, v13
	;; [unrolled: 2-line block ×3, first 2 shown]
	s_nop 1
	v_mov_b32_dpp v31, v15 row_shr:1 row_mask:0xf bank_mask:0xf
	v_cndmask_b32_e64 v31, v31, 0, s[6:7]
	v_add_u32_e32 v15, v31, v15
	s_nop 1
	v_mov_b32_dpp v31, v15 row_shr:2 row_mask:0xf bank_mask:0xf
	v_cndmask_b32_e64 v31, 0, v31, s[8:9]
	v_add_u32_e32 v15, v15, v31
	;; [unrolled: 4-line block ×4, first 2 shown]
	s_and_saveexec_b64 s[6:7], s[4:5]
	s_cbranch_execz .LBB269_32
; %bb.31:
	v_mov_b32_e32 v31, 0
	ds_write_b32 v31, v15 offset:512
.LBB269_32:
	s_or_b64 exec, exec, s[6:7]
	ds_bpermute_b32 v15, v27, v15
	v_mov_b32_e32 v27, 0
	s_waitcnt lgkmcnt(0)
	; wave barrier
	s_waitcnt lgkmcnt(0)
	ds_read_b32 v27, v27 offset:512
	v_cndmask_b32_e64 v15, v15, 0, s[12:13]
	s_waitcnt lgkmcnt(0)
	v_lshl_add_u32 v15, v27, 16, v15
	v_add_u32_e32 v18, v15, v18
	v_add_u32_e32 v19, v18, v19
	;; [unrolled: 1-line block ×7, first 2 shown]
	ds_write2_b32 v26, v15, v18 offset1:1
	ds_write2_b32 v26, v19, v16 offset0:2 offset1:3
	ds_write2_b32 v26, v17, v12 offset0:4 offset1:5
	;; [unrolled: 1-line block ×3, first 2 shown]
	s_waitcnt lgkmcnt(0)
	; wave barrier
	s_waitcnt lgkmcnt(0)
	ds_read_u16 v12, v25
	v_add_u16_e32 v13, 1, v30
	s_waitcnt lgkmcnt(0)
	; wave barrier
	s_waitcnt lgkmcnt(0)
	v_add_u32_e32 v13, v12, v13
	v_add_u32_sdwa v12, v12, v30 dst_sel:DWORD dst_unused:UNUSED_PAD src0_sel:DWORD src1_sel:WORD_0
	ds_write_b8 v12, v28
	ds_write_b8 v13, v29
	s_waitcnt lgkmcnt(0)
	; wave barrier
	s_waitcnt lgkmcnt(0)
	ds_read_u8 v14, v21
	ds_read_u8 v15, v21 offset:1
	v_lshlrev_b32_e32 v12, 3, v12
	s_waitcnt lgkmcnt(0)
	; wave barrier
	s_waitcnt lgkmcnt(0)
	ds_write_b64 v12, v[6:7]
	v_lshlrev_b32_e32 v6, 3, v13
	ds_write_b64 v6, v[8:9]
	s_waitcnt lgkmcnt(0)
	; wave barrier
	s_waitcnt lgkmcnt(0)
	ds_read2_b64 v[6:9], v11 offset1:1
	v_lshlrev_b16_e32 v12, 8, v15
	v_or_b32_e32 v12, v14, v12
	v_and_b32_e32 v12, 0xffff, v12
	s_branch .LBB269_52
.LBB269_33:
	s_movk_i32 s6, 0x80
	v_cmp_gt_u32_e32 vcc, s6, v0
	s_getpc_b64 s[4:5]
	s_add_u32 s4, s4, _ZN7rocprim17ROCPRIM_400000_NS16block_radix_sortIbLj16ELj2ElLj1ELj1ELj0ELNS0_26block_radix_rank_algorithmE1ELNS0_18block_padding_hintE2ELNS0_4arch9wavefront6targetE1EE19radix_bits_per_passE@rel32@lo+4
	s_addc_u32 s5, s5, _ZN7rocprim17ROCPRIM_400000_NS16block_radix_sortIbLj16ELj2ElLj1ELj1ELj0ELNS0_26block_radix_rank_algorithmE1ELNS0_18block_padding_hintE2ELNS0_4arch9wavefront6targetE1EE19radix_bits_per_passE@rel32@hi+12
	s_and_saveexec_b64 s[6:7], vcc
	s_cbranch_execz .LBB269_40
; %bb.34:
	s_mov_b32 s14, 0
	s_mov_b64 s[8:9], 0
	s_waitcnt lgkmcnt(0)
	v_mov_b32_e32 v8, 0
	v_pk_mov_b32 v[6:7], v[0:1], v[0:1] op_sel:[0,1]
	s_branch .LBB269_36
.LBB269_35:                             ;   in Loop: Header=BB269_36 Depth=1
	s_or_b64 exec, exec, s[12:13]
	s_add_i32 s14, s14, 2
	v_cmp_eq_u32_e64 s[10:11], 8, s14
	v_add_u32_e32 v7, 32, v7
	s_or_b64 s[8:9], s[10:11], s[8:9]
	v_add_u32_e32 v6, 32, v6
	s_andn2_b64 exec, exec, s[8:9]
	s_cbranch_execz .LBB269_40
.LBB269_36:                             ; =>This Inner Loop Header: Depth=1
	s_or_b32 s10, s14, 1
	v_cmp_le_u32_e64 s[10:11], s10, 7
	v_cmp_le_u32_e64 s[16:17], s14, 7
	s_and_saveexec_b64 s[12:13], s[16:17]
	s_cbranch_execz .LBB269_38
; %bb.37:                               ;   in Loop: Header=BB269_36 Depth=1
	v_lshlrev_b32_e32 v9, 2, v6
	ds_write_b32 v9, v8
.LBB269_38:                             ;   in Loop: Header=BB269_36 Depth=1
	s_or_b64 exec, exec, s[12:13]
	s_and_saveexec_b64 s[12:13], s[10:11]
	s_cbranch_execz .LBB269_35
; %bb.39:                               ;   in Loop: Header=BB269_36 Depth=1
	v_lshlrev_b32_e32 v9, 2, v7
	ds_write_b32 v9, v8
	s_branch .LBB269_35
.LBB269_40:
	s_or_b64 exec, exec, s[6:7]
	s_load_dword s4, s[4:5], 0x0
	s_waitcnt lgkmcnt(0)
	v_and_b32_e32 v6, 1, v24
	v_cmp_eq_u32_e64 s[16:17], 1, v6
	v_lshlrev_b32_e32 v16, 5, v0
	s_min_u32 s4, s4, 8
	s_lshl_b32 s4, -1, s4
	s_not_b32 s4, s4
	s_lshl_b32 s4, s4, 5
	s_and_b32 s4, s4, 32
	v_mov_b32_e32 v7, s4
	v_cndmask_b32_e64 v6, v7, 0, s[16:17]
	v_or_b32_e32 v6, v6, v21
	v_lshlrev_b32_e32 v19, 1, v6
	ds_read_u16 v18, v19
	v_and_b32_e32 v6, 1, v23
	v_cmp_eq_u32_e64 s[18:19], 1, v6
	v_cndmask_b32_e64 v6, v7, 0, s[18:19]
	v_or_b32_e32 v6, v6, v21
	s_waitcnt lgkmcnt(0)
	v_add_u16_e32 v8, 1, v18
	ds_write_b16 v19, v8
	v_lshlrev_b32_e32 v24, 1, v6
	ds_read_u16 v23, v24
	v_mbcnt_lo_u32_b32 v6, -1, 0
	v_mbcnt_hi_u32_b32 v25, -1, v6
	v_and_b32_e32 v17, 15, v25
	v_cmp_eq_u32_e64 s[6:7], 0, v17
	s_waitcnt lgkmcnt(0)
	v_add_u16_e32 v6, 1, v23
	ds_write_b16 v24, v6
	s_waitcnt lgkmcnt(0)
	; wave barrier
	s_waitcnt lgkmcnt(0)
	ds_read2_b32 v[14:15], v16 offset1:1
	ds_read2_b32 v[12:13], v16 offset0:2 offset1:3
	ds_read2_b32 v[6:7], v16 offset0:4 offset1:5
	;; [unrolled: 1-line block ×3, first 2 shown]
	v_cmp_lt_u32_e64 s[8:9], 1, v17
	s_waitcnt lgkmcnt(3)
	v_add_u32_e32 v26, v15, v14
	s_waitcnt lgkmcnt(2)
	v_add3_u32 v26, v26, v12, v13
	s_waitcnt lgkmcnt(1)
	v_add3_u32 v26, v26, v6, v7
	;; [unrolled: 2-line block ×3, first 2 shown]
	v_cmp_lt_u32_e64 s[10:11], 3, v17
	v_cmp_lt_u32_e64 s[12:13], 7, v17
	v_mov_b32_dpp v26, v9 row_shr:1 row_mask:0xf bank_mask:0xf
	v_cndmask_b32_e64 v26, v26, 0, s[6:7]
	v_add_u32_e32 v9, v26, v9
	v_cmp_eq_u32_e64 s[4:5], 15, v0
	s_nop 0
	v_mov_b32_dpp v26, v9 row_shr:2 row_mask:0xf bank_mask:0xf
	v_cndmask_b32_e64 v26, 0, v26, s[8:9]
	v_add_u32_e32 v9, v9, v26
	s_nop 1
	v_mov_b32_dpp v26, v9 row_shr:4 row_mask:0xf bank_mask:0xf
	v_cndmask_b32_e64 v26, 0, v26, s[10:11]
	v_add_u32_e32 v9, v9, v26
	;; [unrolled: 4-line block ×3, first 2 shown]
	s_and_saveexec_b64 s[14:15], s[4:5]
	s_cbranch_execz .LBB269_42
; %bb.41:
	v_mov_b32_e32 v17, 0
	ds_write_b32 v17, v9 offset:512
.LBB269_42:
	s_or_b64 exec, exec, s[14:15]
	v_add_u32_e32 v17, -1, v25
	v_and_b32_e32 v26, 0x70, v25
	v_cmp_lt_i32_e64 s[14:15], v17, v26
	v_cndmask_b32_e64 v17, v17, v25, s[14:15]
	v_lshlrev_b32_e32 v17, 2, v17
	ds_bpermute_b32 v26, v17, v9
	v_mov_b32_e32 v9, 0
	s_waitcnt lgkmcnt(0)
	; wave barrier
	s_waitcnt lgkmcnt(0)
	ds_read_b32 v27, v9 offset:512
	v_cmp_eq_u32_e64 s[14:15], 0, v25
	v_cndmask_b32_e64 v25, v26, 0, s[14:15]
	s_xor_b64 s[16:17], s[16:17], -1
	s_waitcnt lgkmcnt(0)
	v_lshl_add_u32 v25, v27, 16, v25
	v_add_u32_e32 v14, v25, v14
	v_add_u32_e32 v15, v14, v15
	;; [unrolled: 1-line block ×7, first 2 shown]
	ds_write2_b32 v16, v25, v14 offset1:1
	ds_write2_b32 v16, v15, v12 offset0:2 offset1:3
	ds_write2_b32 v16, v13, v6 offset0:4 offset1:5
	;; [unrolled: 1-line block ×3, first 2 shown]
	s_waitcnt lgkmcnt(0)
	; wave barrier
	s_waitcnt lgkmcnt(0)
	ds_read_u16 v6, v19
	ds_read_u16 v7, v24
	v_cndmask_b32_e64 v8, 0, 1, s[16:17]
	s_xor_b64 s[16:17], s[18:19], -1
	v_cndmask_b32_e64 v12, 0, 1, s[16:17]
	s_waitcnt lgkmcnt(1)
	v_add_u32_sdwa v6, v6, v18 dst_sel:DWORD dst_unused:UNUSED_PAD src0_sel:DWORD src1_sel:WORD_0
	s_waitcnt lgkmcnt(0)
	v_add_u32_sdwa v7, v7, v23 dst_sel:DWORD dst_unused:UNUSED_PAD src0_sel:DWORD src1_sel:WORD_0
	s_waitcnt lgkmcnt(0)
	; wave barrier
	ds_write_b8 v6, v8
	ds_write_b8 v7, v12
	v_lshlrev_b32_e32 v6, 3, v6
	s_waitcnt lgkmcnt(0)
	; wave barrier
	s_waitcnt lgkmcnt(0)
	ds_read_u8 v18, v21
	ds_read_u8 v19, v21 offset:1
	s_waitcnt lgkmcnt(0)
	; wave barrier
	s_waitcnt lgkmcnt(0)
	ds_write_b64 v6, v[2:3]
	v_lshlrev_b32_e32 v2, 3, v7
	ds_write_b64 v2, v[4:5]
	s_waitcnt lgkmcnt(0)
	; wave barrier
	s_waitcnt lgkmcnt(0)
	ds_read2_b64 v[2:5], v11 offset1:1
	s_waitcnt lgkmcnt(0)
	; wave barrier
	s_waitcnt lgkmcnt(0)
	s_and_saveexec_b64 s[16:17], vcc
	s_cbranch_execz .LBB269_49
; %bb.43:
	s_mov_b32 s30, 0
	s_mov_b64 s[18:19], 0
	v_pk_mov_b32 v[6:7], v[0:1], v[0:1] op_sel:[0,1]
	s_branch .LBB269_45
.LBB269_44:                             ;   in Loop: Header=BB269_45 Depth=1
	s_or_b64 exec, exec, s[28:29]
	s_add_i32 s30, s30, 2
	v_cmp_eq_u32_e64 s[20:21], 8, s30
	v_add_u32_e32 v7, 32, v7
	s_or_b64 s[18:19], s[20:21], s[18:19]
	v_add_u32_e32 v6, 32, v6
	s_andn2_b64 exec, exec, s[18:19]
	s_cbranch_execz .LBB269_49
.LBB269_45:                             ; =>This Inner Loop Header: Depth=1
	s_or_b32 s20, s30, 1
	v_cmp_le_u32_e64 s[20:21], s20, 7
	v_cmp_le_u32_e64 s[34:35], s30, 7
	s_and_saveexec_b64 s[28:29], s[34:35]
	s_cbranch_execz .LBB269_47
; %bb.46:                               ;   in Loop: Header=BB269_45 Depth=1
	v_lshlrev_b32_e32 v1, 2, v6
	ds_write_b32 v1, v9
.LBB269_47:                             ;   in Loop: Header=BB269_45 Depth=1
	s_or_b64 exec, exec, s[28:29]
	s_and_saveexec_b64 s[28:29], s[20:21]
	s_cbranch_execz .LBB269_44
; %bb.48:                               ;   in Loop: Header=BB269_45 Depth=1
	v_lshlrev_b32_e32 v1, 2, v7
	ds_write_b32 v1, v9
	s_branch .LBB269_44
.LBB269_49:
	s_or_b64 exec, exec, s[16:17]
	v_lshlrev_b32_e32 v23, 1, v21
	ds_read_u16 v1, v23
	s_waitcnt lgkmcnt(0)
	v_add_u16_e32 v6, 2, v1
	ds_write_b16 v23, v6
	s_waitcnt lgkmcnt(0)
	; wave barrier
	s_waitcnt lgkmcnt(0)
	ds_read2_b32 v[14:15], v16 offset1:1
	ds_read2_b32 v[12:13], v16 offset0:2 offset1:3
	ds_read2_b32 v[6:7], v16 offset0:4 offset1:5
	;; [unrolled: 1-line block ×3, first 2 shown]
	s_waitcnt lgkmcnt(3)
	v_add_u32_e32 v24, v15, v14
	s_waitcnt lgkmcnt(2)
	v_add3_u32 v24, v24, v12, v13
	s_waitcnt lgkmcnt(1)
	v_add3_u32 v24, v24, v6, v7
	s_waitcnt lgkmcnt(0)
	v_add3_u32 v9, v24, v8, v9
	s_nop 1
	v_mov_b32_dpp v24, v9 row_shr:1 row_mask:0xf bank_mask:0xf
	v_cndmask_b32_e64 v24, v24, 0, s[6:7]
	v_add_u32_e32 v9, v24, v9
	s_nop 1
	v_mov_b32_dpp v24, v9 row_shr:2 row_mask:0xf bank_mask:0xf
	v_cndmask_b32_e64 v24, 0, v24, s[8:9]
	v_add_u32_e32 v9, v9, v24
	;; [unrolled: 4-line block ×4, first 2 shown]
	s_and_saveexec_b64 s[6:7], s[4:5]
	s_cbranch_execz .LBB269_51
; %bb.50:
	v_mov_b32_e32 v24, 0
	ds_write_b32 v24, v9 offset:512
.LBB269_51:
	s_or_b64 exec, exec, s[6:7]
	ds_bpermute_b32 v9, v17, v9
	v_mov_b32_e32 v17, 0
	s_waitcnt lgkmcnt(0)
	; wave barrier
	s_waitcnt lgkmcnt(0)
	ds_read_b32 v17, v17 offset:512
	v_cndmask_b32_e64 v9, v9, 0, s[14:15]
	s_waitcnt lgkmcnt(0)
	v_lshl_add_u32 v9, v17, 16, v9
	v_add_u32_e32 v14, v9, v14
	v_add_u32_e32 v15, v14, v15
	;; [unrolled: 1-line block ×7, first 2 shown]
	ds_write2_b32 v16, v9, v14 offset1:1
	ds_write2_b32 v16, v15, v12 offset0:2 offset1:3
	ds_write2_b32 v16, v13, v6 offset0:4 offset1:5
	;; [unrolled: 1-line block ×3, first 2 shown]
	s_waitcnt lgkmcnt(0)
	; wave barrier
	s_waitcnt lgkmcnt(0)
	ds_read_u16 v6, v23
	v_add_u16_e32 v7, 1, v1
	s_waitcnt lgkmcnt(0)
	; wave barrier
	s_waitcnt lgkmcnt(0)
	v_add_u32_sdwa v1, v6, v1 dst_sel:DWORD dst_unused:UNUSED_PAD src0_sel:DWORD src1_sel:WORD_0
	v_add_u32_e32 v7, v6, v7
	ds_write_b8 v1, v18
	ds_write_b8 v7, v19
	s_waitcnt lgkmcnt(0)
	; wave barrier
	s_waitcnt lgkmcnt(0)
	ds_read_u8 v12, v21
	ds_read_u8 v13, v21 offset:1
	v_lshlrev_b32_e32 v1, 3, v1
	s_waitcnt lgkmcnt(0)
	; wave barrier
	s_waitcnt lgkmcnt(0)
	ds_write_b64 v1, v[2:3]
	v_lshlrev_b32_e32 v1, 3, v7
	ds_write_b64 v1, v[4:5]
	s_waitcnt lgkmcnt(0)
	; wave barrier
	s_waitcnt lgkmcnt(0)
	ds_read2_b64 v[6:9], v11 offset1:1
	v_mov_b32_e32 v2, 1
	v_xor_b32_e32 v1, 1, v12
	v_xor_b32_sdwa v2, v13, v2 dst_sel:BYTE_1 dst_unused:UNUSED_PAD src0_sel:DWORD src1_sel:DWORD
	v_or_b32_e32 v1, v1, v2
	v_and_b32_e32 v12, 0xffff, v1
.LBB269_52:
	v_lshrrev_b16_e32 v1, 8, v12
	s_waitcnt lgkmcnt(0)
	; wave barrier
	s_waitcnt lgkmcnt(0)
	ds_write_b8 v21, v12
	ds_write_b8 v21, v1 offset:1
	s_waitcnt lgkmcnt(0)
	; wave barrier
	s_waitcnt lgkmcnt(0)
	ds_read_u8 v1, v0 offset:16
	v_mov_b32_e32 v3, s27
	v_add_co_u32_e32 v2, vcc, s26, v20
	v_addc_co_u32_e32 v3, vcc, 0, v3, vcc
	s_and_saveexec_b64 s[4:5], s[0:1]
	s_cbranch_execz .LBB269_54
; %bb.53:
	ds_read_u8 v0, v0
	s_waitcnt lgkmcnt(0)
	global_store_byte v[2:3], v0, off
.LBB269_54:
	s_or_b64 exec, exec, s[4:5]
	s_and_saveexec_b64 s[4:5], s[2:3]
	s_cbranch_execz .LBB269_56
; %bb.55:
	s_lshl_b32 s6, s22, 4
	v_add_co_u32_e32 v2, vcc, s6, v2
	v_addc_co_u32_e32 v3, vcc, 0, v3, vcc
	s_waitcnt lgkmcnt(0)
	global_store_byte v[2:3], v1, off
.LBB269_56:
	s_or_b64 exec, exec, s[4:5]
	s_waitcnt lgkmcnt(0)
	; wave barrier
	s_waitcnt lgkmcnt(0)
	ds_write2_b64 v11, v[6:7], v[8:9] offset1:1
	s_waitcnt lgkmcnt(0)
	; wave barrier
	s_waitcnt lgkmcnt(0)
	ds_read_b64 v[0:1], v22 offset:128
	v_mov_b32_e32 v11, 0
	v_lshlrev_b64 v[2:3], 3, v[10:11]
	v_mov_b32_e32 v4, s25
	v_add_co_u32_e32 v2, vcc, s23, v2
	v_addc_co_u32_e32 v3, vcc, v4, v3, vcc
	s_and_saveexec_b64 s[4:5], s[0:1]
	s_cbranch_execz .LBB269_58
; %bb.57:
	ds_read_b64 v[4:5], v22
	s_waitcnt lgkmcnt(0)
	global_store_dwordx2 v[2:3], v[4:5], off
.LBB269_58:
	s_or_b64 exec, exec, s[4:5]
	s_and_saveexec_b64 s[0:1], s[2:3]
	s_cbranch_execz .LBB269_60
; %bb.59:
	s_lshl_b32 s0, s24, 4
	s_mov_b32 s1, 0
	s_lshl_b64 s[0:1], s[0:1], 3
	v_mov_b32_e32 v4, s1
	v_add_co_u32_e32 v2, vcc, s0, v2
	v_addc_co_u32_e32 v3, vcc, v3, v4, vcc
	s_waitcnt lgkmcnt(0)
	global_store_dwordx2 v[2:3], v[0:1], off
.LBB269_60:
	s_endpgm
	.section	.rodata,"a",@progbits
	.p2align	6, 0x0
	.amdhsa_kernel _ZN2at6native18radixSortKVInPlaceILi2ELin1ELi16ELi2EbljEEvNS_4cuda6detail10TensorInfoIT3_T5_EES6_S6_S6_NS4_IT4_S6_EES6_b
		.amdhsa_group_segment_fixed_size 528
		.amdhsa_private_segment_fixed_size 0
		.amdhsa_kernarg_size 712
		.amdhsa_user_sgpr_count 6
		.amdhsa_user_sgpr_private_segment_buffer 1
		.amdhsa_user_sgpr_dispatch_ptr 0
		.amdhsa_user_sgpr_queue_ptr 0
		.amdhsa_user_sgpr_kernarg_segment_ptr 1
		.amdhsa_user_sgpr_dispatch_id 0
		.amdhsa_user_sgpr_flat_scratch_init 0
		.amdhsa_user_sgpr_kernarg_preload_length 0
		.amdhsa_user_sgpr_kernarg_preload_offset 0
		.amdhsa_user_sgpr_private_segment_size 0
		.amdhsa_uses_dynamic_stack 0
		.amdhsa_system_sgpr_private_segment_wavefront_offset 0
		.amdhsa_system_sgpr_workgroup_id_x 1
		.amdhsa_system_sgpr_workgroup_id_y 1
		.amdhsa_system_sgpr_workgroup_id_z 1
		.amdhsa_system_sgpr_workgroup_info 0
		.amdhsa_system_vgpr_workitem_id 0
		.amdhsa_next_free_vgpr 32
		.amdhsa_next_free_sgpr 36
		.amdhsa_accum_offset 32
		.amdhsa_reserve_vcc 1
		.amdhsa_reserve_flat_scratch 0
		.amdhsa_float_round_mode_32 0
		.amdhsa_float_round_mode_16_64 0
		.amdhsa_float_denorm_mode_32 3
		.amdhsa_float_denorm_mode_16_64 3
		.amdhsa_dx10_clamp 1
		.amdhsa_ieee_mode 1
		.amdhsa_fp16_overflow 0
		.amdhsa_tg_split 0
		.amdhsa_exception_fp_ieee_invalid_op 0
		.amdhsa_exception_fp_denorm_src 0
		.amdhsa_exception_fp_ieee_div_zero 0
		.amdhsa_exception_fp_ieee_overflow 0
		.amdhsa_exception_fp_ieee_underflow 0
		.amdhsa_exception_fp_ieee_inexact 0
		.amdhsa_exception_int_div_zero 0
	.end_amdhsa_kernel
	.section	.text._ZN2at6native18radixSortKVInPlaceILi2ELin1ELi16ELi2EbljEEvNS_4cuda6detail10TensorInfoIT3_T5_EES6_S6_S6_NS4_IT4_S6_EES6_b,"axG",@progbits,_ZN2at6native18radixSortKVInPlaceILi2ELin1ELi16ELi2EbljEEvNS_4cuda6detail10TensorInfoIT3_T5_EES6_S6_S6_NS4_IT4_S6_EES6_b,comdat
.Lfunc_end269:
	.size	_ZN2at6native18radixSortKVInPlaceILi2ELin1ELi16ELi2EbljEEvNS_4cuda6detail10TensorInfoIT3_T5_EES6_S6_S6_NS4_IT4_S6_EES6_b, .Lfunc_end269-_ZN2at6native18radixSortKVInPlaceILi2ELin1ELi16ELi2EbljEEvNS_4cuda6detail10TensorInfoIT3_T5_EES6_S6_S6_NS4_IT4_S6_EES6_b
                                        ; -- End function
	.section	.AMDGPU.csdata,"",@progbits
; Kernel info:
; codeLenInByte = 4124
; NumSgprs: 40
; NumVgprs: 32
; NumAgprs: 0
; TotalNumVgprs: 32
; ScratchSize: 0
; MemoryBound: 0
; FloatMode: 240
; IeeeMode: 1
; LDSByteSize: 528 bytes/workgroup (compile time only)
; SGPRBlocks: 4
; VGPRBlocks: 3
; NumSGPRsForWavesPerEU: 40
; NumVGPRsForWavesPerEU: 32
; AccumOffset: 32
; Occupancy: 8
; WaveLimiterHint : 1
; COMPUTE_PGM_RSRC2:SCRATCH_EN: 0
; COMPUTE_PGM_RSRC2:USER_SGPR: 6
; COMPUTE_PGM_RSRC2:TRAP_HANDLER: 0
; COMPUTE_PGM_RSRC2:TGID_X_EN: 1
; COMPUTE_PGM_RSRC2:TGID_Y_EN: 1
; COMPUTE_PGM_RSRC2:TGID_Z_EN: 1
; COMPUTE_PGM_RSRC2:TIDIG_COMP_CNT: 0
; COMPUTE_PGM_RSRC3_GFX90A:ACCUM_OFFSET: 7
; COMPUTE_PGM_RSRC3_GFX90A:TG_SPLIT: 0
	.section	.text._ZN2at6native18radixSortKVInPlaceILin1ELin1ELi512ELi8EbljEEvNS_4cuda6detail10TensorInfoIT3_T5_EES6_S6_S6_NS4_IT4_S6_EES6_b,"axG",@progbits,_ZN2at6native18radixSortKVInPlaceILin1ELin1ELi512ELi8EbljEEvNS_4cuda6detail10TensorInfoIT3_T5_EES6_S6_S6_NS4_IT4_S6_EES6_b,comdat
	.protected	_ZN2at6native18radixSortKVInPlaceILin1ELin1ELi512ELi8EbljEEvNS_4cuda6detail10TensorInfoIT3_T5_EES6_S6_S6_NS4_IT4_S6_EES6_b ; -- Begin function _ZN2at6native18radixSortKVInPlaceILin1ELin1ELi512ELi8EbljEEvNS_4cuda6detail10TensorInfoIT3_T5_EES6_S6_S6_NS4_IT4_S6_EES6_b
	.globl	_ZN2at6native18radixSortKVInPlaceILin1ELin1ELi512ELi8EbljEEvNS_4cuda6detail10TensorInfoIT3_T5_EES6_S6_S6_NS4_IT4_S6_EES6_b
	.p2align	8
	.type	_ZN2at6native18radixSortKVInPlaceILin1ELin1ELi512ELi8EbljEEvNS_4cuda6detail10TensorInfoIT3_T5_EES6_S6_S6_NS4_IT4_S6_EES6_b,@function
_ZN2at6native18radixSortKVInPlaceILin1ELin1ELi512ELi8EbljEEvNS_4cuda6detail10TensorInfoIT3_T5_EES6_S6_S6_NS4_IT4_S6_EES6_b: ; @_ZN2at6native18radixSortKVInPlaceILin1ELin1ELi512ELi8EbljEEvNS_4cuda6detail10TensorInfoIT3_T5_EES6_S6_S6_NS4_IT4_S6_EES6_b
; %bb.0:
	s_load_dwordx2 s[0:1], s[4:5], 0x1c8
	s_load_dwordx4 s[28:31], s[4:5], 0xd8
	s_add_u32 s54, s4, 0x1c8
	s_addc_u32 s55, s5, 0
	s_waitcnt lgkmcnt(0)
	s_mul_i32 s1, s1, s8
	s_add_i32 s1, s1, s7
	s_mul_i32 s0, s1, s0
	s_add_i32 s24, s0, s6
	s_cmp_ge_u32 s24, s28
	s_cbranch_scc1 .LBB270_105
; %bb.1:
	s_load_dword s2, s[4:5], 0xd0
	s_mov_b32 s1, 0
	s_mov_b32 s0, s24
	s_waitcnt lgkmcnt(0)
	s_cmp_lt_i32 s2, 2
	s_cbranch_scc1 .LBB270_4
; %bb.2:
	s_add_i32 s0, s2, -1
	s_add_i32 s6, s2, 1
	s_lshl_b64 s[2:3], s[0:1], 2
	s_add_u32 s0, s2, s4
	s_addc_u32 s3, s3, s5
	s_add_u32 s2, s0, 8
	s_addc_u32 s3, s3, 0
	s_mov_b32 s0, s24
.LBB270_3:                              ; =>This Inner Loop Header: Depth=1
	s_load_dword s7, s[2:3], 0x0
	s_load_dword s9, s[2:3], 0x64
	s_mov_b32 s8, s0
	s_waitcnt lgkmcnt(0)
	v_cvt_f32_u32_e32 v1, s7
	s_sub_i32 s0, 0, s7
	v_rcp_iflag_f32_e32 v1, v1
	v_mul_f32_e32 v1, 0x4f7ffffe, v1
	v_cvt_u32_f32_e32 v1, v1
	v_readfirstlane_b32 s10, v1
	s_mul_i32 s0, s0, s10
	s_mul_hi_u32 s0, s10, s0
	s_add_i32 s10, s10, s0
	s_mul_hi_u32 s0, s8, s10
	s_mul_i32 s10, s0, s7
	s_sub_i32 s10, s8, s10
	s_add_i32 s11, s0, 1
	s_sub_i32 s12, s10, s7
	s_cmp_ge_u32 s10, s7
	s_cselect_b32 s0, s11, s0
	s_cselect_b32 s10, s12, s10
	s_add_i32 s11, s0, 1
	s_cmp_ge_u32 s10, s7
	s_cselect_b32 s0, s11, s0
	s_mul_i32 s7, s0, s7
	s_sub_i32 s7, s8, s7
	s_mul_i32 s7, s9, s7
	s_add_i32 s6, s6, -1
	s_add_i32 s1, s7, s1
	s_add_u32 s2, s2, -4
	s_addc_u32 s3, s3, -1
	s_cmp_gt_u32 s6, 2
	s_cbranch_scc1 .LBB270_3
.LBB270_4:
	s_load_dword s2, s[4:5], 0x1b8
	s_mov_b32 s21, 0
	s_waitcnt lgkmcnt(0)
	s_cmp_lt_i32 s2, 2
	s_cbranch_scc1 .LBB270_7
; %bb.5:
	s_add_i32 s20, s2, -1
	s_add_i32 s6, s2, 1
	s_lshl_b64 s[2:3], s[20:21], 2
	s_add_u32 s2, s2, s4
	s_addc_u32 s3, s3, s5
	s_add_u32 s2, s2, 0xf0
	s_addc_u32 s3, s3, 0
.LBB270_6:                              ; =>This Inner Loop Header: Depth=1
	s_load_dword s7, s[2:3], 0x0
	s_load_dword s9, s[2:3], 0x64
	s_mov_b32 s8, s24
	s_waitcnt lgkmcnt(0)
	v_cvt_f32_u32_e32 v1, s7
	s_sub_i32 s10, 0, s7
	v_rcp_iflag_f32_e32 v1, v1
	v_mul_f32_e32 v1, 0x4f7ffffe, v1
	v_cvt_u32_f32_e32 v1, v1
	v_readfirstlane_b32 s11, v1
	s_mul_i32 s10, s10, s11
	s_mul_hi_u32 s10, s11, s10
	s_add_i32 s11, s11, s10
	s_mul_hi_u32 s10, s24, s11
	s_mul_i32 s11, s10, s7
	s_sub_i32 s11, s24, s11
	s_add_i32 s12, s10, 1
	s_sub_i32 s13, s11, s7
	s_cmp_ge_u32 s11, s7
	s_cselect_b32 s10, s12, s10
	s_cselect_b32 s11, s13, s11
	s_add_i32 s12, s10, 1
	s_cmp_ge_u32 s11, s7
	s_cselect_b32 s24, s12, s10
	s_mul_i32 s7, s24, s7
	s_sub_i32 s7, s8, s7
	s_mul_i32 s7, s9, s7
	s_add_i32 s6, s6, -1
	s_add_i32 s21, s7, s21
	s_add_u32 s2, s2, -4
	s_addc_u32 s3, s3, -1
	s_cmp_gt_u32 s6, 2
	s_cbranch_scc1 .LBB270_6
.LBB270_7:
	s_load_dword s2, s[4:5], 0x6c
	s_load_dwordx2 s[34:35], s[4:5], 0x1c0
	s_load_dwordx2 s[6:7], s[4:5], 0x0
	v_and_b32_e32 v36, 0x3ff, v0
	v_mul_lo_u32 v37, v36, s30
	s_waitcnt lgkmcnt(0)
	s_mul_i32 s0, s2, s0
	s_add_i32 s2, s0, s1
	s_bitcmp1_b32 s35, 0
	s_cselect_b64 s[0:1], -1, 0
	s_add_u32 s52, s6, s2
	s_addc_u32 s53, s7, 0
	s_xor_b64 s[18:19], s[0:1], -1
	v_cndmask_b32_e64 v1, 0, 1, s[18:19]
	v_lshlrev_b16_e32 v2, 8, v1
	v_or_b32_e32 v2, v1, v2
	v_lshlrev_b32_e32 v3, 16, v2
	v_or_b32_sdwa v2, v2, v3 dst_sel:DWORD dst_unused:UNUSED_PAD src0_sel:WORD_0 src1_sel:DWORD
	v_mov_b32_e32 v3, v2
	v_cmp_gt_u32_e64 s[0:1], s29, v36
	s_and_saveexec_b64 s[2:3], s[0:1]
	s_cbranch_execz .LBB270_9
; %bb.8:
	global_load_ubyte v1, v37, s[52:53]
	s_mov_b32 s6, 0x3020104
	v_mov_b32_e32 v5, v2
	s_waitcnt vmcnt(0)
	v_perm_b32 v4, v1, v2, s6
	v_pk_mov_b32 v[2:3], v[4:5], v[4:5] op_sel:[0,1]
.LBB270_9:
	s_or_b64 exec, exec, s[2:3]
	v_add_u32_e32 v32, 0x200, v36
	v_cmp_gt_u32_e64 s[2:3], s29, v32
	s_and_saveexec_b64 s[6:7], s[2:3]
	s_cbranch_execz .LBB270_11
; %bb.10:
	v_mul_lo_u32 v4, v32, s30
	global_load_ubyte v4, v4, s[52:53]
	s_mov_b32 s8, 0x7060004
	s_waitcnt vmcnt(0)
	v_perm_b32 v2, v2, v4, s8
.LBB270_11:
	s_or_b64 exec, exec, s[6:7]
	v_or_b32_e32 v31, 0x400, v36
	v_cmp_gt_u32_e64 s[16:17], s29, v31
	s_and_saveexec_b64 s[6:7], s[16:17]
	s_cbranch_execz .LBB270_13
; %bb.12:
	v_mul_lo_u32 v4, v31, s30
	global_load_ubyte v4, v4, s[52:53]
	s_movk_i32 s8, 0xff00
	v_and_b32_sdwa v5, v2, s8 dst_sel:DWORD dst_unused:UNUSED_PAD src0_sel:WORD_1 src1_sel:DWORD
	s_mov_b32 s8, 0xffff
	s_waitcnt vmcnt(0)
	v_or_b32_sdwa v4, v4, v5 dst_sel:WORD_1 dst_unused:UNUSED_PAD src0_sel:DWORD src1_sel:DWORD
	v_and_or_b32 v2, v2, s8, v4
.LBB270_13:
	s_or_b64 exec, exec, s[6:7]
	v_add_u32_e32 v30, 0x600, v36
	v_cmp_gt_u32_e64 s[6:7], s29, v30
	s_and_saveexec_b64 s[8:9], s[6:7]
	s_cbranch_execz .LBB270_15
; %bb.14:
	v_mul_lo_u32 v4, v30, s30
	global_load_ubyte v4, v4, s[52:53]
	s_movk_i32 s10, 0xff
	v_and_b32_sdwa v5, v2, s10 dst_sel:DWORD dst_unused:UNUSED_PAD src0_sel:WORD_1 src1_sel:DWORD
	s_mov_b32 s10, 0xffff
	s_waitcnt vmcnt(0)
	v_lshlrev_b16_e32 v4, 8, v4
	v_or_b32_sdwa v4, v5, v4 dst_sel:WORD_1 dst_unused:UNUSED_PAD src0_sel:DWORD src1_sel:DWORD
	v_and_or_b32 v2, v2, s10, v4
.LBB270_15:
	s_or_b64 exec, exec, s[8:9]
	v_or_b32_e32 v29, 0x800, v36
	v_cmp_gt_u32_e64 s[8:9], s29, v29
	s_and_saveexec_b64 s[10:11], s[8:9]
	s_cbranch_execz .LBB270_17
; %bb.16:
	v_mul_lo_u32 v4, v29, s30
	global_load_ubyte v4, v4, s[52:53]
	s_mov_b32 s12, 0x3020104
	s_waitcnt vmcnt(0)
	v_perm_b32 v3, v4, v3, s12
.LBB270_17:
	s_or_b64 exec, exec, s[10:11]
	v_add_u32_e32 v28, 0xa00, v36
	v_cmp_gt_u32_e64 s[10:11], s29, v28
	s_and_saveexec_b64 s[12:13], s[10:11]
	s_cbranch_execz .LBB270_19
; %bb.18:
	v_mul_lo_u32 v4, v28, s30
	global_load_ubyte v4, v4, s[52:53]
	s_mov_b32 s14, 0x7060004
	s_waitcnt vmcnt(0)
	v_perm_b32 v3, v3, v4, s14
.LBB270_19:
	s_or_b64 exec, exec, s[12:13]
	s_load_dwordx2 s[22:23], s[4:5], 0xe8
	v_or_b32_e32 v27, 0xc00, v36
	v_cmp_gt_u32_e64 s[12:13], s29, v27
	s_and_saveexec_b64 s[14:15], s[12:13]
	s_cbranch_execz .LBB270_21
; %bb.20:
	v_mul_lo_u32 v4, v27, s30
	global_load_ubyte v4, v4, s[52:53]
	s_mov_b32 s20, 0x7000504
	s_waitcnt vmcnt(0)
	v_perm_b32 v3, v3, v4, s20
.LBB270_21:
	s_or_b64 exec, exec, s[14:15]
	s_load_dword s20, s[4:5], 0x154
	v_add_u32_e32 v22, 0xe00, v36
	v_cmp_gt_u32_e64 s[14:15], s29, v22
	s_and_saveexec_b64 s[4:5], s[14:15]
	s_cbranch_execz .LBB270_23
; %bb.22:
	v_mul_lo_u32 v4, v22, s30
	global_load_ubyte v4, v4, s[52:53]
	s_mov_b32 s25, 0x60504
	s_waitcnt vmcnt(0)
	v_perm_b32 v3, v3, v4, s25
.LBB270_23:
	s_or_b64 exec, exec, s[4:5]
	v_lshrrev_b32_e32 v26, 5, v36
	v_and_b32_e32 v4, 28, v26
	v_add_u32_e32 v44, v4, v36
	v_lshrrev_b32_e32 v25, 5, v32
	ds_write_b8 v44, v1
	v_and_b32_e32 v1, 60, v25
	v_lshrrev_b32_e32 v24, 5, v31
	v_add_u32_e32 v45, v1, v36
	v_and_b32_e32 v1, 60, v24
	v_lshrrev_b32_e32 v23, 5, v30
	v_add_u32_e32 v46, v1, v36
	v_and_b32_e32 v1, 0x7c, v23
	v_lshrrev_b32_e32 v21, 5, v29
	v_add_u32_e32 v47, v1, v36
	v_and_b32_e32 v1, 0x5c, v21
	v_lshrrev_b32_e32 v19, 5, v28
	v_lshrrev_b32_e32 v4, 8, v2
	v_add_u32_e32 v48, v1, v36
	v_and_b32_e32 v1, 0x7c, v19
	v_lshrrev_b32_e32 v18, 5, v27
	ds_write_b8 v45, v4 offset:512
	ds_write_b8_d16_hi v46, v2 offset:1024
	v_lshrrev_b32_e32 v2, 24, v2
	v_add_u32_e32 v49, v1, v36
	v_and_b32_e32 v1, 0x7c, v18
	ds_write_b8 v47, v2 offset:1536
	v_lshrrev_b32_e32 v2, 8, v3
	v_add_u32_e32 v50, v1, v36
	v_lshrrev_b32_e32 v1, 5, v22
	ds_write_b8 v48, v3 offset:2048
	ds_write_b8 v49, v2 offset:2560
	v_and_b32_e32 v2, 0xfc, v1
	v_lshrrev_b32_e32 v20, 2, v36
	v_add_u32_e32 v51, v2, v36
	v_lshlrev_b32_e32 v53, 3, v36
	v_and_b32_e32 v2, 0xfc, v20
	ds_write_b8_d16_hi v50, v3 offset:3072
	v_lshrrev_b32_e32 v3, 24, v3
	v_add_u32_e32 v52, v2, v53
	s_waitcnt lgkmcnt(0)
	s_mul_i32 s4, s20, s24
	ds_write_b8 v51, v3 offset:3584
	s_waitcnt lgkmcnt(0)
	s_barrier
	ds_read_b64 v[38:39], v52
	s_add_i32 s36, s4, s21
	s_mov_b32 s37, 0
	s_lshl_b64 s[4:5], s[36:37], 3
	s_mov_b32 s36, s37
	s_add_u32 s31, s22, s4
	s_mov_b32 s38, s37
	s_mov_b32 s39, s37
	;; [unrolled: 1-line block ×14, first 2 shown]
	v_pk_mov_b32 v[2:3], s[36:37], s[36:37] op_sel:[0,1]
	s_addc_u32 s33, s23, s5
	v_pk_mov_b32 v[4:5], s[38:39], s[38:39] op_sel:[0,1]
	v_pk_mov_b32 v[6:7], s[40:41], s[40:41] op_sel:[0,1]
	;; [unrolled: 1-line block ×7, first 2 shown]
	v_pk_mov_b32 v[2:3], 0, 0
	v_mul_lo_u32 v34, v36, s34
	s_waitcnt lgkmcnt(0)
	s_barrier
	s_and_saveexec_b64 s[4:5], s[0:1]
	s_cbranch_execnz .LBB270_56
; %bb.24:
	s_or_b64 exec, exec, s[4:5]
	s_and_saveexec_b64 s[4:5], s[2:3]
	s_cbranch_execnz .LBB270_57
.LBB270_25:
	s_or_b64 exec, exec, s[4:5]
	s_and_saveexec_b64 s[4:5], s[16:17]
	s_cbranch_execnz .LBB270_58
.LBB270_26:
	s_or_b64 exec, exec, s[4:5]
	s_and_saveexec_b64 s[4:5], s[6:7]
	s_cbranch_execnz .LBB270_59
.LBB270_27:
	s_or_b64 exec, exec, s[4:5]
	s_and_saveexec_b64 s[4:5], s[8:9]
	s_cbranch_execnz .LBB270_60
.LBB270_28:
	s_or_b64 exec, exec, s[4:5]
	s_and_saveexec_b64 s[4:5], s[10:11]
	s_cbranch_execnz .LBB270_61
.LBB270_29:
	s_or_b64 exec, exec, s[4:5]
	s_and_saveexec_b64 s[4:5], s[12:13]
	s_cbranch_execnz .LBB270_62
.LBB270_30:
	s_or_b64 exec, exec, s[4:5]
	s_and_saveexec_b64 s[4:5], s[14:15]
	s_cbranch_execz .LBB270_32
.LBB270_31:
	v_mul_lo_u32 v16, v22, s34
	v_mov_b32_e32 v17, 0
	v_lshlrev_b64 v[16:17], 3, v[16:17]
	v_mov_b32_e32 v22, s33
	v_add_co_u32_e32 v16, vcc, s31, v16
	v_addc_co_u32_e32 v17, vcc, v22, v17, vcc
	global_load_dwordx2 v[16:17], v[16:17], off
.LBB270_32:
	s_or_b64 exec, exec, s[4:5]
	v_lshrrev_b64 v[40:41], 24, v[38:39]
	v_add_lshl_u32 v41, v26, v36, 3
	v_add_lshl_u32 v35, v25, v36, 3
	;; [unrolled: 1-line block ×9, first 2 shown]
	s_waitcnt vmcnt(0)
	ds_write_b64 v41, v[2:3]
	ds_write_b64 v35, v[4:5] offset:4096
	ds_write_b64 v54, v[6:7] offset:8192
	;; [unrolled: 1-line block ×7, first 2 shown]
	s_waitcnt lgkmcnt(0)
	s_barrier
	ds_read2_b64 v[14:17], v60 offset1:1
	ds_read2_b64 v[10:13], v60 offset0:2 offset1:3
	ds_read2_b64 v[6:9], v60 offset0:4 offset1:5
	;; [unrolled: 1-line block ×3, first 2 shown]
	v_lshrrev_b32_e32 v64, 8, v38
	v_lshrrev_b32_e32 v65, 8, v39
	s_and_b64 vcc, exec, s[18:19]
	v_bfe_u32 v62, v0, 10, 10
	v_bfe_u32 v63, v0, 20, 10
	v_mbcnt_lo_u32_b32 v66, -1, 0
	v_lshlrev_b32_e32 v61, 4, v36
	s_waitcnt lgkmcnt(0)
	s_barrier
	s_cbranch_vccz .LBB270_63
; %bb.33:
	s_movk_i32 s4, 0xff
	v_mov_b32_e32 v1, 8
	v_lshlrev_b16_e32 v0, 8, v65
	v_lshlrev_b16_sdwa v1, v1, v39 dst_sel:DWORD dst_unused:UNUSED_PAD src0_sel:DWORD src1_sel:BYTE_3
	v_and_b32_sdwa v20, v39, s4 dst_sel:DWORD dst_unused:UNUSED_PAD src0_sel:WORD_1 src1_sel:DWORD
	v_or_b32_sdwa v0, v39, v0 dst_sel:DWORD dst_unused:UNUSED_PAD src0_sel:BYTE_0 src1_sel:DWORD
	v_or_b32_sdwa v1, v20, v1 dst_sel:WORD_1 dst_unused:UNUSED_PAD src0_sel:DWORD src1_sel:DWORD
	v_mbcnt_hi_u32_b32 v75, -1, v66
	v_and_b32_e32 v76, 0x3c0, v36
	v_or_b32_sdwa v1, v0, v1 dst_sel:DWORD dst_unused:UNUSED_PAD src0_sel:WORD_0 src1_sel:DWORD
	v_lshlrev_b16_e32 v0, 8, v64
	v_lshlrev_b16_e32 v20, 8, v40
	v_and_b32_sdwa v21, v38, s4 dst_sel:DWORD dst_unused:UNUSED_PAD src0_sel:WORD_1 src1_sel:DWORD
	v_add_u32_e32 v18, v75, v76
	v_or_b32_sdwa v0, v38, v0 dst_sel:DWORD dst_unused:UNUSED_PAD src0_sel:BYTE_0 src1_sel:DWORD
	v_or_b32_sdwa v20, v21, v20 dst_sel:WORD_1 dst_unused:UNUSED_PAD src0_sel:DWORD src1_sel:DWORD
	v_lshlrev_b32_e32 v19, 3, v18
	v_or_b32_sdwa v0, v0, v20 dst_sel:DWORD dst_unused:UNUSED_PAD src0_sel:WORD_0 src1_sel:DWORD
	s_movk_i32 s4, 0x1e00
	ds_write_b64 v19, v[0:1]
	v_and_or_b32 v0, v53, s4, v75
	; wave barrier
	ds_read_u8 v67, v0
	ds_read_u8 v68, v0 offset:64
	ds_read_u8 v69, v0 offset:128
	;; [unrolled: 1-line block ×7, first 2 shown]
	v_lshlrev_b32_e32 v1, 6, v18
	v_lshlrev_b32_e32 v0, 3, v0
	s_getpc_b64 s[4:5]
	s_add_u32 s4, s4, _ZN7rocprim17ROCPRIM_400000_NS16block_radix_sortIbLj512ELj8ElLj1ELj1ELj0ELNS0_26block_radix_rank_algorithmE1ELNS0_18block_padding_hintE2ELNS0_4arch9wavefront6targetE1EE19radix_bits_per_passE@rel32@lo+4
	s_addc_u32 s5, s5, _ZN7rocprim17ROCPRIM_400000_NS16block_radix_sortIbLj512ELj8ElLj1ELj1ELj0ELNS0_26block_radix_rank_algorithmE1ELNS0_18block_padding_hintE2ELNS0_4arch9wavefront6targetE1EE19radix_bits_per_passE@rel32@hi+12
	s_waitcnt lgkmcnt(0)
	s_barrier
	ds_write2_b64 v1, v[14:15], v[16:17] offset1:1
	ds_write2_b64 v1, v[10:11], v[12:13] offset0:2 offset1:3
	ds_write2_b64 v1, v[6:7], v[8:9] offset0:4 offset1:5
	;; [unrolled: 1-line block ×3, first 2 shown]
	; wave barrier
	ds_read2st64_b64 v[30:33], v0 offset1:1
	ds_read2st64_b64 v[26:29], v0 offset0:2 offset1:3
	ds_read2st64_b64 v[22:25], v0 offset0:4 offset1:5
	;; [unrolled: 1-line block ×3, first 2 shown]
	s_waitcnt lgkmcnt(0)
	s_barrier
	s_load_dword s18, s[4:5], 0x0
	s_load_dword s19, s[54:55], 0xc
	s_waitcnt lgkmcnt(0)
	s_min_u32 s18, s18, 8
	s_lshr_b32 s4, s19, 16
	s_and_b32 s5, s19, 0xffff
	v_mad_u32_u24 v0, v63, s4, v62
	v_mad_u64_u32 v[0:1], s[4:5], v0, s5, v[36:37]
	s_lshl_b32 s4, -1, s18
	s_not_b32 s18, s4
	v_lshrrev_b32_e32 v42, 6, v0
	v_and_b32_e32 v0, s18, v67
	v_mov_b32_e32 v1, 0
	v_and_b32_e32 v0, 1, v0
	ds_write2_b32 v61, v1, v1 offset0:8 offset1:9
	ds_write2_b32 v61, v1, v1 offset0:10 offset1:11
	v_lshlrev_b32_e32 v1, 3, v0
	v_cmp_ne_u32_e32 vcc, 0, v0
	v_add_co_u32_e64 v0, s[4:5], -1, v0
	v_add_lshl_u32 v77, v42, v1, 2
	v_addc_co_u32_e64 v1, s[4:5], 0, -1, s[4:5]
	v_xor_b32_e32 v0, vcc_lo, v0
	v_xor_b32_e32 v1, vcc_hi, v1
	v_and_b32_e32 v0, exec_lo, v0
	v_and_b32_e32 v1, exec_hi, v1
	v_mbcnt_lo_u32_b32 v43, v0, 0
	v_mbcnt_hi_u32_b32 v78, v1, v43
	v_cmp_eq_u32_e32 vcc, 0, v78
	v_cmp_ne_u64_e64 s[4:5], 0, v[0:1]
	s_and_b64 s[20:21], s[4:5], vcc
	s_waitcnt lgkmcnt(0)
	s_barrier
	s_waitcnt lgkmcnt(0)
	; wave barrier
	s_and_saveexec_b64 s[4:5], s[20:21]
	s_cbranch_execz .LBB270_35
; %bb.34:
	v_bcnt_u32_b32 v0, v0, 0
	v_bcnt_u32_b32 v0, v1, v0
	ds_write_b32 v77, v0 offset:32
.LBB270_35:
	s_or_b64 exec, exec, s[4:5]
	v_and_b32_e32 v0, s18, v68
	v_and_b32_e32 v0, 0xff, v0
	v_lshlrev_b32_e32 v1, 3, v0
	v_cmp_ne_u32_e32 vcc, 0, v0
	v_add_co_u32_e64 v0, s[4:5], -1, v0
	v_add_lshl_u32 v80, v42, v1, 2
	v_addc_co_u32_e64 v1, s[4:5], 0, -1, s[4:5]
	v_xor_b32_e32 v0, vcc_lo, v0
	; wave barrier
	ds_read_b32 v79, v80 offset:32
	v_xor_b32_e32 v1, vcc_hi, v1
	v_and_b32_e32 v0, exec_lo, v0
	v_and_b32_e32 v1, exec_hi, v1
	v_mbcnt_lo_u32_b32 v43, v0, 0
	v_mbcnt_hi_u32_b32 v81, v1, v43
	v_cmp_eq_u32_e32 vcc, 0, v81
	v_cmp_ne_u64_e64 s[4:5], 0, v[0:1]
	s_and_b64 s[20:21], s[4:5], vcc
	; wave barrier
	s_and_saveexec_b64 s[4:5], s[20:21]
	s_cbranch_execz .LBB270_37
; %bb.36:
	v_bcnt_u32_b32 v0, v0, 0
	v_bcnt_u32_b32 v0, v1, v0
	s_waitcnt lgkmcnt(0)
	v_add_u32_e32 v0, v79, v0
	ds_write_b32 v80, v0 offset:32
.LBB270_37:
	s_or_b64 exec, exec, s[4:5]
	v_and_b32_e32 v0, s18, v69
	v_and_b32_e32 v0, 0xff, v0
	v_lshlrev_b32_e32 v1, 3, v0
	v_cmp_ne_u32_e32 vcc, 0, v0
	v_add_co_u32_e64 v0, s[4:5], -1, v0
	v_add_lshl_u32 v83, v42, v1, 2
	v_addc_co_u32_e64 v1, s[4:5], 0, -1, s[4:5]
	v_xor_b32_e32 v0, vcc_lo, v0
	; wave barrier
	ds_read_b32 v82, v83 offset:32
	v_xor_b32_e32 v1, vcc_hi, v1
	v_and_b32_e32 v0, exec_lo, v0
	v_and_b32_e32 v1, exec_hi, v1
	v_mbcnt_lo_u32_b32 v43, v0, 0
	v_mbcnt_hi_u32_b32 v84, v1, v43
	v_cmp_eq_u32_e32 vcc, 0, v84
	v_cmp_ne_u64_e64 s[4:5], 0, v[0:1]
	s_and_b64 s[20:21], s[4:5], vcc
	; wave barrier
	s_and_saveexec_b64 s[4:5], s[20:21]
	s_cbranch_execz .LBB270_39
; %bb.38:
	v_bcnt_u32_b32 v0, v0, 0
	v_bcnt_u32_b32 v0, v1, v0
	s_waitcnt lgkmcnt(0)
	v_add_u32_e32 v0, v82, v0
	ds_write_b32 v83, v0 offset:32
.LBB270_39:
	;; [unrolled: 29-line block ×6, first 2 shown]
	s_or_b64 exec, exec, s[4:5]
	v_and_b32_e32 v0, s18, v74
	v_and_b32_e32 v0, 0xff, v0
	v_lshlrev_b32_e32 v1, 3, v0
	v_cmp_ne_u32_e32 vcc, 0, v0
	v_add_co_u32_e64 v0, s[4:5], -1, v0
	v_add_lshl_u32 v98, v42, v1, 2
	v_addc_co_u32_e64 v1, s[4:5], 0, -1, s[4:5]
	v_xor_b32_e32 v0, vcc_lo, v0
	; wave barrier
	ds_read_b32 v97, v98 offset:32
	v_xor_b32_e32 v1, vcc_hi, v1
	v_and_b32_e32 v0, exec_lo, v0
	v_and_b32_e32 v1, exec_hi, v1
	v_mbcnt_lo_u32_b32 v42, v0, 0
	v_mbcnt_hi_u32_b32 v99, v1, v42
	v_cmp_eq_u32_e32 vcc, 0, v99
	v_cmp_ne_u64_e64 s[4:5], 0, v[0:1]
	v_add_u32_e32 v100, 32, v61
	s_and_b64 s[18:19], s[4:5], vcc
	; wave barrier
	s_and_saveexec_b64 s[4:5], s[18:19]
	s_cbranch_execz .LBB270_49
; %bb.48:
	v_bcnt_u32_b32 v0, v0, 0
	v_bcnt_u32_b32 v0, v1, v0
	s_waitcnt lgkmcnt(0)
	v_add_u32_e32 v0, v97, v0
	ds_write_b32 v98, v0 offset:32
.LBB270_49:
	s_or_b64 exec, exec, s[4:5]
	; wave barrier
	s_waitcnt lgkmcnt(0)
	s_barrier
	ds_read2_b32 v[0:1], v61 offset0:8 offset1:9
	ds_read2_b32 v[42:43], v100 offset0:2 offset1:3
	v_min_u32_e32 v76, 0x1c0, v76
	v_or_b32_e32 v76, 63, v76
	s_waitcnt lgkmcnt(1)
	v_add_u32_e32 v101, v1, v0
	s_waitcnt lgkmcnt(0)
	v_add3_u32 v43, v101, v42, v43
	v_and_b32_e32 v101, 15, v75
	v_cmp_ne_u32_e32 vcc, 0, v101
	v_mov_b32_dpp v102, v43 row_shr:1 row_mask:0xf bank_mask:0xf
	v_cndmask_b32_e32 v102, 0, v102, vcc
	v_add_u32_e32 v43, v102, v43
	v_cmp_lt_u32_e32 vcc, 1, v101
	s_nop 0
	v_mov_b32_dpp v102, v43 row_shr:2 row_mask:0xf bank_mask:0xf
	v_cndmask_b32_e32 v102, 0, v102, vcc
	v_add_u32_e32 v43, v43, v102
	v_cmp_lt_u32_e32 vcc, 3, v101
	s_nop 0
	;; [unrolled: 5-line block ×3, first 2 shown]
	v_mov_b32_dpp v102, v43 row_shr:8 row_mask:0xf bank_mask:0xf
	v_cndmask_b32_e32 v101, 0, v102, vcc
	v_add_u32_e32 v43, v43, v101
	v_bfe_i32 v102, v75, 4, 1
	v_cmp_lt_u32_e32 vcc, 31, v75
	v_mov_b32_dpp v101, v43 row_bcast:15 row_mask:0xf bank_mask:0xf
	v_and_b32_e32 v101, v102, v101
	v_add_u32_e32 v43, v43, v101
	s_nop 1
	v_mov_b32_dpp v101, v43 row_bcast:31 row_mask:0xf bank_mask:0xf
	v_cndmask_b32_e32 v101, 0, v101, vcc
	v_add_u32_e32 v43, v43, v101
	v_lshrrev_b32_e32 v101, 6, v36
	v_cmp_eq_u32_e32 vcc, v76, v36
	s_and_saveexec_b64 s[4:5], vcc
	s_cbranch_execz .LBB270_51
; %bb.50:
	v_lshlrev_b32_e32 v76, 2, v101
	ds_write_b32 v76, v43
.LBB270_51:
	s_or_b64 exec, exec, s[4:5]
	v_cmp_gt_u32_e32 vcc, 8, v36
	s_waitcnt lgkmcnt(0)
	s_barrier
	s_and_saveexec_b64 s[4:5], vcc
	s_cbranch_execz .LBB270_53
; %bb.52:
	v_lshlrev_b32_e32 v76, 2, v36
	ds_read_b32 v102, v76
	v_and_b32_e32 v103, 7, v75
	v_cmp_ne_u32_e32 vcc, 0, v103
	s_waitcnt lgkmcnt(0)
	v_mov_b32_dpp v104, v102 row_shr:1 row_mask:0xf bank_mask:0xf
	v_cndmask_b32_e32 v104, 0, v104, vcc
	v_add_u32_e32 v102, v104, v102
	v_cmp_lt_u32_e32 vcc, 1, v103
	s_nop 0
	v_mov_b32_dpp v104, v102 row_shr:2 row_mask:0xf bank_mask:0xf
	v_cndmask_b32_e32 v104, 0, v104, vcc
	v_add_u32_e32 v102, v102, v104
	v_cmp_lt_u32_e32 vcc, 3, v103
	s_nop 0
	v_mov_b32_dpp v104, v102 row_shr:4 row_mask:0xf bank_mask:0xf
	v_cndmask_b32_e32 v103, 0, v104, vcc
	v_add_u32_e32 v102, v102, v103
	ds_write_b32 v76, v102
.LBB270_53:
	s_or_b64 exec, exec, s[4:5]
	v_cmp_lt_u32_e32 vcc, 63, v36
	v_mov_b32_e32 v76, 0
	s_waitcnt lgkmcnt(0)
	s_barrier
	s_and_saveexec_b64 s[4:5], vcc
	s_cbranch_execz .LBB270_55
; %bb.54:
	v_lshl_add_u32 v76, v101, 2, -4
	ds_read_b32 v76, v76
.LBB270_55:
	s_or_b64 exec, exec, s[4:5]
	v_add_u32_e32 v101, -1, v75
	v_and_b32_e32 v102, 64, v75
	v_cmp_lt_i32_e32 vcc, v101, v102
	v_cndmask_b32_e32 v101, v101, v75, vcc
	s_waitcnt lgkmcnt(0)
	v_add_u32_e32 v43, v76, v43
	v_lshlrev_b32_e32 v101, 2, v101
	ds_bpermute_b32 v43, v101, v43
	v_cmp_eq_u32_e32 vcc, 0, v75
	s_waitcnt lgkmcnt(0)
	v_cndmask_b32_e32 v43, v43, v76, vcc
	v_cmp_ne_u32_e32 vcc, 0, v36
	v_cndmask_b32_e32 v43, 0, v43, vcc
	v_add_u32_e32 v0, v43, v0
	v_add_u32_e32 v1, v0, v1
	v_add_u32_e32 v42, v1, v42
	ds_write2_b32 v61, v43, v0 offset0:8 offset1:9
	ds_write2_b32 v100, v1, v42 offset0:2 offset1:3
	s_waitcnt lgkmcnt(0)
	s_barrier
	ds_read_b32 v0, v77 offset:32
	ds_read_b32 v1, v80 offset:32
	;; [unrolled: 1-line block ×8, first 2 shown]
	s_waitcnt lgkmcnt(7)
	v_add_u32_e32 v78, v0, v78
	s_waitcnt lgkmcnt(6)
	v_add3_u32 v79, v81, v79, v1
	s_waitcnt lgkmcnt(5)
	v_add3_u32 v42, v84, v82, v42
	;; [unrolled: 2-line block ×7, first 2 shown]
	s_barrier
	ds_write_b8 v78, v67
	ds_write_b8 v79, v68
	;; [unrolled: 1-line block ×8, first 2 shown]
	v_lshlrev_b32_e32 v67, 3, v78
	s_waitcnt lgkmcnt(0)
	s_barrier
	ds_read_b64 v[0:1], v53
	s_waitcnt lgkmcnt(0)
	s_barrier
	ds_write_b64 v67, v[30:31]
	v_lshlrev_b32_e32 v30, 3, v79
	ds_write_b64 v30, v[32:33]
	v_lshlrev_b32_e32 v30, 3, v42
	;; [unrolled: 2-line block ×7, first 2 shown]
	v_lshlrev_b32_e32 v30, 3, v53
	ds_write_b64 v18, v[20:21]
	s_waitcnt lgkmcnt(0)
	s_barrier
	ds_read2_b64 v[18:21], v30 offset1:1
	ds_read2_b64 v[22:25], v30 offset0:2 offset1:3
	ds_read2_b64 v[26:29], v30 offset0:4 offset1:5
	;; [unrolled: 1-line block ×3, first 2 shown]
	s_branch .LBB270_87
.LBB270_56:
	v_mov_b32_e32 v35, 0
	v_lshlrev_b64 v[2:3], 3, v[34:35]
	v_mov_b32_e32 v4, s33
	v_add_co_u32_e32 v2, vcc, s31, v2
	v_addc_co_u32_e32 v3, vcc, v4, v3, vcc
	global_load_dwordx2 v[2:3], v[2:3], off
	v_mov_b32_e32 v4, v35
	v_mov_b32_e32 v5, v35
	;; [unrolled: 1-line block ×14, first 2 shown]
	s_or_b64 exec, exec, s[4:5]
	s_and_saveexec_b64 s[4:5], s[2:3]
	s_cbranch_execz .LBB270_25
.LBB270_57:
	v_mul_lo_u32 v4, v32, s34
	v_mov_b32_e32 v5, 0
	v_lshlrev_b64 v[4:5], 3, v[4:5]
	v_mov_b32_e32 v32, s33
	v_add_co_u32_e32 v4, vcc, s31, v4
	v_addc_co_u32_e32 v5, vcc, v32, v5, vcc
	global_load_dwordx2 v[4:5], v[4:5], off
	s_or_b64 exec, exec, s[4:5]
	s_and_saveexec_b64 s[4:5], s[16:17]
	s_cbranch_execz .LBB270_26
.LBB270_58:
	v_mul_lo_u32 v6, v31, s34
	v_mov_b32_e32 v7, 0
	v_lshlrev_b64 v[6:7], 3, v[6:7]
	v_mov_b32_e32 v31, s33
	v_add_co_u32_e32 v6, vcc, s31, v6
	v_addc_co_u32_e32 v7, vcc, v31, v7, vcc
	global_load_dwordx2 v[6:7], v[6:7], off
	s_or_b64 exec, exec, s[4:5]
	s_and_saveexec_b64 s[4:5], s[6:7]
	s_cbranch_execz .LBB270_27
.LBB270_59:
	v_mul_lo_u32 v8, v30, s34
	v_mov_b32_e32 v9, 0
	v_lshlrev_b64 v[8:9], 3, v[8:9]
	v_mov_b32_e32 v30, s33
	v_add_co_u32_e32 v8, vcc, s31, v8
	v_addc_co_u32_e32 v9, vcc, v30, v9, vcc
	global_load_dwordx2 v[8:9], v[8:9], off
	s_or_b64 exec, exec, s[4:5]
	s_and_saveexec_b64 s[4:5], s[8:9]
	s_cbranch_execz .LBB270_28
.LBB270_60:
	v_mul_lo_u32 v10, v29, s34
	v_mov_b32_e32 v11, 0
	v_lshlrev_b64 v[10:11], 3, v[10:11]
	v_mov_b32_e32 v29, s33
	v_add_co_u32_e32 v10, vcc, s31, v10
	v_addc_co_u32_e32 v11, vcc, v29, v11, vcc
	global_load_dwordx2 v[10:11], v[10:11], off
	s_or_b64 exec, exec, s[4:5]
	s_and_saveexec_b64 s[4:5], s[10:11]
	s_cbranch_execz .LBB270_29
.LBB270_61:
	v_mul_lo_u32 v12, v28, s34
	v_mov_b32_e32 v13, 0
	v_lshlrev_b64 v[12:13], 3, v[12:13]
	v_mov_b32_e32 v28, s33
	v_add_co_u32_e32 v12, vcc, s31, v12
	v_addc_co_u32_e32 v13, vcc, v28, v13, vcc
	global_load_dwordx2 v[12:13], v[12:13], off
	s_or_b64 exec, exec, s[4:5]
	s_and_saveexec_b64 s[4:5], s[12:13]
	s_cbranch_execz .LBB270_30
.LBB270_62:
	v_mul_lo_u32 v14, v27, s34
	v_mov_b32_e32 v15, 0
	v_lshlrev_b64 v[14:15], 3, v[14:15]
	v_mov_b32_e32 v27, s33
	v_add_co_u32_e32 v14, vcc, s31, v14
	v_addc_co_u32_e32 v15, vcc, v27, v15, vcc
	global_load_dwordx2 v[14:15], v[14:15], off
	s_or_b64 exec, exec, s[4:5]
	s_and_saveexec_b64 s[4:5], s[14:15]
	s_cbranch_execnz .LBB270_31
	s_branch .LBB270_32
.LBB270_63:
                                        ; implicit-def: $vgpr1
                                        ; implicit-def: $vgpr32_vgpr33
                                        ; implicit-def: $vgpr28_vgpr29
                                        ; implicit-def: $vgpr24_vgpr25
                                        ; implicit-def: $vgpr20_vgpr21
	s_cbranch_execz .LBB270_87
; %bb.64:
	v_and_b32_e32 v0, 1, v65
	v_cmp_eq_u32_e32 vcc, 1, v0
	v_and_b32_e32 v0, 1, v39
	v_cmp_eq_u32_e64 s[4:5], 1, v0
	v_mov_b32_e32 v0, 1
	v_and_b32_sdwa v1, v0, v39 dst_sel:DWORD dst_unused:UNUSED_PAD src0_sel:DWORD src1_sel:BYTE_3
	v_cmp_eq_u32_e64 s[18:19], 1, v1
	v_and_b32_sdwa v1, v0, v39 dst_sel:DWORD dst_unused:UNUSED_PAD src0_sel:DWORD src1_sel:WORD_1
	v_cmp_eq_u32_e64 s[20:21], 1, v1
	v_and_b32_e32 v1, 1, v64
	v_cmp_eq_u32_e64 s[22:23], 1, v1
	v_and_b32_e32 v1, 1, v38
	v_and_b32_sdwa v0, v0, v38 dst_sel:DWORD dst_unused:UNUSED_PAD src0_sel:DWORD src1_sel:WORD_1
	s_xor_b64 s[36:37], vcc, -1
	v_cmp_eq_u32_e64 s[24:25], 1, v1
	v_and_b32_e32 v1, 1, v40
	v_cmp_eq_u32_e64 s[28:29], 1, v0
	v_cndmask_b32_e64 v0, 0, 1, s[36:37]
	s_xor_b64 s[4:5], s[4:5], -1
	v_cmp_eq_u32_e64 s[26:27], 1, v1
	v_lshlrev_b16_e32 v0, 8, v0
	v_cndmask_b32_e64 v1, 0, 1, s[4:5]
	s_xor_b64 s[4:5], s[18:19], -1
	v_or_b32_e32 v0, v1, v0
	v_cndmask_b32_e64 v1, 0, 1, s[4:5]
	s_xor_b64 s[4:5], s[20:21], -1
	v_lshlrev_b16_e32 v1, 8, v1
	s_waitcnt lgkmcnt(3)
	v_cndmask_b32_e64 v21, 0, 1, s[4:5]
	v_or_b32_sdwa v1, v21, v1 dst_sel:WORD_1 dst_unused:UNUSED_PAD src0_sel:DWORD src1_sel:DWORD
	s_xor_b64 s[4:5], s[22:23], -1
	v_or_b32_sdwa v1, v0, v1 dst_sel:DWORD dst_unused:UNUSED_PAD src0_sel:WORD_0 src1_sel:DWORD
	v_cndmask_b32_e64 v0, 0, 1, s[4:5]
	s_xor_b64 s[4:5], s[24:25], -1
	v_lshlrev_b16_e32 v0, 8, v0
	v_cndmask_b32_e64 v21, 0, 1, s[4:5]
	s_xor_b64 s[4:5], s[26:27], -1
	v_or_b32_e32 v0, v21, v0
	v_cndmask_b32_e64 v21, 0, 1, s[4:5]
	s_xor_b64 s[4:5], s[28:29], -1
	v_mbcnt_hi_u32_b32 v20, -1, v66
	s_waitcnt lgkmcnt(1)
	v_and_b32_e32 v29, 0x3c0, v36
	v_lshlrev_b16_e32 v21, 8, v21
	v_cndmask_b32_e64 v22, 0, 1, s[4:5]
	v_add_u32_e32 v18, v20, v29
	v_or_b32_sdwa v21, v22, v21 dst_sel:WORD_1 dst_unused:UNUSED_PAD src0_sel:DWORD src1_sel:DWORD
	v_lshlrev_b32_e32 v19, 3, v18
	v_or_b32_sdwa v0, v0, v21 dst_sel:DWORD dst_unused:UNUSED_PAD src0_sel:WORD_0 src1_sel:DWORD
	s_movk_i32 s4, 0x1e00
	ds_write_b64 v19, v[0:1]
	v_and_or_b32 v0, v53, s4, v20
	; wave barrier
	ds_read_u8 v21, v0
	ds_read_u8 v22, v0 offset:64
	ds_read_u8 v23, v0 offset:128
	ds_read_u8 v24, v0 offset:192
	ds_read_u8 v25, v0 offset:256
	ds_read_u8 v26, v0 offset:320
	ds_read_u8 v27, v0 offset:384
	ds_read_u8 v28, v0 offset:448
	v_lshlrev_b32_e32 v1, 6, v18
	v_lshlrev_b32_e32 v0, 3, v0
	s_getpc_b64 s[4:5]
	s_add_u32 s4, s4, _ZN7rocprim17ROCPRIM_400000_NS16block_radix_sortIbLj512ELj8ElLj1ELj1ELj0ELNS0_26block_radix_rank_algorithmE1ELNS0_18block_padding_hintE2ELNS0_4arch9wavefront6targetE1EE19radix_bits_per_passE@rel32@lo+4
	s_addc_u32 s5, s5, _ZN7rocprim17ROCPRIM_400000_NS16block_radix_sortIbLj512ELj8ElLj1ELj1ELj0ELNS0_26block_radix_rank_algorithmE1ELNS0_18block_padding_hintE2ELNS0_4arch9wavefront6targetE1EE19radix_bits_per_passE@rel32@hi+12
	s_waitcnt lgkmcnt(0)
	s_barrier
	ds_write2_b64 v1, v[14:15], v[16:17] offset1:1
	ds_write2_b64 v1, v[10:11], v[12:13] offset0:2 offset1:3
	ds_write2_b64 v1, v[6:7], v[8:9] offset0:4 offset1:5
	ds_write2_b64 v1, v[2:3], v[4:5] offset0:6 offset1:7
	; wave barrier
	ds_read2st64_b64 v[12:15], v0 offset1:1
	ds_read2st64_b64 v[8:11], v0 offset0:2 offset1:3
	ds_read2st64_b64 v[4:7], v0 offset0:4 offset1:5
	;; [unrolled: 1-line block ×3, first 2 shown]
	s_waitcnt lgkmcnt(0)
	s_barrier
	s_load_dword s18, s[4:5], 0x0
	s_load_dword s19, s[54:55], 0xc
	s_waitcnt lgkmcnt(0)
	s_min_u32 s18, s18, 8
	s_lshr_b32 s4, s19, 16
	s_and_b32 s5, s19, 0xffff
	v_mad_u32_u24 v16, v63, s4, v62
	v_mad_u64_u32 v[16:17], s[4:5], v16, s5, v[36:37]
	s_lshl_b32 s4, -1, s18
	s_not_b32 s18, s4
	v_lshrrev_b32_e32 v18, 6, v16
	v_and_b32_e32 v16, s18, v21
	v_mov_b32_e32 v17, 0
	v_and_b32_e32 v16, 1, v16
	ds_write2_b32 v61, v17, v17 offset0:8 offset1:9
	ds_write2_b32 v61, v17, v17 offset0:10 offset1:11
	v_lshlrev_b32_e32 v17, 3, v16
	v_cmp_ne_u32_e32 vcc, 0, v16
	v_add_co_u32_e64 v16, s[4:5], -1, v16
	v_add_lshl_u32 v30, v18, v17, 2
	v_addc_co_u32_e64 v17, s[4:5], 0, -1, s[4:5]
	v_xor_b32_e32 v16, vcc_lo, v16
	v_xor_b32_e32 v17, vcc_hi, v17
	v_and_b32_e32 v16, exec_lo, v16
	v_and_b32_e32 v17, exec_hi, v17
	v_mbcnt_lo_u32_b32 v19, v16, 0
	v_mbcnt_hi_u32_b32 v31, v17, v19
	v_cmp_eq_u32_e32 vcc, 0, v31
	v_cmp_ne_u64_e64 s[4:5], 0, v[16:17]
	s_and_b64 s[20:21], s[4:5], vcc
	s_waitcnt lgkmcnt(0)
	s_barrier
	s_waitcnt lgkmcnt(0)
	; wave barrier
	s_and_saveexec_b64 s[4:5], s[20:21]
	s_cbranch_execz .LBB270_66
; %bb.65:
	v_bcnt_u32_b32 v16, v16, 0
	v_bcnt_u32_b32 v16, v17, v16
	ds_write_b32 v30, v16 offset:32
.LBB270_66:
	s_or_b64 exec, exec, s[4:5]
	v_and_b32_e32 v16, s18, v22
	v_and_b32_e32 v16, 0xff, v16
	v_lshlrev_b32_e32 v17, 3, v16
	v_cmp_ne_u32_e32 vcc, 0, v16
	v_add_co_u32_e64 v16, s[4:5], -1, v16
	v_add_lshl_u32 v33, v18, v17, 2
	v_addc_co_u32_e64 v17, s[4:5], 0, -1, s[4:5]
	v_xor_b32_e32 v16, vcc_lo, v16
	; wave barrier
	ds_read_b32 v32, v33 offset:32
	v_xor_b32_e32 v17, vcc_hi, v17
	v_and_b32_e32 v16, exec_lo, v16
	v_and_b32_e32 v17, exec_hi, v17
	v_mbcnt_lo_u32_b32 v19, v16, 0
	v_mbcnt_hi_u32_b32 v38, v17, v19
	v_cmp_eq_u32_e32 vcc, 0, v38
	v_cmp_ne_u64_e64 s[4:5], 0, v[16:17]
	s_and_b64 s[20:21], s[4:5], vcc
	; wave barrier
	s_and_saveexec_b64 s[4:5], s[20:21]
	s_cbranch_execz .LBB270_68
; %bb.67:
	v_bcnt_u32_b32 v16, v16, 0
	v_bcnt_u32_b32 v16, v17, v16
	s_waitcnt lgkmcnt(0)
	v_add_u32_e32 v16, v32, v16
	ds_write_b32 v33, v16 offset:32
.LBB270_68:
	s_or_b64 exec, exec, s[4:5]
	v_and_b32_e32 v16, s18, v23
	v_and_b32_e32 v16, 0xff, v16
	v_lshlrev_b32_e32 v17, 3, v16
	v_cmp_ne_u32_e32 vcc, 0, v16
	v_add_co_u32_e64 v16, s[4:5], -1, v16
	v_add_lshl_u32 v40, v18, v17, 2
	v_addc_co_u32_e64 v17, s[4:5], 0, -1, s[4:5]
	v_xor_b32_e32 v16, vcc_lo, v16
	; wave barrier
	ds_read_b32 v39, v40 offset:32
	v_xor_b32_e32 v17, vcc_hi, v17
	v_and_b32_e32 v16, exec_lo, v16
	v_and_b32_e32 v17, exec_hi, v17
	v_mbcnt_lo_u32_b32 v19, v16, 0
	v_mbcnt_hi_u32_b32 v42, v17, v19
	v_cmp_eq_u32_e32 vcc, 0, v42
	v_cmp_ne_u64_e64 s[4:5], 0, v[16:17]
	s_and_b64 s[20:21], s[4:5], vcc
	; wave barrier
	s_and_saveexec_b64 s[4:5], s[20:21]
	s_cbranch_execz .LBB270_70
; %bb.69:
	v_bcnt_u32_b32 v16, v16, 0
	v_bcnt_u32_b32 v16, v17, v16
	s_waitcnt lgkmcnt(0)
	v_add_u32_e32 v16, v39, v16
	ds_write_b32 v40, v16 offset:32
.LBB270_70:
	;; [unrolled: 29-line block ×6, first 2 shown]
	s_or_b64 exec, exec, s[4:5]
	v_and_b32_e32 v16, s18, v28
	v_and_b32_e32 v16, 0xff, v16
	v_lshlrev_b32_e32 v17, 3, v16
	v_cmp_ne_u32_e32 vcc, 0, v16
	v_add_co_u32_e64 v16, s[4:5], -1, v16
	v_add_lshl_u32 v74, v18, v17, 2
	v_addc_co_u32_e64 v17, s[4:5], 0, -1, s[4:5]
	v_xor_b32_e32 v16, vcc_lo, v16
	; wave barrier
	ds_read_b32 v73, v74 offset:32
	v_xor_b32_e32 v17, vcc_hi, v17
	v_and_b32_e32 v16, exec_lo, v16
	v_and_b32_e32 v17, exec_hi, v17
	v_mbcnt_lo_u32_b32 v18, v16, 0
	v_mbcnt_hi_u32_b32 v75, v17, v18
	v_cmp_eq_u32_e32 vcc, 0, v75
	v_cmp_ne_u64_e64 s[4:5], 0, v[16:17]
	v_add_u32_e32 v76, 32, v61
	s_and_b64 s[18:19], s[4:5], vcc
	; wave barrier
	s_and_saveexec_b64 s[4:5], s[18:19]
	s_cbranch_execz .LBB270_80
; %bb.79:
	v_bcnt_u32_b32 v16, v16, 0
	v_bcnt_u32_b32 v16, v17, v16
	s_waitcnt lgkmcnt(0)
	v_add_u32_e32 v16, v73, v16
	ds_write_b32 v74, v16 offset:32
.LBB270_80:
	s_or_b64 exec, exec, s[4:5]
	; wave barrier
	s_waitcnt lgkmcnt(0)
	s_barrier
	ds_read2_b32 v[16:17], v61 offset0:8 offset1:9
	ds_read2_b32 v[18:19], v76 offset0:2 offset1:3
	v_min_u32_e32 v29, 0x1c0, v29
	v_or_b32_e32 v29, 63, v29
	s_waitcnt lgkmcnt(1)
	v_add_u32_e32 v77, v17, v16
	s_waitcnt lgkmcnt(0)
	v_add3_u32 v19, v77, v18, v19
	v_and_b32_e32 v77, 15, v20
	v_cmp_ne_u32_e32 vcc, 0, v77
	v_mov_b32_dpp v78, v19 row_shr:1 row_mask:0xf bank_mask:0xf
	v_cndmask_b32_e32 v78, 0, v78, vcc
	v_add_u32_e32 v19, v78, v19
	v_cmp_lt_u32_e32 vcc, 1, v77
	s_nop 0
	v_mov_b32_dpp v78, v19 row_shr:2 row_mask:0xf bank_mask:0xf
	v_cndmask_b32_e32 v78, 0, v78, vcc
	v_add_u32_e32 v19, v19, v78
	v_cmp_lt_u32_e32 vcc, 3, v77
	s_nop 0
	;; [unrolled: 5-line block ×3, first 2 shown]
	v_mov_b32_dpp v78, v19 row_shr:8 row_mask:0xf bank_mask:0xf
	v_cndmask_b32_e32 v77, 0, v78, vcc
	v_add_u32_e32 v19, v19, v77
	v_bfe_i32 v78, v20, 4, 1
	v_cmp_lt_u32_e32 vcc, 31, v20
	v_mov_b32_dpp v77, v19 row_bcast:15 row_mask:0xf bank_mask:0xf
	v_and_b32_e32 v77, v78, v77
	v_add_u32_e32 v19, v19, v77
	s_nop 1
	v_mov_b32_dpp v77, v19 row_bcast:31 row_mask:0xf bank_mask:0xf
	v_cndmask_b32_e32 v77, 0, v77, vcc
	v_add_u32_e32 v19, v19, v77
	v_lshrrev_b32_e32 v77, 6, v36
	v_cmp_eq_u32_e32 vcc, v29, v36
	s_and_saveexec_b64 s[4:5], vcc
	s_cbranch_execz .LBB270_82
; %bb.81:
	v_lshlrev_b32_e32 v29, 2, v77
	ds_write_b32 v29, v19
.LBB270_82:
	s_or_b64 exec, exec, s[4:5]
	v_cmp_gt_u32_e32 vcc, 8, v36
	s_waitcnt lgkmcnt(0)
	s_barrier
	s_and_saveexec_b64 s[4:5], vcc
	s_cbranch_execz .LBB270_84
; %bb.83:
	v_lshlrev_b32_e32 v29, 2, v36
	ds_read_b32 v78, v29
	v_and_b32_e32 v79, 7, v20
	v_cmp_ne_u32_e32 vcc, 0, v79
	s_waitcnt lgkmcnt(0)
	v_mov_b32_dpp v80, v78 row_shr:1 row_mask:0xf bank_mask:0xf
	v_cndmask_b32_e32 v80, 0, v80, vcc
	v_add_u32_e32 v78, v80, v78
	v_cmp_lt_u32_e32 vcc, 1, v79
	s_nop 0
	v_mov_b32_dpp v80, v78 row_shr:2 row_mask:0xf bank_mask:0xf
	v_cndmask_b32_e32 v80, 0, v80, vcc
	v_add_u32_e32 v78, v78, v80
	v_cmp_lt_u32_e32 vcc, 3, v79
	s_nop 0
	v_mov_b32_dpp v80, v78 row_shr:4 row_mask:0xf bank_mask:0xf
	v_cndmask_b32_e32 v79, 0, v80, vcc
	v_add_u32_e32 v78, v78, v79
	ds_write_b32 v29, v78
.LBB270_84:
	s_or_b64 exec, exec, s[4:5]
	v_cmp_lt_u32_e32 vcc, 63, v36
	v_mov_b32_e32 v29, 0
	s_waitcnt lgkmcnt(0)
	s_barrier
	s_and_saveexec_b64 s[4:5], vcc
	s_cbranch_execz .LBB270_86
; %bb.85:
	v_lshl_add_u32 v29, v77, 2, -4
	ds_read_b32 v29, v29
.LBB270_86:
	s_or_b64 exec, exec, s[4:5]
	v_add_u32_e32 v77, -1, v20
	v_and_b32_e32 v78, 64, v20
	v_cmp_lt_i32_e32 vcc, v77, v78
	v_cndmask_b32_e32 v77, v77, v20, vcc
	s_waitcnt lgkmcnt(0)
	v_add_u32_e32 v19, v29, v19
	v_lshlrev_b32_e32 v77, 2, v77
	ds_bpermute_b32 v19, v77, v19
	v_cmp_eq_u32_e32 vcc, 0, v20
	s_waitcnt lgkmcnt(0)
	v_cndmask_b32_e32 v19, v19, v29, vcc
	v_cmp_ne_u32_e32 vcc, 0, v36
	v_cndmask_b32_e32 v19, 0, v19, vcc
	v_add_u32_e32 v16, v19, v16
	v_add_u32_e32 v17, v16, v17
	;; [unrolled: 1-line block ×3, first 2 shown]
	ds_write2_b32 v61, v19, v16 offset0:8 offset1:9
	ds_write2_b32 v76, v17, v18 offset0:2 offset1:3
	s_waitcnt lgkmcnt(0)
	s_barrier
	ds_read_b32 v16, v30 offset:32
	ds_read_b32 v17, v33 offset:32
	;; [unrolled: 1-line block ×8, first 2 shown]
	s_waitcnt lgkmcnt(7)
	v_add_u32_e32 v31, v16, v31
	s_waitcnt lgkmcnt(6)
	v_add3_u32 v32, v38, v32, v17
	s_waitcnt lgkmcnt(5)
	v_add3_u32 v18, v42, v39, v18
	;; [unrolled: 2-line block ×7, first 2 shown]
	s_barrier
	ds_write_b8 v31, v21
	ds_write_b8 v32, v22
	;; [unrolled: 1-line block ×8, first 2 shown]
	v_lshlrev_b32_e32 v21, 3, v31
	s_waitcnt lgkmcnt(0)
	s_barrier
	ds_read_b64 v[16:17], v53
	s_waitcnt lgkmcnt(0)
	s_barrier
	ds_write_b64 v21, v[12:13]
	v_lshlrev_b32_e32 v12, 3, v32
	ds_write_b64 v12, v[14:15]
	v_lshlrev_b32_e32 v12, 3, v18
	;; [unrolled: 2-line block ×8, first 2 shown]
	s_waitcnt lgkmcnt(0)
	s_barrier
	ds_read2_b64 v[18:21], v0 offset1:1
	ds_read2_b64 v[22:25], v0 offset0:2 offset1:3
	ds_read2_b64 v[26:29], v0 offset0:4 offset1:5
	;; [unrolled: 1-line block ×3, first 2 shown]
	v_lshrrev_b32_e32 v36, 8, v16
	v_mov_b32_e32 v1, 1
	v_lshrrev_b32_e32 v38, 8, v17
	v_xor_b32_e32 v0, 1, v16
	v_xor_b32_sdwa v2, v36, v1 dst_sel:BYTE_1 dst_unused:UNUSED_PAD src0_sel:DWORD src1_sel:DWORD
	v_xor_b32_sdwa v3, v16, v1 dst_sel:DWORD dst_unused:UNUSED_PAD src0_sel:WORD_1 src1_sel:DWORD
	v_xor_b32_sdwa v4, v16, v1 dst_sel:BYTE_1 dst_unused:UNUSED_PAD src0_sel:BYTE_3 src1_sel:DWORD
	v_xor_b32_e32 v5, 1, v17
	v_xor_b32_sdwa v6, v38, v1 dst_sel:BYTE_1 dst_unused:UNUSED_PAD src0_sel:DWORD src1_sel:DWORD
	v_xor_b32_sdwa v7, v17, v1 dst_sel:DWORD dst_unused:UNUSED_PAD src0_sel:WORD_1 src1_sel:DWORD
	v_xor_b32_sdwa v1, v17, v1 dst_sel:BYTE_1 dst_unused:UNUSED_PAD src0_sel:BYTE_3 src1_sel:DWORD
	v_or_b32_sdwa v0, v0, v2 dst_sel:DWORD dst_unused:UNUSED_PAD src0_sel:BYTE_0 src1_sel:DWORD
	v_or_b32_sdwa v2, v3, v4 dst_sel:WORD_1 dst_unused:UNUSED_PAD src0_sel:BYTE_0 src1_sel:DWORD
	v_or_b32_sdwa v0, v0, v2 dst_sel:DWORD dst_unused:UNUSED_PAD src0_sel:WORD_0 src1_sel:DWORD
	v_or_b32_sdwa v2, v5, v6 dst_sel:DWORD dst_unused:UNUSED_PAD src0_sel:BYTE_0 src1_sel:DWORD
	v_or_b32_sdwa v1, v7, v1 dst_sel:WORD_1 dst_unused:UNUSED_PAD src0_sel:BYTE_0 src1_sel:DWORD
	v_or_b32_sdwa v1, v2, v1 dst_sel:DWORD dst_unused:UNUSED_PAD src0_sel:WORD_0 src1_sel:DWORD
.LBB270_87:
	s_waitcnt lgkmcnt(0)
	s_barrier
	ds_write_b64 v52, v[0:1]
	s_waitcnt lgkmcnt(0)
	s_barrier
	ds_read_u8 v8, v45 offset:512
	ds_read_u8 v7, v46 offset:1024
	;; [unrolled: 1-line block ×7, first 2 shown]
	v_mov_b32_e32 v1, s53
	v_add_co_u32_e32 v0, vcc, s52, v37
	v_addc_co_u32_e32 v1, vcc, 0, v1, vcc
	s_and_saveexec_b64 s[4:5], s[0:1]
	s_cbranch_execnz .LBB270_106
; %bb.88:
	s_or_b64 exec, exec, s[4:5]
	s_and_saveexec_b64 s[4:5], s[2:3]
	s_cbranch_execnz .LBB270_107
.LBB270_89:
	s_or_b64 exec, exec, s[4:5]
	s_and_saveexec_b64 s[4:5], s[16:17]
	s_cbranch_execnz .LBB270_108
.LBB270_90:
	s_or_b64 exec, exec, s[4:5]
	s_and_saveexec_b64 s[4:5], s[6:7]
	s_cbranch_execnz .LBB270_109
.LBB270_91:
	s_or_b64 exec, exec, s[4:5]
	s_and_saveexec_b64 s[4:5], s[8:9]
	s_cbranch_execnz .LBB270_110
.LBB270_92:
	s_or_b64 exec, exec, s[4:5]
	s_and_saveexec_b64 s[4:5], s[10:11]
	s_cbranch_execnz .LBB270_111
.LBB270_93:
	s_or_b64 exec, exec, s[4:5]
	s_and_saveexec_b64 s[4:5], s[12:13]
	s_cbranch_execnz .LBB270_112
.LBB270_94:
	s_or_b64 exec, exec, s[4:5]
	s_and_saveexec_b64 s[4:5], s[14:15]
	s_cbranch_execz .LBB270_96
.LBB270_95:
	s_mul_i32 s18, s30, 0xe00
	v_add_co_u32_e32 v0, vcc, s18, v0
	v_addc_co_u32_e32 v1, vcc, 0, v1, vcc
	s_waitcnt lgkmcnt(0)
	global_store_byte v[0:1], v2, off
.LBB270_96:
	s_or_b64 exec, exec, s[4:5]
	s_waitcnt lgkmcnt(0)
	s_barrier
	ds_write2_b64 v60, v[18:19], v[20:21] offset1:1
	ds_write2_b64 v60, v[22:23], v[24:25] offset0:2 offset1:3
	ds_write2_b64 v60, v[26:27], v[28:29] offset0:4 offset1:5
	;; [unrolled: 1-line block ×3, first 2 shown]
	s_waitcnt lgkmcnt(0)
	s_barrier
	ds_read_b64 v[14:15], v35 offset:4096
	ds_read_b64 v[12:13], v54 offset:8192
	;; [unrolled: 1-line block ×7, first 2 shown]
	v_mov_b32_e32 v35, 0
	v_lshlrev_b64 v[2:3], 3, v[34:35]
	v_mov_b32_e32 v16, s33
	v_add_co_u32_e32 v2, vcc, s31, v2
	v_addc_co_u32_e32 v3, vcc, v16, v3, vcc
	s_and_saveexec_b64 s[4:5], s[0:1]
	s_cbranch_execnz .LBB270_113
; %bb.97:
	s_or_b64 exec, exec, s[4:5]
	s_and_saveexec_b64 s[0:1], s[2:3]
	s_cbranch_execnz .LBB270_114
.LBB270_98:
	s_or_b64 exec, exec, s[0:1]
	s_and_saveexec_b64 s[0:1], s[16:17]
	s_cbranch_execnz .LBB270_115
.LBB270_99:
	s_or_b64 exec, exec, s[0:1]
	s_and_saveexec_b64 s[0:1], s[6:7]
	s_cbranch_execnz .LBB270_116
.LBB270_100:
	s_or_b64 exec, exec, s[0:1]
	s_and_saveexec_b64 s[0:1], s[8:9]
	s_cbranch_execnz .LBB270_117
.LBB270_101:
	s_or_b64 exec, exec, s[0:1]
	s_and_saveexec_b64 s[0:1], s[10:11]
	s_cbranch_execnz .LBB270_118
.LBB270_102:
	s_or_b64 exec, exec, s[0:1]
	s_and_saveexec_b64 s[0:1], s[12:13]
	s_cbranch_execnz .LBB270_119
.LBB270_103:
	s_or_b64 exec, exec, s[0:1]
	s_and_saveexec_b64 s[0:1], s[14:15]
	s_cbranch_execz .LBB270_105
.LBB270_104:
	s_mul_i32 s0, s34, 0xe00
	s_mov_b32 s1, 0
	s_lshl_b64 s[0:1], s[0:1], 3
	s_waitcnt lgkmcnt(1)
	v_mov_b32_e32 v4, s1
	v_add_co_u32_e32 v2, vcc, s0, v2
	v_addc_co_u32_e32 v3, vcc, v3, v4, vcc
	s_waitcnt lgkmcnt(0)
	global_store_dwordx2 v[2:3], v[0:1], off
.LBB270_105:
	s_endpgm
.LBB270_106:
	ds_read_u8 v9, v44
	s_waitcnt lgkmcnt(0)
	global_store_byte v[0:1], v9, off
	s_or_b64 exec, exec, s[4:5]
	s_and_saveexec_b64 s[4:5], s[2:3]
	s_cbranch_execz .LBB270_89
.LBB270_107:
	s_lshl_b32 s18, s30, 9
	v_add_co_u32_e32 v10, vcc, s18, v0
	v_addc_co_u32_e32 v11, vcc, 0, v1, vcc
	s_waitcnt lgkmcnt(6)
	global_store_byte v[10:11], v8, off
	s_or_b64 exec, exec, s[4:5]
	s_and_saveexec_b64 s[4:5], s[16:17]
	s_cbranch_execz .LBB270_90
.LBB270_108:
	s_lshl_b32 s18, s30, 10
	s_waitcnt lgkmcnt(6)
	v_add_co_u32_e32 v8, vcc, s18, v0
	v_addc_co_u32_e32 v9, vcc, 0, v1, vcc
	s_waitcnt lgkmcnt(5)
	global_store_byte v[8:9], v7, off
	s_or_b64 exec, exec, s[4:5]
	s_and_saveexec_b64 s[4:5], s[6:7]
	s_cbranch_execz .LBB270_91
.LBB270_109:
	s_mul_i32 s18, s30, 0x600
	s_waitcnt lgkmcnt(6)
	v_add_co_u32_e32 v8, vcc, s18, v0
	v_addc_co_u32_e32 v9, vcc, 0, v1, vcc
	s_waitcnt lgkmcnt(4)
	global_store_byte v[8:9], v6, off
	s_or_b64 exec, exec, s[4:5]
	s_and_saveexec_b64 s[4:5], s[8:9]
	s_cbranch_execz .LBB270_92
.LBB270_110:
	s_lshl_b32 s18, s30, 11
	s_waitcnt lgkmcnt(4)
	v_add_co_u32_e32 v6, vcc, s18, v0
	v_addc_co_u32_e32 v7, vcc, 0, v1, vcc
	s_waitcnt lgkmcnt(3)
	global_store_byte v[6:7], v5, off
	s_or_b64 exec, exec, s[4:5]
	s_and_saveexec_b64 s[4:5], s[10:11]
	s_cbranch_execz .LBB270_93
.LBB270_111:
	s_mul_i32 s18, s30, 0xa00
	s_waitcnt lgkmcnt(4)
	v_add_co_u32_e32 v6, vcc, s18, v0
	v_addc_co_u32_e32 v7, vcc, 0, v1, vcc
	s_waitcnt lgkmcnt(2)
	global_store_byte v[6:7], v4, off
	s_or_b64 exec, exec, s[4:5]
	s_and_saveexec_b64 s[4:5], s[12:13]
	s_cbranch_execz .LBB270_94
.LBB270_112:
	s_mul_i32 s18, s30, 0xc00
	s_waitcnt lgkmcnt(2)
	v_add_co_u32_e32 v4, vcc, s18, v0
	v_addc_co_u32_e32 v5, vcc, 0, v1, vcc
	s_waitcnt lgkmcnt(1)
	global_store_byte v[4:5], v3, off
	s_or_b64 exec, exec, s[4:5]
	s_and_saveexec_b64 s[4:5], s[14:15]
	s_cbranch_execnz .LBB270_95
	s_branch .LBB270_96
.LBB270_113:
	ds_read_b64 v[16:17], v41
	s_waitcnt lgkmcnt(0)
	global_store_dwordx2 v[2:3], v[16:17], off
	s_or_b64 exec, exec, s[4:5]
	s_and_saveexec_b64 s[0:1], s[2:3]
	s_cbranch_execz .LBB270_98
.LBB270_114:
	s_lshl_b32 s2, s34, 9
	s_mov_b32 s3, 0
	s_lshl_b64 s[2:3], s[2:3], 3
	v_mov_b32_e32 v17, s3
	v_add_co_u32_e32 v16, vcc, s2, v2
	v_addc_co_u32_e32 v17, vcc, v3, v17, vcc
	s_waitcnt lgkmcnt(6)
	global_store_dwordx2 v[16:17], v[14:15], off
	s_or_b64 exec, exec, s[0:1]
	s_and_saveexec_b64 s[0:1], s[16:17]
	s_cbranch_execz .LBB270_99
.LBB270_115:
	s_lshl_b32 s2, s34, 10
	s_mov_b32 s3, 0
	s_lshl_b64 s[2:3], s[2:3], 3
	s_waitcnt lgkmcnt(6)
	v_mov_b32_e32 v15, s3
	v_add_co_u32_e32 v14, vcc, s2, v2
	v_addc_co_u32_e32 v15, vcc, v3, v15, vcc
	s_waitcnt lgkmcnt(5)
	global_store_dwordx2 v[14:15], v[12:13], off
	s_or_b64 exec, exec, s[0:1]
	s_and_saveexec_b64 s[0:1], s[6:7]
	s_cbranch_execz .LBB270_100
.LBB270_116:
	s_mul_i32 s2, s34, 0x600
	s_mov_b32 s3, 0
	s_lshl_b64 s[2:3], s[2:3], 3
	s_waitcnt lgkmcnt(5)
	v_mov_b32_e32 v13, s3
	v_add_co_u32_e32 v12, vcc, s2, v2
	v_addc_co_u32_e32 v13, vcc, v3, v13, vcc
	s_waitcnt lgkmcnt(4)
	global_store_dwordx2 v[12:13], v[10:11], off
	s_or_b64 exec, exec, s[0:1]
	s_and_saveexec_b64 s[0:1], s[8:9]
	s_cbranch_execz .LBB270_101
.LBB270_117:
	s_lshl_b32 s2, s34, 11
	s_mov_b32 s3, 0
	s_lshl_b64 s[2:3], s[2:3], 3
	s_waitcnt lgkmcnt(4)
	v_mov_b32_e32 v11, s3
	v_add_co_u32_e32 v10, vcc, s2, v2
	v_addc_co_u32_e32 v11, vcc, v3, v11, vcc
	s_waitcnt lgkmcnt(3)
	global_store_dwordx2 v[10:11], v[8:9], off
	s_or_b64 exec, exec, s[0:1]
	s_and_saveexec_b64 s[0:1], s[10:11]
	s_cbranch_execz .LBB270_102
.LBB270_118:
	s_mul_i32 s2, s34, 0xa00
	s_mov_b32 s3, 0
	s_lshl_b64 s[2:3], s[2:3], 3
	s_waitcnt lgkmcnt(3)
	v_mov_b32_e32 v9, s3
	v_add_co_u32_e32 v8, vcc, s2, v2
	v_addc_co_u32_e32 v9, vcc, v3, v9, vcc
	s_waitcnt lgkmcnt(2)
	global_store_dwordx2 v[8:9], v[6:7], off
	s_or_b64 exec, exec, s[0:1]
	s_and_saveexec_b64 s[0:1], s[12:13]
	s_cbranch_execz .LBB270_103
.LBB270_119:
	s_mul_i32 s2, s34, 0xc00
	s_mov_b32 s3, 0
	s_lshl_b64 s[2:3], s[2:3], 3
	s_waitcnt lgkmcnt(2)
	v_mov_b32_e32 v7, s3
	v_add_co_u32_e32 v6, vcc, s2, v2
	v_addc_co_u32_e32 v7, vcc, v3, v7, vcc
	s_waitcnt lgkmcnt(1)
	global_store_dwordx2 v[6:7], v[4:5], off
	s_or_b64 exec, exec, s[0:1]
	s_and_saveexec_b64 s[0:1], s[14:15]
	s_cbranch_execnz .LBB270_104
	s_branch .LBB270_105
	.section	.rodata,"a",@progbits
	.p2align	6, 0x0
	.amdhsa_kernel _ZN2at6native18radixSortKVInPlaceILin1ELin1ELi512ELi8EbljEEvNS_4cuda6detail10TensorInfoIT3_T5_EES6_S6_S6_NS4_IT4_S6_EES6_b
		.amdhsa_group_segment_fixed_size 33792
		.amdhsa_private_segment_fixed_size 0
		.amdhsa_kernarg_size 712
		.amdhsa_user_sgpr_count 6
		.amdhsa_user_sgpr_private_segment_buffer 1
		.amdhsa_user_sgpr_dispatch_ptr 0
		.amdhsa_user_sgpr_queue_ptr 0
		.amdhsa_user_sgpr_kernarg_segment_ptr 1
		.amdhsa_user_sgpr_dispatch_id 0
		.amdhsa_user_sgpr_flat_scratch_init 0
		.amdhsa_user_sgpr_kernarg_preload_length 0
		.amdhsa_user_sgpr_kernarg_preload_offset 0
		.amdhsa_user_sgpr_private_segment_size 0
		.amdhsa_uses_dynamic_stack 0
		.amdhsa_system_sgpr_private_segment_wavefront_offset 0
		.amdhsa_system_sgpr_workgroup_id_x 1
		.amdhsa_system_sgpr_workgroup_id_y 1
		.amdhsa_system_sgpr_workgroup_id_z 1
		.amdhsa_system_sgpr_workgroup_info 0
		.amdhsa_system_vgpr_workitem_id 2
		.amdhsa_next_free_vgpr 105
		.amdhsa_next_free_sgpr 56
		.amdhsa_accum_offset 108
		.amdhsa_reserve_vcc 1
		.amdhsa_reserve_flat_scratch 0
		.amdhsa_float_round_mode_32 0
		.amdhsa_float_round_mode_16_64 0
		.amdhsa_float_denorm_mode_32 3
		.amdhsa_float_denorm_mode_16_64 3
		.amdhsa_dx10_clamp 1
		.amdhsa_ieee_mode 1
		.amdhsa_fp16_overflow 0
		.amdhsa_tg_split 0
		.amdhsa_exception_fp_ieee_invalid_op 0
		.amdhsa_exception_fp_denorm_src 0
		.amdhsa_exception_fp_ieee_div_zero 0
		.amdhsa_exception_fp_ieee_overflow 0
		.amdhsa_exception_fp_ieee_underflow 0
		.amdhsa_exception_fp_ieee_inexact 0
		.amdhsa_exception_int_div_zero 0
	.end_amdhsa_kernel
	.section	.text._ZN2at6native18radixSortKVInPlaceILin1ELin1ELi512ELi8EbljEEvNS_4cuda6detail10TensorInfoIT3_T5_EES6_S6_S6_NS4_IT4_S6_EES6_b,"axG",@progbits,_ZN2at6native18radixSortKVInPlaceILin1ELin1ELi512ELi8EbljEEvNS_4cuda6detail10TensorInfoIT3_T5_EES6_S6_S6_NS4_IT4_S6_EES6_b,comdat
.Lfunc_end270:
	.size	_ZN2at6native18radixSortKVInPlaceILin1ELin1ELi512ELi8EbljEEvNS_4cuda6detail10TensorInfoIT3_T5_EES6_S6_S6_NS4_IT4_S6_EES6_b, .Lfunc_end270-_ZN2at6native18radixSortKVInPlaceILin1ELin1ELi512ELi8EbljEEvNS_4cuda6detail10TensorInfoIT3_T5_EES6_S6_S6_NS4_IT4_S6_EES6_b
                                        ; -- End function
	.section	.AMDGPU.csdata,"",@progbits
; Kernel info:
; codeLenInByte = 8588
; NumSgprs: 60
; NumVgprs: 105
; NumAgprs: 0
; TotalNumVgprs: 105
; ScratchSize: 0
; MemoryBound: 0
; FloatMode: 240
; IeeeMode: 1
; LDSByteSize: 33792 bytes/workgroup (compile time only)
; SGPRBlocks: 7
; VGPRBlocks: 13
; NumSGPRsForWavesPerEU: 60
; NumVGPRsForWavesPerEU: 105
; AccumOffset: 108
; Occupancy: 2
; WaveLimiterHint : 1
; COMPUTE_PGM_RSRC2:SCRATCH_EN: 0
; COMPUTE_PGM_RSRC2:USER_SGPR: 6
; COMPUTE_PGM_RSRC2:TRAP_HANDLER: 0
; COMPUTE_PGM_RSRC2:TGID_X_EN: 1
; COMPUTE_PGM_RSRC2:TGID_Y_EN: 1
; COMPUTE_PGM_RSRC2:TGID_Z_EN: 1
; COMPUTE_PGM_RSRC2:TIDIG_COMP_CNT: 2
; COMPUTE_PGM_RSRC3_GFX90A:ACCUM_OFFSET: 26
; COMPUTE_PGM_RSRC3_GFX90A:TG_SPLIT: 0
	.section	.text._ZN2at6native18radixSortKVInPlaceILin1ELin1ELi256ELi8EbljEEvNS_4cuda6detail10TensorInfoIT3_T5_EES6_S6_S6_NS4_IT4_S6_EES6_b,"axG",@progbits,_ZN2at6native18radixSortKVInPlaceILin1ELin1ELi256ELi8EbljEEvNS_4cuda6detail10TensorInfoIT3_T5_EES6_S6_S6_NS4_IT4_S6_EES6_b,comdat
	.protected	_ZN2at6native18radixSortKVInPlaceILin1ELin1ELi256ELi8EbljEEvNS_4cuda6detail10TensorInfoIT3_T5_EES6_S6_S6_NS4_IT4_S6_EES6_b ; -- Begin function _ZN2at6native18radixSortKVInPlaceILin1ELin1ELi256ELi8EbljEEvNS_4cuda6detail10TensorInfoIT3_T5_EES6_S6_S6_NS4_IT4_S6_EES6_b
	.globl	_ZN2at6native18radixSortKVInPlaceILin1ELin1ELi256ELi8EbljEEvNS_4cuda6detail10TensorInfoIT3_T5_EES6_S6_S6_NS4_IT4_S6_EES6_b
	.p2align	8
	.type	_ZN2at6native18radixSortKVInPlaceILin1ELin1ELi256ELi8EbljEEvNS_4cuda6detail10TensorInfoIT3_T5_EES6_S6_S6_NS4_IT4_S6_EES6_b,@function
_ZN2at6native18radixSortKVInPlaceILin1ELin1ELi256ELi8EbljEEvNS_4cuda6detail10TensorInfoIT3_T5_EES6_S6_S6_NS4_IT4_S6_EES6_b: ; @_ZN2at6native18radixSortKVInPlaceILin1ELin1ELi256ELi8EbljEEvNS_4cuda6detail10TensorInfoIT3_T5_EES6_S6_S6_NS4_IT4_S6_EES6_b
; %bb.0:
	s_load_dwordx2 s[0:1], s[4:5], 0x1c8
	s_load_dwordx4 s[28:31], s[4:5], 0xd8
	s_add_u32 s54, s4, 0x1c8
	s_addc_u32 s55, s5, 0
	s_waitcnt lgkmcnt(0)
	s_mul_i32 s1, s1, s8
	s_add_i32 s1, s1, s7
	s_mul_i32 s0, s1, s0
	s_add_i32 s24, s0, s6
	s_cmp_ge_u32 s24, s28
	s_cbranch_scc1 .LBB271_105
; %bb.1:
	s_load_dword s2, s[4:5], 0xd0
	s_mov_b32 s1, 0
	s_mov_b32 s0, s24
	s_waitcnt lgkmcnt(0)
	s_cmp_lt_i32 s2, 2
	s_cbranch_scc1 .LBB271_4
; %bb.2:
	s_add_i32 s0, s2, -1
	s_add_i32 s6, s2, 1
	s_lshl_b64 s[2:3], s[0:1], 2
	s_add_u32 s0, s2, s4
	s_addc_u32 s3, s3, s5
	s_add_u32 s2, s0, 8
	s_addc_u32 s3, s3, 0
	s_mov_b32 s0, s24
.LBB271_3:                              ; =>This Inner Loop Header: Depth=1
	s_load_dword s7, s[2:3], 0x0
	s_load_dword s9, s[2:3], 0x64
	s_mov_b32 s8, s0
	s_waitcnt lgkmcnt(0)
	v_cvt_f32_u32_e32 v1, s7
	s_sub_i32 s0, 0, s7
	v_rcp_iflag_f32_e32 v1, v1
	v_mul_f32_e32 v1, 0x4f7ffffe, v1
	v_cvt_u32_f32_e32 v1, v1
	v_readfirstlane_b32 s10, v1
	s_mul_i32 s0, s0, s10
	s_mul_hi_u32 s0, s10, s0
	s_add_i32 s10, s10, s0
	s_mul_hi_u32 s0, s8, s10
	s_mul_i32 s10, s0, s7
	s_sub_i32 s10, s8, s10
	s_add_i32 s11, s0, 1
	s_sub_i32 s12, s10, s7
	s_cmp_ge_u32 s10, s7
	s_cselect_b32 s0, s11, s0
	s_cselect_b32 s10, s12, s10
	s_add_i32 s11, s0, 1
	s_cmp_ge_u32 s10, s7
	s_cselect_b32 s0, s11, s0
	s_mul_i32 s7, s0, s7
	s_sub_i32 s7, s8, s7
	s_mul_i32 s7, s9, s7
	s_add_i32 s6, s6, -1
	s_add_i32 s1, s7, s1
	s_add_u32 s2, s2, -4
	s_addc_u32 s3, s3, -1
	s_cmp_gt_u32 s6, 2
	s_cbranch_scc1 .LBB271_3
.LBB271_4:
	s_load_dword s2, s[4:5], 0x1b8
	s_mov_b32 s21, 0
	s_waitcnt lgkmcnt(0)
	s_cmp_lt_i32 s2, 2
	s_cbranch_scc1 .LBB271_7
; %bb.5:
	s_add_i32 s20, s2, -1
	s_add_i32 s6, s2, 1
	s_lshl_b64 s[2:3], s[20:21], 2
	s_add_u32 s2, s2, s4
	s_addc_u32 s3, s3, s5
	s_add_u32 s2, s2, 0xf0
	s_addc_u32 s3, s3, 0
.LBB271_6:                              ; =>This Inner Loop Header: Depth=1
	s_load_dword s7, s[2:3], 0x0
	s_load_dword s9, s[2:3], 0x64
	s_mov_b32 s8, s24
	s_waitcnt lgkmcnt(0)
	v_cvt_f32_u32_e32 v1, s7
	s_sub_i32 s10, 0, s7
	v_rcp_iflag_f32_e32 v1, v1
	v_mul_f32_e32 v1, 0x4f7ffffe, v1
	v_cvt_u32_f32_e32 v1, v1
	v_readfirstlane_b32 s11, v1
	s_mul_i32 s10, s10, s11
	s_mul_hi_u32 s10, s11, s10
	s_add_i32 s11, s11, s10
	s_mul_hi_u32 s10, s24, s11
	s_mul_i32 s11, s10, s7
	s_sub_i32 s11, s24, s11
	s_add_i32 s12, s10, 1
	s_sub_i32 s13, s11, s7
	s_cmp_ge_u32 s11, s7
	s_cselect_b32 s10, s12, s10
	s_cselect_b32 s11, s13, s11
	s_add_i32 s12, s10, 1
	s_cmp_ge_u32 s11, s7
	s_cselect_b32 s24, s12, s10
	s_mul_i32 s7, s24, s7
	s_sub_i32 s7, s8, s7
	s_mul_i32 s7, s9, s7
	s_add_i32 s6, s6, -1
	s_add_i32 s21, s7, s21
	s_add_u32 s2, s2, -4
	s_addc_u32 s3, s3, -1
	s_cmp_gt_u32 s6, 2
	s_cbranch_scc1 .LBB271_6
.LBB271_7:
	s_load_dword s2, s[4:5], 0x6c
	s_load_dwordx2 s[34:35], s[4:5], 0x1c0
	s_load_dwordx2 s[6:7], s[4:5], 0x0
	v_and_b32_e32 v36, 0x3ff, v0
	v_mul_lo_u32 v37, v36, s30
	s_waitcnt lgkmcnt(0)
	s_mul_i32 s0, s2, s0
	s_add_i32 s2, s0, s1
	s_bitcmp1_b32 s35, 0
	s_cselect_b64 s[0:1], -1, 0
	s_add_u32 s52, s6, s2
	s_addc_u32 s53, s7, 0
	s_xor_b64 s[18:19], s[0:1], -1
	v_cndmask_b32_e64 v1, 0, 1, s[18:19]
	v_lshlrev_b16_e32 v2, 8, v1
	v_or_b32_e32 v2, v1, v2
	v_lshlrev_b32_e32 v3, 16, v2
	v_or_b32_sdwa v2, v2, v3 dst_sel:DWORD dst_unused:UNUSED_PAD src0_sel:WORD_0 src1_sel:DWORD
	v_mov_b32_e32 v3, v2
	v_cmp_gt_u32_e64 s[0:1], s29, v36
	s_and_saveexec_b64 s[2:3], s[0:1]
	s_cbranch_execz .LBB271_9
; %bb.8:
	global_load_ubyte v1, v37, s[52:53]
	s_mov_b32 s6, 0x3020104
	v_mov_b32_e32 v5, v2
	s_waitcnt vmcnt(0)
	v_perm_b32 v4, v1, v2, s6
	v_pk_mov_b32 v[2:3], v[4:5], v[4:5] op_sel:[0,1]
.LBB271_9:
	s_or_b64 exec, exec, s[2:3]
	v_add_u32_e32 v32, 0x100, v36
	v_cmp_gt_u32_e64 s[2:3], s29, v32
	s_and_saveexec_b64 s[6:7], s[2:3]
	s_cbranch_execz .LBB271_11
; %bb.10:
	v_mul_lo_u32 v4, v32, s30
	global_load_ubyte v4, v4, s[52:53]
	s_mov_b32 s8, 0x7060004
	s_waitcnt vmcnt(0)
	v_perm_b32 v2, v2, v4, s8
.LBB271_11:
	s_or_b64 exec, exec, s[6:7]
	v_add_u32_e32 v31, 0x200, v36
	v_cmp_gt_u32_e64 s[16:17], s29, v31
	s_and_saveexec_b64 s[6:7], s[16:17]
	s_cbranch_execz .LBB271_13
; %bb.12:
	v_mul_lo_u32 v4, v31, s30
	global_load_ubyte v4, v4, s[52:53]
	s_movk_i32 s8, 0xff00
	v_and_b32_sdwa v5, v2, s8 dst_sel:DWORD dst_unused:UNUSED_PAD src0_sel:WORD_1 src1_sel:DWORD
	s_mov_b32 s8, 0xffff
	s_waitcnt vmcnt(0)
	v_or_b32_sdwa v4, v4, v5 dst_sel:WORD_1 dst_unused:UNUSED_PAD src0_sel:DWORD src1_sel:DWORD
	v_and_or_b32 v2, v2, s8, v4
.LBB271_13:
	s_or_b64 exec, exec, s[6:7]
	v_add_u32_e32 v30, 0x300, v36
	v_cmp_gt_u32_e64 s[6:7], s29, v30
	s_and_saveexec_b64 s[8:9], s[6:7]
	s_cbranch_execz .LBB271_15
; %bb.14:
	v_mul_lo_u32 v4, v30, s30
	global_load_ubyte v4, v4, s[52:53]
	s_movk_i32 s10, 0xff
	v_and_b32_sdwa v5, v2, s10 dst_sel:DWORD dst_unused:UNUSED_PAD src0_sel:WORD_1 src1_sel:DWORD
	s_mov_b32 s10, 0xffff
	s_waitcnt vmcnt(0)
	v_lshlrev_b16_e32 v4, 8, v4
	v_or_b32_sdwa v4, v5, v4 dst_sel:WORD_1 dst_unused:UNUSED_PAD src0_sel:DWORD src1_sel:DWORD
	v_and_or_b32 v2, v2, s10, v4
.LBB271_15:
	s_or_b64 exec, exec, s[8:9]
	v_or_b32_e32 v29, 0x400, v36
	v_cmp_gt_u32_e64 s[8:9], s29, v29
	s_and_saveexec_b64 s[10:11], s[8:9]
	s_cbranch_execz .LBB271_17
; %bb.16:
	v_mul_lo_u32 v4, v29, s30
	global_load_ubyte v4, v4, s[52:53]
	s_mov_b32 s12, 0x3020104
	s_waitcnt vmcnt(0)
	v_perm_b32 v3, v4, v3, s12
.LBB271_17:
	s_or_b64 exec, exec, s[10:11]
	v_add_u32_e32 v28, 0x500, v36
	v_cmp_gt_u32_e64 s[10:11], s29, v28
	s_and_saveexec_b64 s[12:13], s[10:11]
	s_cbranch_execz .LBB271_19
; %bb.18:
	v_mul_lo_u32 v4, v28, s30
	global_load_ubyte v4, v4, s[52:53]
	s_mov_b32 s14, 0x7060004
	s_waitcnt vmcnt(0)
	v_perm_b32 v3, v3, v4, s14
.LBB271_19:
	s_or_b64 exec, exec, s[12:13]
	s_load_dwordx2 s[22:23], s[4:5], 0xe8
	v_add_u32_e32 v27, 0x600, v36
	v_cmp_gt_u32_e64 s[12:13], s29, v27
	s_and_saveexec_b64 s[14:15], s[12:13]
	s_cbranch_execz .LBB271_21
; %bb.20:
	v_mul_lo_u32 v4, v27, s30
	global_load_ubyte v4, v4, s[52:53]
	s_mov_b32 s20, 0x7000504
	s_waitcnt vmcnt(0)
	v_perm_b32 v3, v3, v4, s20
.LBB271_21:
	s_or_b64 exec, exec, s[14:15]
	s_load_dword s20, s[4:5], 0x154
	v_add_u32_e32 v22, 0x700, v36
	v_cmp_gt_u32_e64 s[14:15], s29, v22
	s_and_saveexec_b64 s[4:5], s[14:15]
	s_cbranch_execz .LBB271_23
; %bb.22:
	v_mul_lo_u32 v4, v22, s30
	global_load_ubyte v4, v4, s[52:53]
	s_mov_b32 s25, 0x60504
	s_waitcnt vmcnt(0)
	v_perm_b32 v3, v3, v4, s25
.LBB271_23:
	s_or_b64 exec, exec, s[4:5]
	v_lshrrev_b32_e32 v26, 5, v36
	v_and_b32_e32 v4, 28, v26
	v_add_u32_e32 v44, v4, v36
	v_lshrrev_b32_e32 v25, 5, v32
	ds_write_b8 v44, v1
	v_and_b32_e32 v1, 60, v25
	v_lshrrev_b32_e32 v24, 5, v31
	v_add_u32_e32 v45, v1, v36
	v_and_b32_e32 v1, 60, v24
	v_lshrrev_b32_e32 v23, 5, v30
	v_add_u32_e32 v46, v1, v36
	;; [unrolled: 3-line block ×3, first 2 shown]
	v_and_b32_e32 v1, 60, v21
	v_lshrrev_b32_e32 v19, 5, v28
	v_lshrrev_b32_e32 v4, 8, v2
	v_add_u32_e32 v48, v1, v36
	v_and_b32_e32 v1, 0x7c, v19
	v_lshrrev_b32_e32 v18, 5, v27
	ds_write_b8 v45, v4 offset:256
	ds_write_b8_d16_hi v46, v2 offset:512
	v_lshrrev_b32_e32 v2, 24, v2
	v_add_u32_e32 v49, v1, v36
	v_and_b32_e32 v1, 0x7c, v18
	ds_write_b8 v47, v2 offset:768
	v_lshrrev_b32_e32 v2, 8, v3
	v_add_u32_e32 v50, v1, v36
	v_lshrrev_b32_e32 v1, 5, v22
	ds_write_b8 v48, v3 offset:1024
	ds_write_b8 v49, v2 offset:1280
	v_and_b32_e32 v2, 0x7c, v1
	v_lshrrev_b32_e32 v20, 2, v36
	v_add_u32_e32 v51, v2, v36
	v_lshlrev_b32_e32 v53, 3, v36
	v_and_b32_e32 v2, 0xfc, v20
	ds_write_b8_d16_hi v50, v3 offset:1536
	v_lshrrev_b32_e32 v3, 24, v3
	v_add_u32_e32 v52, v2, v53
	s_waitcnt lgkmcnt(0)
	s_mul_i32 s4, s20, s24
	ds_write_b8 v51, v3 offset:1792
	s_waitcnt lgkmcnt(0)
	s_barrier
	ds_read_b64 v[38:39], v52
	s_add_i32 s36, s4, s21
	s_mov_b32 s37, 0
	s_lshl_b64 s[4:5], s[36:37], 3
	s_mov_b32 s36, s37
	s_add_u32 s31, s22, s4
	s_mov_b32 s38, s37
	s_mov_b32 s39, s37
	;; [unrolled: 1-line block ×14, first 2 shown]
	v_pk_mov_b32 v[2:3], s[36:37], s[36:37] op_sel:[0,1]
	s_addc_u32 s33, s23, s5
	v_pk_mov_b32 v[4:5], s[38:39], s[38:39] op_sel:[0,1]
	v_pk_mov_b32 v[6:7], s[40:41], s[40:41] op_sel:[0,1]
	;; [unrolled: 1-line block ×7, first 2 shown]
	v_pk_mov_b32 v[2:3], 0, 0
	v_mul_lo_u32 v34, v36, s34
	s_waitcnt lgkmcnt(0)
	s_barrier
	s_and_saveexec_b64 s[4:5], s[0:1]
	s_cbranch_execnz .LBB271_56
; %bb.24:
	s_or_b64 exec, exec, s[4:5]
	s_and_saveexec_b64 s[4:5], s[2:3]
	s_cbranch_execnz .LBB271_57
.LBB271_25:
	s_or_b64 exec, exec, s[4:5]
	s_and_saveexec_b64 s[4:5], s[16:17]
	s_cbranch_execnz .LBB271_58
.LBB271_26:
	s_or_b64 exec, exec, s[4:5]
	s_and_saveexec_b64 s[4:5], s[6:7]
	s_cbranch_execnz .LBB271_59
.LBB271_27:
	s_or_b64 exec, exec, s[4:5]
	s_and_saveexec_b64 s[4:5], s[8:9]
	s_cbranch_execnz .LBB271_60
.LBB271_28:
	s_or_b64 exec, exec, s[4:5]
	s_and_saveexec_b64 s[4:5], s[10:11]
	s_cbranch_execnz .LBB271_61
.LBB271_29:
	s_or_b64 exec, exec, s[4:5]
	s_and_saveexec_b64 s[4:5], s[12:13]
	s_cbranch_execnz .LBB271_62
.LBB271_30:
	s_or_b64 exec, exec, s[4:5]
	s_and_saveexec_b64 s[4:5], s[14:15]
	s_cbranch_execz .LBB271_32
.LBB271_31:
	v_mul_lo_u32 v16, v22, s34
	v_mov_b32_e32 v17, 0
	v_lshlrev_b64 v[16:17], 3, v[16:17]
	v_mov_b32_e32 v22, s33
	v_add_co_u32_e32 v16, vcc, s31, v16
	v_addc_co_u32_e32 v17, vcc, v22, v17, vcc
	global_load_dwordx2 v[16:17], v[16:17], off
.LBB271_32:
	s_or_b64 exec, exec, s[4:5]
	v_lshrrev_b64 v[40:41], 24, v[38:39]
	v_add_lshl_u32 v41, v26, v36, 3
	v_add_lshl_u32 v35, v25, v36, 3
	;; [unrolled: 1-line block ×9, first 2 shown]
	s_waitcnt vmcnt(0)
	ds_write_b64 v41, v[2:3]
	ds_write_b64 v35, v[4:5] offset:2048
	ds_write_b64 v54, v[6:7] offset:4096
	ds_write_b64 v55, v[8:9] offset:6144
	ds_write_b64 v56, v[10:11] offset:8192
	ds_write_b64 v57, v[12:13] offset:10240
	ds_write_b64 v58, v[14:15] offset:12288
	ds_write_b64 v59, v[16:17] offset:14336
	s_waitcnt lgkmcnt(0)
	s_barrier
	ds_read2_b64 v[14:17], v60 offset1:1
	ds_read2_b64 v[10:13], v60 offset0:2 offset1:3
	ds_read2_b64 v[6:9], v60 offset0:4 offset1:5
	;; [unrolled: 1-line block ×3, first 2 shown]
	v_lshrrev_b32_e32 v64, 8, v38
	v_lshrrev_b32_e32 v65, 8, v39
	s_and_b64 vcc, exec, s[18:19]
	v_bfe_u32 v62, v0, 10, 10
	v_bfe_u32 v63, v0, 20, 10
	v_mbcnt_lo_u32_b32 v66, -1, 0
	v_lshlrev_b32_e32 v61, 4, v36
	s_waitcnt lgkmcnt(0)
	s_barrier
	s_cbranch_vccz .LBB271_63
; %bb.33:
	s_movk_i32 s4, 0xff
	v_mov_b32_e32 v1, 8
	v_lshlrev_b16_e32 v0, 8, v65
	v_lshlrev_b16_sdwa v1, v1, v39 dst_sel:DWORD dst_unused:UNUSED_PAD src0_sel:DWORD src1_sel:BYTE_3
	v_and_b32_sdwa v20, v39, s4 dst_sel:DWORD dst_unused:UNUSED_PAD src0_sel:WORD_1 src1_sel:DWORD
	v_or_b32_sdwa v0, v39, v0 dst_sel:DWORD dst_unused:UNUSED_PAD src0_sel:BYTE_0 src1_sel:DWORD
	v_or_b32_sdwa v1, v20, v1 dst_sel:WORD_1 dst_unused:UNUSED_PAD src0_sel:DWORD src1_sel:DWORD
	v_mbcnt_hi_u32_b32 v75, -1, v66
	v_and_b32_e32 v76, 0x3c0, v36
	v_or_b32_sdwa v1, v0, v1 dst_sel:DWORD dst_unused:UNUSED_PAD src0_sel:WORD_0 src1_sel:DWORD
	v_lshlrev_b16_e32 v0, 8, v64
	v_lshlrev_b16_e32 v20, 8, v40
	v_and_b32_sdwa v21, v38, s4 dst_sel:DWORD dst_unused:UNUSED_PAD src0_sel:WORD_1 src1_sel:DWORD
	v_add_u32_e32 v18, v75, v76
	v_or_b32_sdwa v0, v38, v0 dst_sel:DWORD dst_unused:UNUSED_PAD src0_sel:BYTE_0 src1_sel:DWORD
	v_or_b32_sdwa v20, v21, v20 dst_sel:WORD_1 dst_unused:UNUSED_PAD src0_sel:DWORD src1_sel:DWORD
	v_lshlrev_b32_e32 v19, 3, v18
	v_or_b32_sdwa v0, v0, v20 dst_sel:DWORD dst_unused:UNUSED_PAD src0_sel:WORD_0 src1_sel:DWORD
	s_movk_i32 s4, 0x1e00
	ds_write_b64 v19, v[0:1]
	v_and_or_b32 v0, v53, s4, v75
	; wave barrier
	ds_read_u8 v67, v0
	ds_read_u8 v68, v0 offset:64
	ds_read_u8 v69, v0 offset:128
	;; [unrolled: 1-line block ×7, first 2 shown]
	v_lshlrev_b32_e32 v1, 6, v18
	v_lshlrev_b32_e32 v0, 3, v0
	s_getpc_b64 s[4:5]
	s_add_u32 s4, s4, _ZN7rocprim17ROCPRIM_400000_NS16block_radix_sortIbLj256ELj8ElLj1ELj1ELj0ELNS0_26block_radix_rank_algorithmE1ELNS0_18block_padding_hintE2ELNS0_4arch9wavefront6targetE1EE19radix_bits_per_passE@rel32@lo+4
	s_addc_u32 s5, s5, _ZN7rocprim17ROCPRIM_400000_NS16block_radix_sortIbLj256ELj8ElLj1ELj1ELj0ELNS0_26block_radix_rank_algorithmE1ELNS0_18block_padding_hintE2ELNS0_4arch9wavefront6targetE1EE19radix_bits_per_passE@rel32@hi+12
	s_waitcnt lgkmcnt(0)
	s_barrier
	ds_write2_b64 v1, v[14:15], v[16:17] offset1:1
	ds_write2_b64 v1, v[10:11], v[12:13] offset0:2 offset1:3
	ds_write2_b64 v1, v[6:7], v[8:9] offset0:4 offset1:5
	;; [unrolled: 1-line block ×3, first 2 shown]
	; wave barrier
	ds_read2st64_b64 v[30:33], v0 offset1:1
	ds_read2st64_b64 v[26:29], v0 offset0:2 offset1:3
	ds_read2st64_b64 v[22:25], v0 offset0:4 offset1:5
	;; [unrolled: 1-line block ×3, first 2 shown]
	s_waitcnt lgkmcnt(0)
	s_barrier
	s_load_dword s18, s[4:5], 0x0
	s_load_dword s19, s[54:55], 0xc
	s_waitcnt lgkmcnt(0)
	s_min_u32 s18, s18, 8
	s_lshr_b32 s4, s19, 16
	s_and_b32 s5, s19, 0xffff
	v_mad_u32_u24 v0, v63, s4, v62
	v_mad_u64_u32 v[0:1], s[4:5], v0, s5, v[36:37]
	s_lshl_b32 s4, -1, s18
	s_not_b32 s18, s4
	v_lshrrev_b32_e32 v42, 6, v0
	v_and_b32_e32 v0, s18, v67
	v_mov_b32_e32 v1, 0
	v_and_b32_e32 v0, 1, v0
	ds_write2_b32 v61, v1, v1 offset0:4 offset1:5
	ds_write2_b32 v61, v1, v1 offset0:6 offset1:7
	v_lshlrev_b32_e32 v1, 2, v0
	v_cmp_ne_u32_e32 vcc, 0, v0
	v_add_co_u32_e64 v0, s[4:5], -1, v0
	v_add_lshl_u32 v77, v42, v1, 2
	v_addc_co_u32_e64 v1, s[4:5], 0, -1, s[4:5]
	v_xor_b32_e32 v0, vcc_lo, v0
	v_xor_b32_e32 v1, vcc_hi, v1
	v_and_b32_e32 v0, exec_lo, v0
	v_and_b32_e32 v1, exec_hi, v1
	v_mbcnt_lo_u32_b32 v43, v0, 0
	v_mbcnt_hi_u32_b32 v78, v1, v43
	v_cmp_eq_u32_e32 vcc, 0, v78
	v_cmp_ne_u64_e64 s[4:5], 0, v[0:1]
	s_and_b64 s[20:21], s[4:5], vcc
	s_waitcnt lgkmcnt(0)
	s_barrier
	s_waitcnt lgkmcnt(0)
	; wave barrier
	s_and_saveexec_b64 s[4:5], s[20:21]
	s_cbranch_execz .LBB271_35
; %bb.34:
	v_bcnt_u32_b32 v0, v0, 0
	v_bcnt_u32_b32 v0, v1, v0
	ds_write_b32 v77, v0 offset:16
.LBB271_35:
	s_or_b64 exec, exec, s[4:5]
	v_and_b32_e32 v0, s18, v68
	v_and_b32_e32 v0, 0xff, v0
	v_lshlrev_b32_e32 v1, 2, v0
	v_cmp_ne_u32_e32 vcc, 0, v0
	v_add_co_u32_e64 v0, s[4:5], -1, v0
	v_add_lshl_u32 v80, v42, v1, 2
	v_addc_co_u32_e64 v1, s[4:5], 0, -1, s[4:5]
	v_xor_b32_e32 v0, vcc_lo, v0
	; wave barrier
	ds_read_b32 v79, v80 offset:16
	v_xor_b32_e32 v1, vcc_hi, v1
	v_and_b32_e32 v0, exec_lo, v0
	v_and_b32_e32 v1, exec_hi, v1
	v_mbcnt_lo_u32_b32 v43, v0, 0
	v_mbcnt_hi_u32_b32 v81, v1, v43
	v_cmp_eq_u32_e32 vcc, 0, v81
	v_cmp_ne_u64_e64 s[4:5], 0, v[0:1]
	s_and_b64 s[20:21], s[4:5], vcc
	; wave barrier
	s_and_saveexec_b64 s[4:5], s[20:21]
	s_cbranch_execz .LBB271_37
; %bb.36:
	v_bcnt_u32_b32 v0, v0, 0
	v_bcnt_u32_b32 v0, v1, v0
	s_waitcnt lgkmcnt(0)
	v_add_u32_e32 v0, v79, v0
	ds_write_b32 v80, v0 offset:16
.LBB271_37:
	s_or_b64 exec, exec, s[4:5]
	v_and_b32_e32 v0, s18, v69
	v_and_b32_e32 v0, 0xff, v0
	v_lshlrev_b32_e32 v1, 2, v0
	v_cmp_ne_u32_e32 vcc, 0, v0
	v_add_co_u32_e64 v0, s[4:5], -1, v0
	v_add_lshl_u32 v83, v42, v1, 2
	v_addc_co_u32_e64 v1, s[4:5], 0, -1, s[4:5]
	v_xor_b32_e32 v0, vcc_lo, v0
	; wave barrier
	ds_read_b32 v82, v83 offset:16
	v_xor_b32_e32 v1, vcc_hi, v1
	v_and_b32_e32 v0, exec_lo, v0
	v_and_b32_e32 v1, exec_hi, v1
	v_mbcnt_lo_u32_b32 v43, v0, 0
	v_mbcnt_hi_u32_b32 v84, v1, v43
	v_cmp_eq_u32_e32 vcc, 0, v84
	v_cmp_ne_u64_e64 s[4:5], 0, v[0:1]
	s_and_b64 s[20:21], s[4:5], vcc
	; wave barrier
	s_and_saveexec_b64 s[4:5], s[20:21]
	s_cbranch_execz .LBB271_39
; %bb.38:
	v_bcnt_u32_b32 v0, v0, 0
	v_bcnt_u32_b32 v0, v1, v0
	s_waitcnt lgkmcnt(0)
	v_add_u32_e32 v0, v82, v0
	ds_write_b32 v83, v0 offset:16
.LBB271_39:
	s_or_b64 exec, exec, s[4:5]
	v_and_b32_e32 v0, s18, v70
	v_and_b32_e32 v0, 0xff, v0
	v_lshlrev_b32_e32 v1, 2, v0
	v_cmp_ne_u32_e32 vcc, 0, v0
	v_add_co_u32_e64 v0, s[4:5], -1, v0
	v_add_lshl_u32 v86, v42, v1, 2
	v_addc_co_u32_e64 v1, s[4:5], 0, -1, s[4:5]
	v_xor_b32_e32 v0, vcc_lo, v0
	; wave barrier
	ds_read_b32 v85, v86 offset:16
	v_xor_b32_e32 v1, vcc_hi, v1
	v_and_b32_e32 v0, exec_lo, v0
	v_and_b32_e32 v1, exec_hi, v1
	v_mbcnt_lo_u32_b32 v43, v0, 0
	v_mbcnt_hi_u32_b32 v87, v1, v43
	v_cmp_eq_u32_e32 vcc, 0, v87
	v_cmp_ne_u64_e64 s[4:5], 0, v[0:1]
	s_and_b64 s[20:21], s[4:5], vcc
	; wave barrier
	s_and_saveexec_b64 s[4:5], s[20:21]
	s_cbranch_execz .LBB271_41
; %bb.40:
	v_bcnt_u32_b32 v0, v0, 0
	v_bcnt_u32_b32 v0, v1, v0
	s_waitcnt lgkmcnt(0)
	v_add_u32_e32 v0, v85, v0
	ds_write_b32 v86, v0 offset:16
.LBB271_41:
	s_or_b64 exec, exec, s[4:5]
	v_and_b32_e32 v0, s18, v71
	v_and_b32_e32 v0, 0xff, v0
	v_lshlrev_b32_e32 v1, 2, v0
	v_cmp_ne_u32_e32 vcc, 0, v0
	v_add_co_u32_e64 v0, s[4:5], -1, v0
	v_add_lshl_u32 v89, v42, v1, 2
	v_addc_co_u32_e64 v1, s[4:5], 0, -1, s[4:5]
	v_xor_b32_e32 v0, vcc_lo, v0
	; wave barrier
	ds_read_b32 v88, v89 offset:16
	v_xor_b32_e32 v1, vcc_hi, v1
	v_and_b32_e32 v0, exec_lo, v0
	v_and_b32_e32 v1, exec_hi, v1
	v_mbcnt_lo_u32_b32 v43, v0, 0
	v_mbcnt_hi_u32_b32 v90, v1, v43
	v_cmp_eq_u32_e32 vcc, 0, v90
	v_cmp_ne_u64_e64 s[4:5], 0, v[0:1]
	s_and_b64 s[20:21], s[4:5], vcc
	; wave barrier
	s_and_saveexec_b64 s[4:5], s[20:21]
	s_cbranch_execz .LBB271_43
; %bb.42:
	v_bcnt_u32_b32 v0, v0, 0
	v_bcnt_u32_b32 v0, v1, v0
	s_waitcnt lgkmcnt(0)
	v_add_u32_e32 v0, v88, v0
	ds_write_b32 v89, v0 offset:16
.LBB271_43:
	s_or_b64 exec, exec, s[4:5]
	v_and_b32_e32 v0, s18, v72
	v_and_b32_e32 v0, 0xff, v0
	v_lshlrev_b32_e32 v1, 2, v0
	v_cmp_ne_u32_e32 vcc, 0, v0
	v_add_co_u32_e64 v0, s[4:5], -1, v0
	v_add_lshl_u32 v92, v42, v1, 2
	v_addc_co_u32_e64 v1, s[4:5], 0, -1, s[4:5]
	v_xor_b32_e32 v0, vcc_lo, v0
	; wave barrier
	ds_read_b32 v91, v92 offset:16
	v_xor_b32_e32 v1, vcc_hi, v1
	v_and_b32_e32 v0, exec_lo, v0
	v_and_b32_e32 v1, exec_hi, v1
	v_mbcnt_lo_u32_b32 v43, v0, 0
	v_mbcnt_hi_u32_b32 v93, v1, v43
	v_cmp_eq_u32_e32 vcc, 0, v93
	v_cmp_ne_u64_e64 s[4:5], 0, v[0:1]
	s_and_b64 s[20:21], s[4:5], vcc
	; wave barrier
	s_and_saveexec_b64 s[4:5], s[20:21]
	s_cbranch_execz .LBB271_45
; %bb.44:
	v_bcnt_u32_b32 v0, v0, 0
	v_bcnt_u32_b32 v0, v1, v0
	s_waitcnt lgkmcnt(0)
	v_add_u32_e32 v0, v91, v0
	ds_write_b32 v92, v0 offset:16
.LBB271_45:
	s_or_b64 exec, exec, s[4:5]
	v_and_b32_e32 v0, s18, v73
	v_and_b32_e32 v0, 0xff, v0
	v_lshlrev_b32_e32 v1, 2, v0
	v_cmp_ne_u32_e32 vcc, 0, v0
	v_add_co_u32_e64 v0, s[4:5], -1, v0
	v_add_lshl_u32 v95, v42, v1, 2
	v_addc_co_u32_e64 v1, s[4:5], 0, -1, s[4:5]
	v_xor_b32_e32 v0, vcc_lo, v0
	; wave barrier
	ds_read_b32 v94, v95 offset:16
	v_xor_b32_e32 v1, vcc_hi, v1
	v_and_b32_e32 v0, exec_lo, v0
	v_and_b32_e32 v1, exec_hi, v1
	v_mbcnt_lo_u32_b32 v43, v0, 0
	v_mbcnt_hi_u32_b32 v96, v1, v43
	v_cmp_eq_u32_e32 vcc, 0, v96
	v_cmp_ne_u64_e64 s[4:5], 0, v[0:1]
	s_and_b64 s[20:21], s[4:5], vcc
	; wave barrier
	s_and_saveexec_b64 s[4:5], s[20:21]
	s_cbranch_execz .LBB271_47
; %bb.46:
	v_bcnt_u32_b32 v0, v0, 0
	v_bcnt_u32_b32 v0, v1, v0
	s_waitcnt lgkmcnt(0)
	v_add_u32_e32 v0, v94, v0
	ds_write_b32 v95, v0 offset:16
.LBB271_47:
	s_or_b64 exec, exec, s[4:5]
	v_and_b32_e32 v0, s18, v74
	v_and_b32_e32 v0, 0xff, v0
	v_lshlrev_b32_e32 v1, 2, v0
	v_cmp_ne_u32_e32 vcc, 0, v0
	v_add_co_u32_e64 v0, s[4:5], -1, v0
	v_add_lshl_u32 v98, v42, v1, 2
	v_addc_co_u32_e64 v1, s[4:5], 0, -1, s[4:5]
	v_xor_b32_e32 v0, vcc_lo, v0
	; wave barrier
	ds_read_b32 v97, v98 offset:16
	v_xor_b32_e32 v1, vcc_hi, v1
	v_and_b32_e32 v0, exec_lo, v0
	v_and_b32_e32 v1, exec_hi, v1
	v_mbcnt_lo_u32_b32 v42, v0, 0
	v_mbcnt_hi_u32_b32 v99, v1, v42
	v_cmp_eq_u32_e32 vcc, 0, v99
	v_cmp_ne_u64_e64 s[4:5], 0, v[0:1]
	v_add_u32_e32 v100, 16, v61
	s_and_b64 s[18:19], s[4:5], vcc
	; wave barrier
	s_and_saveexec_b64 s[4:5], s[18:19]
	s_cbranch_execz .LBB271_49
; %bb.48:
	v_bcnt_u32_b32 v0, v0, 0
	v_bcnt_u32_b32 v0, v1, v0
	s_waitcnt lgkmcnt(0)
	v_add_u32_e32 v0, v97, v0
	ds_write_b32 v98, v0 offset:16
.LBB271_49:
	s_or_b64 exec, exec, s[4:5]
	; wave barrier
	s_waitcnt lgkmcnt(0)
	s_barrier
	ds_read2_b32 v[0:1], v61 offset0:4 offset1:5
	ds_read2_b32 v[42:43], v100 offset0:2 offset1:3
	v_min_u32_e32 v76, 0xc0, v76
	v_or_b32_e32 v76, 63, v76
	s_waitcnt lgkmcnt(1)
	v_add_u32_e32 v101, v1, v0
	s_waitcnt lgkmcnt(0)
	v_add3_u32 v43, v101, v42, v43
	v_and_b32_e32 v101, 15, v75
	v_cmp_ne_u32_e32 vcc, 0, v101
	v_mov_b32_dpp v102, v43 row_shr:1 row_mask:0xf bank_mask:0xf
	v_cndmask_b32_e32 v102, 0, v102, vcc
	v_add_u32_e32 v43, v102, v43
	v_cmp_lt_u32_e32 vcc, 1, v101
	s_nop 0
	v_mov_b32_dpp v102, v43 row_shr:2 row_mask:0xf bank_mask:0xf
	v_cndmask_b32_e32 v102, 0, v102, vcc
	v_add_u32_e32 v43, v43, v102
	v_cmp_lt_u32_e32 vcc, 3, v101
	s_nop 0
	;; [unrolled: 5-line block ×3, first 2 shown]
	v_mov_b32_dpp v102, v43 row_shr:8 row_mask:0xf bank_mask:0xf
	v_cndmask_b32_e32 v101, 0, v102, vcc
	v_add_u32_e32 v43, v43, v101
	v_bfe_i32 v102, v75, 4, 1
	v_cmp_lt_u32_e32 vcc, 31, v75
	v_mov_b32_dpp v101, v43 row_bcast:15 row_mask:0xf bank_mask:0xf
	v_and_b32_e32 v101, v102, v101
	v_add_u32_e32 v43, v43, v101
	s_nop 1
	v_mov_b32_dpp v101, v43 row_bcast:31 row_mask:0xf bank_mask:0xf
	v_cndmask_b32_e32 v101, 0, v101, vcc
	v_add_u32_e32 v43, v43, v101
	v_lshrrev_b32_e32 v101, 6, v36
	v_cmp_eq_u32_e32 vcc, v76, v36
	s_and_saveexec_b64 s[4:5], vcc
	s_cbranch_execz .LBB271_51
; %bb.50:
	v_lshlrev_b32_e32 v76, 2, v101
	ds_write_b32 v76, v43
.LBB271_51:
	s_or_b64 exec, exec, s[4:5]
	v_cmp_gt_u32_e32 vcc, 4, v36
	s_waitcnt lgkmcnt(0)
	s_barrier
	s_and_saveexec_b64 s[4:5], vcc
	s_cbranch_execz .LBB271_53
; %bb.52:
	v_lshlrev_b32_e32 v76, 2, v36
	ds_read_b32 v102, v76
	v_and_b32_e32 v103, 3, v75
	v_cmp_ne_u32_e32 vcc, 0, v103
	s_waitcnt lgkmcnt(0)
	v_mov_b32_dpp v104, v102 row_shr:1 row_mask:0xf bank_mask:0xf
	v_cndmask_b32_e32 v104, 0, v104, vcc
	v_add_u32_e32 v102, v104, v102
	v_cmp_lt_u32_e32 vcc, 1, v103
	s_nop 0
	v_mov_b32_dpp v104, v102 row_shr:2 row_mask:0xf bank_mask:0xf
	v_cndmask_b32_e32 v103, 0, v104, vcc
	v_add_u32_e32 v102, v102, v103
	ds_write_b32 v76, v102
.LBB271_53:
	s_or_b64 exec, exec, s[4:5]
	v_cmp_lt_u32_e32 vcc, 63, v36
	v_mov_b32_e32 v76, 0
	s_waitcnt lgkmcnt(0)
	s_barrier
	s_and_saveexec_b64 s[4:5], vcc
	s_cbranch_execz .LBB271_55
; %bb.54:
	v_lshl_add_u32 v76, v101, 2, -4
	ds_read_b32 v76, v76
.LBB271_55:
	s_or_b64 exec, exec, s[4:5]
	v_add_u32_e32 v101, -1, v75
	v_and_b32_e32 v102, 64, v75
	v_cmp_lt_i32_e32 vcc, v101, v102
	v_cndmask_b32_e32 v101, v101, v75, vcc
	s_waitcnt lgkmcnt(0)
	v_add_u32_e32 v43, v76, v43
	v_lshlrev_b32_e32 v101, 2, v101
	ds_bpermute_b32 v43, v101, v43
	v_cmp_eq_u32_e32 vcc, 0, v75
	s_waitcnt lgkmcnt(0)
	v_cndmask_b32_e32 v43, v43, v76, vcc
	v_cmp_ne_u32_e32 vcc, 0, v36
	v_cndmask_b32_e32 v43, 0, v43, vcc
	v_add_u32_e32 v0, v43, v0
	v_add_u32_e32 v1, v0, v1
	;; [unrolled: 1-line block ×3, first 2 shown]
	ds_write2_b32 v61, v43, v0 offset0:4 offset1:5
	ds_write2_b32 v100, v1, v42 offset0:2 offset1:3
	s_waitcnt lgkmcnt(0)
	s_barrier
	ds_read_b32 v0, v77 offset:16
	ds_read_b32 v1, v80 offset:16
	;; [unrolled: 1-line block ×8, first 2 shown]
	s_waitcnt lgkmcnt(7)
	v_add_u32_e32 v78, v0, v78
	s_waitcnt lgkmcnt(6)
	v_add3_u32 v79, v81, v79, v1
	s_waitcnt lgkmcnt(5)
	v_add3_u32 v42, v84, v82, v42
	;; [unrolled: 2-line block ×7, first 2 shown]
	s_barrier
	ds_write_b8 v78, v67
	ds_write_b8 v79, v68
	;; [unrolled: 1-line block ×8, first 2 shown]
	v_lshlrev_b32_e32 v67, 3, v78
	s_waitcnt lgkmcnt(0)
	s_barrier
	ds_read_b64 v[0:1], v53
	s_waitcnt lgkmcnt(0)
	s_barrier
	ds_write_b64 v67, v[30:31]
	v_lshlrev_b32_e32 v30, 3, v79
	ds_write_b64 v30, v[32:33]
	v_lshlrev_b32_e32 v30, 3, v42
	;; [unrolled: 2-line block ×7, first 2 shown]
	v_lshlrev_b32_e32 v30, 3, v53
	ds_write_b64 v18, v[20:21]
	s_waitcnt lgkmcnt(0)
	s_barrier
	ds_read2_b64 v[18:21], v30 offset1:1
	ds_read2_b64 v[22:25], v30 offset0:2 offset1:3
	ds_read2_b64 v[26:29], v30 offset0:4 offset1:5
	;; [unrolled: 1-line block ×3, first 2 shown]
	s_branch .LBB271_87
.LBB271_56:
	v_mov_b32_e32 v35, 0
	v_lshlrev_b64 v[2:3], 3, v[34:35]
	v_mov_b32_e32 v4, s33
	v_add_co_u32_e32 v2, vcc, s31, v2
	v_addc_co_u32_e32 v3, vcc, v4, v3, vcc
	global_load_dwordx2 v[2:3], v[2:3], off
	v_mov_b32_e32 v4, v35
	v_mov_b32_e32 v5, v35
	v_mov_b32_e32 v6, v35
	v_mov_b32_e32 v7, v35
	v_mov_b32_e32 v8, v35
	v_mov_b32_e32 v9, v35
	v_mov_b32_e32 v10, v35
	v_mov_b32_e32 v11, v35
	v_mov_b32_e32 v12, v35
	v_mov_b32_e32 v13, v35
	v_mov_b32_e32 v14, v35
	v_mov_b32_e32 v15, v35
	v_mov_b32_e32 v16, v35
	v_mov_b32_e32 v17, v35
	s_or_b64 exec, exec, s[4:5]
	s_and_saveexec_b64 s[4:5], s[2:3]
	s_cbranch_execz .LBB271_25
.LBB271_57:
	v_mul_lo_u32 v4, v32, s34
	v_mov_b32_e32 v5, 0
	v_lshlrev_b64 v[4:5], 3, v[4:5]
	v_mov_b32_e32 v32, s33
	v_add_co_u32_e32 v4, vcc, s31, v4
	v_addc_co_u32_e32 v5, vcc, v32, v5, vcc
	global_load_dwordx2 v[4:5], v[4:5], off
	s_or_b64 exec, exec, s[4:5]
	s_and_saveexec_b64 s[4:5], s[16:17]
	s_cbranch_execz .LBB271_26
.LBB271_58:
	v_mul_lo_u32 v6, v31, s34
	v_mov_b32_e32 v7, 0
	v_lshlrev_b64 v[6:7], 3, v[6:7]
	v_mov_b32_e32 v31, s33
	v_add_co_u32_e32 v6, vcc, s31, v6
	v_addc_co_u32_e32 v7, vcc, v31, v7, vcc
	global_load_dwordx2 v[6:7], v[6:7], off
	s_or_b64 exec, exec, s[4:5]
	s_and_saveexec_b64 s[4:5], s[6:7]
	s_cbranch_execz .LBB271_27
.LBB271_59:
	v_mul_lo_u32 v8, v30, s34
	v_mov_b32_e32 v9, 0
	v_lshlrev_b64 v[8:9], 3, v[8:9]
	v_mov_b32_e32 v30, s33
	v_add_co_u32_e32 v8, vcc, s31, v8
	v_addc_co_u32_e32 v9, vcc, v30, v9, vcc
	global_load_dwordx2 v[8:9], v[8:9], off
	s_or_b64 exec, exec, s[4:5]
	s_and_saveexec_b64 s[4:5], s[8:9]
	s_cbranch_execz .LBB271_28
.LBB271_60:
	v_mul_lo_u32 v10, v29, s34
	v_mov_b32_e32 v11, 0
	v_lshlrev_b64 v[10:11], 3, v[10:11]
	v_mov_b32_e32 v29, s33
	v_add_co_u32_e32 v10, vcc, s31, v10
	v_addc_co_u32_e32 v11, vcc, v29, v11, vcc
	global_load_dwordx2 v[10:11], v[10:11], off
	s_or_b64 exec, exec, s[4:5]
	s_and_saveexec_b64 s[4:5], s[10:11]
	s_cbranch_execz .LBB271_29
.LBB271_61:
	v_mul_lo_u32 v12, v28, s34
	v_mov_b32_e32 v13, 0
	v_lshlrev_b64 v[12:13], 3, v[12:13]
	v_mov_b32_e32 v28, s33
	v_add_co_u32_e32 v12, vcc, s31, v12
	v_addc_co_u32_e32 v13, vcc, v28, v13, vcc
	global_load_dwordx2 v[12:13], v[12:13], off
	s_or_b64 exec, exec, s[4:5]
	s_and_saveexec_b64 s[4:5], s[12:13]
	s_cbranch_execz .LBB271_30
.LBB271_62:
	v_mul_lo_u32 v14, v27, s34
	v_mov_b32_e32 v15, 0
	v_lshlrev_b64 v[14:15], 3, v[14:15]
	v_mov_b32_e32 v27, s33
	v_add_co_u32_e32 v14, vcc, s31, v14
	v_addc_co_u32_e32 v15, vcc, v27, v15, vcc
	global_load_dwordx2 v[14:15], v[14:15], off
	s_or_b64 exec, exec, s[4:5]
	s_and_saveexec_b64 s[4:5], s[14:15]
	s_cbranch_execnz .LBB271_31
	s_branch .LBB271_32
.LBB271_63:
                                        ; implicit-def: $vgpr1
                                        ; implicit-def: $vgpr32_vgpr33
                                        ; implicit-def: $vgpr28_vgpr29
                                        ; implicit-def: $vgpr24_vgpr25
                                        ; implicit-def: $vgpr20_vgpr21
	s_cbranch_execz .LBB271_87
; %bb.64:
	v_and_b32_e32 v0, 1, v65
	v_cmp_eq_u32_e32 vcc, 1, v0
	v_and_b32_e32 v0, 1, v39
	v_cmp_eq_u32_e64 s[4:5], 1, v0
	v_mov_b32_e32 v0, 1
	v_and_b32_sdwa v1, v0, v39 dst_sel:DWORD dst_unused:UNUSED_PAD src0_sel:DWORD src1_sel:BYTE_3
	v_cmp_eq_u32_e64 s[18:19], 1, v1
	v_and_b32_sdwa v1, v0, v39 dst_sel:DWORD dst_unused:UNUSED_PAD src0_sel:DWORD src1_sel:WORD_1
	v_cmp_eq_u32_e64 s[20:21], 1, v1
	v_and_b32_e32 v1, 1, v64
	v_cmp_eq_u32_e64 s[22:23], 1, v1
	v_and_b32_e32 v1, 1, v38
	v_and_b32_sdwa v0, v0, v38 dst_sel:DWORD dst_unused:UNUSED_PAD src0_sel:DWORD src1_sel:WORD_1
	s_xor_b64 s[36:37], vcc, -1
	v_cmp_eq_u32_e64 s[24:25], 1, v1
	v_and_b32_e32 v1, 1, v40
	v_cmp_eq_u32_e64 s[28:29], 1, v0
	v_cndmask_b32_e64 v0, 0, 1, s[36:37]
	s_xor_b64 s[4:5], s[4:5], -1
	v_cmp_eq_u32_e64 s[26:27], 1, v1
	v_lshlrev_b16_e32 v0, 8, v0
	v_cndmask_b32_e64 v1, 0, 1, s[4:5]
	s_xor_b64 s[4:5], s[18:19], -1
	v_or_b32_e32 v0, v1, v0
	v_cndmask_b32_e64 v1, 0, 1, s[4:5]
	s_xor_b64 s[4:5], s[20:21], -1
	v_lshlrev_b16_e32 v1, 8, v1
	s_waitcnt lgkmcnt(3)
	v_cndmask_b32_e64 v21, 0, 1, s[4:5]
	v_or_b32_sdwa v1, v21, v1 dst_sel:WORD_1 dst_unused:UNUSED_PAD src0_sel:DWORD src1_sel:DWORD
	s_xor_b64 s[4:5], s[22:23], -1
	v_or_b32_sdwa v1, v0, v1 dst_sel:DWORD dst_unused:UNUSED_PAD src0_sel:WORD_0 src1_sel:DWORD
	v_cndmask_b32_e64 v0, 0, 1, s[4:5]
	s_xor_b64 s[4:5], s[24:25], -1
	v_lshlrev_b16_e32 v0, 8, v0
	v_cndmask_b32_e64 v21, 0, 1, s[4:5]
	s_xor_b64 s[4:5], s[26:27], -1
	v_or_b32_e32 v0, v21, v0
	v_cndmask_b32_e64 v21, 0, 1, s[4:5]
	s_xor_b64 s[4:5], s[28:29], -1
	v_mbcnt_hi_u32_b32 v20, -1, v66
	s_waitcnt lgkmcnt(1)
	v_and_b32_e32 v29, 0x3c0, v36
	v_lshlrev_b16_e32 v21, 8, v21
	v_cndmask_b32_e64 v22, 0, 1, s[4:5]
	v_add_u32_e32 v18, v20, v29
	v_or_b32_sdwa v21, v22, v21 dst_sel:WORD_1 dst_unused:UNUSED_PAD src0_sel:DWORD src1_sel:DWORD
	v_lshlrev_b32_e32 v19, 3, v18
	v_or_b32_sdwa v0, v0, v21 dst_sel:DWORD dst_unused:UNUSED_PAD src0_sel:WORD_0 src1_sel:DWORD
	s_movk_i32 s4, 0x1e00
	ds_write_b64 v19, v[0:1]
	v_and_or_b32 v0, v53, s4, v20
	; wave barrier
	ds_read_u8 v21, v0
	ds_read_u8 v22, v0 offset:64
	ds_read_u8 v23, v0 offset:128
	;; [unrolled: 1-line block ×7, first 2 shown]
	v_lshlrev_b32_e32 v1, 6, v18
	v_lshlrev_b32_e32 v0, 3, v0
	s_getpc_b64 s[4:5]
	s_add_u32 s4, s4, _ZN7rocprim17ROCPRIM_400000_NS16block_radix_sortIbLj256ELj8ElLj1ELj1ELj0ELNS0_26block_radix_rank_algorithmE1ELNS0_18block_padding_hintE2ELNS0_4arch9wavefront6targetE1EE19radix_bits_per_passE@rel32@lo+4
	s_addc_u32 s5, s5, _ZN7rocprim17ROCPRIM_400000_NS16block_radix_sortIbLj256ELj8ElLj1ELj1ELj0ELNS0_26block_radix_rank_algorithmE1ELNS0_18block_padding_hintE2ELNS0_4arch9wavefront6targetE1EE19radix_bits_per_passE@rel32@hi+12
	s_waitcnt lgkmcnt(0)
	s_barrier
	ds_write2_b64 v1, v[14:15], v[16:17] offset1:1
	ds_write2_b64 v1, v[10:11], v[12:13] offset0:2 offset1:3
	ds_write2_b64 v1, v[6:7], v[8:9] offset0:4 offset1:5
	;; [unrolled: 1-line block ×3, first 2 shown]
	; wave barrier
	ds_read2st64_b64 v[12:15], v0 offset1:1
	ds_read2st64_b64 v[8:11], v0 offset0:2 offset1:3
	ds_read2st64_b64 v[4:7], v0 offset0:4 offset1:5
	ds_read2st64_b64 v[0:3], v0 offset0:6 offset1:7
	s_waitcnt lgkmcnt(0)
	s_barrier
	s_load_dword s18, s[4:5], 0x0
	s_load_dword s19, s[54:55], 0xc
	s_waitcnt lgkmcnt(0)
	s_min_u32 s18, s18, 8
	s_lshr_b32 s4, s19, 16
	s_and_b32 s5, s19, 0xffff
	v_mad_u32_u24 v16, v63, s4, v62
	v_mad_u64_u32 v[16:17], s[4:5], v16, s5, v[36:37]
	s_lshl_b32 s4, -1, s18
	s_not_b32 s18, s4
	v_lshrrev_b32_e32 v18, 6, v16
	v_and_b32_e32 v16, s18, v21
	v_mov_b32_e32 v17, 0
	v_and_b32_e32 v16, 1, v16
	ds_write2_b32 v61, v17, v17 offset0:4 offset1:5
	ds_write2_b32 v61, v17, v17 offset0:6 offset1:7
	v_lshlrev_b32_e32 v17, 2, v16
	v_cmp_ne_u32_e32 vcc, 0, v16
	v_add_co_u32_e64 v16, s[4:5], -1, v16
	v_add_lshl_u32 v30, v18, v17, 2
	v_addc_co_u32_e64 v17, s[4:5], 0, -1, s[4:5]
	v_xor_b32_e32 v16, vcc_lo, v16
	v_xor_b32_e32 v17, vcc_hi, v17
	v_and_b32_e32 v16, exec_lo, v16
	v_and_b32_e32 v17, exec_hi, v17
	v_mbcnt_lo_u32_b32 v19, v16, 0
	v_mbcnt_hi_u32_b32 v31, v17, v19
	v_cmp_eq_u32_e32 vcc, 0, v31
	v_cmp_ne_u64_e64 s[4:5], 0, v[16:17]
	s_and_b64 s[20:21], s[4:5], vcc
	s_waitcnt lgkmcnt(0)
	s_barrier
	s_waitcnt lgkmcnt(0)
	; wave barrier
	s_and_saveexec_b64 s[4:5], s[20:21]
	s_cbranch_execz .LBB271_66
; %bb.65:
	v_bcnt_u32_b32 v16, v16, 0
	v_bcnt_u32_b32 v16, v17, v16
	ds_write_b32 v30, v16 offset:16
.LBB271_66:
	s_or_b64 exec, exec, s[4:5]
	v_and_b32_e32 v16, s18, v22
	v_and_b32_e32 v16, 0xff, v16
	v_lshlrev_b32_e32 v17, 2, v16
	v_cmp_ne_u32_e32 vcc, 0, v16
	v_add_co_u32_e64 v16, s[4:5], -1, v16
	v_add_lshl_u32 v33, v18, v17, 2
	v_addc_co_u32_e64 v17, s[4:5], 0, -1, s[4:5]
	v_xor_b32_e32 v16, vcc_lo, v16
	; wave barrier
	ds_read_b32 v32, v33 offset:16
	v_xor_b32_e32 v17, vcc_hi, v17
	v_and_b32_e32 v16, exec_lo, v16
	v_and_b32_e32 v17, exec_hi, v17
	v_mbcnt_lo_u32_b32 v19, v16, 0
	v_mbcnt_hi_u32_b32 v38, v17, v19
	v_cmp_eq_u32_e32 vcc, 0, v38
	v_cmp_ne_u64_e64 s[4:5], 0, v[16:17]
	s_and_b64 s[20:21], s[4:5], vcc
	; wave barrier
	s_and_saveexec_b64 s[4:5], s[20:21]
	s_cbranch_execz .LBB271_68
; %bb.67:
	v_bcnt_u32_b32 v16, v16, 0
	v_bcnt_u32_b32 v16, v17, v16
	s_waitcnt lgkmcnt(0)
	v_add_u32_e32 v16, v32, v16
	ds_write_b32 v33, v16 offset:16
.LBB271_68:
	s_or_b64 exec, exec, s[4:5]
	v_and_b32_e32 v16, s18, v23
	v_and_b32_e32 v16, 0xff, v16
	v_lshlrev_b32_e32 v17, 2, v16
	v_cmp_ne_u32_e32 vcc, 0, v16
	v_add_co_u32_e64 v16, s[4:5], -1, v16
	v_add_lshl_u32 v40, v18, v17, 2
	v_addc_co_u32_e64 v17, s[4:5], 0, -1, s[4:5]
	v_xor_b32_e32 v16, vcc_lo, v16
	; wave barrier
	ds_read_b32 v39, v40 offset:16
	v_xor_b32_e32 v17, vcc_hi, v17
	v_and_b32_e32 v16, exec_lo, v16
	v_and_b32_e32 v17, exec_hi, v17
	v_mbcnt_lo_u32_b32 v19, v16, 0
	v_mbcnt_hi_u32_b32 v42, v17, v19
	v_cmp_eq_u32_e32 vcc, 0, v42
	v_cmp_ne_u64_e64 s[4:5], 0, v[16:17]
	s_and_b64 s[20:21], s[4:5], vcc
	; wave barrier
	s_and_saveexec_b64 s[4:5], s[20:21]
	s_cbranch_execz .LBB271_70
; %bb.69:
	v_bcnt_u32_b32 v16, v16, 0
	v_bcnt_u32_b32 v16, v17, v16
	s_waitcnt lgkmcnt(0)
	v_add_u32_e32 v16, v39, v16
	ds_write_b32 v40, v16 offset:16
.LBB271_70:
	;; [unrolled: 29-line block ×6, first 2 shown]
	s_or_b64 exec, exec, s[4:5]
	v_and_b32_e32 v16, s18, v28
	v_and_b32_e32 v16, 0xff, v16
	v_lshlrev_b32_e32 v17, 2, v16
	v_cmp_ne_u32_e32 vcc, 0, v16
	v_add_co_u32_e64 v16, s[4:5], -1, v16
	v_add_lshl_u32 v74, v18, v17, 2
	v_addc_co_u32_e64 v17, s[4:5], 0, -1, s[4:5]
	v_xor_b32_e32 v16, vcc_lo, v16
	; wave barrier
	ds_read_b32 v73, v74 offset:16
	v_xor_b32_e32 v17, vcc_hi, v17
	v_and_b32_e32 v16, exec_lo, v16
	v_and_b32_e32 v17, exec_hi, v17
	v_mbcnt_lo_u32_b32 v18, v16, 0
	v_mbcnt_hi_u32_b32 v75, v17, v18
	v_cmp_eq_u32_e32 vcc, 0, v75
	v_cmp_ne_u64_e64 s[4:5], 0, v[16:17]
	v_add_u32_e32 v76, 16, v61
	s_and_b64 s[18:19], s[4:5], vcc
	; wave barrier
	s_and_saveexec_b64 s[4:5], s[18:19]
	s_cbranch_execz .LBB271_80
; %bb.79:
	v_bcnt_u32_b32 v16, v16, 0
	v_bcnt_u32_b32 v16, v17, v16
	s_waitcnt lgkmcnt(0)
	v_add_u32_e32 v16, v73, v16
	ds_write_b32 v74, v16 offset:16
.LBB271_80:
	s_or_b64 exec, exec, s[4:5]
	; wave barrier
	s_waitcnt lgkmcnt(0)
	s_barrier
	ds_read2_b32 v[16:17], v61 offset0:4 offset1:5
	ds_read2_b32 v[18:19], v76 offset0:2 offset1:3
	v_min_u32_e32 v29, 0xc0, v29
	v_or_b32_e32 v29, 63, v29
	s_waitcnt lgkmcnt(1)
	v_add_u32_e32 v77, v17, v16
	s_waitcnt lgkmcnt(0)
	v_add3_u32 v19, v77, v18, v19
	v_and_b32_e32 v77, 15, v20
	v_cmp_ne_u32_e32 vcc, 0, v77
	v_mov_b32_dpp v78, v19 row_shr:1 row_mask:0xf bank_mask:0xf
	v_cndmask_b32_e32 v78, 0, v78, vcc
	v_add_u32_e32 v19, v78, v19
	v_cmp_lt_u32_e32 vcc, 1, v77
	s_nop 0
	v_mov_b32_dpp v78, v19 row_shr:2 row_mask:0xf bank_mask:0xf
	v_cndmask_b32_e32 v78, 0, v78, vcc
	v_add_u32_e32 v19, v19, v78
	v_cmp_lt_u32_e32 vcc, 3, v77
	s_nop 0
	;; [unrolled: 5-line block ×3, first 2 shown]
	v_mov_b32_dpp v78, v19 row_shr:8 row_mask:0xf bank_mask:0xf
	v_cndmask_b32_e32 v77, 0, v78, vcc
	v_add_u32_e32 v19, v19, v77
	v_bfe_i32 v78, v20, 4, 1
	v_cmp_lt_u32_e32 vcc, 31, v20
	v_mov_b32_dpp v77, v19 row_bcast:15 row_mask:0xf bank_mask:0xf
	v_and_b32_e32 v77, v78, v77
	v_add_u32_e32 v19, v19, v77
	s_nop 1
	v_mov_b32_dpp v77, v19 row_bcast:31 row_mask:0xf bank_mask:0xf
	v_cndmask_b32_e32 v77, 0, v77, vcc
	v_add_u32_e32 v19, v19, v77
	v_lshrrev_b32_e32 v77, 6, v36
	v_cmp_eq_u32_e32 vcc, v29, v36
	s_and_saveexec_b64 s[4:5], vcc
	s_cbranch_execz .LBB271_82
; %bb.81:
	v_lshlrev_b32_e32 v29, 2, v77
	ds_write_b32 v29, v19
.LBB271_82:
	s_or_b64 exec, exec, s[4:5]
	v_cmp_gt_u32_e32 vcc, 4, v36
	s_waitcnt lgkmcnt(0)
	s_barrier
	s_and_saveexec_b64 s[4:5], vcc
	s_cbranch_execz .LBB271_84
; %bb.83:
	v_lshlrev_b32_e32 v29, 2, v36
	ds_read_b32 v78, v29
	v_and_b32_e32 v79, 3, v20
	v_cmp_ne_u32_e32 vcc, 0, v79
	s_waitcnt lgkmcnt(0)
	v_mov_b32_dpp v80, v78 row_shr:1 row_mask:0xf bank_mask:0xf
	v_cndmask_b32_e32 v80, 0, v80, vcc
	v_add_u32_e32 v78, v80, v78
	v_cmp_lt_u32_e32 vcc, 1, v79
	s_nop 0
	v_mov_b32_dpp v80, v78 row_shr:2 row_mask:0xf bank_mask:0xf
	v_cndmask_b32_e32 v79, 0, v80, vcc
	v_add_u32_e32 v78, v78, v79
	ds_write_b32 v29, v78
.LBB271_84:
	s_or_b64 exec, exec, s[4:5]
	v_cmp_lt_u32_e32 vcc, 63, v36
	v_mov_b32_e32 v29, 0
	s_waitcnt lgkmcnt(0)
	s_barrier
	s_and_saveexec_b64 s[4:5], vcc
	s_cbranch_execz .LBB271_86
; %bb.85:
	v_lshl_add_u32 v29, v77, 2, -4
	ds_read_b32 v29, v29
.LBB271_86:
	s_or_b64 exec, exec, s[4:5]
	v_add_u32_e32 v77, -1, v20
	v_and_b32_e32 v78, 64, v20
	v_cmp_lt_i32_e32 vcc, v77, v78
	v_cndmask_b32_e32 v77, v77, v20, vcc
	s_waitcnt lgkmcnt(0)
	v_add_u32_e32 v19, v29, v19
	v_lshlrev_b32_e32 v77, 2, v77
	ds_bpermute_b32 v19, v77, v19
	v_cmp_eq_u32_e32 vcc, 0, v20
	s_waitcnt lgkmcnt(0)
	v_cndmask_b32_e32 v19, v19, v29, vcc
	v_cmp_ne_u32_e32 vcc, 0, v36
	v_cndmask_b32_e32 v19, 0, v19, vcc
	v_add_u32_e32 v16, v19, v16
	v_add_u32_e32 v17, v16, v17
	;; [unrolled: 1-line block ×3, first 2 shown]
	ds_write2_b32 v61, v19, v16 offset0:4 offset1:5
	ds_write2_b32 v76, v17, v18 offset0:2 offset1:3
	s_waitcnt lgkmcnt(0)
	s_barrier
	ds_read_b32 v16, v30 offset:16
	ds_read_b32 v17, v33 offset:16
	;; [unrolled: 1-line block ×8, first 2 shown]
	s_waitcnt lgkmcnt(7)
	v_add_u32_e32 v31, v16, v31
	s_waitcnt lgkmcnt(6)
	v_add3_u32 v32, v38, v32, v17
	s_waitcnt lgkmcnt(5)
	v_add3_u32 v18, v42, v39, v18
	;; [unrolled: 2-line block ×7, first 2 shown]
	s_barrier
	ds_write_b8 v31, v21
	ds_write_b8 v32, v22
	ds_write_b8 v18, v23
	ds_write_b8 v19, v24
	ds_write_b8 v20, v25
	ds_write_b8 v29, v26
	ds_write_b8 v30, v27
	ds_write_b8 v33, v28
	v_lshlrev_b32_e32 v21, 3, v31
	s_waitcnt lgkmcnt(0)
	s_barrier
	ds_read_b64 v[16:17], v53
	s_waitcnt lgkmcnt(0)
	s_barrier
	ds_write_b64 v21, v[12:13]
	v_lshlrev_b32_e32 v12, 3, v32
	ds_write_b64 v12, v[14:15]
	v_lshlrev_b32_e32 v12, 3, v18
	ds_write_b64 v12, v[8:9]
	v_lshlrev_b32_e32 v8, 3, v19
	ds_write_b64 v8, v[10:11]
	v_lshlrev_b32_e32 v8, 3, v20
	ds_write_b64 v8, v[4:5]
	v_lshlrev_b32_e32 v4, 3, v29
	ds_write_b64 v4, v[6:7]
	v_lshlrev_b32_e32 v4, 3, v30
	ds_write_b64 v4, v[0:1]
	v_lshlrev_b32_e32 v0, 3, v33
	ds_write_b64 v0, v[2:3]
	v_lshlrev_b32_e32 v0, 3, v53
	s_waitcnt lgkmcnt(0)
	s_barrier
	ds_read2_b64 v[18:21], v0 offset1:1
	ds_read2_b64 v[22:25], v0 offset0:2 offset1:3
	ds_read2_b64 v[26:29], v0 offset0:4 offset1:5
	;; [unrolled: 1-line block ×3, first 2 shown]
	v_lshrrev_b32_e32 v36, 8, v16
	v_mov_b32_e32 v1, 1
	v_lshrrev_b32_e32 v38, 8, v17
	v_xor_b32_e32 v0, 1, v16
	v_xor_b32_sdwa v2, v36, v1 dst_sel:BYTE_1 dst_unused:UNUSED_PAD src0_sel:DWORD src1_sel:DWORD
	v_xor_b32_sdwa v3, v16, v1 dst_sel:DWORD dst_unused:UNUSED_PAD src0_sel:WORD_1 src1_sel:DWORD
	v_xor_b32_sdwa v4, v16, v1 dst_sel:BYTE_1 dst_unused:UNUSED_PAD src0_sel:BYTE_3 src1_sel:DWORD
	v_xor_b32_e32 v5, 1, v17
	v_xor_b32_sdwa v6, v38, v1 dst_sel:BYTE_1 dst_unused:UNUSED_PAD src0_sel:DWORD src1_sel:DWORD
	v_xor_b32_sdwa v7, v17, v1 dst_sel:DWORD dst_unused:UNUSED_PAD src0_sel:WORD_1 src1_sel:DWORD
	v_xor_b32_sdwa v1, v17, v1 dst_sel:BYTE_1 dst_unused:UNUSED_PAD src0_sel:BYTE_3 src1_sel:DWORD
	v_or_b32_sdwa v0, v0, v2 dst_sel:DWORD dst_unused:UNUSED_PAD src0_sel:BYTE_0 src1_sel:DWORD
	v_or_b32_sdwa v2, v3, v4 dst_sel:WORD_1 dst_unused:UNUSED_PAD src0_sel:BYTE_0 src1_sel:DWORD
	v_or_b32_sdwa v0, v0, v2 dst_sel:DWORD dst_unused:UNUSED_PAD src0_sel:WORD_0 src1_sel:DWORD
	v_or_b32_sdwa v2, v5, v6 dst_sel:DWORD dst_unused:UNUSED_PAD src0_sel:BYTE_0 src1_sel:DWORD
	v_or_b32_sdwa v1, v7, v1 dst_sel:WORD_1 dst_unused:UNUSED_PAD src0_sel:BYTE_0 src1_sel:DWORD
	v_or_b32_sdwa v1, v2, v1 dst_sel:DWORD dst_unused:UNUSED_PAD src0_sel:WORD_0 src1_sel:DWORD
.LBB271_87:
	s_waitcnt lgkmcnt(0)
	s_barrier
	ds_write_b64 v52, v[0:1]
	s_waitcnt lgkmcnt(0)
	s_barrier
	ds_read_u8 v8, v45 offset:256
	ds_read_u8 v7, v46 offset:512
	;; [unrolled: 1-line block ×7, first 2 shown]
	v_mov_b32_e32 v1, s53
	v_add_co_u32_e32 v0, vcc, s52, v37
	v_addc_co_u32_e32 v1, vcc, 0, v1, vcc
	s_and_saveexec_b64 s[4:5], s[0:1]
	s_cbranch_execnz .LBB271_106
; %bb.88:
	s_or_b64 exec, exec, s[4:5]
	s_and_saveexec_b64 s[4:5], s[2:3]
	s_cbranch_execnz .LBB271_107
.LBB271_89:
	s_or_b64 exec, exec, s[4:5]
	s_and_saveexec_b64 s[4:5], s[16:17]
	s_cbranch_execnz .LBB271_108
.LBB271_90:
	s_or_b64 exec, exec, s[4:5]
	s_and_saveexec_b64 s[4:5], s[6:7]
	s_cbranch_execnz .LBB271_109
.LBB271_91:
	s_or_b64 exec, exec, s[4:5]
	s_and_saveexec_b64 s[4:5], s[8:9]
	s_cbranch_execnz .LBB271_110
.LBB271_92:
	s_or_b64 exec, exec, s[4:5]
	s_and_saveexec_b64 s[4:5], s[10:11]
	s_cbranch_execnz .LBB271_111
.LBB271_93:
	s_or_b64 exec, exec, s[4:5]
	s_and_saveexec_b64 s[4:5], s[12:13]
	s_cbranch_execnz .LBB271_112
.LBB271_94:
	s_or_b64 exec, exec, s[4:5]
	s_and_saveexec_b64 s[4:5], s[14:15]
	s_cbranch_execz .LBB271_96
.LBB271_95:
	s_mul_i32 s18, s30, 0x700
	v_add_co_u32_e32 v0, vcc, s18, v0
	v_addc_co_u32_e32 v1, vcc, 0, v1, vcc
	s_waitcnt lgkmcnt(0)
	global_store_byte v[0:1], v2, off
.LBB271_96:
	s_or_b64 exec, exec, s[4:5]
	s_waitcnt lgkmcnt(0)
	s_barrier
	ds_write2_b64 v60, v[18:19], v[20:21] offset1:1
	ds_write2_b64 v60, v[22:23], v[24:25] offset0:2 offset1:3
	ds_write2_b64 v60, v[26:27], v[28:29] offset0:4 offset1:5
	;; [unrolled: 1-line block ×3, first 2 shown]
	s_waitcnt lgkmcnt(0)
	s_barrier
	ds_read_b64 v[14:15], v35 offset:2048
	ds_read_b64 v[12:13], v54 offset:4096
	;; [unrolled: 1-line block ×7, first 2 shown]
	v_mov_b32_e32 v35, 0
	v_lshlrev_b64 v[2:3], 3, v[34:35]
	v_mov_b32_e32 v16, s33
	v_add_co_u32_e32 v2, vcc, s31, v2
	v_addc_co_u32_e32 v3, vcc, v16, v3, vcc
	s_and_saveexec_b64 s[4:5], s[0:1]
	s_cbranch_execnz .LBB271_113
; %bb.97:
	s_or_b64 exec, exec, s[4:5]
	s_and_saveexec_b64 s[0:1], s[2:3]
	s_cbranch_execnz .LBB271_114
.LBB271_98:
	s_or_b64 exec, exec, s[0:1]
	s_and_saveexec_b64 s[0:1], s[16:17]
	s_cbranch_execnz .LBB271_115
.LBB271_99:
	s_or_b64 exec, exec, s[0:1]
	s_and_saveexec_b64 s[0:1], s[6:7]
	s_cbranch_execnz .LBB271_116
.LBB271_100:
	s_or_b64 exec, exec, s[0:1]
	s_and_saveexec_b64 s[0:1], s[8:9]
	s_cbranch_execnz .LBB271_117
.LBB271_101:
	s_or_b64 exec, exec, s[0:1]
	s_and_saveexec_b64 s[0:1], s[10:11]
	s_cbranch_execnz .LBB271_118
.LBB271_102:
	s_or_b64 exec, exec, s[0:1]
	s_and_saveexec_b64 s[0:1], s[12:13]
	s_cbranch_execnz .LBB271_119
.LBB271_103:
	s_or_b64 exec, exec, s[0:1]
	s_and_saveexec_b64 s[0:1], s[14:15]
	s_cbranch_execz .LBB271_105
.LBB271_104:
	s_mul_i32 s0, s34, 0x700
	s_mov_b32 s1, 0
	s_lshl_b64 s[0:1], s[0:1], 3
	s_waitcnt lgkmcnt(1)
	v_mov_b32_e32 v4, s1
	v_add_co_u32_e32 v2, vcc, s0, v2
	v_addc_co_u32_e32 v3, vcc, v3, v4, vcc
	s_waitcnt lgkmcnt(0)
	global_store_dwordx2 v[2:3], v[0:1], off
.LBB271_105:
	s_endpgm
.LBB271_106:
	ds_read_u8 v9, v44
	s_waitcnt lgkmcnt(0)
	global_store_byte v[0:1], v9, off
	s_or_b64 exec, exec, s[4:5]
	s_and_saveexec_b64 s[4:5], s[2:3]
	s_cbranch_execz .LBB271_89
.LBB271_107:
	s_lshl_b32 s18, s30, 8
	v_add_co_u32_e32 v10, vcc, s18, v0
	v_addc_co_u32_e32 v11, vcc, 0, v1, vcc
	s_waitcnt lgkmcnt(6)
	global_store_byte v[10:11], v8, off
	s_or_b64 exec, exec, s[4:5]
	s_and_saveexec_b64 s[4:5], s[16:17]
	s_cbranch_execz .LBB271_90
.LBB271_108:
	s_lshl_b32 s18, s30, 9
	s_waitcnt lgkmcnt(6)
	v_add_co_u32_e32 v8, vcc, s18, v0
	v_addc_co_u32_e32 v9, vcc, 0, v1, vcc
	s_waitcnt lgkmcnt(5)
	global_store_byte v[8:9], v7, off
	s_or_b64 exec, exec, s[4:5]
	s_and_saveexec_b64 s[4:5], s[6:7]
	s_cbranch_execz .LBB271_91
.LBB271_109:
	s_mul_i32 s18, s30, 0x300
	s_waitcnt lgkmcnt(6)
	v_add_co_u32_e32 v8, vcc, s18, v0
	v_addc_co_u32_e32 v9, vcc, 0, v1, vcc
	s_waitcnt lgkmcnt(4)
	global_store_byte v[8:9], v6, off
	s_or_b64 exec, exec, s[4:5]
	s_and_saveexec_b64 s[4:5], s[8:9]
	s_cbranch_execz .LBB271_92
.LBB271_110:
	s_lshl_b32 s18, s30, 10
	s_waitcnt lgkmcnt(4)
	v_add_co_u32_e32 v6, vcc, s18, v0
	v_addc_co_u32_e32 v7, vcc, 0, v1, vcc
	s_waitcnt lgkmcnt(3)
	global_store_byte v[6:7], v5, off
	s_or_b64 exec, exec, s[4:5]
	s_and_saveexec_b64 s[4:5], s[10:11]
	s_cbranch_execz .LBB271_93
.LBB271_111:
	s_mul_i32 s18, s30, 0x500
	s_waitcnt lgkmcnt(4)
	v_add_co_u32_e32 v6, vcc, s18, v0
	v_addc_co_u32_e32 v7, vcc, 0, v1, vcc
	s_waitcnt lgkmcnt(2)
	global_store_byte v[6:7], v4, off
	s_or_b64 exec, exec, s[4:5]
	s_and_saveexec_b64 s[4:5], s[12:13]
	s_cbranch_execz .LBB271_94
.LBB271_112:
	s_mul_i32 s18, s30, 0x600
	s_waitcnt lgkmcnt(2)
	v_add_co_u32_e32 v4, vcc, s18, v0
	v_addc_co_u32_e32 v5, vcc, 0, v1, vcc
	s_waitcnt lgkmcnt(1)
	global_store_byte v[4:5], v3, off
	s_or_b64 exec, exec, s[4:5]
	s_and_saveexec_b64 s[4:5], s[14:15]
	s_cbranch_execnz .LBB271_95
	s_branch .LBB271_96
.LBB271_113:
	ds_read_b64 v[16:17], v41
	s_waitcnt lgkmcnt(0)
	global_store_dwordx2 v[2:3], v[16:17], off
	s_or_b64 exec, exec, s[4:5]
	s_and_saveexec_b64 s[0:1], s[2:3]
	s_cbranch_execz .LBB271_98
.LBB271_114:
	s_lshl_b32 s2, s34, 8
	s_mov_b32 s3, 0
	s_lshl_b64 s[2:3], s[2:3], 3
	v_mov_b32_e32 v17, s3
	v_add_co_u32_e32 v16, vcc, s2, v2
	v_addc_co_u32_e32 v17, vcc, v3, v17, vcc
	s_waitcnt lgkmcnt(6)
	global_store_dwordx2 v[16:17], v[14:15], off
	s_or_b64 exec, exec, s[0:1]
	s_and_saveexec_b64 s[0:1], s[16:17]
	s_cbranch_execz .LBB271_99
.LBB271_115:
	s_lshl_b32 s2, s34, 9
	s_mov_b32 s3, 0
	s_lshl_b64 s[2:3], s[2:3], 3
	s_waitcnt lgkmcnt(6)
	v_mov_b32_e32 v15, s3
	v_add_co_u32_e32 v14, vcc, s2, v2
	v_addc_co_u32_e32 v15, vcc, v3, v15, vcc
	s_waitcnt lgkmcnt(5)
	global_store_dwordx2 v[14:15], v[12:13], off
	s_or_b64 exec, exec, s[0:1]
	s_and_saveexec_b64 s[0:1], s[6:7]
	s_cbranch_execz .LBB271_100
.LBB271_116:
	s_mul_i32 s2, s34, 0x300
	s_mov_b32 s3, 0
	s_lshl_b64 s[2:3], s[2:3], 3
	s_waitcnt lgkmcnt(5)
	v_mov_b32_e32 v13, s3
	v_add_co_u32_e32 v12, vcc, s2, v2
	v_addc_co_u32_e32 v13, vcc, v3, v13, vcc
	s_waitcnt lgkmcnt(4)
	global_store_dwordx2 v[12:13], v[10:11], off
	s_or_b64 exec, exec, s[0:1]
	s_and_saveexec_b64 s[0:1], s[8:9]
	s_cbranch_execz .LBB271_101
.LBB271_117:
	s_lshl_b32 s2, s34, 10
	s_mov_b32 s3, 0
	s_lshl_b64 s[2:3], s[2:3], 3
	s_waitcnt lgkmcnt(4)
	v_mov_b32_e32 v11, s3
	v_add_co_u32_e32 v10, vcc, s2, v2
	v_addc_co_u32_e32 v11, vcc, v3, v11, vcc
	s_waitcnt lgkmcnt(3)
	global_store_dwordx2 v[10:11], v[8:9], off
	s_or_b64 exec, exec, s[0:1]
	s_and_saveexec_b64 s[0:1], s[10:11]
	s_cbranch_execz .LBB271_102
.LBB271_118:
	s_mul_i32 s2, s34, 0x500
	s_mov_b32 s3, 0
	s_lshl_b64 s[2:3], s[2:3], 3
	s_waitcnt lgkmcnt(3)
	v_mov_b32_e32 v9, s3
	v_add_co_u32_e32 v8, vcc, s2, v2
	v_addc_co_u32_e32 v9, vcc, v3, v9, vcc
	s_waitcnt lgkmcnt(2)
	global_store_dwordx2 v[8:9], v[6:7], off
	s_or_b64 exec, exec, s[0:1]
	s_and_saveexec_b64 s[0:1], s[12:13]
	s_cbranch_execz .LBB271_103
.LBB271_119:
	s_mul_i32 s2, s34, 0x600
	s_mov_b32 s3, 0
	s_lshl_b64 s[2:3], s[2:3], 3
	s_waitcnt lgkmcnt(2)
	v_mov_b32_e32 v7, s3
	v_add_co_u32_e32 v6, vcc, s2, v2
	v_addc_co_u32_e32 v7, vcc, v3, v7, vcc
	s_waitcnt lgkmcnt(1)
	global_store_dwordx2 v[6:7], v[4:5], off
	s_or_b64 exec, exec, s[0:1]
	s_and_saveexec_b64 s[0:1], s[14:15]
	s_cbranch_execnz .LBB271_104
	s_branch .LBB271_105
	.section	.rodata,"a",@progbits
	.p2align	6, 0x0
	.amdhsa_kernel _ZN2at6native18radixSortKVInPlaceILin1ELin1ELi256ELi8EbljEEvNS_4cuda6detail10TensorInfoIT3_T5_EES6_S6_S6_NS4_IT4_S6_EES6_b
		.amdhsa_group_segment_fixed_size 16896
		.amdhsa_private_segment_fixed_size 0
		.amdhsa_kernarg_size 712
		.amdhsa_user_sgpr_count 6
		.amdhsa_user_sgpr_private_segment_buffer 1
		.amdhsa_user_sgpr_dispatch_ptr 0
		.amdhsa_user_sgpr_queue_ptr 0
		.amdhsa_user_sgpr_kernarg_segment_ptr 1
		.amdhsa_user_sgpr_dispatch_id 0
		.amdhsa_user_sgpr_flat_scratch_init 0
		.amdhsa_user_sgpr_kernarg_preload_length 0
		.amdhsa_user_sgpr_kernarg_preload_offset 0
		.amdhsa_user_sgpr_private_segment_size 0
		.amdhsa_uses_dynamic_stack 0
		.amdhsa_system_sgpr_private_segment_wavefront_offset 0
		.amdhsa_system_sgpr_workgroup_id_x 1
		.amdhsa_system_sgpr_workgroup_id_y 1
		.amdhsa_system_sgpr_workgroup_id_z 1
		.amdhsa_system_sgpr_workgroup_info 0
		.amdhsa_system_vgpr_workitem_id 2
		.amdhsa_next_free_vgpr 105
		.amdhsa_next_free_sgpr 56
		.amdhsa_accum_offset 108
		.amdhsa_reserve_vcc 1
		.amdhsa_reserve_flat_scratch 0
		.amdhsa_float_round_mode_32 0
		.amdhsa_float_round_mode_16_64 0
		.amdhsa_float_denorm_mode_32 3
		.amdhsa_float_denorm_mode_16_64 3
		.amdhsa_dx10_clamp 1
		.amdhsa_ieee_mode 1
		.amdhsa_fp16_overflow 0
		.amdhsa_tg_split 0
		.amdhsa_exception_fp_ieee_invalid_op 0
		.amdhsa_exception_fp_denorm_src 0
		.amdhsa_exception_fp_ieee_div_zero 0
		.amdhsa_exception_fp_ieee_overflow 0
		.amdhsa_exception_fp_ieee_underflow 0
		.amdhsa_exception_fp_ieee_inexact 0
		.amdhsa_exception_int_div_zero 0
	.end_amdhsa_kernel
	.section	.text._ZN2at6native18radixSortKVInPlaceILin1ELin1ELi256ELi8EbljEEvNS_4cuda6detail10TensorInfoIT3_T5_EES6_S6_S6_NS4_IT4_S6_EES6_b,"axG",@progbits,_ZN2at6native18radixSortKVInPlaceILin1ELin1ELi256ELi8EbljEEvNS_4cuda6detail10TensorInfoIT3_T5_EES6_S6_S6_NS4_IT4_S6_EES6_b,comdat
.Lfunc_end271:
	.size	_ZN2at6native18radixSortKVInPlaceILin1ELin1ELi256ELi8EbljEEvNS_4cuda6detail10TensorInfoIT3_T5_EES6_S6_S6_NS4_IT4_S6_EES6_b, .Lfunc_end271-_ZN2at6native18radixSortKVInPlaceILin1ELin1ELi256ELi8EbljEEvNS_4cuda6detail10TensorInfoIT3_T5_EES6_S6_S6_NS4_IT4_S6_EES6_b
                                        ; -- End function
	.section	.AMDGPU.csdata,"",@progbits
; Kernel info:
; codeLenInByte = 8532
; NumSgprs: 60
; NumVgprs: 105
; NumAgprs: 0
; TotalNumVgprs: 105
; ScratchSize: 0
; MemoryBound: 0
; FloatMode: 240
; IeeeMode: 1
; LDSByteSize: 16896 bytes/workgroup (compile time only)
; SGPRBlocks: 7
; VGPRBlocks: 13
; NumSGPRsForWavesPerEU: 60
; NumVGPRsForWavesPerEU: 105
; AccumOffset: 108
; Occupancy: 3
; WaveLimiterHint : 1
; COMPUTE_PGM_RSRC2:SCRATCH_EN: 0
; COMPUTE_PGM_RSRC2:USER_SGPR: 6
; COMPUTE_PGM_RSRC2:TRAP_HANDLER: 0
; COMPUTE_PGM_RSRC2:TGID_X_EN: 1
; COMPUTE_PGM_RSRC2:TGID_Y_EN: 1
; COMPUTE_PGM_RSRC2:TGID_Z_EN: 1
; COMPUTE_PGM_RSRC2:TIDIG_COMP_CNT: 2
; COMPUTE_PGM_RSRC3_GFX90A:ACCUM_OFFSET: 26
; COMPUTE_PGM_RSRC3_GFX90A:TG_SPLIT: 0
	.section	.text._ZN2at6native18radixSortKVInPlaceILin1ELin1ELi128ELi8EbljEEvNS_4cuda6detail10TensorInfoIT3_T5_EES6_S6_S6_NS4_IT4_S6_EES6_b,"axG",@progbits,_ZN2at6native18radixSortKVInPlaceILin1ELin1ELi128ELi8EbljEEvNS_4cuda6detail10TensorInfoIT3_T5_EES6_S6_S6_NS4_IT4_S6_EES6_b,comdat
	.protected	_ZN2at6native18radixSortKVInPlaceILin1ELin1ELi128ELi8EbljEEvNS_4cuda6detail10TensorInfoIT3_T5_EES6_S6_S6_NS4_IT4_S6_EES6_b ; -- Begin function _ZN2at6native18radixSortKVInPlaceILin1ELin1ELi128ELi8EbljEEvNS_4cuda6detail10TensorInfoIT3_T5_EES6_S6_S6_NS4_IT4_S6_EES6_b
	.globl	_ZN2at6native18radixSortKVInPlaceILin1ELin1ELi128ELi8EbljEEvNS_4cuda6detail10TensorInfoIT3_T5_EES6_S6_S6_NS4_IT4_S6_EES6_b
	.p2align	8
	.type	_ZN2at6native18radixSortKVInPlaceILin1ELin1ELi128ELi8EbljEEvNS_4cuda6detail10TensorInfoIT3_T5_EES6_S6_S6_NS4_IT4_S6_EES6_b,@function
_ZN2at6native18radixSortKVInPlaceILin1ELin1ELi128ELi8EbljEEvNS_4cuda6detail10TensorInfoIT3_T5_EES6_S6_S6_NS4_IT4_S6_EES6_b: ; @_ZN2at6native18radixSortKVInPlaceILin1ELin1ELi128ELi8EbljEEvNS_4cuda6detail10TensorInfoIT3_T5_EES6_S6_S6_NS4_IT4_S6_EES6_b
; %bb.0:
	s_load_dwordx2 s[0:1], s[4:5], 0x1c8
	s_load_dwordx4 s[28:31], s[4:5], 0xd8
	s_add_u32 s54, s4, 0x1c8
	s_addc_u32 s55, s5, 0
	s_waitcnt lgkmcnt(0)
	s_mul_i32 s1, s1, s8
	s_add_i32 s1, s1, s7
	s_mul_i32 s0, s1, s0
	s_add_i32 s24, s0, s6
	s_cmp_ge_u32 s24, s28
	s_cbranch_scc1 .LBB272_105
; %bb.1:
	s_load_dword s2, s[4:5], 0xd0
	s_mov_b32 s1, 0
	s_mov_b32 s0, s24
	s_waitcnt lgkmcnt(0)
	s_cmp_lt_i32 s2, 2
	s_cbranch_scc1 .LBB272_4
; %bb.2:
	s_add_i32 s0, s2, -1
	s_add_i32 s6, s2, 1
	s_lshl_b64 s[2:3], s[0:1], 2
	s_add_u32 s0, s2, s4
	s_addc_u32 s3, s3, s5
	s_add_u32 s2, s0, 8
	s_addc_u32 s3, s3, 0
	s_mov_b32 s0, s24
.LBB272_3:                              ; =>This Inner Loop Header: Depth=1
	s_load_dword s7, s[2:3], 0x0
	s_load_dword s9, s[2:3], 0x64
	s_mov_b32 s8, s0
	s_waitcnt lgkmcnt(0)
	v_cvt_f32_u32_e32 v1, s7
	s_sub_i32 s0, 0, s7
	v_rcp_iflag_f32_e32 v1, v1
	v_mul_f32_e32 v1, 0x4f7ffffe, v1
	v_cvt_u32_f32_e32 v1, v1
	v_readfirstlane_b32 s10, v1
	s_mul_i32 s0, s0, s10
	s_mul_hi_u32 s0, s10, s0
	s_add_i32 s10, s10, s0
	s_mul_hi_u32 s0, s8, s10
	s_mul_i32 s10, s0, s7
	s_sub_i32 s10, s8, s10
	s_add_i32 s11, s0, 1
	s_sub_i32 s12, s10, s7
	s_cmp_ge_u32 s10, s7
	s_cselect_b32 s0, s11, s0
	s_cselect_b32 s10, s12, s10
	s_add_i32 s11, s0, 1
	s_cmp_ge_u32 s10, s7
	s_cselect_b32 s0, s11, s0
	s_mul_i32 s7, s0, s7
	s_sub_i32 s7, s8, s7
	s_mul_i32 s7, s9, s7
	s_add_i32 s6, s6, -1
	s_add_i32 s1, s7, s1
	s_add_u32 s2, s2, -4
	s_addc_u32 s3, s3, -1
	s_cmp_gt_u32 s6, 2
	s_cbranch_scc1 .LBB272_3
.LBB272_4:
	s_load_dword s2, s[4:5], 0x1b8
	s_mov_b32 s21, 0
	s_waitcnt lgkmcnt(0)
	s_cmp_lt_i32 s2, 2
	s_cbranch_scc1 .LBB272_7
; %bb.5:
	s_add_i32 s20, s2, -1
	s_add_i32 s6, s2, 1
	s_lshl_b64 s[2:3], s[20:21], 2
	s_add_u32 s2, s2, s4
	s_addc_u32 s3, s3, s5
	s_add_u32 s2, s2, 0xf0
	s_addc_u32 s3, s3, 0
.LBB272_6:                              ; =>This Inner Loop Header: Depth=1
	s_load_dword s7, s[2:3], 0x0
	s_load_dword s9, s[2:3], 0x64
	s_mov_b32 s8, s24
	s_waitcnt lgkmcnt(0)
	v_cvt_f32_u32_e32 v1, s7
	s_sub_i32 s10, 0, s7
	v_rcp_iflag_f32_e32 v1, v1
	v_mul_f32_e32 v1, 0x4f7ffffe, v1
	v_cvt_u32_f32_e32 v1, v1
	v_readfirstlane_b32 s11, v1
	s_mul_i32 s10, s10, s11
	s_mul_hi_u32 s10, s11, s10
	s_add_i32 s11, s11, s10
	s_mul_hi_u32 s10, s24, s11
	s_mul_i32 s11, s10, s7
	s_sub_i32 s11, s24, s11
	s_add_i32 s12, s10, 1
	s_sub_i32 s13, s11, s7
	s_cmp_ge_u32 s11, s7
	s_cselect_b32 s10, s12, s10
	s_cselect_b32 s11, s13, s11
	s_add_i32 s12, s10, 1
	s_cmp_ge_u32 s11, s7
	s_cselect_b32 s24, s12, s10
	s_mul_i32 s7, s24, s7
	s_sub_i32 s7, s8, s7
	s_mul_i32 s7, s9, s7
	s_add_i32 s6, s6, -1
	s_add_i32 s21, s7, s21
	s_add_u32 s2, s2, -4
	s_addc_u32 s3, s3, -1
	s_cmp_gt_u32 s6, 2
	s_cbranch_scc1 .LBB272_6
.LBB272_7:
	s_load_dword s2, s[4:5], 0x6c
	s_load_dwordx2 s[34:35], s[4:5], 0x1c0
	s_load_dwordx2 s[6:7], s[4:5], 0x0
	v_and_b32_e32 v36, 0x3ff, v0
	v_mul_lo_u32 v37, v36, s30
	s_waitcnt lgkmcnt(0)
	s_mul_i32 s0, s2, s0
	s_add_i32 s2, s0, s1
	s_bitcmp1_b32 s35, 0
	s_cselect_b64 s[0:1], -1, 0
	s_add_u32 s52, s6, s2
	s_addc_u32 s53, s7, 0
	s_xor_b64 s[18:19], s[0:1], -1
	v_cndmask_b32_e64 v1, 0, 1, s[18:19]
	v_lshlrev_b16_e32 v2, 8, v1
	v_or_b32_e32 v2, v1, v2
	v_lshlrev_b32_e32 v3, 16, v2
	v_or_b32_sdwa v2, v2, v3 dst_sel:DWORD dst_unused:UNUSED_PAD src0_sel:WORD_0 src1_sel:DWORD
	v_mov_b32_e32 v3, v2
	v_cmp_gt_u32_e64 s[0:1], s29, v36
	s_and_saveexec_b64 s[2:3], s[0:1]
	s_cbranch_execz .LBB272_9
; %bb.8:
	global_load_ubyte v1, v37, s[52:53]
	s_mov_b32 s6, 0x3020104
	v_mov_b32_e32 v5, v2
	s_waitcnt vmcnt(0)
	v_perm_b32 v4, v1, v2, s6
	v_pk_mov_b32 v[2:3], v[4:5], v[4:5] op_sel:[0,1]
.LBB272_9:
	s_or_b64 exec, exec, s[2:3]
	v_add_u32_e32 v32, 0x80, v36
	v_cmp_gt_u32_e64 s[2:3], s29, v32
	s_and_saveexec_b64 s[6:7], s[2:3]
	s_cbranch_execz .LBB272_11
; %bb.10:
	v_mul_lo_u32 v4, v32, s30
	global_load_ubyte v4, v4, s[52:53]
	s_mov_b32 s8, 0x7060004
	s_waitcnt vmcnt(0)
	v_perm_b32 v2, v2, v4, s8
.LBB272_11:
	s_or_b64 exec, exec, s[6:7]
	v_add_u32_e32 v31, 0x100, v36
	v_cmp_gt_u32_e64 s[16:17], s29, v31
	s_and_saveexec_b64 s[6:7], s[16:17]
	s_cbranch_execz .LBB272_13
; %bb.12:
	v_mul_lo_u32 v4, v31, s30
	global_load_ubyte v4, v4, s[52:53]
	s_movk_i32 s8, 0xff00
	v_and_b32_sdwa v5, v2, s8 dst_sel:DWORD dst_unused:UNUSED_PAD src0_sel:WORD_1 src1_sel:DWORD
	s_mov_b32 s8, 0xffff
	s_waitcnt vmcnt(0)
	v_or_b32_sdwa v4, v4, v5 dst_sel:WORD_1 dst_unused:UNUSED_PAD src0_sel:DWORD src1_sel:DWORD
	v_and_or_b32 v2, v2, s8, v4
.LBB272_13:
	s_or_b64 exec, exec, s[6:7]
	v_add_u32_e32 v30, 0x180, v36
	v_cmp_gt_u32_e64 s[6:7], s29, v30
	s_and_saveexec_b64 s[8:9], s[6:7]
	s_cbranch_execz .LBB272_15
; %bb.14:
	v_mul_lo_u32 v4, v30, s30
	global_load_ubyte v4, v4, s[52:53]
	s_movk_i32 s10, 0xff
	v_and_b32_sdwa v5, v2, s10 dst_sel:DWORD dst_unused:UNUSED_PAD src0_sel:WORD_1 src1_sel:DWORD
	s_mov_b32 s10, 0xffff
	s_waitcnt vmcnt(0)
	v_lshlrev_b16_e32 v4, 8, v4
	v_or_b32_sdwa v4, v5, v4 dst_sel:WORD_1 dst_unused:UNUSED_PAD src0_sel:DWORD src1_sel:DWORD
	v_and_or_b32 v2, v2, s10, v4
.LBB272_15:
	s_or_b64 exec, exec, s[8:9]
	v_add_u32_e32 v29, 0x200, v36
	v_cmp_gt_u32_e64 s[8:9], s29, v29
	s_and_saveexec_b64 s[10:11], s[8:9]
	s_cbranch_execz .LBB272_17
; %bb.16:
	v_mul_lo_u32 v4, v29, s30
	global_load_ubyte v4, v4, s[52:53]
	s_mov_b32 s12, 0x3020104
	s_waitcnt vmcnt(0)
	v_perm_b32 v3, v4, v3, s12
.LBB272_17:
	s_or_b64 exec, exec, s[10:11]
	v_add_u32_e32 v28, 0x280, v36
	v_cmp_gt_u32_e64 s[10:11], s29, v28
	s_and_saveexec_b64 s[12:13], s[10:11]
	s_cbranch_execz .LBB272_19
; %bb.18:
	v_mul_lo_u32 v4, v28, s30
	global_load_ubyte v4, v4, s[52:53]
	s_mov_b32 s14, 0x7060004
	s_waitcnt vmcnt(0)
	v_perm_b32 v3, v3, v4, s14
.LBB272_19:
	s_or_b64 exec, exec, s[12:13]
	s_load_dwordx2 s[22:23], s[4:5], 0xe8
	v_add_u32_e32 v27, 0x300, v36
	v_cmp_gt_u32_e64 s[12:13], s29, v27
	s_and_saveexec_b64 s[14:15], s[12:13]
	s_cbranch_execz .LBB272_21
; %bb.20:
	v_mul_lo_u32 v4, v27, s30
	global_load_ubyte v4, v4, s[52:53]
	s_mov_b32 s20, 0x7000504
	s_waitcnt vmcnt(0)
	v_perm_b32 v3, v3, v4, s20
.LBB272_21:
	s_or_b64 exec, exec, s[14:15]
	s_load_dword s20, s[4:5], 0x154
	v_add_u32_e32 v22, 0x380, v36
	v_cmp_gt_u32_e64 s[14:15], s29, v22
	s_and_saveexec_b64 s[4:5], s[14:15]
	s_cbranch_execz .LBB272_23
; %bb.22:
	v_mul_lo_u32 v4, v22, s30
	global_load_ubyte v4, v4, s[52:53]
	s_mov_b32 s25, 0x60504
	s_waitcnt vmcnt(0)
	v_perm_b32 v3, v3, v4, s25
.LBB272_23:
	s_or_b64 exec, exec, s[4:5]
	v_lshrrev_b32_e32 v26, 5, v36
	v_and_b32_e32 v4, 28, v26
	v_add_u32_e32 v44, v4, v36
	v_lshrrev_b32_e32 v25, 5, v32
	ds_write_b8 v44, v1
	v_and_b32_e32 v1, 60, v25
	v_lshrrev_b32_e32 v24, 5, v31
	v_add_u32_e32 v45, v1, v36
	v_and_b32_e32 v1, 60, v24
	v_lshrrev_b32_e32 v23, 5, v30
	v_add_u32_e32 v46, v1, v36
	;; [unrolled: 3-line block ×3, first 2 shown]
	v_and_b32_e32 v1, 60, v21
	v_lshrrev_b32_e32 v19, 5, v28
	v_lshrrev_b32_e32 v4, 8, v2
	v_add_u32_e32 v48, v1, v36
	v_and_b32_e32 v1, 60, v19
	v_lshrrev_b32_e32 v18, 5, v27
	ds_write_b8 v45, v4 offset:128
	ds_write_b8_d16_hi v46, v2 offset:256
	v_lshrrev_b32_e32 v2, 24, v2
	v_add_u32_e32 v49, v1, v36
	v_and_b32_e32 v1, 60, v18
	ds_write_b8 v47, v2 offset:384
	v_lshrrev_b32_e32 v2, 8, v3
	v_add_u32_e32 v50, v1, v36
	v_lshrrev_b32_e32 v1, 5, v22
	ds_write_b8 v48, v3 offset:512
	ds_write_b8 v49, v2 offset:640
	v_and_b32_e32 v2, 60, v1
	v_lshrrev_b32_e32 v20, 2, v36
	v_add_u32_e32 v51, v2, v36
	v_lshlrev_b32_e32 v53, 3, v36
	v_and_b32_e32 v2, 0xfc, v20
	ds_write_b8_d16_hi v50, v3 offset:768
	v_lshrrev_b32_e32 v3, 24, v3
	v_add_u32_e32 v52, v2, v53
	s_waitcnt lgkmcnt(0)
	s_mul_i32 s4, s20, s24
	ds_write_b8 v51, v3 offset:896
	s_waitcnt lgkmcnt(0)
	s_barrier
	ds_read_b64 v[38:39], v52
	s_add_i32 s36, s4, s21
	s_mov_b32 s37, 0
	s_lshl_b64 s[4:5], s[36:37], 3
	s_mov_b32 s36, s37
	s_add_u32 s31, s22, s4
	s_mov_b32 s38, s37
	s_mov_b32 s39, s37
	;; [unrolled: 1-line block ×14, first 2 shown]
	v_pk_mov_b32 v[2:3], s[36:37], s[36:37] op_sel:[0,1]
	s_addc_u32 s33, s23, s5
	v_pk_mov_b32 v[4:5], s[38:39], s[38:39] op_sel:[0,1]
	v_pk_mov_b32 v[6:7], s[40:41], s[40:41] op_sel:[0,1]
	;; [unrolled: 1-line block ×7, first 2 shown]
	v_pk_mov_b32 v[2:3], 0, 0
	v_mul_lo_u32 v34, v36, s34
	s_waitcnt lgkmcnt(0)
	s_barrier
	s_and_saveexec_b64 s[4:5], s[0:1]
	s_cbranch_execnz .LBB272_56
; %bb.24:
	s_or_b64 exec, exec, s[4:5]
	s_and_saveexec_b64 s[4:5], s[2:3]
	s_cbranch_execnz .LBB272_57
.LBB272_25:
	s_or_b64 exec, exec, s[4:5]
	s_and_saveexec_b64 s[4:5], s[16:17]
	s_cbranch_execnz .LBB272_58
.LBB272_26:
	s_or_b64 exec, exec, s[4:5]
	s_and_saveexec_b64 s[4:5], s[6:7]
	s_cbranch_execnz .LBB272_59
.LBB272_27:
	s_or_b64 exec, exec, s[4:5]
	s_and_saveexec_b64 s[4:5], s[8:9]
	s_cbranch_execnz .LBB272_60
.LBB272_28:
	s_or_b64 exec, exec, s[4:5]
	s_and_saveexec_b64 s[4:5], s[10:11]
	s_cbranch_execnz .LBB272_61
.LBB272_29:
	s_or_b64 exec, exec, s[4:5]
	s_and_saveexec_b64 s[4:5], s[12:13]
	s_cbranch_execnz .LBB272_62
.LBB272_30:
	s_or_b64 exec, exec, s[4:5]
	s_and_saveexec_b64 s[4:5], s[14:15]
	s_cbranch_execz .LBB272_32
.LBB272_31:
	v_mul_lo_u32 v16, v22, s34
	v_mov_b32_e32 v17, 0
	v_lshlrev_b64 v[16:17], 3, v[16:17]
	v_mov_b32_e32 v22, s33
	v_add_co_u32_e32 v16, vcc, s31, v16
	v_addc_co_u32_e32 v17, vcc, v22, v17, vcc
	global_load_dwordx2 v[16:17], v[16:17], off
.LBB272_32:
	s_or_b64 exec, exec, s[4:5]
	v_lshrrev_b64 v[40:41], 24, v[38:39]
	v_add_lshl_u32 v41, v26, v36, 3
	v_add_lshl_u32 v35, v25, v36, 3
	;; [unrolled: 1-line block ×9, first 2 shown]
	s_waitcnt vmcnt(0)
	ds_write_b64 v41, v[2:3]
	ds_write_b64 v35, v[4:5] offset:1024
	ds_write_b64 v54, v[6:7] offset:2048
	;; [unrolled: 1-line block ×7, first 2 shown]
	s_waitcnt lgkmcnt(0)
	s_barrier
	ds_read2_b64 v[14:17], v60 offset1:1
	ds_read2_b64 v[10:13], v60 offset0:2 offset1:3
	ds_read2_b64 v[6:9], v60 offset0:4 offset1:5
	;; [unrolled: 1-line block ×3, first 2 shown]
	v_lshrrev_b32_e32 v64, 8, v38
	v_lshrrev_b32_e32 v65, 8, v39
	s_and_b64 vcc, exec, s[18:19]
	v_bfe_u32 v62, v0, 10, 10
	v_bfe_u32 v63, v0, 20, 10
	v_mbcnt_lo_u32_b32 v66, -1, 0
	v_lshlrev_b32_e32 v61, 4, v36
	s_waitcnt lgkmcnt(0)
	s_barrier
	s_cbranch_vccz .LBB272_63
; %bb.33:
	s_movk_i32 s4, 0xff
	v_mov_b32_e32 v1, 8
	v_lshlrev_b16_e32 v0, 8, v65
	v_lshlrev_b16_sdwa v1, v1, v39 dst_sel:DWORD dst_unused:UNUSED_PAD src0_sel:DWORD src1_sel:BYTE_3
	v_and_b32_sdwa v20, v39, s4 dst_sel:DWORD dst_unused:UNUSED_PAD src0_sel:WORD_1 src1_sel:DWORD
	v_or_b32_sdwa v0, v39, v0 dst_sel:DWORD dst_unused:UNUSED_PAD src0_sel:BYTE_0 src1_sel:DWORD
	v_or_b32_sdwa v1, v20, v1 dst_sel:WORD_1 dst_unused:UNUSED_PAD src0_sel:DWORD src1_sel:DWORD
	v_mbcnt_hi_u32_b32 v75, -1, v66
	v_and_b32_e32 v76, 0x3c0, v36
	v_or_b32_sdwa v1, v0, v1 dst_sel:DWORD dst_unused:UNUSED_PAD src0_sel:WORD_0 src1_sel:DWORD
	v_lshlrev_b16_e32 v0, 8, v64
	v_lshlrev_b16_e32 v20, 8, v40
	v_and_b32_sdwa v21, v38, s4 dst_sel:DWORD dst_unused:UNUSED_PAD src0_sel:WORD_1 src1_sel:DWORD
	v_add_u32_e32 v18, v75, v76
	v_or_b32_sdwa v0, v38, v0 dst_sel:DWORD dst_unused:UNUSED_PAD src0_sel:BYTE_0 src1_sel:DWORD
	v_or_b32_sdwa v20, v21, v20 dst_sel:WORD_1 dst_unused:UNUSED_PAD src0_sel:DWORD src1_sel:DWORD
	v_lshlrev_b32_e32 v19, 3, v18
	v_or_b32_sdwa v0, v0, v20 dst_sel:DWORD dst_unused:UNUSED_PAD src0_sel:WORD_0 src1_sel:DWORD
	s_movk_i32 s4, 0x1e00
	ds_write_b64 v19, v[0:1]
	v_and_or_b32 v0, v53, s4, v75
	; wave barrier
	ds_read_u8 v67, v0
	ds_read_u8 v68, v0 offset:64
	ds_read_u8 v69, v0 offset:128
	;; [unrolled: 1-line block ×7, first 2 shown]
	v_lshlrev_b32_e32 v1, 6, v18
	v_lshlrev_b32_e32 v0, 3, v0
	s_getpc_b64 s[4:5]
	s_add_u32 s4, s4, _ZN7rocprim17ROCPRIM_400000_NS16block_radix_sortIbLj128ELj8ElLj1ELj1ELj0ELNS0_26block_radix_rank_algorithmE1ELNS0_18block_padding_hintE2ELNS0_4arch9wavefront6targetE1EE19radix_bits_per_passE@rel32@lo+4
	s_addc_u32 s5, s5, _ZN7rocprim17ROCPRIM_400000_NS16block_radix_sortIbLj128ELj8ElLj1ELj1ELj0ELNS0_26block_radix_rank_algorithmE1ELNS0_18block_padding_hintE2ELNS0_4arch9wavefront6targetE1EE19radix_bits_per_passE@rel32@hi+12
	s_waitcnt lgkmcnt(0)
	s_barrier
	ds_write2_b64 v1, v[14:15], v[16:17] offset1:1
	ds_write2_b64 v1, v[10:11], v[12:13] offset0:2 offset1:3
	ds_write2_b64 v1, v[6:7], v[8:9] offset0:4 offset1:5
	;; [unrolled: 1-line block ×3, first 2 shown]
	; wave barrier
	ds_read2st64_b64 v[30:33], v0 offset1:1
	ds_read2st64_b64 v[26:29], v0 offset0:2 offset1:3
	ds_read2st64_b64 v[22:25], v0 offset0:4 offset1:5
	;; [unrolled: 1-line block ×3, first 2 shown]
	s_waitcnt lgkmcnt(0)
	s_barrier
	s_load_dword s18, s[4:5], 0x0
	s_load_dword s19, s[54:55], 0xc
	s_waitcnt lgkmcnt(0)
	s_min_u32 s18, s18, 8
	s_lshr_b32 s4, s19, 16
	s_and_b32 s5, s19, 0xffff
	v_mad_u32_u24 v0, v63, s4, v62
	v_mad_u64_u32 v[0:1], s[4:5], v0, s5, v[36:37]
	s_lshl_b32 s4, -1, s18
	s_not_b32 s18, s4
	v_lshrrev_b32_e32 v42, 6, v0
	v_and_b32_e32 v0, s18, v67
	v_mov_b32_e32 v1, 0
	v_and_b32_e32 v0, 1, v0
	ds_write2_b32 v61, v1, v1 offset0:2 offset1:3
	ds_write2_b32 v61, v1, v1 offset0:4 offset1:5
	v_lshlrev_b32_e32 v1, 1, v0
	v_cmp_ne_u32_e32 vcc, 0, v0
	v_add_co_u32_e64 v0, s[4:5], -1, v0
	v_add_lshl_u32 v77, v42, v1, 2
	v_addc_co_u32_e64 v1, s[4:5], 0, -1, s[4:5]
	v_xor_b32_e32 v0, vcc_lo, v0
	v_xor_b32_e32 v1, vcc_hi, v1
	v_and_b32_e32 v0, exec_lo, v0
	v_and_b32_e32 v1, exec_hi, v1
	v_mbcnt_lo_u32_b32 v43, v0, 0
	v_mbcnt_hi_u32_b32 v78, v1, v43
	v_cmp_eq_u32_e32 vcc, 0, v78
	v_cmp_ne_u64_e64 s[4:5], 0, v[0:1]
	s_and_b64 s[20:21], s[4:5], vcc
	s_waitcnt lgkmcnt(0)
	s_barrier
	s_waitcnt lgkmcnt(0)
	; wave barrier
	s_and_saveexec_b64 s[4:5], s[20:21]
	s_cbranch_execz .LBB272_35
; %bb.34:
	v_bcnt_u32_b32 v0, v0, 0
	v_bcnt_u32_b32 v0, v1, v0
	ds_write_b32 v77, v0 offset:8
.LBB272_35:
	s_or_b64 exec, exec, s[4:5]
	v_and_b32_e32 v0, s18, v68
	v_and_b32_e32 v0, 0xff, v0
	v_lshlrev_b32_e32 v1, 1, v0
	v_cmp_ne_u32_e32 vcc, 0, v0
	v_add_co_u32_e64 v0, s[4:5], -1, v0
	v_add_lshl_u32 v80, v42, v1, 2
	v_addc_co_u32_e64 v1, s[4:5], 0, -1, s[4:5]
	v_xor_b32_e32 v0, vcc_lo, v0
	; wave barrier
	ds_read_b32 v79, v80 offset:8
	v_xor_b32_e32 v1, vcc_hi, v1
	v_and_b32_e32 v0, exec_lo, v0
	v_and_b32_e32 v1, exec_hi, v1
	v_mbcnt_lo_u32_b32 v43, v0, 0
	v_mbcnt_hi_u32_b32 v81, v1, v43
	v_cmp_eq_u32_e32 vcc, 0, v81
	v_cmp_ne_u64_e64 s[4:5], 0, v[0:1]
	s_and_b64 s[20:21], s[4:5], vcc
	; wave barrier
	s_and_saveexec_b64 s[4:5], s[20:21]
	s_cbranch_execz .LBB272_37
; %bb.36:
	v_bcnt_u32_b32 v0, v0, 0
	v_bcnt_u32_b32 v0, v1, v0
	s_waitcnt lgkmcnt(0)
	v_add_u32_e32 v0, v79, v0
	ds_write_b32 v80, v0 offset:8
.LBB272_37:
	s_or_b64 exec, exec, s[4:5]
	v_and_b32_e32 v0, s18, v69
	v_and_b32_e32 v0, 0xff, v0
	v_lshlrev_b32_e32 v1, 1, v0
	v_cmp_ne_u32_e32 vcc, 0, v0
	v_add_co_u32_e64 v0, s[4:5], -1, v0
	v_add_lshl_u32 v83, v42, v1, 2
	v_addc_co_u32_e64 v1, s[4:5], 0, -1, s[4:5]
	v_xor_b32_e32 v0, vcc_lo, v0
	; wave barrier
	ds_read_b32 v82, v83 offset:8
	v_xor_b32_e32 v1, vcc_hi, v1
	v_and_b32_e32 v0, exec_lo, v0
	v_and_b32_e32 v1, exec_hi, v1
	v_mbcnt_lo_u32_b32 v43, v0, 0
	v_mbcnt_hi_u32_b32 v84, v1, v43
	v_cmp_eq_u32_e32 vcc, 0, v84
	v_cmp_ne_u64_e64 s[4:5], 0, v[0:1]
	s_and_b64 s[20:21], s[4:5], vcc
	; wave barrier
	s_and_saveexec_b64 s[4:5], s[20:21]
	s_cbranch_execz .LBB272_39
; %bb.38:
	v_bcnt_u32_b32 v0, v0, 0
	v_bcnt_u32_b32 v0, v1, v0
	s_waitcnt lgkmcnt(0)
	v_add_u32_e32 v0, v82, v0
	ds_write_b32 v83, v0 offset:8
.LBB272_39:
	;; [unrolled: 29-line block ×6, first 2 shown]
	s_or_b64 exec, exec, s[4:5]
	v_and_b32_e32 v0, s18, v74
	v_and_b32_e32 v0, 0xff, v0
	v_lshlrev_b32_e32 v1, 1, v0
	v_cmp_ne_u32_e32 vcc, 0, v0
	v_add_co_u32_e64 v0, s[4:5], -1, v0
	v_add_lshl_u32 v98, v42, v1, 2
	v_addc_co_u32_e64 v1, s[4:5], 0, -1, s[4:5]
	v_xor_b32_e32 v0, vcc_lo, v0
	; wave barrier
	ds_read_b32 v97, v98 offset:8
	v_xor_b32_e32 v1, vcc_hi, v1
	v_and_b32_e32 v0, exec_lo, v0
	v_and_b32_e32 v1, exec_hi, v1
	v_mbcnt_lo_u32_b32 v42, v0, 0
	v_mbcnt_hi_u32_b32 v99, v1, v42
	v_cmp_eq_u32_e32 vcc, 0, v99
	v_cmp_ne_u64_e64 s[4:5], 0, v[0:1]
	v_or_b32_e32 v100, 8, v61
	s_and_b64 s[18:19], s[4:5], vcc
	; wave barrier
	s_and_saveexec_b64 s[4:5], s[18:19]
	s_cbranch_execz .LBB272_49
; %bb.48:
	v_bcnt_u32_b32 v0, v0, 0
	v_bcnt_u32_b32 v0, v1, v0
	s_waitcnt lgkmcnt(0)
	v_add_u32_e32 v0, v97, v0
	ds_write_b32 v98, v0 offset:8
.LBB272_49:
	s_or_b64 exec, exec, s[4:5]
	; wave barrier
	s_waitcnt lgkmcnt(0)
	s_barrier
	ds_read2_b32 v[0:1], v61 offset0:2 offset1:3
	ds_read2_b32 v[42:43], v100 offset0:2 offset1:3
	v_min_u32_e32 v76, 64, v76
	v_or_b32_e32 v76, 63, v76
	s_waitcnt lgkmcnt(1)
	v_add_u32_e32 v101, v1, v0
	s_waitcnt lgkmcnt(0)
	v_add3_u32 v43, v101, v42, v43
	v_and_b32_e32 v101, 15, v75
	v_cmp_ne_u32_e32 vcc, 0, v101
	v_mov_b32_dpp v102, v43 row_shr:1 row_mask:0xf bank_mask:0xf
	v_cndmask_b32_e32 v102, 0, v102, vcc
	v_add_u32_e32 v43, v102, v43
	v_cmp_lt_u32_e32 vcc, 1, v101
	s_nop 0
	v_mov_b32_dpp v102, v43 row_shr:2 row_mask:0xf bank_mask:0xf
	v_cndmask_b32_e32 v102, 0, v102, vcc
	v_add_u32_e32 v43, v43, v102
	v_cmp_lt_u32_e32 vcc, 3, v101
	s_nop 0
	;; [unrolled: 5-line block ×3, first 2 shown]
	v_mov_b32_dpp v102, v43 row_shr:8 row_mask:0xf bank_mask:0xf
	v_cndmask_b32_e32 v101, 0, v102, vcc
	v_add_u32_e32 v43, v43, v101
	v_bfe_i32 v102, v75, 4, 1
	v_cmp_lt_u32_e32 vcc, 31, v75
	v_mov_b32_dpp v101, v43 row_bcast:15 row_mask:0xf bank_mask:0xf
	v_and_b32_e32 v101, v102, v101
	v_add_u32_e32 v43, v43, v101
	s_nop 1
	v_mov_b32_dpp v101, v43 row_bcast:31 row_mask:0xf bank_mask:0xf
	v_cndmask_b32_e32 v101, 0, v101, vcc
	v_add_u32_e32 v43, v43, v101
	v_lshrrev_b32_e32 v101, 6, v36
	v_cmp_eq_u32_e32 vcc, v76, v36
	s_and_saveexec_b64 s[4:5], vcc
	s_cbranch_execz .LBB272_51
; %bb.50:
	v_lshlrev_b32_e32 v76, 2, v101
	ds_write_b32 v76, v43
.LBB272_51:
	s_or_b64 exec, exec, s[4:5]
	v_cmp_gt_u32_e32 vcc, 2, v36
	s_waitcnt lgkmcnt(0)
	s_barrier
	s_and_saveexec_b64 s[4:5], vcc
	s_cbranch_execz .LBB272_53
; %bb.52:
	v_lshlrev_b32_e32 v76, 2, v36
	ds_read_b32 v102, v76
	v_bfe_i32 v103, v75, 0, 1
	s_waitcnt lgkmcnt(0)
	v_mov_b32_dpp v104, v102 row_shr:1 row_mask:0xf bank_mask:0xf
	v_and_b32_e32 v103, v103, v104
	v_add_u32_e32 v102, v103, v102
	ds_write_b32 v76, v102
.LBB272_53:
	s_or_b64 exec, exec, s[4:5]
	v_cmp_lt_u32_e32 vcc, 63, v36
	v_mov_b32_e32 v76, 0
	s_waitcnt lgkmcnt(0)
	s_barrier
	s_and_saveexec_b64 s[4:5], vcc
	s_cbranch_execz .LBB272_55
; %bb.54:
	v_lshl_add_u32 v76, v101, 2, -4
	ds_read_b32 v76, v76
.LBB272_55:
	s_or_b64 exec, exec, s[4:5]
	v_add_u32_e32 v101, -1, v75
	v_and_b32_e32 v102, 64, v75
	v_cmp_lt_i32_e32 vcc, v101, v102
	v_cndmask_b32_e32 v101, v101, v75, vcc
	s_waitcnt lgkmcnt(0)
	v_add_u32_e32 v43, v76, v43
	v_lshlrev_b32_e32 v101, 2, v101
	ds_bpermute_b32 v43, v101, v43
	v_cmp_eq_u32_e32 vcc, 0, v75
	s_waitcnt lgkmcnt(0)
	v_cndmask_b32_e32 v43, v43, v76, vcc
	v_cmp_ne_u32_e32 vcc, 0, v36
	v_cndmask_b32_e32 v43, 0, v43, vcc
	v_add_u32_e32 v0, v43, v0
	v_add_u32_e32 v1, v0, v1
	;; [unrolled: 1-line block ×3, first 2 shown]
	ds_write2_b32 v61, v43, v0 offset0:2 offset1:3
	ds_write2_b32 v100, v1, v42 offset0:2 offset1:3
	s_waitcnt lgkmcnt(0)
	s_barrier
	ds_read_b32 v0, v77 offset:8
	ds_read_b32 v1, v80 offset:8
	;; [unrolled: 1-line block ×8, first 2 shown]
	s_waitcnt lgkmcnt(7)
	v_add_u32_e32 v78, v0, v78
	s_waitcnt lgkmcnt(6)
	v_add3_u32 v79, v81, v79, v1
	s_waitcnt lgkmcnt(5)
	v_add3_u32 v42, v84, v82, v42
	;; [unrolled: 2-line block ×7, first 2 shown]
	s_barrier
	ds_write_b8 v78, v67
	ds_write_b8 v79, v68
	;; [unrolled: 1-line block ×8, first 2 shown]
	v_lshlrev_b32_e32 v67, 3, v78
	s_waitcnt lgkmcnt(0)
	s_barrier
	ds_read_b64 v[0:1], v53
	s_waitcnt lgkmcnt(0)
	s_barrier
	ds_write_b64 v67, v[30:31]
	v_lshlrev_b32_e32 v30, 3, v79
	ds_write_b64 v30, v[32:33]
	v_lshlrev_b32_e32 v30, 3, v42
	;; [unrolled: 2-line block ×7, first 2 shown]
	v_lshlrev_b32_e32 v30, 3, v53
	ds_write_b64 v18, v[20:21]
	s_waitcnt lgkmcnt(0)
	s_barrier
	ds_read2_b64 v[18:21], v30 offset1:1
	ds_read2_b64 v[22:25], v30 offset0:2 offset1:3
	ds_read2_b64 v[26:29], v30 offset0:4 offset1:5
	;; [unrolled: 1-line block ×3, first 2 shown]
	s_branch .LBB272_87
.LBB272_56:
	v_mov_b32_e32 v35, 0
	v_lshlrev_b64 v[2:3], 3, v[34:35]
	v_mov_b32_e32 v4, s33
	v_add_co_u32_e32 v2, vcc, s31, v2
	v_addc_co_u32_e32 v3, vcc, v4, v3, vcc
	global_load_dwordx2 v[2:3], v[2:3], off
	v_mov_b32_e32 v4, v35
	v_mov_b32_e32 v5, v35
	;; [unrolled: 1-line block ×14, first 2 shown]
	s_or_b64 exec, exec, s[4:5]
	s_and_saveexec_b64 s[4:5], s[2:3]
	s_cbranch_execz .LBB272_25
.LBB272_57:
	v_mul_lo_u32 v4, v32, s34
	v_mov_b32_e32 v5, 0
	v_lshlrev_b64 v[4:5], 3, v[4:5]
	v_mov_b32_e32 v32, s33
	v_add_co_u32_e32 v4, vcc, s31, v4
	v_addc_co_u32_e32 v5, vcc, v32, v5, vcc
	global_load_dwordx2 v[4:5], v[4:5], off
	s_or_b64 exec, exec, s[4:5]
	s_and_saveexec_b64 s[4:5], s[16:17]
	s_cbranch_execz .LBB272_26
.LBB272_58:
	v_mul_lo_u32 v6, v31, s34
	v_mov_b32_e32 v7, 0
	v_lshlrev_b64 v[6:7], 3, v[6:7]
	v_mov_b32_e32 v31, s33
	v_add_co_u32_e32 v6, vcc, s31, v6
	v_addc_co_u32_e32 v7, vcc, v31, v7, vcc
	global_load_dwordx2 v[6:7], v[6:7], off
	s_or_b64 exec, exec, s[4:5]
	s_and_saveexec_b64 s[4:5], s[6:7]
	s_cbranch_execz .LBB272_27
.LBB272_59:
	v_mul_lo_u32 v8, v30, s34
	v_mov_b32_e32 v9, 0
	v_lshlrev_b64 v[8:9], 3, v[8:9]
	v_mov_b32_e32 v30, s33
	v_add_co_u32_e32 v8, vcc, s31, v8
	v_addc_co_u32_e32 v9, vcc, v30, v9, vcc
	global_load_dwordx2 v[8:9], v[8:9], off
	s_or_b64 exec, exec, s[4:5]
	s_and_saveexec_b64 s[4:5], s[8:9]
	s_cbranch_execz .LBB272_28
.LBB272_60:
	v_mul_lo_u32 v10, v29, s34
	v_mov_b32_e32 v11, 0
	v_lshlrev_b64 v[10:11], 3, v[10:11]
	v_mov_b32_e32 v29, s33
	v_add_co_u32_e32 v10, vcc, s31, v10
	v_addc_co_u32_e32 v11, vcc, v29, v11, vcc
	global_load_dwordx2 v[10:11], v[10:11], off
	s_or_b64 exec, exec, s[4:5]
	s_and_saveexec_b64 s[4:5], s[10:11]
	s_cbranch_execz .LBB272_29
.LBB272_61:
	v_mul_lo_u32 v12, v28, s34
	v_mov_b32_e32 v13, 0
	v_lshlrev_b64 v[12:13], 3, v[12:13]
	v_mov_b32_e32 v28, s33
	v_add_co_u32_e32 v12, vcc, s31, v12
	v_addc_co_u32_e32 v13, vcc, v28, v13, vcc
	global_load_dwordx2 v[12:13], v[12:13], off
	s_or_b64 exec, exec, s[4:5]
	s_and_saveexec_b64 s[4:5], s[12:13]
	s_cbranch_execz .LBB272_30
.LBB272_62:
	v_mul_lo_u32 v14, v27, s34
	v_mov_b32_e32 v15, 0
	v_lshlrev_b64 v[14:15], 3, v[14:15]
	v_mov_b32_e32 v27, s33
	v_add_co_u32_e32 v14, vcc, s31, v14
	v_addc_co_u32_e32 v15, vcc, v27, v15, vcc
	global_load_dwordx2 v[14:15], v[14:15], off
	s_or_b64 exec, exec, s[4:5]
	s_and_saveexec_b64 s[4:5], s[14:15]
	s_cbranch_execnz .LBB272_31
	s_branch .LBB272_32
.LBB272_63:
                                        ; implicit-def: $vgpr1
                                        ; implicit-def: $vgpr32_vgpr33
                                        ; implicit-def: $vgpr28_vgpr29
                                        ; implicit-def: $vgpr24_vgpr25
                                        ; implicit-def: $vgpr20_vgpr21
	s_cbranch_execz .LBB272_87
; %bb.64:
	v_and_b32_e32 v0, 1, v65
	v_cmp_eq_u32_e32 vcc, 1, v0
	v_and_b32_e32 v0, 1, v39
	v_cmp_eq_u32_e64 s[4:5], 1, v0
	v_mov_b32_e32 v0, 1
	v_and_b32_sdwa v1, v0, v39 dst_sel:DWORD dst_unused:UNUSED_PAD src0_sel:DWORD src1_sel:BYTE_3
	v_cmp_eq_u32_e64 s[18:19], 1, v1
	v_and_b32_sdwa v1, v0, v39 dst_sel:DWORD dst_unused:UNUSED_PAD src0_sel:DWORD src1_sel:WORD_1
	v_cmp_eq_u32_e64 s[20:21], 1, v1
	v_and_b32_e32 v1, 1, v64
	v_cmp_eq_u32_e64 s[22:23], 1, v1
	v_and_b32_e32 v1, 1, v38
	v_and_b32_sdwa v0, v0, v38 dst_sel:DWORD dst_unused:UNUSED_PAD src0_sel:DWORD src1_sel:WORD_1
	s_xor_b64 s[36:37], vcc, -1
	v_cmp_eq_u32_e64 s[24:25], 1, v1
	v_and_b32_e32 v1, 1, v40
	v_cmp_eq_u32_e64 s[28:29], 1, v0
	v_cndmask_b32_e64 v0, 0, 1, s[36:37]
	s_xor_b64 s[4:5], s[4:5], -1
	v_cmp_eq_u32_e64 s[26:27], 1, v1
	v_lshlrev_b16_e32 v0, 8, v0
	v_cndmask_b32_e64 v1, 0, 1, s[4:5]
	s_xor_b64 s[4:5], s[18:19], -1
	v_or_b32_e32 v0, v1, v0
	v_cndmask_b32_e64 v1, 0, 1, s[4:5]
	s_xor_b64 s[4:5], s[20:21], -1
	v_lshlrev_b16_e32 v1, 8, v1
	s_waitcnt lgkmcnt(3)
	v_cndmask_b32_e64 v21, 0, 1, s[4:5]
	v_or_b32_sdwa v1, v21, v1 dst_sel:WORD_1 dst_unused:UNUSED_PAD src0_sel:DWORD src1_sel:DWORD
	s_xor_b64 s[4:5], s[22:23], -1
	v_or_b32_sdwa v1, v0, v1 dst_sel:DWORD dst_unused:UNUSED_PAD src0_sel:WORD_0 src1_sel:DWORD
	v_cndmask_b32_e64 v0, 0, 1, s[4:5]
	s_xor_b64 s[4:5], s[24:25], -1
	v_lshlrev_b16_e32 v0, 8, v0
	v_cndmask_b32_e64 v21, 0, 1, s[4:5]
	s_xor_b64 s[4:5], s[26:27], -1
	v_or_b32_e32 v0, v21, v0
	v_cndmask_b32_e64 v21, 0, 1, s[4:5]
	s_xor_b64 s[4:5], s[28:29], -1
	v_mbcnt_hi_u32_b32 v20, -1, v66
	s_waitcnt lgkmcnt(1)
	v_and_b32_e32 v29, 0x3c0, v36
	v_lshlrev_b16_e32 v21, 8, v21
	v_cndmask_b32_e64 v22, 0, 1, s[4:5]
	v_add_u32_e32 v18, v20, v29
	v_or_b32_sdwa v21, v22, v21 dst_sel:WORD_1 dst_unused:UNUSED_PAD src0_sel:DWORD src1_sel:DWORD
	v_lshlrev_b32_e32 v19, 3, v18
	v_or_b32_sdwa v0, v0, v21 dst_sel:DWORD dst_unused:UNUSED_PAD src0_sel:WORD_0 src1_sel:DWORD
	s_movk_i32 s4, 0x1e00
	ds_write_b64 v19, v[0:1]
	v_and_or_b32 v0, v53, s4, v20
	; wave barrier
	ds_read_u8 v21, v0
	ds_read_u8 v22, v0 offset:64
	ds_read_u8 v23, v0 offset:128
	;; [unrolled: 1-line block ×7, first 2 shown]
	v_lshlrev_b32_e32 v1, 6, v18
	v_lshlrev_b32_e32 v0, 3, v0
	s_getpc_b64 s[4:5]
	s_add_u32 s4, s4, _ZN7rocprim17ROCPRIM_400000_NS16block_radix_sortIbLj128ELj8ElLj1ELj1ELj0ELNS0_26block_radix_rank_algorithmE1ELNS0_18block_padding_hintE2ELNS0_4arch9wavefront6targetE1EE19radix_bits_per_passE@rel32@lo+4
	s_addc_u32 s5, s5, _ZN7rocprim17ROCPRIM_400000_NS16block_radix_sortIbLj128ELj8ElLj1ELj1ELj0ELNS0_26block_radix_rank_algorithmE1ELNS0_18block_padding_hintE2ELNS0_4arch9wavefront6targetE1EE19radix_bits_per_passE@rel32@hi+12
	s_waitcnt lgkmcnt(0)
	s_barrier
	ds_write2_b64 v1, v[14:15], v[16:17] offset1:1
	ds_write2_b64 v1, v[10:11], v[12:13] offset0:2 offset1:3
	ds_write2_b64 v1, v[6:7], v[8:9] offset0:4 offset1:5
	;; [unrolled: 1-line block ×3, first 2 shown]
	; wave barrier
	ds_read2st64_b64 v[12:15], v0 offset1:1
	ds_read2st64_b64 v[8:11], v0 offset0:2 offset1:3
	ds_read2st64_b64 v[4:7], v0 offset0:4 offset1:5
	;; [unrolled: 1-line block ×3, first 2 shown]
	s_waitcnt lgkmcnt(0)
	s_barrier
	s_load_dword s18, s[4:5], 0x0
	s_load_dword s19, s[54:55], 0xc
	s_waitcnt lgkmcnt(0)
	s_min_u32 s18, s18, 8
	s_lshr_b32 s4, s19, 16
	s_and_b32 s5, s19, 0xffff
	v_mad_u32_u24 v16, v63, s4, v62
	v_mad_u64_u32 v[16:17], s[4:5], v16, s5, v[36:37]
	s_lshl_b32 s4, -1, s18
	s_not_b32 s18, s4
	v_lshrrev_b32_e32 v18, 6, v16
	v_and_b32_e32 v16, s18, v21
	v_mov_b32_e32 v17, 0
	v_and_b32_e32 v16, 1, v16
	ds_write2_b32 v61, v17, v17 offset0:2 offset1:3
	ds_write2_b32 v61, v17, v17 offset0:4 offset1:5
	v_lshlrev_b32_e32 v17, 1, v16
	v_cmp_ne_u32_e32 vcc, 0, v16
	v_add_co_u32_e64 v16, s[4:5], -1, v16
	v_add_lshl_u32 v30, v18, v17, 2
	v_addc_co_u32_e64 v17, s[4:5], 0, -1, s[4:5]
	v_xor_b32_e32 v16, vcc_lo, v16
	v_xor_b32_e32 v17, vcc_hi, v17
	v_and_b32_e32 v16, exec_lo, v16
	v_and_b32_e32 v17, exec_hi, v17
	v_mbcnt_lo_u32_b32 v19, v16, 0
	v_mbcnt_hi_u32_b32 v31, v17, v19
	v_cmp_eq_u32_e32 vcc, 0, v31
	v_cmp_ne_u64_e64 s[4:5], 0, v[16:17]
	s_and_b64 s[20:21], s[4:5], vcc
	s_waitcnt lgkmcnt(0)
	s_barrier
	s_waitcnt lgkmcnt(0)
	; wave barrier
	s_and_saveexec_b64 s[4:5], s[20:21]
	s_cbranch_execz .LBB272_66
; %bb.65:
	v_bcnt_u32_b32 v16, v16, 0
	v_bcnt_u32_b32 v16, v17, v16
	ds_write_b32 v30, v16 offset:8
.LBB272_66:
	s_or_b64 exec, exec, s[4:5]
	v_and_b32_e32 v16, s18, v22
	v_and_b32_e32 v16, 0xff, v16
	v_lshlrev_b32_e32 v17, 1, v16
	v_cmp_ne_u32_e32 vcc, 0, v16
	v_add_co_u32_e64 v16, s[4:5], -1, v16
	v_add_lshl_u32 v33, v18, v17, 2
	v_addc_co_u32_e64 v17, s[4:5], 0, -1, s[4:5]
	v_xor_b32_e32 v16, vcc_lo, v16
	; wave barrier
	ds_read_b32 v32, v33 offset:8
	v_xor_b32_e32 v17, vcc_hi, v17
	v_and_b32_e32 v16, exec_lo, v16
	v_and_b32_e32 v17, exec_hi, v17
	v_mbcnt_lo_u32_b32 v19, v16, 0
	v_mbcnt_hi_u32_b32 v38, v17, v19
	v_cmp_eq_u32_e32 vcc, 0, v38
	v_cmp_ne_u64_e64 s[4:5], 0, v[16:17]
	s_and_b64 s[20:21], s[4:5], vcc
	; wave barrier
	s_and_saveexec_b64 s[4:5], s[20:21]
	s_cbranch_execz .LBB272_68
; %bb.67:
	v_bcnt_u32_b32 v16, v16, 0
	v_bcnt_u32_b32 v16, v17, v16
	s_waitcnt lgkmcnt(0)
	v_add_u32_e32 v16, v32, v16
	ds_write_b32 v33, v16 offset:8
.LBB272_68:
	s_or_b64 exec, exec, s[4:5]
	v_and_b32_e32 v16, s18, v23
	v_and_b32_e32 v16, 0xff, v16
	v_lshlrev_b32_e32 v17, 1, v16
	v_cmp_ne_u32_e32 vcc, 0, v16
	v_add_co_u32_e64 v16, s[4:5], -1, v16
	v_add_lshl_u32 v40, v18, v17, 2
	v_addc_co_u32_e64 v17, s[4:5], 0, -1, s[4:5]
	v_xor_b32_e32 v16, vcc_lo, v16
	; wave barrier
	ds_read_b32 v39, v40 offset:8
	v_xor_b32_e32 v17, vcc_hi, v17
	v_and_b32_e32 v16, exec_lo, v16
	v_and_b32_e32 v17, exec_hi, v17
	v_mbcnt_lo_u32_b32 v19, v16, 0
	v_mbcnt_hi_u32_b32 v42, v17, v19
	v_cmp_eq_u32_e32 vcc, 0, v42
	v_cmp_ne_u64_e64 s[4:5], 0, v[16:17]
	s_and_b64 s[20:21], s[4:5], vcc
	; wave barrier
	s_and_saveexec_b64 s[4:5], s[20:21]
	s_cbranch_execz .LBB272_70
; %bb.69:
	v_bcnt_u32_b32 v16, v16, 0
	v_bcnt_u32_b32 v16, v17, v16
	s_waitcnt lgkmcnt(0)
	v_add_u32_e32 v16, v39, v16
	ds_write_b32 v40, v16 offset:8
.LBB272_70:
	;; [unrolled: 29-line block ×6, first 2 shown]
	s_or_b64 exec, exec, s[4:5]
	v_and_b32_e32 v16, s18, v28
	v_and_b32_e32 v16, 0xff, v16
	v_lshlrev_b32_e32 v17, 1, v16
	v_cmp_ne_u32_e32 vcc, 0, v16
	v_add_co_u32_e64 v16, s[4:5], -1, v16
	v_add_lshl_u32 v74, v18, v17, 2
	v_addc_co_u32_e64 v17, s[4:5], 0, -1, s[4:5]
	v_xor_b32_e32 v16, vcc_lo, v16
	; wave barrier
	ds_read_b32 v73, v74 offset:8
	v_xor_b32_e32 v17, vcc_hi, v17
	v_and_b32_e32 v16, exec_lo, v16
	v_and_b32_e32 v17, exec_hi, v17
	v_mbcnt_lo_u32_b32 v18, v16, 0
	v_mbcnt_hi_u32_b32 v75, v17, v18
	v_cmp_eq_u32_e32 vcc, 0, v75
	v_cmp_ne_u64_e64 s[4:5], 0, v[16:17]
	v_or_b32_e32 v76, 8, v61
	s_and_b64 s[18:19], s[4:5], vcc
	; wave barrier
	s_and_saveexec_b64 s[4:5], s[18:19]
	s_cbranch_execz .LBB272_80
; %bb.79:
	v_bcnt_u32_b32 v16, v16, 0
	v_bcnt_u32_b32 v16, v17, v16
	s_waitcnt lgkmcnt(0)
	v_add_u32_e32 v16, v73, v16
	ds_write_b32 v74, v16 offset:8
.LBB272_80:
	s_or_b64 exec, exec, s[4:5]
	; wave barrier
	s_waitcnt lgkmcnt(0)
	s_barrier
	ds_read2_b32 v[16:17], v61 offset0:2 offset1:3
	ds_read2_b32 v[18:19], v76 offset0:2 offset1:3
	v_min_u32_e32 v29, 64, v29
	v_or_b32_e32 v29, 63, v29
	s_waitcnt lgkmcnt(1)
	v_add_u32_e32 v77, v17, v16
	s_waitcnt lgkmcnt(0)
	v_add3_u32 v19, v77, v18, v19
	v_and_b32_e32 v77, 15, v20
	v_cmp_ne_u32_e32 vcc, 0, v77
	v_mov_b32_dpp v78, v19 row_shr:1 row_mask:0xf bank_mask:0xf
	v_cndmask_b32_e32 v78, 0, v78, vcc
	v_add_u32_e32 v19, v78, v19
	v_cmp_lt_u32_e32 vcc, 1, v77
	s_nop 0
	v_mov_b32_dpp v78, v19 row_shr:2 row_mask:0xf bank_mask:0xf
	v_cndmask_b32_e32 v78, 0, v78, vcc
	v_add_u32_e32 v19, v19, v78
	v_cmp_lt_u32_e32 vcc, 3, v77
	s_nop 0
	;; [unrolled: 5-line block ×3, first 2 shown]
	v_mov_b32_dpp v78, v19 row_shr:8 row_mask:0xf bank_mask:0xf
	v_cndmask_b32_e32 v77, 0, v78, vcc
	v_add_u32_e32 v19, v19, v77
	v_bfe_i32 v78, v20, 4, 1
	v_cmp_lt_u32_e32 vcc, 31, v20
	v_mov_b32_dpp v77, v19 row_bcast:15 row_mask:0xf bank_mask:0xf
	v_and_b32_e32 v77, v78, v77
	v_add_u32_e32 v19, v19, v77
	s_nop 1
	v_mov_b32_dpp v77, v19 row_bcast:31 row_mask:0xf bank_mask:0xf
	v_cndmask_b32_e32 v77, 0, v77, vcc
	v_add_u32_e32 v19, v19, v77
	v_lshrrev_b32_e32 v77, 6, v36
	v_cmp_eq_u32_e32 vcc, v29, v36
	s_and_saveexec_b64 s[4:5], vcc
	s_cbranch_execz .LBB272_82
; %bb.81:
	v_lshlrev_b32_e32 v29, 2, v77
	ds_write_b32 v29, v19
.LBB272_82:
	s_or_b64 exec, exec, s[4:5]
	v_cmp_gt_u32_e32 vcc, 2, v36
	s_waitcnt lgkmcnt(0)
	s_barrier
	s_and_saveexec_b64 s[4:5], vcc
	s_cbranch_execz .LBB272_84
; %bb.83:
	v_lshlrev_b32_e32 v29, 2, v36
	ds_read_b32 v78, v29
	v_bfe_i32 v79, v20, 0, 1
	s_waitcnt lgkmcnt(0)
	v_mov_b32_dpp v80, v78 row_shr:1 row_mask:0xf bank_mask:0xf
	v_and_b32_e32 v79, v79, v80
	v_add_u32_e32 v78, v79, v78
	ds_write_b32 v29, v78
.LBB272_84:
	s_or_b64 exec, exec, s[4:5]
	v_cmp_lt_u32_e32 vcc, 63, v36
	v_mov_b32_e32 v29, 0
	s_waitcnt lgkmcnt(0)
	s_barrier
	s_and_saveexec_b64 s[4:5], vcc
	s_cbranch_execz .LBB272_86
; %bb.85:
	v_lshl_add_u32 v29, v77, 2, -4
	ds_read_b32 v29, v29
.LBB272_86:
	s_or_b64 exec, exec, s[4:5]
	v_add_u32_e32 v77, -1, v20
	v_and_b32_e32 v78, 64, v20
	v_cmp_lt_i32_e32 vcc, v77, v78
	v_cndmask_b32_e32 v77, v77, v20, vcc
	s_waitcnt lgkmcnt(0)
	v_add_u32_e32 v19, v29, v19
	v_lshlrev_b32_e32 v77, 2, v77
	ds_bpermute_b32 v19, v77, v19
	v_cmp_eq_u32_e32 vcc, 0, v20
	s_waitcnt lgkmcnt(0)
	v_cndmask_b32_e32 v19, v19, v29, vcc
	v_cmp_ne_u32_e32 vcc, 0, v36
	v_cndmask_b32_e32 v19, 0, v19, vcc
	v_add_u32_e32 v16, v19, v16
	v_add_u32_e32 v17, v16, v17
	;; [unrolled: 1-line block ×3, first 2 shown]
	ds_write2_b32 v61, v19, v16 offset0:2 offset1:3
	ds_write2_b32 v76, v17, v18 offset0:2 offset1:3
	s_waitcnt lgkmcnt(0)
	s_barrier
	ds_read_b32 v16, v30 offset:8
	ds_read_b32 v17, v33 offset:8
	;; [unrolled: 1-line block ×8, first 2 shown]
	s_waitcnt lgkmcnt(7)
	v_add_u32_e32 v31, v16, v31
	s_waitcnt lgkmcnt(6)
	v_add3_u32 v32, v38, v32, v17
	s_waitcnt lgkmcnt(5)
	v_add3_u32 v18, v42, v39, v18
	;; [unrolled: 2-line block ×7, first 2 shown]
	s_barrier
	ds_write_b8 v31, v21
	ds_write_b8 v32, v22
	ds_write_b8 v18, v23
	ds_write_b8 v19, v24
	ds_write_b8 v20, v25
	ds_write_b8 v29, v26
	ds_write_b8 v30, v27
	ds_write_b8 v33, v28
	v_lshlrev_b32_e32 v21, 3, v31
	s_waitcnt lgkmcnt(0)
	s_barrier
	ds_read_b64 v[16:17], v53
	s_waitcnt lgkmcnt(0)
	s_barrier
	ds_write_b64 v21, v[12:13]
	v_lshlrev_b32_e32 v12, 3, v32
	ds_write_b64 v12, v[14:15]
	v_lshlrev_b32_e32 v12, 3, v18
	;; [unrolled: 2-line block ×8, first 2 shown]
	s_waitcnt lgkmcnt(0)
	s_barrier
	ds_read2_b64 v[18:21], v0 offset1:1
	ds_read2_b64 v[22:25], v0 offset0:2 offset1:3
	ds_read2_b64 v[26:29], v0 offset0:4 offset1:5
	;; [unrolled: 1-line block ×3, first 2 shown]
	v_lshrrev_b32_e32 v36, 8, v16
	v_mov_b32_e32 v1, 1
	v_lshrrev_b32_e32 v38, 8, v17
	v_xor_b32_e32 v0, 1, v16
	v_xor_b32_sdwa v2, v36, v1 dst_sel:BYTE_1 dst_unused:UNUSED_PAD src0_sel:DWORD src1_sel:DWORD
	v_xor_b32_sdwa v3, v16, v1 dst_sel:DWORD dst_unused:UNUSED_PAD src0_sel:WORD_1 src1_sel:DWORD
	v_xor_b32_sdwa v4, v16, v1 dst_sel:BYTE_1 dst_unused:UNUSED_PAD src0_sel:BYTE_3 src1_sel:DWORD
	v_xor_b32_e32 v5, 1, v17
	v_xor_b32_sdwa v6, v38, v1 dst_sel:BYTE_1 dst_unused:UNUSED_PAD src0_sel:DWORD src1_sel:DWORD
	v_xor_b32_sdwa v7, v17, v1 dst_sel:DWORD dst_unused:UNUSED_PAD src0_sel:WORD_1 src1_sel:DWORD
	v_xor_b32_sdwa v1, v17, v1 dst_sel:BYTE_1 dst_unused:UNUSED_PAD src0_sel:BYTE_3 src1_sel:DWORD
	v_or_b32_sdwa v0, v0, v2 dst_sel:DWORD dst_unused:UNUSED_PAD src0_sel:BYTE_0 src1_sel:DWORD
	v_or_b32_sdwa v2, v3, v4 dst_sel:WORD_1 dst_unused:UNUSED_PAD src0_sel:BYTE_0 src1_sel:DWORD
	v_or_b32_sdwa v0, v0, v2 dst_sel:DWORD dst_unused:UNUSED_PAD src0_sel:WORD_0 src1_sel:DWORD
	v_or_b32_sdwa v2, v5, v6 dst_sel:DWORD dst_unused:UNUSED_PAD src0_sel:BYTE_0 src1_sel:DWORD
	v_or_b32_sdwa v1, v7, v1 dst_sel:WORD_1 dst_unused:UNUSED_PAD src0_sel:BYTE_0 src1_sel:DWORD
	v_or_b32_sdwa v1, v2, v1 dst_sel:DWORD dst_unused:UNUSED_PAD src0_sel:WORD_0 src1_sel:DWORD
.LBB272_87:
	s_waitcnt lgkmcnt(0)
	s_barrier
	ds_write_b64 v52, v[0:1]
	s_waitcnt lgkmcnt(0)
	s_barrier
	ds_read_u8 v8, v45 offset:128
	ds_read_u8 v7, v46 offset:256
	;; [unrolled: 1-line block ×7, first 2 shown]
	v_mov_b32_e32 v1, s53
	v_add_co_u32_e32 v0, vcc, s52, v37
	v_addc_co_u32_e32 v1, vcc, 0, v1, vcc
	s_and_saveexec_b64 s[4:5], s[0:1]
	s_cbranch_execnz .LBB272_106
; %bb.88:
	s_or_b64 exec, exec, s[4:5]
	s_and_saveexec_b64 s[4:5], s[2:3]
	s_cbranch_execnz .LBB272_107
.LBB272_89:
	s_or_b64 exec, exec, s[4:5]
	s_and_saveexec_b64 s[4:5], s[16:17]
	s_cbranch_execnz .LBB272_108
.LBB272_90:
	s_or_b64 exec, exec, s[4:5]
	s_and_saveexec_b64 s[4:5], s[6:7]
	s_cbranch_execnz .LBB272_109
.LBB272_91:
	s_or_b64 exec, exec, s[4:5]
	s_and_saveexec_b64 s[4:5], s[8:9]
	s_cbranch_execnz .LBB272_110
.LBB272_92:
	s_or_b64 exec, exec, s[4:5]
	s_and_saveexec_b64 s[4:5], s[10:11]
	s_cbranch_execnz .LBB272_111
.LBB272_93:
	s_or_b64 exec, exec, s[4:5]
	s_and_saveexec_b64 s[4:5], s[12:13]
	s_cbranch_execnz .LBB272_112
.LBB272_94:
	s_or_b64 exec, exec, s[4:5]
	s_and_saveexec_b64 s[4:5], s[14:15]
	s_cbranch_execz .LBB272_96
.LBB272_95:
	s_mul_i32 s18, s30, 0x380
	v_add_co_u32_e32 v0, vcc, s18, v0
	v_addc_co_u32_e32 v1, vcc, 0, v1, vcc
	s_waitcnt lgkmcnt(0)
	global_store_byte v[0:1], v2, off
.LBB272_96:
	s_or_b64 exec, exec, s[4:5]
	s_waitcnt lgkmcnt(0)
	s_barrier
	ds_write2_b64 v60, v[18:19], v[20:21] offset1:1
	ds_write2_b64 v60, v[22:23], v[24:25] offset0:2 offset1:3
	ds_write2_b64 v60, v[26:27], v[28:29] offset0:4 offset1:5
	;; [unrolled: 1-line block ×3, first 2 shown]
	s_waitcnt lgkmcnt(0)
	s_barrier
	ds_read_b64 v[14:15], v35 offset:1024
	ds_read_b64 v[12:13], v54 offset:2048
	;; [unrolled: 1-line block ×7, first 2 shown]
	v_mov_b32_e32 v35, 0
	v_lshlrev_b64 v[2:3], 3, v[34:35]
	v_mov_b32_e32 v16, s33
	v_add_co_u32_e32 v2, vcc, s31, v2
	v_addc_co_u32_e32 v3, vcc, v16, v3, vcc
	s_and_saveexec_b64 s[4:5], s[0:1]
	s_cbranch_execnz .LBB272_113
; %bb.97:
	s_or_b64 exec, exec, s[4:5]
	s_and_saveexec_b64 s[0:1], s[2:3]
	s_cbranch_execnz .LBB272_114
.LBB272_98:
	s_or_b64 exec, exec, s[0:1]
	s_and_saveexec_b64 s[0:1], s[16:17]
	s_cbranch_execnz .LBB272_115
.LBB272_99:
	s_or_b64 exec, exec, s[0:1]
	s_and_saveexec_b64 s[0:1], s[6:7]
	s_cbranch_execnz .LBB272_116
.LBB272_100:
	s_or_b64 exec, exec, s[0:1]
	s_and_saveexec_b64 s[0:1], s[8:9]
	s_cbranch_execnz .LBB272_117
.LBB272_101:
	s_or_b64 exec, exec, s[0:1]
	s_and_saveexec_b64 s[0:1], s[10:11]
	s_cbranch_execnz .LBB272_118
.LBB272_102:
	s_or_b64 exec, exec, s[0:1]
	s_and_saveexec_b64 s[0:1], s[12:13]
	s_cbranch_execnz .LBB272_119
.LBB272_103:
	s_or_b64 exec, exec, s[0:1]
	s_and_saveexec_b64 s[0:1], s[14:15]
	s_cbranch_execz .LBB272_105
.LBB272_104:
	s_mul_i32 s0, s34, 0x380
	s_mov_b32 s1, 0
	s_lshl_b64 s[0:1], s[0:1], 3
	s_waitcnt lgkmcnt(1)
	v_mov_b32_e32 v4, s1
	v_add_co_u32_e32 v2, vcc, s0, v2
	v_addc_co_u32_e32 v3, vcc, v3, v4, vcc
	s_waitcnt lgkmcnt(0)
	global_store_dwordx2 v[2:3], v[0:1], off
.LBB272_105:
	s_endpgm
.LBB272_106:
	ds_read_u8 v9, v44
	s_waitcnt lgkmcnt(0)
	global_store_byte v[0:1], v9, off
	s_or_b64 exec, exec, s[4:5]
	s_and_saveexec_b64 s[4:5], s[2:3]
	s_cbranch_execz .LBB272_89
.LBB272_107:
	s_lshl_b32 s18, s30, 7
	v_add_co_u32_e32 v10, vcc, s18, v0
	v_addc_co_u32_e32 v11, vcc, 0, v1, vcc
	s_waitcnt lgkmcnt(6)
	global_store_byte v[10:11], v8, off
	s_or_b64 exec, exec, s[4:5]
	s_and_saveexec_b64 s[4:5], s[16:17]
	s_cbranch_execz .LBB272_90
.LBB272_108:
	s_lshl_b32 s18, s30, 8
	s_waitcnt lgkmcnt(6)
	v_add_co_u32_e32 v8, vcc, s18, v0
	v_addc_co_u32_e32 v9, vcc, 0, v1, vcc
	s_waitcnt lgkmcnt(5)
	global_store_byte v[8:9], v7, off
	s_or_b64 exec, exec, s[4:5]
	s_and_saveexec_b64 s[4:5], s[6:7]
	s_cbranch_execz .LBB272_91
.LBB272_109:
	s_mul_i32 s18, s30, 0x180
	s_waitcnt lgkmcnt(6)
	v_add_co_u32_e32 v8, vcc, s18, v0
	v_addc_co_u32_e32 v9, vcc, 0, v1, vcc
	s_waitcnt lgkmcnt(4)
	global_store_byte v[8:9], v6, off
	s_or_b64 exec, exec, s[4:5]
	s_and_saveexec_b64 s[4:5], s[8:9]
	s_cbranch_execz .LBB272_92
.LBB272_110:
	s_lshl_b32 s18, s30, 9
	s_waitcnt lgkmcnt(4)
	v_add_co_u32_e32 v6, vcc, s18, v0
	v_addc_co_u32_e32 v7, vcc, 0, v1, vcc
	s_waitcnt lgkmcnt(3)
	global_store_byte v[6:7], v5, off
	s_or_b64 exec, exec, s[4:5]
	s_and_saveexec_b64 s[4:5], s[10:11]
	s_cbranch_execz .LBB272_93
.LBB272_111:
	s_mul_i32 s18, s30, 0x280
	s_waitcnt lgkmcnt(4)
	v_add_co_u32_e32 v6, vcc, s18, v0
	v_addc_co_u32_e32 v7, vcc, 0, v1, vcc
	s_waitcnt lgkmcnt(2)
	global_store_byte v[6:7], v4, off
	s_or_b64 exec, exec, s[4:5]
	s_and_saveexec_b64 s[4:5], s[12:13]
	s_cbranch_execz .LBB272_94
.LBB272_112:
	s_mul_i32 s18, s30, 0x300
	s_waitcnt lgkmcnt(2)
	v_add_co_u32_e32 v4, vcc, s18, v0
	v_addc_co_u32_e32 v5, vcc, 0, v1, vcc
	s_waitcnt lgkmcnt(1)
	global_store_byte v[4:5], v3, off
	s_or_b64 exec, exec, s[4:5]
	s_and_saveexec_b64 s[4:5], s[14:15]
	s_cbranch_execnz .LBB272_95
	s_branch .LBB272_96
.LBB272_113:
	ds_read_b64 v[16:17], v41
	s_waitcnt lgkmcnt(0)
	global_store_dwordx2 v[2:3], v[16:17], off
	s_or_b64 exec, exec, s[4:5]
	s_and_saveexec_b64 s[0:1], s[2:3]
	s_cbranch_execz .LBB272_98
.LBB272_114:
	s_lshl_b32 s2, s34, 7
	s_mov_b32 s3, 0
	s_lshl_b64 s[2:3], s[2:3], 3
	v_mov_b32_e32 v17, s3
	v_add_co_u32_e32 v16, vcc, s2, v2
	v_addc_co_u32_e32 v17, vcc, v3, v17, vcc
	s_waitcnt lgkmcnt(6)
	global_store_dwordx2 v[16:17], v[14:15], off
	s_or_b64 exec, exec, s[0:1]
	s_and_saveexec_b64 s[0:1], s[16:17]
	s_cbranch_execz .LBB272_99
.LBB272_115:
	s_lshl_b32 s2, s34, 8
	s_mov_b32 s3, 0
	s_lshl_b64 s[2:3], s[2:3], 3
	s_waitcnt lgkmcnt(6)
	v_mov_b32_e32 v15, s3
	v_add_co_u32_e32 v14, vcc, s2, v2
	v_addc_co_u32_e32 v15, vcc, v3, v15, vcc
	s_waitcnt lgkmcnt(5)
	global_store_dwordx2 v[14:15], v[12:13], off
	s_or_b64 exec, exec, s[0:1]
	s_and_saveexec_b64 s[0:1], s[6:7]
	s_cbranch_execz .LBB272_100
.LBB272_116:
	s_mul_i32 s2, s34, 0x180
	s_mov_b32 s3, 0
	s_lshl_b64 s[2:3], s[2:3], 3
	s_waitcnt lgkmcnt(5)
	v_mov_b32_e32 v13, s3
	v_add_co_u32_e32 v12, vcc, s2, v2
	v_addc_co_u32_e32 v13, vcc, v3, v13, vcc
	s_waitcnt lgkmcnt(4)
	global_store_dwordx2 v[12:13], v[10:11], off
	s_or_b64 exec, exec, s[0:1]
	s_and_saveexec_b64 s[0:1], s[8:9]
	s_cbranch_execz .LBB272_101
.LBB272_117:
	s_lshl_b32 s2, s34, 9
	s_mov_b32 s3, 0
	s_lshl_b64 s[2:3], s[2:3], 3
	s_waitcnt lgkmcnt(4)
	v_mov_b32_e32 v11, s3
	v_add_co_u32_e32 v10, vcc, s2, v2
	v_addc_co_u32_e32 v11, vcc, v3, v11, vcc
	s_waitcnt lgkmcnt(3)
	global_store_dwordx2 v[10:11], v[8:9], off
	s_or_b64 exec, exec, s[0:1]
	s_and_saveexec_b64 s[0:1], s[10:11]
	s_cbranch_execz .LBB272_102
.LBB272_118:
	s_mul_i32 s2, s34, 0x280
	s_mov_b32 s3, 0
	s_lshl_b64 s[2:3], s[2:3], 3
	s_waitcnt lgkmcnt(3)
	v_mov_b32_e32 v9, s3
	v_add_co_u32_e32 v8, vcc, s2, v2
	v_addc_co_u32_e32 v9, vcc, v3, v9, vcc
	s_waitcnt lgkmcnt(2)
	global_store_dwordx2 v[8:9], v[6:7], off
	s_or_b64 exec, exec, s[0:1]
	s_and_saveexec_b64 s[0:1], s[12:13]
	s_cbranch_execz .LBB272_103
.LBB272_119:
	s_mul_i32 s2, s34, 0x300
	s_mov_b32 s3, 0
	s_lshl_b64 s[2:3], s[2:3], 3
	s_waitcnt lgkmcnt(2)
	v_mov_b32_e32 v7, s3
	v_add_co_u32_e32 v6, vcc, s2, v2
	v_addc_co_u32_e32 v7, vcc, v3, v7, vcc
	s_waitcnt lgkmcnt(1)
	global_store_dwordx2 v[6:7], v[4:5], off
	s_or_b64 exec, exec, s[0:1]
	s_and_saveexec_b64 s[0:1], s[14:15]
	s_cbranch_execnz .LBB272_104
	s_branch .LBB272_105
	.section	.rodata,"a",@progbits
	.p2align	6, 0x0
	.amdhsa_kernel _ZN2at6native18radixSortKVInPlaceILin1ELin1ELi128ELi8EbljEEvNS_4cuda6detail10TensorInfoIT3_T5_EES6_S6_S6_NS4_IT4_S6_EES6_b
		.amdhsa_group_segment_fixed_size 8448
		.amdhsa_private_segment_fixed_size 0
		.amdhsa_kernarg_size 712
		.amdhsa_user_sgpr_count 6
		.amdhsa_user_sgpr_private_segment_buffer 1
		.amdhsa_user_sgpr_dispatch_ptr 0
		.amdhsa_user_sgpr_queue_ptr 0
		.amdhsa_user_sgpr_kernarg_segment_ptr 1
		.amdhsa_user_sgpr_dispatch_id 0
		.amdhsa_user_sgpr_flat_scratch_init 0
		.amdhsa_user_sgpr_kernarg_preload_length 0
		.amdhsa_user_sgpr_kernarg_preload_offset 0
		.amdhsa_user_sgpr_private_segment_size 0
		.amdhsa_uses_dynamic_stack 0
		.amdhsa_system_sgpr_private_segment_wavefront_offset 0
		.amdhsa_system_sgpr_workgroup_id_x 1
		.amdhsa_system_sgpr_workgroup_id_y 1
		.amdhsa_system_sgpr_workgroup_id_z 1
		.amdhsa_system_sgpr_workgroup_info 0
		.amdhsa_system_vgpr_workitem_id 2
		.amdhsa_next_free_vgpr 105
		.amdhsa_next_free_sgpr 56
		.amdhsa_accum_offset 108
		.amdhsa_reserve_vcc 1
		.amdhsa_reserve_flat_scratch 0
		.amdhsa_float_round_mode_32 0
		.amdhsa_float_round_mode_16_64 0
		.amdhsa_float_denorm_mode_32 3
		.amdhsa_float_denorm_mode_16_64 3
		.amdhsa_dx10_clamp 1
		.amdhsa_ieee_mode 1
		.amdhsa_fp16_overflow 0
		.amdhsa_tg_split 0
		.amdhsa_exception_fp_ieee_invalid_op 0
		.amdhsa_exception_fp_denorm_src 0
		.amdhsa_exception_fp_ieee_div_zero 0
		.amdhsa_exception_fp_ieee_overflow 0
		.amdhsa_exception_fp_ieee_underflow 0
		.amdhsa_exception_fp_ieee_inexact 0
		.amdhsa_exception_int_div_zero 0
	.end_amdhsa_kernel
	.section	.text._ZN2at6native18radixSortKVInPlaceILin1ELin1ELi128ELi8EbljEEvNS_4cuda6detail10TensorInfoIT3_T5_EES6_S6_S6_NS4_IT4_S6_EES6_b,"axG",@progbits,_ZN2at6native18radixSortKVInPlaceILin1ELin1ELi128ELi8EbljEEvNS_4cuda6detail10TensorInfoIT3_T5_EES6_S6_S6_NS4_IT4_S6_EES6_b,comdat
.Lfunc_end272:
	.size	_ZN2at6native18radixSortKVInPlaceILin1ELin1ELi128ELi8EbljEEvNS_4cuda6detail10TensorInfoIT3_T5_EES6_S6_S6_NS4_IT4_S6_EES6_b, .Lfunc_end272-_ZN2at6native18radixSortKVInPlaceILin1ELin1ELi128ELi8EbljEEvNS_4cuda6detail10TensorInfoIT3_T5_EES6_S6_S6_NS4_IT4_S6_EES6_b
                                        ; -- End function
	.section	.AMDGPU.csdata,"",@progbits
; Kernel info:
; codeLenInByte = 8464
; NumSgprs: 60
; NumVgprs: 105
; NumAgprs: 0
; TotalNumVgprs: 105
; ScratchSize: 0
; MemoryBound: 0
; FloatMode: 240
; IeeeMode: 1
; LDSByteSize: 8448 bytes/workgroup (compile time only)
; SGPRBlocks: 7
; VGPRBlocks: 13
; NumSGPRsForWavesPerEU: 60
; NumVGPRsForWavesPerEU: 105
; AccumOffset: 108
; Occupancy: 4
; WaveLimiterHint : 1
; COMPUTE_PGM_RSRC2:SCRATCH_EN: 0
; COMPUTE_PGM_RSRC2:USER_SGPR: 6
; COMPUTE_PGM_RSRC2:TRAP_HANDLER: 0
; COMPUTE_PGM_RSRC2:TGID_X_EN: 1
; COMPUTE_PGM_RSRC2:TGID_Y_EN: 1
; COMPUTE_PGM_RSRC2:TGID_Z_EN: 1
; COMPUTE_PGM_RSRC2:TIDIG_COMP_CNT: 2
; COMPUTE_PGM_RSRC3_GFX90A:ACCUM_OFFSET: 26
; COMPUTE_PGM_RSRC3_GFX90A:TG_SPLIT: 0
	.section	.text._ZN2at6native18radixSortKVInPlaceILin1ELin1ELi32ELi4EbljEEvNS_4cuda6detail10TensorInfoIT3_T5_EES6_S6_S6_NS4_IT4_S6_EES6_b,"axG",@progbits,_ZN2at6native18radixSortKVInPlaceILin1ELin1ELi32ELi4EbljEEvNS_4cuda6detail10TensorInfoIT3_T5_EES6_S6_S6_NS4_IT4_S6_EES6_b,comdat
	.protected	_ZN2at6native18radixSortKVInPlaceILin1ELin1ELi32ELi4EbljEEvNS_4cuda6detail10TensorInfoIT3_T5_EES6_S6_S6_NS4_IT4_S6_EES6_b ; -- Begin function _ZN2at6native18radixSortKVInPlaceILin1ELin1ELi32ELi4EbljEEvNS_4cuda6detail10TensorInfoIT3_T5_EES6_S6_S6_NS4_IT4_S6_EES6_b
	.globl	_ZN2at6native18radixSortKVInPlaceILin1ELin1ELi32ELi4EbljEEvNS_4cuda6detail10TensorInfoIT3_T5_EES6_S6_S6_NS4_IT4_S6_EES6_b
	.p2align	8
	.type	_ZN2at6native18radixSortKVInPlaceILin1ELin1ELi32ELi4EbljEEvNS_4cuda6detail10TensorInfoIT3_T5_EES6_S6_S6_NS4_IT4_S6_EES6_b,@function
_ZN2at6native18radixSortKVInPlaceILin1ELin1ELi32ELi4EbljEEvNS_4cuda6detail10TensorInfoIT3_T5_EES6_S6_S6_NS4_IT4_S6_EES6_b: ; @_ZN2at6native18radixSortKVInPlaceILin1ELin1ELi32ELi4EbljEEvNS_4cuda6detail10TensorInfoIT3_T5_EES6_S6_S6_NS4_IT4_S6_EES6_b
; %bb.0:
	s_load_dwordx2 s[0:1], s[4:5], 0x1c8
	s_load_dwordx4 s[28:31], s[4:5], 0xd8
	s_waitcnt lgkmcnt(0)
	s_mul_i32 s1, s1, s8
	s_add_i32 s1, s1, s7
	s_mul_i32 s0, s1, s0
	s_add_i32 s16, s0, s6
	s_cmp_ge_u32 s16, s28
	s_cbranch_scc1 .LBB273_73
; %bb.1:
	s_load_dword s2, s[4:5], 0xd0
	s_mov_b32 s1, 0
	s_mov_b32 s0, s16
	s_waitcnt lgkmcnt(0)
	s_cmp_lt_i32 s2, 2
	s_cbranch_scc1 .LBB273_4
; %bb.2:
	s_add_i32 s0, s2, -1
	s_add_i32 s6, s2, 1
	s_lshl_b64 s[2:3], s[0:1], 2
	s_add_u32 s0, s2, s4
	s_addc_u32 s3, s3, s5
	s_add_u32 s2, s0, 8
	s_addc_u32 s3, s3, 0
	s_mov_b32 s0, s16
.LBB273_3:                              ; =>This Inner Loop Header: Depth=1
	s_load_dword s7, s[2:3], 0x0
	s_load_dword s9, s[2:3], 0x64
	s_mov_b32 s8, s0
	s_waitcnt lgkmcnt(0)
	v_cvt_f32_u32_e32 v1, s7
	s_sub_i32 s0, 0, s7
	v_rcp_iflag_f32_e32 v1, v1
	v_mul_f32_e32 v1, 0x4f7ffffe, v1
	v_cvt_u32_f32_e32 v1, v1
	v_readfirstlane_b32 s10, v1
	s_mul_i32 s0, s0, s10
	s_mul_hi_u32 s0, s10, s0
	s_add_i32 s10, s10, s0
	s_mul_hi_u32 s0, s8, s10
	s_mul_i32 s10, s0, s7
	s_sub_i32 s10, s8, s10
	s_add_i32 s11, s0, 1
	s_sub_i32 s12, s10, s7
	s_cmp_ge_u32 s10, s7
	s_cselect_b32 s0, s11, s0
	s_cselect_b32 s10, s12, s10
	s_add_i32 s11, s0, 1
	s_cmp_ge_u32 s10, s7
	s_cselect_b32 s0, s11, s0
	s_mul_i32 s7, s0, s7
	s_sub_i32 s7, s8, s7
	s_mul_i32 s7, s9, s7
	s_add_i32 s6, s6, -1
	s_add_i32 s1, s7, s1
	s_add_u32 s2, s2, -4
	s_addc_u32 s3, s3, -1
	s_cmp_gt_u32 s6, 2
	s_cbranch_scc1 .LBB273_3
.LBB273_4:
	s_load_dword s2, s[4:5], 0x1b8
	s_mov_b32 s13, 0
	s_waitcnt lgkmcnt(0)
	s_cmp_lt_i32 s2, 2
	s_cbranch_scc1 .LBB273_7
; %bb.5:
	s_add_i32 s12, s2, -1
	s_add_i32 s6, s2, 1
	s_lshl_b64 s[2:3], s[12:13], 2
	s_add_u32 s2, s2, s4
	s_addc_u32 s3, s3, s5
	s_add_u32 s2, s2, 0xf0
	s_addc_u32 s3, s3, 0
.LBB273_6:                              ; =>This Inner Loop Header: Depth=1
	s_load_dword s7, s[2:3], 0x0
	s_load_dword s9, s[2:3], 0x64
	s_mov_b32 s8, s16
	s_waitcnt lgkmcnt(0)
	v_cvt_f32_u32_e32 v1, s7
	s_sub_i32 s10, 0, s7
	v_rcp_iflag_f32_e32 v1, v1
	v_mul_f32_e32 v1, 0x4f7ffffe, v1
	v_cvt_u32_f32_e32 v1, v1
	v_readfirstlane_b32 s11, v1
	s_mul_i32 s10, s10, s11
	s_mul_hi_u32 s10, s11, s10
	s_add_i32 s11, s11, s10
	s_mul_hi_u32 s10, s16, s11
	s_mul_i32 s11, s10, s7
	s_sub_i32 s11, s16, s11
	s_add_i32 s12, s10, 1
	s_sub_i32 s14, s11, s7
	s_cmp_ge_u32 s11, s7
	s_cselect_b32 s10, s12, s10
	s_cselect_b32 s11, s14, s11
	s_add_i32 s12, s10, 1
	s_cmp_ge_u32 s11, s7
	s_cselect_b32 s16, s12, s10
	s_mul_i32 s7, s16, s7
	s_sub_i32 s7, s8, s7
	s_mul_i32 s7, s9, s7
	s_add_i32 s6, s6, -1
	s_add_i32 s13, s7, s13
	s_add_u32 s2, s2, -4
	s_addc_u32 s3, s3, -1
	s_cmp_gt_u32 s6, 2
	s_cbranch_scc1 .LBB273_6
.LBB273_7:
	s_load_dword s2, s[4:5], 0x6c
	s_load_dwordx2 s[34:35], s[4:5], 0x1c0
	s_load_dwordx2 s[6:7], s[4:5], 0x0
	v_mul_lo_u32 v28, v0, s30
	s_waitcnt lgkmcnt(0)
	s_mul_i32 s0, s2, s0
	s_add_i32 s2, s0, s1
	s_bitcmp1_b32 s35, 0
	s_cselect_b64 s[0:1], -1, 0
	s_add_u32 s36, s6, s2
	s_addc_u32 s37, s7, 0
	s_xor_b64 s[10:11], s[0:1], -1
	v_cndmask_b32_e64 v3, 0, 1, s[10:11]
	v_lshlrev_b16_e32 v1, 8, v3
	v_or_b32_e32 v1, v3, v1
	v_lshlrev_b32_e32 v2, 16, v1
	v_or_b32_sdwa v2, v1, v2 dst_sel:DWORD dst_unused:UNUSED_PAD src0_sel:WORD_0 src1_sel:DWORD
	v_cmp_gt_u32_e64 s[0:1], s29, v0
	s_and_saveexec_b64 s[2:3], s[0:1]
	s_cbranch_execz .LBB273_9
; %bb.8:
	global_load_ubyte v3, v28, s[36:37]
	s_mov_b32 s6, 0x3020104
	s_waitcnt vmcnt(0)
	v_perm_b32 v2, v3, v2, s6
.LBB273_9:
	s_or_b64 exec, exec, s[2:3]
	v_or_b32_e32 v1, 32, v0
	v_cmp_gt_u32_e64 s[6:7], s29, v1
	s_and_saveexec_b64 s[2:3], s[6:7]
	s_cbranch_execz .LBB273_11
; %bb.10:
	v_mul_lo_u32 v4, v1, s30
	global_load_ubyte v4, v4, s[36:37]
	s_mov_b32 s8, 0x7060004
	s_waitcnt vmcnt(0)
	v_perm_b32 v2, v2, v4, s8
.LBB273_11:
	s_or_b64 exec, exec, s[2:3]
	s_load_dwordx2 s[14:15], s[4:5], 0xe8
	v_or_b32_e32 v10, 64, v0
	v_cmp_gt_u32_e64 s[8:9], s29, v10
	s_and_saveexec_b64 s[2:3], s[8:9]
	s_cbranch_execz .LBB273_13
; %bb.12:
	v_mul_lo_u32 v4, v10, s30
	global_load_ubyte v4, v4, s[36:37]
	s_mov_b32 s12, 0x7000504
	s_waitcnt vmcnt(0)
	v_perm_b32 v2, v2, v4, s12
.LBB273_13:
	s_or_b64 exec, exec, s[2:3]
	s_load_dword s12, s[4:5], 0x154
	v_or_b32_e32 v11, 0x60, v0
	v_cmp_gt_u32_e64 s[2:3], s29, v11
	s_and_saveexec_b64 s[4:5], s[2:3]
	s_cbranch_execz .LBB273_15
; %bb.14:
	v_mul_lo_u32 v4, v11, s30
	global_load_ubyte v4, v4, s[36:37]
	s_mov_b32 s17, 0x60504
	s_waitcnt vmcnt(0)
	v_perm_b32 v2, v2, v4, s17
.LBB273_15:
	s_or_b64 exec, exec, s[4:5]
	ds_write_b8 v0, v3
	v_lshrrev_b32_e32 v3, 8, v2
	ds_write_b8 v0, v3 offset:32
	ds_write_b8_d16_hi v0, v2 offset:64
	v_lshrrev_b32_e32 v2, 24, v2
	v_lshlrev_b32_e32 v29, 2, v0
	ds_write_b8 v0, v2 offset:96
	s_waitcnt lgkmcnt(0)
	; wave barrier
	s_waitcnt lgkmcnt(0)
	ds_read_u8 v37, v29
	ds_read_u8 v36, v29 offset:1
	ds_read_u8 v35, v29 offset:2
	;; [unrolled: 1-line block ×3, first 2 shown]
	s_mul_i32 s4, s12, s16
	s_add_i32 s12, s4, s13
	s_mov_b32 s13, 0
	s_lshl_b64 s[4:5], s[12:13], 3
	s_add_u32 s31, s14, s4
	s_mov_b32 s12, s13
	s_addc_u32 s33, s15, s5
	s_mov_b32 s14, s13
	s_mov_b32 s15, s13
	;; [unrolled: 1-line block ×6, first 2 shown]
	v_pk_mov_b32 v[2:3], s[12:13], s[12:13] op_sel:[0,1]
	v_pk_mov_b32 v[4:5], s[14:15], s[14:15] op_sel:[0,1]
	;; [unrolled: 1-line block ×4, first 2 shown]
	v_pk_mov_b32 v[2:3], 0, 0
	v_mul_lo_u32 v18, v0, s34
	s_waitcnt lgkmcnt(0)
	; wave barrier
	s_waitcnt lgkmcnt(0)
	s_and_saveexec_b64 s[4:5], s[0:1]
	s_cbranch_execnz .LBB273_29
; %bb.16:
	s_or_b64 exec, exec, s[4:5]
	s_and_saveexec_b64 s[4:5], s[6:7]
	s_cbranch_execnz .LBB273_30
.LBB273_17:
	s_or_b64 exec, exec, s[4:5]
	s_and_saveexec_b64 s[4:5], s[8:9]
	s_cbranch_execz .LBB273_19
.LBB273_18:
	v_mul_lo_u32 v6, v10, s34
	v_mov_b32_e32 v7, 0
	v_lshlrev_b64 v[6:7], 3, v[6:7]
	v_mov_b32_e32 v12, s33
	v_add_co_u32_e32 v6, vcc, s31, v6
	v_addc_co_u32_e32 v7, vcc, v12, v7, vcc
	global_load_dwordx2 v[6:7], v[6:7], off
.LBB273_19:
	s_or_b64 exec, exec, s[4:5]
	v_lshrrev_b32_e32 v14, 5, v1
	v_lshrrev_b32_e32 v13, 5, v10
	v_lshrrev_b32_e32 v12, 5, v11
	v_lshrrev_b32_e32 v10, 3, v0
	s_and_saveexec_b64 s[4:5], s[2:3]
	s_cbranch_execz .LBB273_21
; %bb.20:
	v_mul_lo_u32 v8, v11, s34
	v_mov_b32_e32 v9, 0
	v_lshlrev_b64 v[8:9], 3, v[8:9]
	v_mov_b32_e32 v11, s33
	v_add_co_u32_e32 v8, vcc, s31, v8
	v_addc_co_u32_e32 v9, vcc, v11, v9, vcc
	global_load_dwordx2 v[8:9], v[8:9], off
.LBB273_21:
	s_or_b64 exec, exec, s[4:5]
	v_lshlrev_b32_e32 v30, 3, v0
	v_add_lshl_u32 v19, v14, v0, 3
	v_add_lshl_u32 v31, v13, v0, 3
	;; [unrolled: 1-line block ×4, first 2 shown]
	s_waitcnt vmcnt(0)
	ds_write_b64 v30, v[2:3]
	ds_write_b64 v19, v[4:5] offset:256
	ds_write_b64 v31, v[6:7] offset:512
	;; [unrolled: 1-line block ×3, first 2 shown]
	s_waitcnt lgkmcnt(0)
	; wave barrier
	s_waitcnt lgkmcnt(0)
	ds_read2_b64 v[2:5], v33 offset1:1
	ds_read2_b64 v[6:9], v33 offset0:2 offset1:3
	s_and_b64 vcc, exec, s[10:11]
	s_waitcnt lgkmcnt(0)
	; wave barrier
	s_waitcnt lgkmcnt(0)
	s_cbranch_vccz .LBB273_31
; %bb.22:
	s_movk_i32 s10, 0x100
	v_cmp_gt_u32_e32 vcc, s10, v0
	s_getpc_b64 s[4:5]
	s_add_u32 s4, s4, _ZN7rocprim17ROCPRIM_400000_NS16block_radix_sortIbLj32ELj4ElLj1ELj1ELj0ELNS0_26block_radix_rank_algorithmE1ELNS0_18block_padding_hintE2ELNS0_4arch9wavefront6targetE1EE19radix_bits_per_passE@rel32@lo+4
	s_addc_u32 s5, s5, _ZN7rocprim17ROCPRIM_400000_NS16block_radix_sortIbLj32ELj4ElLj1ELj1ELj0ELNS0_26block_radix_rank_algorithmE1ELNS0_18block_padding_hintE2ELNS0_4arch9wavefront6targetE1EE19radix_bits_per_passE@rel32@hi+12
	s_and_saveexec_b64 s[10:11], vcc
	s_cbranch_execz .LBB273_32
; %bb.23:
	s_mov_b32 s18, 0
	s_mov_b64 s[12:13], 0
	v_mov_b32_e32 v12, 0
	v_pk_mov_b32 v[10:11], v[0:1], v[0:1] op_sel:[0,1]
	s_branch .LBB273_25
.LBB273_24:                             ;   in Loop: Header=BB273_25 Depth=1
	s_or_b64 exec, exec, s[16:17]
	s_add_i32 s18, s18, 2
	v_cmp_eq_u32_e64 s[14:15], 8, s18
	v_add_u32_e32 v11, 64, v11
	s_or_b64 s[12:13], s[14:15], s[12:13]
	v_add_u32_e32 v10, 64, v10
	s_andn2_b64 exec, exec, s[12:13]
	s_cbranch_execz .LBB273_32
.LBB273_25:                             ; =>This Inner Loop Header: Depth=1
	s_or_b32 s14, s18, 1
	v_cmp_le_u32_e64 s[14:15], s14, 7
	v_cmp_le_u32_e64 s[20:21], s18, 7
	s_and_saveexec_b64 s[16:17], s[20:21]
	s_cbranch_execz .LBB273_27
; %bb.26:                               ;   in Loop: Header=BB273_25 Depth=1
	v_lshlrev_b32_e32 v13, 2, v10
	ds_write_b32 v13, v12
.LBB273_27:                             ;   in Loop: Header=BB273_25 Depth=1
	s_or_b64 exec, exec, s[16:17]
	s_and_saveexec_b64 s[16:17], s[14:15]
	s_cbranch_execz .LBB273_24
; %bb.28:                               ;   in Loop: Header=BB273_25 Depth=1
	v_lshlrev_b32_e32 v13, 2, v11
	ds_write_b32 v13, v12
	s_branch .LBB273_24
.LBB273_29:
	v_mov_b32_e32 v19, 0
	v_lshlrev_b64 v[2:3], 3, v[18:19]
	v_mov_b32_e32 v4, s33
	v_add_co_u32_e32 v2, vcc, s31, v2
	v_addc_co_u32_e32 v3, vcc, v4, v3, vcc
	global_load_dwordx2 v[2:3], v[2:3], off
	v_mov_b32_e32 v4, v19
	v_mov_b32_e32 v5, v19
	;; [unrolled: 1-line block ×6, first 2 shown]
	s_or_b64 exec, exec, s[4:5]
	s_and_saveexec_b64 s[4:5], s[6:7]
	s_cbranch_execz .LBB273_17
.LBB273_30:
	v_mul_lo_u32 v4, v1, s34
	v_mov_b32_e32 v5, 0
	v_lshlrev_b64 v[4:5], 3, v[4:5]
	v_mov_b32_e32 v12, s33
	v_add_co_u32_e32 v4, vcc, s31, v4
	v_addc_co_u32_e32 v5, vcc, v12, v5, vcc
	global_load_dwordx2 v[4:5], v[4:5], off
	s_or_b64 exec, exec, s[4:5]
	s_and_saveexec_b64 s[4:5], s[8:9]
	s_cbranch_execnz .LBB273_18
	s_branch .LBB273_19
.LBB273_31:
                                        ; implicit-def: $vgpr16_vgpr17
                                        ; implicit-def: $vgpr12_vgpr13
                                        ; implicit-def: $vgpr20
	s_cbranch_execnz .LBB273_44
	s_branch .LBB273_63
.LBB273_32:
	s_or_b64 exec, exec, s[10:11]
	s_load_dword s4, s[4:5], 0x0
	v_lshlrev_b32_e32 v38, 5, v0
	v_cmp_eq_u32_e64 s[10:11], 31, v0
	s_waitcnt lgkmcnt(0)
	s_min_u32 s4, s4, 8
	s_lshl_b32 s4, -1, s4
	s_not_b32 s4, s4
	v_and_b32_e32 v10, s4, v37
	v_and_b32_e32 v10, 0xff, v10
	v_lshl_or_b32 v21, v10, 7, v29
	ds_read_u16 v20, v21
	v_and_b32_e32 v10, s4, v36
	v_and_b32_e32 v10, 0xff, v10
	v_lshl_or_b32 v24, v10, 7, v29
	v_and_b32_e32 v11, s4, v35
	s_waitcnt lgkmcnt(0)
	v_add_u16_e32 v10, 1, v20
	ds_write_b16 v21, v10
	ds_read_u16 v23, v24
	v_and_b32_e32 v11, 0xff, v11
	v_lshl_or_b32 v26, v11, 7, v29
	v_mbcnt_lo_u32_b32 v10, -1, 0
	v_mbcnt_hi_u32_b32 v41, -1, v10
	s_waitcnt lgkmcnt(0)
	v_add_u16_e32 v11, 1, v23
	ds_write_b16 v24, v11
	ds_read_u16 v25, v26
	v_and_b32_e32 v10, s4, v34
	v_and_b32_e32 v10, 0xff, v10
	v_lshl_or_b32 v39, v10, 7, v29
	v_and_b32_e32 v22, 15, v41
	s_waitcnt lgkmcnt(0)
	v_add_u16_e32 v10, 1, v25
	ds_write_b16 v26, v10
	ds_read_u16 v27, v39
	v_and_b32_e32 v10, 16, v41
	v_cmp_eq_u32_e64 s[4:5], 0, v10
	v_cmp_eq_u32_e64 s[14:15], 0, v22
	v_cmp_lt_u32_e64 s[16:17], 1, v22
	s_waitcnt lgkmcnt(0)
	v_add_u16_e32 v10, 1, v27
	ds_write_b16 v39, v10
	s_waitcnt lgkmcnt(0)
	; wave barrier
	s_waitcnt lgkmcnt(0)
	ds_read2_b32 v[16:17], v38 offset1:1
	ds_read2_b32 v[14:15], v38 offset0:2 offset1:3
	ds_read2_b32 v[10:11], v38 offset0:4 offset1:5
	;; [unrolled: 1-line block ×3, first 2 shown]
	v_cmp_lt_u32_e64 s[18:19], 3, v22
	s_waitcnt lgkmcnt(3)
	v_add_u32_e32 v42, v17, v16
	s_waitcnt lgkmcnt(2)
	v_add3_u32 v42, v42, v14, v15
	s_waitcnt lgkmcnt(1)
	v_add3_u32 v42, v42, v10, v11
	;; [unrolled: 2-line block ×3, first 2 shown]
	v_cmp_lt_u32_e64 s[20:21], 7, v22
	v_bfe_i32 v40, v41, 4, 1
	v_mov_b32_dpp v42, v13 row_shr:1 row_mask:0xf bank_mask:0xf
	v_cndmask_b32_e64 v42, v42, 0, s[14:15]
	v_add_u32_e32 v13, v42, v13
	s_nop 1
	v_mov_b32_dpp v42, v13 row_shr:2 row_mask:0xf bank_mask:0xf
	v_cndmask_b32_e64 v42, 0, v42, s[16:17]
	v_add_u32_e32 v13, v13, v42
	s_nop 1
	;; [unrolled: 4-line block ×4, first 2 shown]
	v_mov_b32_dpp v22, v13 row_bcast:15 row_mask:0xf bank_mask:0xf
	v_and_b32_e32 v22, v40, v22
	v_add_u32_e32 v13, v13, v22
	s_and_saveexec_b64 s[12:13], s[10:11]
	s_cbranch_execz .LBB273_34
; %bb.33:
	v_mov_b32_e32 v22, 0
	ds_write_b32 v22, v13 offset:1024
.LBB273_34:
	s_or_b64 exec, exec, s[12:13]
	v_add_u32_e32 v22, -1, v41
	v_and_b32_e32 v40, 0x60, v41
	v_cmp_lt_i32_e64 s[12:13], v22, v40
	v_cndmask_b32_e64 v22, v22, v41, s[12:13]
	v_lshlrev_b32_e32 v40, 2, v22
	ds_bpermute_b32 v13, v40, v13
	v_mov_b32_e32 v22, 0
	s_waitcnt lgkmcnt(0)
	; wave barrier
	s_waitcnt lgkmcnt(0)
	ds_read_b32 v42, v22 offset:1024
	v_cmp_eq_u32_e64 s[12:13], 0, v41
	v_cndmask_b32_e64 v13, v13, 0, s[12:13]
	s_waitcnt lgkmcnt(0)
	v_lshl_add_u32 v13, v42, 16, v13
	v_add_u32_e32 v16, v13, v16
	v_add_u32_e32 v17, v16, v17
	;; [unrolled: 1-line block ×7, first 2 shown]
	ds_write2_b32 v38, v13, v16 offset1:1
	ds_write2_b32 v38, v17, v14 offset0:2 offset1:3
	ds_write2_b32 v38, v15, v10 offset0:4 offset1:5
	;; [unrolled: 1-line block ×3, first 2 shown]
	s_waitcnt lgkmcnt(0)
	; wave barrier
	s_waitcnt lgkmcnt(0)
	ds_read_u16 v10, v21
	ds_read_u16 v11, v24
	;; [unrolled: 1-line block ×4, first 2 shown]
	s_waitcnt lgkmcnt(0)
	v_add_u32_sdwa v10, v10, v20 dst_sel:DWORD dst_unused:UNUSED_PAD src0_sel:DWORD src1_sel:WORD_0
	v_add_u32_sdwa v11, v11, v23 dst_sel:DWORD dst_unused:UNUSED_PAD src0_sel:DWORD src1_sel:WORD_0
	;; [unrolled: 1-line block ×4, first 2 shown]
	; wave barrier
	ds_write_b8 v10, v37
	ds_write_b8 v11, v36
	;; [unrolled: 1-line block ×4, first 2 shown]
	v_lshlrev_b32_e32 v10, 3, v10
	s_waitcnt lgkmcnt(0)
	; wave barrier
	s_waitcnt lgkmcnt(0)
	ds_read_u8 v41, v29
	ds_read_u8 v42, v29 offset:1
	ds_read_u8 v43, v29 offset:2
	;; [unrolled: 1-line block ×3, first 2 shown]
	s_waitcnt lgkmcnt(0)
	; wave barrier
	s_waitcnt lgkmcnt(0)
	ds_write_b64 v10, v[2:3]
	v_lshlrev_b32_e32 v10, 3, v11
	ds_write_b64 v10, v[4:5]
	v_lshlrev_b32_e32 v10, 3, v12
	v_lshlrev_b32_e32 v39, 3, v29
	ds_write_b64 v10, v[6:7]
	v_lshlrev_b32_e32 v10, 3, v13
	ds_write_b64 v10, v[8:9]
	s_waitcnt lgkmcnt(0)
	; wave barrier
	s_waitcnt lgkmcnt(0)
	ds_read2_b64 v[14:17], v39 offset1:1
	ds_read2_b64 v[10:13], v39 offset0:2 offset1:3
	s_waitcnt lgkmcnt(0)
	; wave barrier
	s_waitcnt lgkmcnt(0)
	s_and_saveexec_b64 s[22:23], vcc
	s_cbranch_execz .LBB273_41
; %bb.35:
	s_mov_b32 s35, 0
	s_mov_b64 s[24:25], 0
	v_pk_mov_b32 v[20:21], v[0:1], v[0:1] op_sel:[0,1]
	s_branch .LBB273_37
.LBB273_36:                             ;   in Loop: Header=BB273_37 Depth=1
	s_or_b64 exec, exec, s[28:29]
	s_add_i32 s35, s35, 2
	v_cmp_eq_u32_e64 s[26:27], 8, s35
	v_add_u32_e32 v21, 64, v21
	s_or_b64 s[24:25], s[26:27], s[24:25]
	v_add_u32_e32 v20, 64, v20
	s_andn2_b64 exec, exec, s[24:25]
	s_cbranch_execz .LBB273_41
.LBB273_37:                             ; =>This Inner Loop Header: Depth=1
	s_or_b32 s26, s35, 1
	v_cmp_le_u32_e64 s[26:27], s26, 7
	v_cmp_le_u32_e64 s[38:39], s35, 7
	s_and_saveexec_b64 s[28:29], s[38:39]
	s_cbranch_execz .LBB273_39
; %bb.38:                               ;   in Loop: Header=BB273_37 Depth=1
	v_lshlrev_b32_e32 v23, 2, v20
	ds_write_b32 v23, v22
.LBB273_39:                             ;   in Loop: Header=BB273_37 Depth=1
	s_or_b64 exec, exec, s[28:29]
	s_and_saveexec_b64 s[28:29], s[26:27]
	s_cbranch_execz .LBB273_36
; %bb.40:                               ;   in Loop: Header=BB273_37 Depth=1
	v_lshlrev_b32_e32 v23, 2, v21
	ds_write_b32 v23, v22
	s_branch .LBB273_36
.LBB273_41:
	s_or_b64 exec, exec, s[22:23]
	v_lshlrev_b32_e32 v20, 1, v0
	v_lshlrev_b32_e32 v46, 1, v20
	ds_read_u16 v45, v46
	s_waitcnt lgkmcnt(0)
	v_add_u16_e32 v20, 4, v45
	ds_write_b16 v46, v20
	s_waitcnt lgkmcnt(0)
	; wave barrier
	s_waitcnt lgkmcnt(0)
	ds_read2_b32 v[26:27], v38 offset1:1
	ds_read2_b32 v[24:25], v38 offset0:2 offset1:3
	ds_read2_b32 v[20:21], v38 offset0:4 offset1:5
	;; [unrolled: 1-line block ×3, first 2 shown]
	s_waitcnt lgkmcnt(3)
	v_add_u32_e32 v47, v27, v26
	s_waitcnt lgkmcnt(2)
	v_add3_u32 v47, v47, v24, v25
	s_waitcnt lgkmcnt(1)
	v_add3_u32 v47, v47, v20, v21
	;; [unrolled: 2-line block ×3, first 2 shown]
	s_nop 1
	v_mov_b32_dpp v47, v23 row_shr:1 row_mask:0xf bank_mask:0xf
	v_cndmask_b32_e64 v47, v47, 0, s[14:15]
	v_add_u32_e32 v23, v47, v23
	s_nop 1
	v_mov_b32_dpp v47, v23 row_shr:2 row_mask:0xf bank_mask:0xf
	v_cndmask_b32_e64 v47, 0, v47, s[16:17]
	v_add_u32_e32 v23, v23, v47
	;; [unrolled: 4-line block ×4, first 2 shown]
	s_nop 1
	v_mov_b32_dpp v47, v23 row_bcast:15 row_mask:0xf bank_mask:0xf
	v_cndmask_b32_e64 v47, v47, 0, s[4:5]
	v_add_u32_e32 v23, v23, v47
	s_and_saveexec_b64 s[4:5], s[10:11]
	s_cbranch_execz .LBB273_43
; %bb.42:
	v_mov_b32_e32 v47, 0
	ds_write_b32 v47, v23 offset:1024
.LBB273_43:
	s_or_b64 exec, exec, s[4:5]
	ds_bpermute_b32 v23, v40, v23
	v_mov_b32_e32 v40, 0
	s_waitcnt lgkmcnt(0)
	; wave barrier
	s_waitcnt lgkmcnt(0)
	ds_read_b32 v40, v40 offset:1024
	v_cndmask_b32_e64 v23, v23, 0, s[12:13]
	s_waitcnt lgkmcnt(0)
	v_lshl_add_u32 v23, v40, 16, v23
	v_add_u32_e32 v26, v23, v26
	v_add_u32_e32 v27, v26, v27
	;; [unrolled: 1-line block ×7, first 2 shown]
	ds_write2_b32 v38, v23, v26 offset1:1
	ds_write2_b32 v38, v27, v24 offset0:2 offset1:3
	ds_write2_b32 v38, v25, v20 offset0:4 offset1:5
	;; [unrolled: 1-line block ×3, first 2 shown]
	s_waitcnt lgkmcnt(0)
	; wave barrier
	s_waitcnt lgkmcnt(0)
	ds_read_u16 v20, v46
	v_pk_sub_u16 v21, v45, -2 op_sel:[0,1] op_sel_hi:[0,0]
	v_add_u16_e32 v22, 3, v45
	s_waitcnt lgkmcnt(0)
	; wave barrier
	s_waitcnt lgkmcnt(0)
	v_add_u32_e32 v22, v20, v22
	v_add_u32_sdwa v23, v20, v21 dst_sel:DWORD dst_unused:UNUSED_PAD src0_sel:DWORD src1_sel:WORD_1
	v_add_u32_sdwa v21, v20, v21 dst_sel:DWORD dst_unused:UNUSED_PAD src0_sel:DWORD src1_sel:WORD_0
	v_add_u32_sdwa v20, v20, v45 dst_sel:DWORD dst_unused:UNUSED_PAD src0_sel:DWORD src1_sel:WORD_0
	ds_write_b8 v20, v41
	ds_write_b8 v21, v42
	ds_write_b8 v23, v43
	ds_write_b8 v22, v44
	v_lshlrev_b32_e32 v20, 3, v20
	s_waitcnt lgkmcnt(0)
	; wave barrier
	s_waitcnt lgkmcnt(0)
	ds_read_u8 v24, v29
	ds_read_u8 v25, v29 offset:1
	ds_read_u8 v26, v29 offset:2
	;; [unrolled: 1-line block ×3, first 2 shown]
	s_waitcnt lgkmcnt(0)
	; wave barrier
	s_waitcnt lgkmcnt(0)
	ds_write_b64 v20, v[14:15]
	v_lshlrev_b32_e32 v14, 3, v21
	ds_write_b64 v14, v[16:17]
	v_lshlrev_b32_e32 v14, 3, v23
	;; [unrolled: 2-line block ×3, first 2 shown]
	ds_write_b64 v10, v[12:13]
	s_waitcnt lgkmcnt(0)
	; wave barrier
	s_waitcnt lgkmcnt(0)
	ds_read2_b64 v[10:13], v39 offset1:1
	ds_read2_b64 v[14:17], v39 offset0:2 offset1:3
	v_lshlrev_b16_e32 v20, 8, v25
	v_lshlrev_b16_e32 v21, 8, v27
	v_or_b32_e32 v20, v24, v20
	v_or_b32_sdwa v21, v26, v21 dst_sel:WORD_1 dst_unused:UNUSED_PAD src0_sel:DWORD src1_sel:DWORD
	v_or_b32_sdwa v20, v20, v21 dst_sel:DWORD dst_unused:UNUSED_PAD src0_sel:WORD_0 src1_sel:DWORD
	s_branch .LBB273_63
.LBB273_44:
	s_movk_i32 s10, 0x100
	v_cmp_gt_u32_e32 vcc, s10, v0
	s_getpc_b64 s[4:5]
	s_add_u32 s4, s4, _ZN7rocprim17ROCPRIM_400000_NS16block_radix_sortIbLj32ELj4ElLj1ELj1ELj0ELNS0_26block_radix_rank_algorithmE1ELNS0_18block_padding_hintE2ELNS0_4arch9wavefront6targetE1EE19radix_bits_per_passE@rel32@lo+4
	s_addc_u32 s5, s5, _ZN7rocprim17ROCPRIM_400000_NS16block_radix_sortIbLj32ELj4ElLj1ELj1ELj0ELNS0_26block_radix_rank_algorithmE1ELNS0_18block_padding_hintE2ELNS0_4arch9wavefront6targetE1EE19radix_bits_per_passE@rel32@hi+12
	s_and_saveexec_b64 s[10:11], vcc
	s_cbranch_execz .LBB273_51
; %bb.45:
	s_mov_b32 s18, 0
	s_mov_b64 s[12:13], 0
	s_waitcnt lgkmcnt(1)
	v_mov_b32_e32 v12, 0
	v_pk_mov_b32 v[10:11], v[0:1], v[0:1] op_sel:[0,1]
	s_branch .LBB273_47
.LBB273_46:                             ;   in Loop: Header=BB273_47 Depth=1
	s_or_b64 exec, exec, s[16:17]
	s_add_i32 s18, s18, 2
	v_cmp_eq_u32_e64 s[14:15], 8, s18
	v_add_u32_e32 v11, 64, v11
	s_or_b64 s[12:13], s[14:15], s[12:13]
	v_add_u32_e32 v10, 64, v10
	s_andn2_b64 exec, exec, s[12:13]
	s_cbranch_execz .LBB273_51
.LBB273_47:                             ; =>This Inner Loop Header: Depth=1
	s_or_b32 s14, s18, 1
	v_cmp_le_u32_e64 s[14:15], s14, 7
	v_cmp_le_u32_e64 s[20:21], s18, 7
	s_and_saveexec_b64 s[16:17], s[20:21]
	s_cbranch_execz .LBB273_49
; %bb.48:                               ;   in Loop: Header=BB273_47 Depth=1
	v_lshlrev_b32_e32 v13, 2, v10
	ds_write_b32 v13, v12
.LBB273_49:                             ;   in Loop: Header=BB273_47 Depth=1
	s_or_b64 exec, exec, s[16:17]
	s_and_saveexec_b64 s[16:17], s[14:15]
	s_cbranch_execz .LBB273_46
; %bb.50:                               ;   in Loop: Header=BB273_47 Depth=1
	v_lshlrev_b32_e32 v13, 2, v11
	ds_write_b32 v13, v12
	s_branch .LBB273_46
.LBB273_51:
	s_or_b64 exec, exec, s[10:11]
	s_load_dword s4, s[4:5], 0x0
	s_waitcnt lgkmcnt(0)
	v_and_b32_e32 v10, 1, v37
	v_cmp_eq_u32_e64 s[20:21], 1, v10
	v_lshlrev_b32_e32 v20, 5, v0
	v_cmp_eq_u32_e64 s[10:11], 31, v0
	s_min_u32 s4, s4, 8
	s_lshl_b32 s4, -1, s4
	s_not_b32 s4, s4
	s_lshl_b32 s4, s4, 6
	s_and_b32 s4, s4, 64
	v_mov_b32_e32 v11, s4
	v_cndmask_b32_e64 v10, v11, 0, s[20:21]
	v_lshl_or_b32 v21, v10, 1, v29
	ds_read_u16 v23, v21
	v_and_b32_e32 v10, 1, v36
	v_cmp_eq_u32_e64 s[24:25], 1, v10
	v_cndmask_b32_e64 v10, v11, 0, s[24:25]
	v_lshl_or_b32 v25, v10, 1, v29
	s_waitcnt lgkmcnt(0)
	v_add_u16_e32 v12, 1, v23
	ds_write_b16 v21, v12
	ds_read_u16 v24, v25
	v_and_b32_e32 v10, 1, v35
	v_cmp_eq_u32_e64 s[26:27], 1, v10
	v_cndmask_b32_e64 v10, v11, 0, s[26:27]
	v_lshl_or_b32 v27, v10, 1, v29
	s_waitcnt lgkmcnt(0)
	v_add_u16_e32 v12, 1, v24
	ds_write_b16 v25, v12
	ds_read_u16 v26, v27
	v_and_b32_e32 v10, 1, v34
	v_mbcnt_lo_u32_b32 v12, -1, 0
	v_cmp_eq_u32_e64 s[22:23], 1, v10
	v_mbcnt_hi_u32_b32 v36, -1, v12
	s_waitcnt lgkmcnt(0)
	v_add_u16_e32 v12, 1, v26
	v_cndmask_b32_e64 v10, v11, 0, s[22:23]
	ds_write_b16 v27, v12
	v_lshl_or_b32 v35, v10, 1, v29
	ds_read_u16 v34, v35
	v_and_b32_e32 v10, 16, v36
	v_cmp_eq_u32_e64 s[4:5], 0, v10
	v_and_b32_e32 v22, 15, v36
	v_cmp_eq_u32_e64 s[12:13], 0, v22
	s_waitcnt lgkmcnt(0)
	v_add_u16_e32 v10, 1, v34
	ds_write_b16 v35, v10
	s_waitcnt lgkmcnt(0)
	; wave barrier
	s_waitcnt lgkmcnt(0)
	ds_read2_b32 v[16:17], v20 offset1:1
	ds_read2_b32 v[14:15], v20 offset0:2 offset1:3
	ds_read2_b32 v[10:11], v20 offset0:4 offset1:5
	;; [unrolled: 1-line block ×3, first 2 shown]
	v_cmp_lt_u32_e64 s[14:15], 1, v22
	s_waitcnt lgkmcnt(3)
	v_add_u32_e32 v38, v17, v16
	s_waitcnt lgkmcnt(2)
	v_add3_u32 v38, v38, v14, v15
	s_waitcnt lgkmcnt(1)
	v_add3_u32 v38, v38, v10, v11
	;; [unrolled: 2-line block ×3, first 2 shown]
	v_cmp_lt_u32_e64 s[16:17], 3, v22
	v_cmp_lt_u32_e64 s[18:19], 7, v22
	v_mov_b32_dpp v38, v13 row_shr:1 row_mask:0xf bank_mask:0xf
	v_cndmask_b32_e64 v38, v38, 0, s[12:13]
	v_add_u32_e32 v13, v38, v13
	v_bfe_i32 v37, v36, 4, 1
	s_nop 0
	v_mov_b32_dpp v38, v13 row_shr:2 row_mask:0xf bank_mask:0xf
	v_cndmask_b32_e64 v38, 0, v38, s[14:15]
	v_add_u32_e32 v13, v13, v38
	s_nop 1
	v_mov_b32_dpp v38, v13 row_shr:4 row_mask:0xf bank_mask:0xf
	v_cndmask_b32_e64 v38, 0, v38, s[16:17]
	v_add_u32_e32 v13, v13, v38
	;; [unrolled: 4-line block ×3, first 2 shown]
	s_nop 1
	v_mov_b32_dpp v22, v13 row_bcast:15 row_mask:0xf bank_mask:0xf
	v_and_b32_e32 v22, v37, v22
	v_add_u32_e32 v13, v13, v22
	s_and_saveexec_b64 s[28:29], s[10:11]
	s_cbranch_execz .LBB273_53
; %bb.52:
	v_mov_b32_e32 v22, 0
	ds_write_b32 v22, v13 offset:1024
.LBB273_53:
	s_or_b64 exec, exec, s[28:29]
	s_xor_b64 s[20:21], s[20:21], -1
	v_cndmask_b32_e64 v37, 0, 1, s[20:21]
	s_xor_b64 s[20:21], s[24:25], -1
	v_cndmask_b32_e64 v38, 0, 1, s[20:21]
	s_xor_b64 s[20:21], s[26:27], -1
	v_add_u32_e32 v22, -1, v36
	v_and_b32_e32 v40, 0x60, v36
	v_cndmask_b32_e64 v39, 0, 1, s[20:21]
	v_cmp_lt_i32_e64 s[20:21], v22, v40
	v_cndmask_b32_e64 v22, v22, v36, s[20:21]
	v_lshlrev_b32_e32 v22, 2, v22
	ds_bpermute_b32 v40, v22, v13
	v_mov_b32_e32 v13, 0
	s_waitcnt lgkmcnt(0)
	; wave barrier
	s_waitcnt lgkmcnt(0)
	ds_read_b32 v41, v13 offset:1024
	s_xor_b64 s[20:21], s[22:23], -1
	v_cndmask_b32_e64 v42, 0, 1, s[20:21]
	v_cmp_eq_u32_e64 s[20:21], 0, v36
	v_cndmask_b32_e64 v36, v40, 0, s[20:21]
	s_waitcnt lgkmcnt(0)
	v_lshl_add_u32 v36, v41, 16, v36
	v_add_u32_e32 v16, v36, v16
	v_add_u32_e32 v17, v16, v17
	;; [unrolled: 1-line block ×7, first 2 shown]
	ds_write2_b32 v20, v36, v16 offset1:1
	ds_write2_b32 v20, v17, v14 offset0:2 offset1:3
	ds_write2_b32 v20, v15, v10 offset0:4 offset1:5
	;; [unrolled: 1-line block ×3, first 2 shown]
	s_waitcnt lgkmcnt(0)
	; wave barrier
	s_waitcnt lgkmcnt(0)
	ds_read_u16 v10, v21
	ds_read_u16 v11, v25
	;; [unrolled: 1-line block ×4, first 2 shown]
	s_waitcnt lgkmcnt(0)
	v_add_u32_sdwa v10, v10, v23 dst_sel:DWORD dst_unused:UNUSED_PAD src0_sel:DWORD src1_sel:WORD_0
	v_add_u32_sdwa v11, v11, v24 dst_sel:DWORD dst_unused:UNUSED_PAD src0_sel:DWORD src1_sel:WORD_0
	;; [unrolled: 1-line block ×4, first 2 shown]
	; wave barrier
	ds_write_b8 v10, v37
	ds_write_b8 v11, v38
	;; [unrolled: 1-line block ×4, first 2 shown]
	v_lshlrev_b32_e32 v10, 3, v10
	s_waitcnt lgkmcnt(0)
	; wave barrier
	s_waitcnt lgkmcnt(0)
	ds_read_u8 v23, v29
	ds_read_u8 v24, v29 offset:1
	ds_read_u8 v25, v29 offset:2
	;; [unrolled: 1-line block ×3, first 2 shown]
	s_waitcnt lgkmcnt(0)
	; wave barrier
	s_waitcnt lgkmcnt(0)
	ds_write_b64 v10, v[2:3]
	v_lshlrev_b32_e32 v2, 3, v11
	ds_write_b64 v2, v[4:5]
	v_lshlrev_b32_e32 v2, 3, v12
	v_lshlrev_b32_e32 v21, 3, v29
	ds_write_b64 v2, v[6:7]
	v_lshlrev_b32_e32 v2, 3, v14
	ds_write_b64 v2, v[8:9]
	s_waitcnt lgkmcnt(0)
	; wave barrier
	s_waitcnt lgkmcnt(0)
	ds_read2_b64 v[6:9], v21 offset1:1
	ds_read2_b64 v[2:5], v21 offset0:2 offset1:3
	s_waitcnt lgkmcnt(0)
	; wave barrier
	s_waitcnt lgkmcnt(0)
	s_and_saveexec_b64 s[22:23], vcc
	s_cbranch_execz .LBB273_60
; %bb.54:
	s_mov_b32 s35, 0
	s_mov_b64 s[24:25], 0
	v_pk_mov_b32 v[10:11], v[0:1], v[0:1] op_sel:[0,1]
	s_branch .LBB273_56
.LBB273_55:                             ;   in Loop: Header=BB273_56 Depth=1
	s_or_b64 exec, exec, s[28:29]
	s_add_i32 s35, s35, 2
	v_cmp_eq_u32_e64 s[26:27], 8, s35
	v_add_u32_e32 v11, 64, v11
	s_or_b64 s[24:25], s[26:27], s[24:25]
	v_add_u32_e32 v10, 64, v10
	s_andn2_b64 exec, exec, s[24:25]
	s_cbranch_execz .LBB273_60
.LBB273_56:                             ; =>This Inner Loop Header: Depth=1
	s_or_b32 s26, s35, 1
	v_cmp_le_u32_e64 s[26:27], s26, 7
	v_cmp_le_u32_e64 s[38:39], s35, 7
	s_and_saveexec_b64 s[28:29], s[38:39]
	s_cbranch_execz .LBB273_58
; %bb.57:                               ;   in Loop: Header=BB273_56 Depth=1
	v_lshlrev_b32_e32 v1, 2, v10
	ds_write_b32 v1, v13
.LBB273_58:                             ;   in Loop: Header=BB273_56 Depth=1
	s_or_b64 exec, exec, s[28:29]
	s_and_saveexec_b64 s[28:29], s[26:27]
	s_cbranch_execz .LBB273_55
; %bb.59:                               ;   in Loop: Header=BB273_56 Depth=1
	v_lshlrev_b32_e32 v1, 2, v11
	ds_write_b32 v1, v13
	s_branch .LBB273_55
.LBB273_60:
	s_or_b64 exec, exec, s[22:23]
	v_lshlrev_b32_e32 v1, 1, v0
	v_lshlrev_b32_e32 v27, 1, v1
	ds_read_u16 v1, v27
	s_waitcnt lgkmcnt(0)
	v_add_u16_e32 v10, 4, v1
	ds_write_b16 v27, v10
	s_waitcnt lgkmcnt(0)
	; wave barrier
	s_waitcnt lgkmcnt(0)
	ds_read2_b32 v[16:17], v20 offset1:1
	ds_read2_b32 v[14:15], v20 offset0:2 offset1:3
	ds_read2_b32 v[10:11], v20 offset0:4 offset1:5
	;; [unrolled: 1-line block ×3, first 2 shown]
	s_waitcnt lgkmcnt(3)
	v_add_u32_e32 v34, v17, v16
	s_waitcnt lgkmcnt(2)
	v_add3_u32 v34, v34, v14, v15
	s_waitcnt lgkmcnt(1)
	v_add3_u32 v34, v34, v10, v11
	;; [unrolled: 2-line block ×3, first 2 shown]
	s_nop 1
	v_mov_b32_dpp v34, v13 row_shr:1 row_mask:0xf bank_mask:0xf
	v_cndmask_b32_e64 v34, v34, 0, s[12:13]
	v_add_u32_e32 v13, v34, v13
	s_nop 1
	v_mov_b32_dpp v34, v13 row_shr:2 row_mask:0xf bank_mask:0xf
	v_cndmask_b32_e64 v34, 0, v34, s[14:15]
	v_add_u32_e32 v13, v13, v34
	;; [unrolled: 4-line block ×4, first 2 shown]
	s_nop 1
	v_mov_b32_dpp v34, v13 row_bcast:15 row_mask:0xf bank_mask:0xf
	v_cndmask_b32_e64 v34, v34, 0, s[4:5]
	v_add_u32_e32 v13, v13, v34
	s_and_saveexec_b64 s[4:5], s[10:11]
	s_cbranch_execz .LBB273_62
; %bb.61:
	v_mov_b32_e32 v34, 0
	ds_write_b32 v34, v13 offset:1024
.LBB273_62:
	s_or_b64 exec, exec, s[4:5]
	ds_bpermute_b32 v13, v22, v13
	v_mov_b32_e32 v22, 0
	s_waitcnt lgkmcnt(0)
	; wave barrier
	s_waitcnt lgkmcnt(0)
	ds_read_b32 v22, v22 offset:1024
	v_cndmask_b32_e64 v13, v13, 0, s[20:21]
	s_waitcnt lgkmcnt(0)
	v_lshl_add_u32 v13, v22, 16, v13
	v_add_u32_e32 v16, v13, v16
	v_add_u32_e32 v17, v16, v17
	;; [unrolled: 1-line block ×7, first 2 shown]
	ds_write2_b32 v20, v13, v16 offset1:1
	ds_write2_b32 v20, v17, v14 offset0:2 offset1:3
	ds_write2_b32 v20, v15, v10 offset0:4 offset1:5
	;; [unrolled: 1-line block ×3, first 2 shown]
	s_waitcnt lgkmcnt(0)
	; wave barrier
	s_waitcnt lgkmcnt(0)
	ds_read_u16 v10, v27
	v_pk_sub_u16 v11, v1, -2 op_sel:[0,1] op_sel_hi:[0,0]
	v_add_u16_e32 v12, 3, v1
	s_waitcnt lgkmcnt(0)
	; wave barrier
	s_waitcnt lgkmcnt(0)
	v_add_u32_sdwa v1, v10, v1 dst_sel:DWORD dst_unused:UNUSED_PAD src0_sel:DWORD src1_sel:WORD_0
	v_add_u32_e32 v12, v10, v12
	v_add_u32_sdwa v13, v10, v11 dst_sel:DWORD dst_unused:UNUSED_PAD src0_sel:DWORD src1_sel:WORD_1
	v_add_u32_sdwa v11, v10, v11 dst_sel:DWORD dst_unused:UNUSED_PAD src0_sel:DWORD src1_sel:WORD_0
	ds_write_b8 v1, v23
	ds_write_b8 v11, v24
	;; [unrolled: 1-line block ×4, first 2 shown]
	v_lshlrev_b32_e32 v1, 3, v1
	s_waitcnt lgkmcnt(0)
	; wave barrier
	s_waitcnt lgkmcnt(0)
	ds_read_u8 v20, v29
	ds_read_u8 v22, v29 offset:1
	ds_read_u8 v23, v29 offset:2
	ds_read_u8 v24, v29 offset:3
	s_waitcnt lgkmcnt(0)
	; wave barrier
	s_waitcnt lgkmcnt(0)
	ds_write_b64 v1, v[6:7]
	v_lshlrev_b32_e32 v1, 3, v11
	ds_write_b64 v1, v[8:9]
	v_lshlrev_b32_e32 v1, 3, v13
	;; [unrolled: 2-line block ×3, first 2 shown]
	ds_write_b64 v1, v[4:5]
	s_waitcnt lgkmcnt(0)
	; wave barrier
	s_waitcnt lgkmcnt(0)
	ds_read2_b64 v[10:13], v21 offset1:1
	ds_read2_b64 v[14:17], v21 offset0:2 offset1:3
	v_mov_b32_e32 v2, 1
	v_xor_b32_e32 v1, 1, v20
	v_xor_b32_sdwa v3, v22, v2 dst_sel:BYTE_1 dst_unused:UNUSED_PAD src0_sel:DWORD src1_sel:DWORD
	v_xor_b32_e32 v4, 1, v23
	v_xor_b32_sdwa v2, v24, v2 dst_sel:BYTE_1 dst_unused:UNUSED_PAD src0_sel:DWORD src1_sel:DWORD
	v_or_b32_e32 v1, v1, v3
	v_or_b32_sdwa v2, v4, v2 dst_sel:WORD_1 dst_unused:UNUSED_PAD src0_sel:DWORD src1_sel:DWORD
	v_or_b32_sdwa v20, v1, v2 dst_sel:DWORD dst_unused:UNUSED_PAD src0_sel:WORD_0 src1_sel:DWORD
.LBB273_63:
	s_waitcnt lgkmcnt(0)
	; wave barrier
	s_waitcnt lgkmcnt(0)
	ds_write_b32 v29, v20
	s_waitcnt lgkmcnt(0)
	; wave barrier
	s_waitcnt lgkmcnt(0)
	ds_read_u8 v5, v0 offset:32
	ds_read_u8 v4, v0 offset:64
	;; [unrolled: 1-line block ×3, first 2 shown]
	v_mov_b32_e32 v3, s37
	v_add_co_u32_e32 v2, vcc, s36, v28
	v_addc_co_u32_e32 v3, vcc, 0, v3, vcc
	s_and_saveexec_b64 s[4:5], s[0:1]
	s_cbranch_execnz .LBB273_74
; %bb.64:
	s_or_b64 exec, exec, s[4:5]
	s_and_saveexec_b64 s[4:5], s[6:7]
	s_cbranch_execnz .LBB273_75
.LBB273_65:
	s_or_b64 exec, exec, s[4:5]
	s_and_saveexec_b64 s[4:5], s[8:9]
	s_cbranch_execnz .LBB273_76
.LBB273_66:
	s_or_b64 exec, exec, s[4:5]
	s_and_saveexec_b64 s[4:5], s[2:3]
	s_cbranch_execz .LBB273_68
.LBB273_67:
	s_mul_i32 s10, s30, 0x60
	v_add_co_u32_e32 v2, vcc, s10, v2
	v_addc_co_u32_e32 v3, vcc, 0, v3, vcc
	s_waitcnt lgkmcnt(0)
	global_store_byte v[2:3], v1, off
.LBB273_68:
	s_or_b64 exec, exec, s[4:5]
	s_waitcnt lgkmcnt(0)
	; wave barrier
	s_waitcnt lgkmcnt(0)
	ds_write2_b64 v33, v[10:11], v[12:13] offset1:1
	ds_write2_b64 v33, v[14:15], v[16:17] offset0:2 offset1:3
	s_waitcnt lgkmcnt(0)
	; wave barrier
	s_waitcnt lgkmcnt(0)
	ds_read_b64 v[6:7], v19 offset:256
	ds_read_b64 v[4:5], v31 offset:512
	;; [unrolled: 1-line block ×3, first 2 shown]
	v_mov_b32_e32 v19, 0
	v_lshlrev_b64 v[2:3], 3, v[18:19]
	v_mov_b32_e32 v8, s33
	v_add_co_u32_e32 v2, vcc, s31, v2
	v_addc_co_u32_e32 v3, vcc, v8, v3, vcc
	s_and_saveexec_b64 s[4:5], s[0:1]
	s_cbranch_execnz .LBB273_77
; %bb.69:
	s_or_b64 exec, exec, s[4:5]
	s_and_saveexec_b64 s[0:1], s[6:7]
	s_cbranch_execnz .LBB273_78
.LBB273_70:
	s_or_b64 exec, exec, s[0:1]
	s_and_saveexec_b64 s[0:1], s[8:9]
	s_cbranch_execnz .LBB273_79
.LBB273_71:
	s_or_b64 exec, exec, s[0:1]
	s_and_saveexec_b64 s[0:1], s[2:3]
	s_cbranch_execz .LBB273_73
.LBB273_72:
	s_mul_i32 s0, s34, 0x60
	s_mov_b32 s1, 0
	s_lshl_b64 s[0:1], s[0:1], 3
	s_waitcnt lgkmcnt(1)
	v_mov_b32_e32 v4, s1
	v_add_co_u32_e32 v2, vcc, s0, v2
	v_addc_co_u32_e32 v3, vcc, v3, v4, vcc
	s_waitcnt lgkmcnt(0)
	global_store_dwordx2 v[2:3], v[0:1], off
.LBB273_73:
	s_endpgm
.LBB273_74:
	ds_read_u8 v0, v0
	s_waitcnt lgkmcnt(0)
	global_store_byte v[2:3], v0, off
	s_or_b64 exec, exec, s[4:5]
	s_and_saveexec_b64 s[4:5], s[6:7]
	s_cbranch_execz .LBB273_65
.LBB273_75:
	s_lshl_b32 s10, s30, 5
	v_add_co_u32_e32 v6, vcc, s10, v2
	v_addc_co_u32_e32 v7, vcc, 0, v3, vcc
	s_waitcnt lgkmcnt(2)
	global_store_byte v[6:7], v5, off
	s_or_b64 exec, exec, s[4:5]
	s_and_saveexec_b64 s[4:5], s[8:9]
	s_cbranch_execz .LBB273_66
.LBB273_76:
	s_lshl_b32 s10, s30, 6
	v_add_co_u32_e32 v6, vcc, s10, v2
	v_addc_co_u32_e32 v7, vcc, 0, v3, vcc
	s_waitcnt lgkmcnt(1)
	global_store_byte v[6:7], v4, off
	s_or_b64 exec, exec, s[4:5]
	s_and_saveexec_b64 s[4:5], s[2:3]
	s_cbranch_execnz .LBB273_67
	s_branch .LBB273_68
.LBB273_77:
	ds_read_b64 v[8:9], v30
	s_waitcnt lgkmcnt(0)
	global_store_dwordx2 v[2:3], v[8:9], off
	s_or_b64 exec, exec, s[4:5]
	s_and_saveexec_b64 s[0:1], s[6:7]
	s_cbranch_execz .LBB273_70
.LBB273_78:
	s_lshl_b32 s4, s34, 5
	s_mov_b32 s5, 0
	s_lshl_b64 s[4:5], s[4:5], 3
	v_mov_b32_e32 v9, s5
	v_add_co_u32_e32 v8, vcc, s4, v2
	v_addc_co_u32_e32 v9, vcc, v3, v9, vcc
	s_waitcnt lgkmcnt(2)
	global_store_dwordx2 v[8:9], v[6:7], off
	s_or_b64 exec, exec, s[0:1]
	s_and_saveexec_b64 s[0:1], s[8:9]
	s_cbranch_execz .LBB273_71
.LBB273_79:
	s_lshl_b32 s4, s34, 6
	s_mov_b32 s5, 0
	s_lshl_b64 s[4:5], s[4:5], 3
	s_waitcnt lgkmcnt(2)
	v_mov_b32_e32 v7, s5
	v_add_co_u32_e32 v6, vcc, s4, v2
	v_addc_co_u32_e32 v7, vcc, v3, v7, vcc
	s_waitcnt lgkmcnt(1)
	global_store_dwordx2 v[6:7], v[4:5], off
	s_or_b64 exec, exec, s[0:1]
	s_and_saveexec_b64 s[0:1], s[2:3]
	s_cbranch_execnz .LBB273_72
	s_branch .LBB273_73
	.section	.rodata,"a",@progbits
	.p2align	6, 0x0
	.amdhsa_kernel _ZN2at6native18radixSortKVInPlaceILin1ELin1ELi32ELi4EbljEEvNS_4cuda6detail10TensorInfoIT3_T5_EES6_S6_S6_NS4_IT4_S6_EES6_b
		.amdhsa_group_segment_fixed_size 1056
		.amdhsa_private_segment_fixed_size 0
		.amdhsa_kernarg_size 712
		.amdhsa_user_sgpr_count 6
		.amdhsa_user_sgpr_private_segment_buffer 1
		.amdhsa_user_sgpr_dispatch_ptr 0
		.amdhsa_user_sgpr_queue_ptr 0
		.amdhsa_user_sgpr_kernarg_segment_ptr 1
		.amdhsa_user_sgpr_dispatch_id 0
		.amdhsa_user_sgpr_flat_scratch_init 0
		.amdhsa_user_sgpr_kernarg_preload_length 0
		.amdhsa_user_sgpr_kernarg_preload_offset 0
		.amdhsa_user_sgpr_private_segment_size 0
		.amdhsa_uses_dynamic_stack 0
		.amdhsa_system_sgpr_private_segment_wavefront_offset 0
		.amdhsa_system_sgpr_workgroup_id_x 1
		.amdhsa_system_sgpr_workgroup_id_y 1
		.amdhsa_system_sgpr_workgroup_id_z 1
		.amdhsa_system_sgpr_workgroup_info 0
		.amdhsa_system_vgpr_workitem_id 0
		.amdhsa_next_free_vgpr 48
		.amdhsa_next_free_sgpr 40
		.amdhsa_accum_offset 48
		.amdhsa_reserve_vcc 1
		.amdhsa_reserve_flat_scratch 0
		.amdhsa_float_round_mode_32 0
		.amdhsa_float_round_mode_16_64 0
		.amdhsa_float_denorm_mode_32 3
		.amdhsa_float_denorm_mode_16_64 3
		.amdhsa_dx10_clamp 1
		.amdhsa_ieee_mode 1
		.amdhsa_fp16_overflow 0
		.amdhsa_tg_split 0
		.amdhsa_exception_fp_ieee_invalid_op 0
		.amdhsa_exception_fp_denorm_src 0
		.amdhsa_exception_fp_ieee_div_zero 0
		.amdhsa_exception_fp_ieee_overflow 0
		.amdhsa_exception_fp_ieee_underflow 0
		.amdhsa_exception_fp_ieee_inexact 0
		.amdhsa_exception_int_div_zero 0
	.end_amdhsa_kernel
	.section	.text._ZN2at6native18radixSortKVInPlaceILin1ELin1ELi32ELi4EbljEEvNS_4cuda6detail10TensorInfoIT3_T5_EES6_S6_S6_NS4_IT4_S6_EES6_b,"axG",@progbits,_ZN2at6native18radixSortKVInPlaceILin1ELin1ELi32ELi4EbljEEvNS_4cuda6detail10TensorInfoIT3_T5_EES6_S6_S6_NS4_IT4_S6_EES6_b,comdat
.Lfunc_end273:
	.size	_ZN2at6native18radixSortKVInPlaceILin1ELin1ELi32ELi4EbljEEvNS_4cuda6detail10TensorInfoIT3_T5_EES6_S6_S6_NS4_IT4_S6_EES6_b, .Lfunc_end273-_ZN2at6native18radixSortKVInPlaceILin1ELin1ELi32ELi4EbljEEvNS_4cuda6detail10TensorInfoIT3_T5_EES6_S6_S6_NS4_IT4_S6_EES6_b
                                        ; -- End function
	.section	.AMDGPU.csdata,"",@progbits
; Kernel info:
; codeLenInByte = 5656
; NumSgprs: 44
; NumVgprs: 48
; NumAgprs: 0
; TotalNumVgprs: 48
; ScratchSize: 0
; MemoryBound: 0
; FloatMode: 240
; IeeeMode: 1
; LDSByteSize: 1056 bytes/workgroup (compile time only)
; SGPRBlocks: 5
; VGPRBlocks: 5
; NumSGPRsForWavesPerEU: 44
; NumVGPRsForWavesPerEU: 48
; AccumOffset: 48
; Occupancy: 8
; WaveLimiterHint : 1
; COMPUTE_PGM_RSRC2:SCRATCH_EN: 0
; COMPUTE_PGM_RSRC2:USER_SGPR: 6
; COMPUTE_PGM_RSRC2:TRAP_HANDLER: 0
; COMPUTE_PGM_RSRC2:TGID_X_EN: 1
; COMPUTE_PGM_RSRC2:TGID_Y_EN: 1
; COMPUTE_PGM_RSRC2:TGID_Z_EN: 1
; COMPUTE_PGM_RSRC2:TIDIG_COMP_CNT: 0
; COMPUTE_PGM_RSRC3_GFX90A:ACCUM_OFFSET: 11
; COMPUTE_PGM_RSRC3_GFX90A:TG_SPLIT: 0
	.section	.text._ZN2at6native18radixSortKVInPlaceILin1ELin1ELi16ELi2EbljEEvNS_4cuda6detail10TensorInfoIT3_T5_EES6_S6_S6_NS4_IT4_S6_EES6_b,"axG",@progbits,_ZN2at6native18radixSortKVInPlaceILin1ELin1ELi16ELi2EbljEEvNS_4cuda6detail10TensorInfoIT3_T5_EES6_S6_S6_NS4_IT4_S6_EES6_b,comdat
	.protected	_ZN2at6native18radixSortKVInPlaceILin1ELin1ELi16ELi2EbljEEvNS_4cuda6detail10TensorInfoIT3_T5_EES6_S6_S6_NS4_IT4_S6_EES6_b ; -- Begin function _ZN2at6native18radixSortKVInPlaceILin1ELin1ELi16ELi2EbljEEvNS_4cuda6detail10TensorInfoIT3_T5_EES6_S6_S6_NS4_IT4_S6_EES6_b
	.globl	_ZN2at6native18radixSortKVInPlaceILin1ELin1ELi16ELi2EbljEEvNS_4cuda6detail10TensorInfoIT3_T5_EES6_S6_S6_NS4_IT4_S6_EES6_b
	.p2align	8
	.type	_ZN2at6native18radixSortKVInPlaceILin1ELin1ELi16ELi2EbljEEvNS_4cuda6detail10TensorInfoIT3_T5_EES6_S6_S6_NS4_IT4_S6_EES6_b,@function
_ZN2at6native18radixSortKVInPlaceILin1ELin1ELi16ELi2EbljEEvNS_4cuda6detail10TensorInfoIT3_T5_EES6_S6_S6_NS4_IT4_S6_EES6_b: ; @_ZN2at6native18radixSortKVInPlaceILin1ELin1ELi16ELi2EbljEEvNS_4cuda6detail10TensorInfoIT3_T5_EES6_S6_S6_NS4_IT4_S6_EES6_b
; %bb.0:
	s_load_dwordx2 s[0:1], s[4:5], 0x1c8
	s_load_dwordx4 s[20:23], s[4:5], 0xd8
	s_waitcnt lgkmcnt(0)
	s_mul_i32 s1, s1, s8
	s_add_i32 s1, s1, s7
	s_mul_i32 s0, s1, s0
	s_add_i32 s12, s0, s6
	s_cmp_ge_u32 s12, s20
	s_cbranch_scc1 .LBB274_63
; %bb.1:
	s_load_dword s2, s[4:5], 0xd0
	s_mov_b32 s1, 0
	s_mov_b32 s0, s12
	s_waitcnt lgkmcnt(0)
	s_cmp_lt_i32 s2, 2
	s_cbranch_scc1 .LBB274_4
; %bb.2:
	s_add_i32 s0, s2, -1
	s_add_i32 s6, s2, 1
	s_lshl_b64 s[2:3], s[0:1], 2
	s_add_u32 s0, s2, s4
	s_addc_u32 s3, s3, s5
	s_add_u32 s2, s0, 8
	s_addc_u32 s3, s3, 0
	s_mov_b32 s0, s12
.LBB274_3:                              ; =>This Inner Loop Header: Depth=1
	s_load_dword s7, s[2:3], 0x0
	s_load_dword s9, s[2:3], 0x64
	s_mov_b32 s8, s0
	s_waitcnt lgkmcnt(0)
	v_cvt_f32_u32_e32 v1, s7
	s_sub_i32 s0, 0, s7
	v_rcp_iflag_f32_e32 v1, v1
	v_mul_f32_e32 v1, 0x4f7ffffe, v1
	v_cvt_u32_f32_e32 v1, v1
	v_readfirstlane_b32 s10, v1
	s_mul_i32 s0, s0, s10
	s_mul_hi_u32 s0, s10, s0
	s_add_i32 s10, s10, s0
	s_mul_hi_u32 s0, s8, s10
	s_mul_i32 s10, s0, s7
	s_sub_i32 s10, s8, s10
	s_add_i32 s11, s0, 1
	s_sub_i32 s13, s10, s7
	s_cmp_ge_u32 s10, s7
	s_cselect_b32 s0, s11, s0
	s_cselect_b32 s10, s13, s10
	s_add_i32 s11, s0, 1
	s_cmp_ge_u32 s10, s7
	s_cselect_b32 s0, s11, s0
	s_mul_i32 s7, s0, s7
	s_sub_i32 s7, s8, s7
	s_mul_i32 s7, s9, s7
	s_add_i32 s6, s6, -1
	s_add_i32 s1, s7, s1
	s_add_u32 s2, s2, -4
	s_addc_u32 s3, s3, -1
	s_cmp_gt_u32 s6, 2
	s_cbranch_scc1 .LBB274_3
.LBB274_4:
	s_load_dword s2, s[4:5], 0x1b8
	s_mov_b32 s7, 0
	s_waitcnt lgkmcnt(0)
	s_cmp_lt_i32 s2, 2
	s_cbranch_scc1 .LBB274_7
; %bb.5:
	s_add_i32 s6, s2, -1
	s_add_i32 s8, s2, 1
	s_lshl_b64 s[2:3], s[6:7], 2
	s_add_u32 s2, s2, s4
	s_addc_u32 s3, s3, s5
	s_add_u32 s2, s2, 0xf0
	s_addc_u32 s3, s3, 0
.LBB274_6:                              ; =>This Inner Loop Header: Depth=1
	s_load_dword s6, s[2:3], 0x0
	s_load_dword s10, s[2:3], 0x64
	s_mov_b32 s9, s12
	s_waitcnt lgkmcnt(0)
	v_cvt_f32_u32_e32 v1, s6
	s_sub_i32 s11, 0, s6
	v_rcp_iflag_f32_e32 v1, v1
	v_mul_f32_e32 v1, 0x4f7ffffe, v1
	v_cvt_u32_f32_e32 v1, v1
	v_readfirstlane_b32 s12, v1
	s_mul_i32 s11, s11, s12
	s_mul_hi_u32 s11, s12, s11
	s_add_i32 s12, s12, s11
	s_mul_hi_u32 s11, s9, s12
	s_mul_i32 s12, s11, s6
	s_sub_i32 s12, s9, s12
	s_add_i32 s13, s11, 1
	s_sub_i32 s14, s12, s6
	s_cmp_ge_u32 s12, s6
	s_cselect_b32 s11, s13, s11
	s_cselect_b32 s12, s14, s12
	s_add_i32 s13, s11, 1
	s_cmp_ge_u32 s12, s6
	s_cselect_b32 s12, s13, s11
	s_mul_i32 s6, s12, s6
	s_sub_i32 s6, s9, s6
	s_mul_i32 s6, s10, s6
	s_add_i32 s8, s8, -1
	s_add_i32 s7, s6, s7
	s_add_u32 s2, s2, -4
	s_addc_u32 s3, s3, -1
	s_cmp_gt_u32 s8, 2
	s_cbranch_scc1 .LBB274_6
.LBB274_7:
	s_load_dword s2, s[4:5], 0x6c
	s_load_dwordx2 s[24:25], s[4:5], 0x1c0
	v_mul_lo_u32 v20, v0, s22
	s_waitcnt lgkmcnt(0)
	s_mul_i32 s0, s2, s0
	s_load_dwordx2 s[2:3], s[4:5], 0x0
	s_load_dwordx2 s[10:11], s[4:5], 0xe8
	s_add_i32 s6, s0, s1
	s_bitcmp1_b32 s25, 0
	s_cselect_b64 s[0:1], -1, 0
	s_waitcnt lgkmcnt(0)
	s_add_u32 s26, s2, s6
	s_addc_u32 s27, s3, 0
	s_xor_b64 s[8:9], s[0:1], -1
	v_cndmask_b32_e64 v2, 0, 1, s[8:9]
	v_lshlrev_b16_e32 v1, 8, v2
	v_or_b32_e32 v1, v2, v1
	v_and_b32_e32 v3, 0xffff, v1
	v_cmp_gt_u32_e64 s[0:1], s21, v0
	s_and_saveexec_b64 s[2:3], s[0:1]
	s_cbranch_execz .LBB274_9
; %bb.8:
	global_load_ubyte v2, v20, s[26:27]
	v_and_b32_e32 v1, 0x100, v3
	s_waitcnt vmcnt(0)
	v_or_b32_e32 v1, v2, v1
	v_and_b32_e32 v3, 0xffff, v1
.LBB274_9:
	s_or_b64 exec, exec, s[2:3]
	s_load_dword s6, s[4:5], 0x154
	v_or_b32_e32 v1, 16, v0
	v_cmp_gt_u32_e64 s[2:3], s21, v1
	s_and_saveexec_b64 s[4:5], s[2:3]
	s_cbranch_execz .LBB274_11
; %bb.10:
	v_mul_lo_u32 v4, v1, s22
	global_load_ubyte v4, v4, s[26:27]
	s_waitcnt vmcnt(0)
	v_lshlrev_b16_e32 v4, 8, v4
	v_or_b32_sdwa v3, v3, v4 dst_sel:DWORD dst_unused:UNUSED_PAD src0_sel:BYTE_0 src1_sel:DWORD
	v_and_b32_e32 v3, 0xffff, v3
.LBB274_11:
	s_or_b64 exec, exec, s[4:5]
	s_waitcnt lgkmcnt(0)
	s_mul_i32 s4, s6, s12
	ds_write_b8 v0, v2
	v_lshrrev_b16_e32 v2, 8, v3
	v_lshlrev_b32_e32 v21, 1, v0
	s_add_i32 s4, s4, s7
	s_mov_b32 s5, 0
	ds_write_b8 v0, v2 offset:16
	s_waitcnt lgkmcnt(0)
	; wave barrier
	s_waitcnt lgkmcnt(0)
	ds_read_u8 v24, v21
	ds_read_u8 v23, v21 offset:1
	s_lshl_b64 s[6:7], s[4:5], 3
	s_add_u32 s23, s10, s6
	s_mov_b32 s4, s5
	s_addc_u32 s25, s11, s7
	s_mov_b32 s6, s5
	s_mov_b32 s7, s5
	v_pk_mov_b32 v[2:3], s[4:5], s[4:5] op_sel:[0,1]
	v_pk_mov_b32 v[4:5], s[6:7], s[6:7] op_sel:[0,1]
	v_pk_mov_b32 v[2:3], 0, 0
	v_mul_lo_u32 v10, v0, s24
	s_waitcnt lgkmcnt(0)
	; wave barrier
	s_waitcnt lgkmcnt(0)
	s_and_saveexec_b64 s[4:5], s[0:1]
	s_cbranch_execz .LBB274_13
; %bb.12:
	v_mov_b32_e32 v11, 0
	v_lshlrev_b64 v[2:3], 3, v[10:11]
	v_mov_b32_e32 v4, s25
	v_add_co_u32_e32 v2, vcc, s23, v2
	v_addc_co_u32_e32 v3, vcc, v4, v3, vcc
	global_load_dwordx2 v[2:3], v[2:3], off
	v_mov_b32_e32 v4, v11
	v_mov_b32_e32 v5, v11
.LBB274_13:
	s_or_b64 exec, exec, s[4:5]
	s_and_saveexec_b64 s[4:5], s[2:3]
	s_cbranch_execz .LBB274_15
; %bb.14:
	v_mul_lo_u32 v4, v1, s24
	v_mov_b32_e32 v5, 0
	v_lshlrev_b64 v[4:5], 3, v[4:5]
	v_mov_b32_e32 v6, s25
	v_add_co_u32_e32 v4, vcc, s23, v4
	v_addc_co_u32_e32 v5, vcc, v6, v5, vcc
	global_load_dwordx2 v[4:5], v[4:5], off
.LBB274_15:
	s_or_b64 exec, exec, s[4:5]
	v_lshlrev_b32_e32 v22, 3, v0
	v_lshlrev_b32_e32 v11, 3, v21
	s_waitcnt vmcnt(0)
	ds_write2_b64 v22, v[2:3], v[4:5] offset1:16
	s_waitcnt lgkmcnt(0)
	; wave barrier
	s_waitcnt lgkmcnt(0)
	ds_read2_b64 v[2:5], v11 offset1:1
	s_and_b64 vcc, exec, s[8:9]
	s_waitcnt lgkmcnt(0)
	; wave barrier
	s_waitcnt lgkmcnt(0)
	s_cbranch_vccz .LBB274_23
; %bb.16:
	s_movk_i32 s6, 0x80
	v_cmp_gt_u32_e32 vcc, s6, v0
	s_getpc_b64 s[4:5]
	s_add_u32 s4, s4, _ZN7rocprim17ROCPRIM_400000_NS16block_radix_sortIbLj16ELj2ElLj1ELj1ELj0ELNS0_26block_radix_rank_algorithmE1ELNS0_18block_padding_hintE2ELNS0_4arch9wavefront6targetE1EE19radix_bits_per_passE@rel32@lo+4
	s_addc_u32 s5, s5, _ZN7rocprim17ROCPRIM_400000_NS16block_radix_sortIbLj16ELj2ElLj1ELj1ELj0ELNS0_26block_radix_rank_algorithmE1ELNS0_18block_padding_hintE2ELNS0_4arch9wavefront6targetE1EE19radix_bits_per_passE@rel32@hi+12
	s_and_saveexec_b64 s[6:7], vcc
	s_cbranch_execz .LBB274_24
; %bb.17:
	s_mov_b32 s14, 0
	s_mov_b64 s[8:9], 0
	v_mov_b32_e32 v8, 0
	v_pk_mov_b32 v[6:7], v[0:1], v[0:1] op_sel:[0,1]
	s_branch .LBB274_19
.LBB274_18:                             ;   in Loop: Header=BB274_19 Depth=1
	s_or_b64 exec, exec, s[12:13]
	s_add_i32 s14, s14, 2
	v_cmp_eq_u32_e64 s[10:11], 8, s14
	v_add_u32_e32 v7, 32, v7
	s_or_b64 s[8:9], s[10:11], s[8:9]
	v_add_u32_e32 v6, 32, v6
	s_andn2_b64 exec, exec, s[8:9]
	s_cbranch_execz .LBB274_24
.LBB274_19:                             ; =>This Inner Loop Header: Depth=1
	s_or_b32 s10, s14, 1
	v_cmp_le_u32_e64 s[10:11], s10, 7
	v_cmp_le_u32_e64 s[16:17], s14, 7
	s_and_saveexec_b64 s[12:13], s[16:17]
	s_cbranch_execz .LBB274_21
; %bb.20:                               ;   in Loop: Header=BB274_19 Depth=1
	v_lshlrev_b32_e32 v9, 2, v6
	ds_write_b32 v9, v8
.LBB274_21:                             ;   in Loop: Header=BB274_19 Depth=1
	s_or_b64 exec, exec, s[12:13]
	s_and_saveexec_b64 s[12:13], s[10:11]
	s_cbranch_execz .LBB274_18
; %bb.22:                               ;   in Loop: Header=BB274_19 Depth=1
	v_lshlrev_b32_e32 v9, 2, v7
	ds_write_b32 v9, v8
	s_branch .LBB274_18
.LBB274_23:
                                        ; implicit-def: $vgpr8_vgpr9
                                        ; implicit-def: $vgpr12
	s_cbranch_execnz .LBB274_36
	s_branch .LBB274_55
.LBB274_24:
	s_or_b64 exec, exec, s[6:7]
	s_load_dword s4, s[4:5], 0x0
	v_lshlrev_b32_e32 v25, 1, v21
	v_lshlrev_b32_e32 v26, 5, v0
	s_waitcnt lgkmcnt(0)
	s_min_u32 s4, s4, 8
	s_lshl_b32 s4, -1, s4
	s_not_b32 s4, s4
	v_and_b32_e32 v6, s4, v24
	v_and_b32_e32 v6, 0xff, v6
	v_lshl_or_b32 v18, v6, 6, v25
	ds_read_u16 v17, v18
	v_and_b32_e32 v6, s4, v23
	v_and_b32_e32 v6, 0xff, v6
	v_lshl_or_b32 v19, v6, 6, v25
	v_cmp_eq_u32_e64 s[4:5], 15, v0
	s_waitcnt lgkmcnt(0)
	v_add_u16_e32 v6, 1, v17
	ds_write_b16 v18, v6
	ds_read_u16 v28, v19
	v_mbcnt_lo_u32_b32 v6, -1, 0
	v_mbcnt_hi_u32_b32 v29, -1, v6
	v_and_b32_e32 v16, 15, v29
	v_cmp_eq_u32_e64 s[6:7], 0, v16
	s_waitcnt lgkmcnt(0)
	v_add_u16_e32 v6, 1, v28
	ds_write_b16 v19, v6
	s_waitcnt lgkmcnt(0)
	; wave barrier
	s_waitcnt lgkmcnt(0)
	ds_read2_b32 v[14:15], v26 offset1:1
	ds_read2_b32 v[12:13], v26 offset0:2 offset1:3
	ds_read2_b32 v[6:7], v26 offset0:4 offset1:5
	;; [unrolled: 1-line block ×3, first 2 shown]
	v_cmp_lt_u32_e64 s[8:9], 1, v16
	s_waitcnt lgkmcnt(3)
	v_add_u32_e32 v27, v15, v14
	s_waitcnt lgkmcnt(2)
	v_add3_u32 v27, v27, v12, v13
	s_waitcnt lgkmcnt(1)
	v_add3_u32 v27, v27, v6, v7
	;; [unrolled: 2-line block ×3, first 2 shown]
	v_cmp_lt_u32_e64 s[10:11], 3, v16
	v_cmp_lt_u32_e64 s[14:15], 7, v16
	v_mov_b32_dpp v27, v9 row_shr:1 row_mask:0xf bank_mask:0xf
	v_cndmask_b32_e64 v27, v27, 0, s[6:7]
	v_add_u32_e32 v9, v27, v9
	s_nop 1
	v_mov_b32_dpp v27, v9 row_shr:2 row_mask:0xf bank_mask:0xf
	v_cndmask_b32_e64 v27, 0, v27, s[8:9]
	v_add_u32_e32 v9, v9, v27
	s_nop 1
	;; [unrolled: 4-line block ×3, first 2 shown]
	v_mov_b32_dpp v27, v9 row_shr:8 row_mask:0xf bank_mask:0xf
	v_cndmask_b32_e64 v16, 0, v27, s[14:15]
	v_add_u32_e32 v9, v9, v16
	s_and_saveexec_b64 s[12:13], s[4:5]
	s_cbranch_execz .LBB274_26
; %bb.25:
	v_mov_b32_e32 v16, 0
	ds_write_b32 v16, v9 offset:512
.LBB274_26:
	s_or_b64 exec, exec, s[12:13]
	v_add_u32_e32 v16, -1, v29
	v_and_b32_e32 v27, 0x70, v29
	v_cmp_lt_i32_e64 s[12:13], v16, v27
	v_cndmask_b32_e64 v16, v16, v29, s[12:13]
	v_lshlrev_b32_e32 v27, 2, v16
	ds_bpermute_b32 v9, v27, v9
	v_mov_b32_e32 v16, 0
	s_waitcnt lgkmcnt(0)
	; wave barrier
	s_waitcnt lgkmcnt(0)
	ds_read_b32 v30, v16 offset:512
	v_cmp_eq_u32_e64 s[12:13], 0, v29
	v_cndmask_b32_e64 v9, v9, 0, s[12:13]
	s_waitcnt lgkmcnt(0)
	v_lshl_add_u32 v9, v30, 16, v9
	v_add_u32_e32 v14, v9, v14
	v_add_u32_e32 v15, v14, v15
	;; [unrolled: 1-line block ×7, first 2 shown]
	ds_write2_b32 v26, v9, v14 offset1:1
	ds_write2_b32 v26, v15, v12 offset0:2 offset1:3
	ds_write2_b32 v26, v13, v6 offset0:4 offset1:5
	;; [unrolled: 1-line block ×3, first 2 shown]
	s_waitcnt lgkmcnt(0)
	; wave barrier
	s_waitcnt lgkmcnt(0)
	ds_read_u16 v6, v18
	ds_read_u16 v7, v19
	s_waitcnt lgkmcnt(0)
	; wave barrier
	s_waitcnt lgkmcnt(0)
	v_add_u32_sdwa v6, v6, v17 dst_sel:DWORD dst_unused:UNUSED_PAD src0_sel:DWORD src1_sel:WORD_0
	v_add_u32_sdwa v7, v7, v28 dst_sel:DWORD dst_unused:UNUSED_PAD src0_sel:DWORD src1_sel:WORD_0
	ds_write_b8 v6, v24
	ds_write_b8 v7, v23
	v_lshlrev_b32_e32 v6, 3, v6
	s_waitcnt lgkmcnt(0)
	; wave barrier
	s_waitcnt lgkmcnt(0)
	ds_read_u8 v28, v21
	ds_read_u8 v29, v21 offset:1
	s_waitcnt lgkmcnt(0)
	; wave barrier
	s_waitcnt lgkmcnt(0)
	ds_write_b64 v6, v[2:3]
	v_lshlrev_b32_e32 v6, 3, v7
	ds_write_b64 v6, v[4:5]
	s_waitcnt lgkmcnt(0)
	; wave barrier
	s_waitcnt lgkmcnt(0)
	ds_read2_b64 v[6:9], v11 offset1:1
	s_waitcnt lgkmcnt(0)
	; wave barrier
	s_waitcnt lgkmcnt(0)
	s_and_saveexec_b64 s[16:17], vcc
	s_cbranch_execz .LBB274_33
; %bb.27:
	s_mov_b32 s30, 0
	s_mov_b64 s[18:19], 0
	v_pk_mov_b32 v[12:13], v[0:1], v[0:1] op_sel:[0,1]
	s_branch .LBB274_29
.LBB274_28:                             ;   in Loop: Header=BB274_29 Depth=1
	s_or_b64 exec, exec, s[28:29]
	s_add_i32 s30, s30, 2
	v_cmp_eq_u32_e64 s[20:21], 8, s30
	v_add_u32_e32 v13, 32, v13
	s_or_b64 s[18:19], s[20:21], s[18:19]
	v_add_u32_e32 v12, 32, v12
	s_andn2_b64 exec, exec, s[18:19]
	s_cbranch_execz .LBB274_33
.LBB274_29:                             ; =>This Inner Loop Header: Depth=1
	s_or_b32 s20, s30, 1
	v_cmp_le_u32_e64 s[20:21], s20, 7
	v_cmp_le_u32_e64 s[34:35], s30, 7
	s_and_saveexec_b64 s[28:29], s[34:35]
	s_cbranch_execz .LBB274_31
; %bb.30:                               ;   in Loop: Header=BB274_29 Depth=1
	v_lshlrev_b32_e32 v14, 2, v12
	ds_write_b32 v14, v16
.LBB274_31:                             ;   in Loop: Header=BB274_29 Depth=1
	s_or_b64 exec, exec, s[28:29]
	s_and_saveexec_b64 s[28:29], s[20:21]
	s_cbranch_execz .LBB274_28
; %bb.32:                               ;   in Loop: Header=BB274_29 Depth=1
	v_lshlrev_b32_e32 v14, 2, v13
	ds_write_b32 v14, v16
	s_branch .LBB274_28
.LBB274_33:
	s_or_b64 exec, exec, s[16:17]
	ds_read_u16 v30, v25
	s_waitcnt lgkmcnt(0)
	v_add_u16_e32 v12, 2, v30
	ds_write_b16 v25, v12
	s_waitcnt lgkmcnt(0)
	; wave barrier
	s_waitcnt lgkmcnt(0)
	ds_read2_b32 v[18:19], v26 offset1:1
	ds_read2_b32 v[16:17], v26 offset0:2 offset1:3
	ds_read2_b32 v[12:13], v26 offset0:4 offset1:5
	;; [unrolled: 1-line block ×3, first 2 shown]
	s_waitcnt lgkmcnt(3)
	v_add_u32_e32 v31, v19, v18
	s_waitcnt lgkmcnt(2)
	v_add3_u32 v31, v31, v16, v17
	s_waitcnt lgkmcnt(1)
	v_add3_u32 v31, v31, v12, v13
	;; [unrolled: 2-line block ×3, first 2 shown]
	s_nop 1
	v_mov_b32_dpp v31, v15 row_shr:1 row_mask:0xf bank_mask:0xf
	v_cndmask_b32_e64 v31, v31, 0, s[6:7]
	v_add_u32_e32 v15, v31, v15
	s_nop 1
	v_mov_b32_dpp v31, v15 row_shr:2 row_mask:0xf bank_mask:0xf
	v_cndmask_b32_e64 v31, 0, v31, s[8:9]
	v_add_u32_e32 v15, v15, v31
	;; [unrolled: 4-line block ×4, first 2 shown]
	s_and_saveexec_b64 s[6:7], s[4:5]
	s_cbranch_execz .LBB274_35
; %bb.34:
	v_mov_b32_e32 v31, 0
	ds_write_b32 v31, v15 offset:512
.LBB274_35:
	s_or_b64 exec, exec, s[6:7]
	ds_bpermute_b32 v15, v27, v15
	v_mov_b32_e32 v27, 0
	s_waitcnt lgkmcnt(0)
	; wave barrier
	s_waitcnt lgkmcnt(0)
	ds_read_b32 v27, v27 offset:512
	v_cndmask_b32_e64 v15, v15, 0, s[12:13]
	s_waitcnt lgkmcnt(0)
	v_lshl_add_u32 v15, v27, 16, v15
	v_add_u32_e32 v18, v15, v18
	v_add_u32_e32 v19, v18, v19
	;; [unrolled: 1-line block ×7, first 2 shown]
	ds_write2_b32 v26, v15, v18 offset1:1
	ds_write2_b32 v26, v19, v16 offset0:2 offset1:3
	ds_write2_b32 v26, v17, v12 offset0:4 offset1:5
	;; [unrolled: 1-line block ×3, first 2 shown]
	s_waitcnt lgkmcnt(0)
	; wave barrier
	s_waitcnt lgkmcnt(0)
	ds_read_u16 v12, v25
	v_add_u16_e32 v13, 1, v30
	s_waitcnt lgkmcnt(0)
	; wave barrier
	s_waitcnt lgkmcnt(0)
	v_add_u32_e32 v13, v12, v13
	v_add_u32_sdwa v12, v12, v30 dst_sel:DWORD dst_unused:UNUSED_PAD src0_sel:DWORD src1_sel:WORD_0
	ds_write_b8 v12, v28
	ds_write_b8 v13, v29
	s_waitcnt lgkmcnt(0)
	; wave barrier
	s_waitcnt lgkmcnt(0)
	ds_read_u8 v14, v21
	ds_read_u8 v15, v21 offset:1
	v_lshlrev_b32_e32 v12, 3, v12
	s_waitcnt lgkmcnt(0)
	; wave barrier
	s_waitcnt lgkmcnt(0)
	ds_write_b64 v12, v[6:7]
	v_lshlrev_b32_e32 v6, 3, v13
	ds_write_b64 v6, v[8:9]
	s_waitcnt lgkmcnt(0)
	; wave barrier
	s_waitcnt lgkmcnt(0)
	ds_read2_b64 v[6:9], v11 offset1:1
	v_lshlrev_b16_e32 v12, 8, v15
	v_or_b32_e32 v12, v14, v12
	v_and_b32_e32 v12, 0xffff, v12
	s_branch .LBB274_55
.LBB274_36:
	s_movk_i32 s6, 0x80
	v_cmp_gt_u32_e32 vcc, s6, v0
	s_getpc_b64 s[4:5]
	s_add_u32 s4, s4, _ZN7rocprim17ROCPRIM_400000_NS16block_radix_sortIbLj16ELj2ElLj1ELj1ELj0ELNS0_26block_radix_rank_algorithmE1ELNS0_18block_padding_hintE2ELNS0_4arch9wavefront6targetE1EE19radix_bits_per_passE@rel32@lo+4
	s_addc_u32 s5, s5, _ZN7rocprim17ROCPRIM_400000_NS16block_radix_sortIbLj16ELj2ElLj1ELj1ELj0ELNS0_26block_radix_rank_algorithmE1ELNS0_18block_padding_hintE2ELNS0_4arch9wavefront6targetE1EE19radix_bits_per_passE@rel32@hi+12
	s_and_saveexec_b64 s[6:7], vcc
	s_cbranch_execz .LBB274_43
; %bb.37:
	s_mov_b32 s14, 0
	s_mov_b64 s[8:9], 0
	s_waitcnt lgkmcnt(0)
	v_mov_b32_e32 v8, 0
	v_pk_mov_b32 v[6:7], v[0:1], v[0:1] op_sel:[0,1]
	s_branch .LBB274_39
.LBB274_38:                             ;   in Loop: Header=BB274_39 Depth=1
	s_or_b64 exec, exec, s[12:13]
	s_add_i32 s14, s14, 2
	v_cmp_eq_u32_e64 s[10:11], 8, s14
	v_add_u32_e32 v7, 32, v7
	s_or_b64 s[8:9], s[10:11], s[8:9]
	v_add_u32_e32 v6, 32, v6
	s_andn2_b64 exec, exec, s[8:9]
	s_cbranch_execz .LBB274_43
.LBB274_39:                             ; =>This Inner Loop Header: Depth=1
	s_or_b32 s10, s14, 1
	v_cmp_le_u32_e64 s[10:11], s10, 7
	v_cmp_le_u32_e64 s[16:17], s14, 7
	s_and_saveexec_b64 s[12:13], s[16:17]
	s_cbranch_execz .LBB274_41
; %bb.40:                               ;   in Loop: Header=BB274_39 Depth=1
	v_lshlrev_b32_e32 v9, 2, v6
	ds_write_b32 v9, v8
.LBB274_41:                             ;   in Loop: Header=BB274_39 Depth=1
	s_or_b64 exec, exec, s[12:13]
	s_and_saveexec_b64 s[12:13], s[10:11]
	s_cbranch_execz .LBB274_38
; %bb.42:                               ;   in Loop: Header=BB274_39 Depth=1
	v_lshlrev_b32_e32 v9, 2, v7
	ds_write_b32 v9, v8
	s_branch .LBB274_38
.LBB274_43:
	s_or_b64 exec, exec, s[6:7]
	s_load_dword s4, s[4:5], 0x0
	s_waitcnt lgkmcnt(0)
	v_and_b32_e32 v6, 1, v24
	v_cmp_eq_u32_e64 s[16:17], 1, v6
	v_lshlrev_b32_e32 v16, 5, v0
	s_min_u32 s4, s4, 8
	s_lshl_b32 s4, -1, s4
	s_not_b32 s4, s4
	s_lshl_b32 s4, s4, 5
	s_and_b32 s4, s4, 32
	v_mov_b32_e32 v7, s4
	v_cndmask_b32_e64 v6, v7, 0, s[16:17]
	v_or_b32_e32 v6, v6, v21
	v_lshlrev_b32_e32 v19, 1, v6
	ds_read_u16 v18, v19
	v_and_b32_e32 v6, 1, v23
	v_cmp_eq_u32_e64 s[18:19], 1, v6
	v_cndmask_b32_e64 v6, v7, 0, s[18:19]
	v_or_b32_e32 v6, v6, v21
	s_waitcnt lgkmcnt(0)
	v_add_u16_e32 v8, 1, v18
	ds_write_b16 v19, v8
	v_lshlrev_b32_e32 v24, 1, v6
	ds_read_u16 v23, v24
	v_mbcnt_lo_u32_b32 v6, -1, 0
	v_mbcnt_hi_u32_b32 v25, -1, v6
	v_and_b32_e32 v17, 15, v25
	v_cmp_eq_u32_e64 s[6:7], 0, v17
	s_waitcnt lgkmcnt(0)
	v_add_u16_e32 v6, 1, v23
	ds_write_b16 v24, v6
	s_waitcnt lgkmcnt(0)
	; wave barrier
	s_waitcnt lgkmcnt(0)
	ds_read2_b32 v[14:15], v16 offset1:1
	ds_read2_b32 v[12:13], v16 offset0:2 offset1:3
	ds_read2_b32 v[6:7], v16 offset0:4 offset1:5
	ds_read2_b32 v[8:9], v16 offset0:6 offset1:7
	v_cmp_lt_u32_e64 s[8:9], 1, v17
	s_waitcnt lgkmcnt(3)
	v_add_u32_e32 v26, v15, v14
	s_waitcnt lgkmcnt(2)
	v_add3_u32 v26, v26, v12, v13
	s_waitcnt lgkmcnt(1)
	v_add3_u32 v26, v26, v6, v7
	s_waitcnt lgkmcnt(0)
	v_add3_u32 v9, v26, v8, v9
	v_cmp_lt_u32_e64 s[10:11], 3, v17
	v_cmp_lt_u32_e64 s[12:13], 7, v17
	v_mov_b32_dpp v26, v9 row_shr:1 row_mask:0xf bank_mask:0xf
	v_cndmask_b32_e64 v26, v26, 0, s[6:7]
	v_add_u32_e32 v9, v26, v9
	v_cmp_eq_u32_e64 s[4:5], 15, v0
	s_nop 0
	v_mov_b32_dpp v26, v9 row_shr:2 row_mask:0xf bank_mask:0xf
	v_cndmask_b32_e64 v26, 0, v26, s[8:9]
	v_add_u32_e32 v9, v9, v26
	s_nop 1
	v_mov_b32_dpp v26, v9 row_shr:4 row_mask:0xf bank_mask:0xf
	v_cndmask_b32_e64 v26, 0, v26, s[10:11]
	v_add_u32_e32 v9, v9, v26
	;; [unrolled: 4-line block ×3, first 2 shown]
	s_and_saveexec_b64 s[14:15], s[4:5]
	s_cbranch_execz .LBB274_45
; %bb.44:
	v_mov_b32_e32 v17, 0
	ds_write_b32 v17, v9 offset:512
.LBB274_45:
	s_or_b64 exec, exec, s[14:15]
	v_add_u32_e32 v17, -1, v25
	v_and_b32_e32 v26, 0x70, v25
	v_cmp_lt_i32_e64 s[14:15], v17, v26
	v_cndmask_b32_e64 v17, v17, v25, s[14:15]
	v_lshlrev_b32_e32 v17, 2, v17
	ds_bpermute_b32 v26, v17, v9
	v_mov_b32_e32 v9, 0
	s_waitcnt lgkmcnt(0)
	; wave barrier
	s_waitcnt lgkmcnt(0)
	ds_read_b32 v27, v9 offset:512
	v_cmp_eq_u32_e64 s[14:15], 0, v25
	v_cndmask_b32_e64 v25, v26, 0, s[14:15]
	s_xor_b64 s[16:17], s[16:17], -1
	s_waitcnt lgkmcnt(0)
	v_lshl_add_u32 v25, v27, 16, v25
	v_add_u32_e32 v14, v25, v14
	v_add_u32_e32 v15, v14, v15
	;; [unrolled: 1-line block ×7, first 2 shown]
	ds_write2_b32 v16, v25, v14 offset1:1
	ds_write2_b32 v16, v15, v12 offset0:2 offset1:3
	ds_write2_b32 v16, v13, v6 offset0:4 offset1:5
	;; [unrolled: 1-line block ×3, first 2 shown]
	s_waitcnt lgkmcnt(0)
	; wave barrier
	s_waitcnt lgkmcnt(0)
	ds_read_u16 v6, v19
	ds_read_u16 v7, v24
	v_cndmask_b32_e64 v8, 0, 1, s[16:17]
	s_xor_b64 s[16:17], s[18:19], -1
	v_cndmask_b32_e64 v12, 0, 1, s[16:17]
	s_waitcnt lgkmcnt(1)
	v_add_u32_sdwa v6, v6, v18 dst_sel:DWORD dst_unused:UNUSED_PAD src0_sel:DWORD src1_sel:WORD_0
	s_waitcnt lgkmcnt(0)
	v_add_u32_sdwa v7, v7, v23 dst_sel:DWORD dst_unused:UNUSED_PAD src0_sel:DWORD src1_sel:WORD_0
	s_waitcnt lgkmcnt(0)
	; wave barrier
	ds_write_b8 v6, v8
	ds_write_b8 v7, v12
	v_lshlrev_b32_e32 v6, 3, v6
	s_waitcnt lgkmcnt(0)
	; wave barrier
	s_waitcnt lgkmcnt(0)
	ds_read_u8 v18, v21
	ds_read_u8 v19, v21 offset:1
	s_waitcnt lgkmcnt(0)
	; wave barrier
	s_waitcnt lgkmcnt(0)
	ds_write_b64 v6, v[2:3]
	v_lshlrev_b32_e32 v2, 3, v7
	ds_write_b64 v2, v[4:5]
	s_waitcnt lgkmcnt(0)
	; wave barrier
	s_waitcnt lgkmcnt(0)
	ds_read2_b64 v[2:5], v11 offset1:1
	s_waitcnt lgkmcnt(0)
	; wave barrier
	s_waitcnt lgkmcnt(0)
	s_and_saveexec_b64 s[16:17], vcc
	s_cbranch_execz .LBB274_52
; %bb.46:
	s_mov_b32 s30, 0
	s_mov_b64 s[18:19], 0
	v_pk_mov_b32 v[6:7], v[0:1], v[0:1] op_sel:[0,1]
	s_branch .LBB274_48
.LBB274_47:                             ;   in Loop: Header=BB274_48 Depth=1
	s_or_b64 exec, exec, s[28:29]
	s_add_i32 s30, s30, 2
	v_cmp_eq_u32_e64 s[20:21], 8, s30
	v_add_u32_e32 v7, 32, v7
	s_or_b64 s[18:19], s[20:21], s[18:19]
	v_add_u32_e32 v6, 32, v6
	s_andn2_b64 exec, exec, s[18:19]
	s_cbranch_execz .LBB274_52
.LBB274_48:                             ; =>This Inner Loop Header: Depth=1
	s_or_b32 s20, s30, 1
	v_cmp_le_u32_e64 s[20:21], s20, 7
	v_cmp_le_u32_e64 s[34:35], s30, 7
	s_and_saveexec_b64 s[28:29], s[34:35]
	s_cbranch_execz .LBB274_50
; %bb.49:                               ;   in Loop: Header=BB274_48 Depth=1
	v_lshlrev_b32_e32 v1, 2, v6
	ds_write_b32 v1, v9
.LBB274_50:                             ;   in Loop: Header=BB274_48 Depth=1
	s_or_b64 exec, exec, s[28:29]
	s_and_saveexec_b64 s[28:29], s[20:21]
	s_cbranch_execz .LBB274_47
; %bb.51:                               ;   in Loop: Header=BB274_48 Depth=1
	v_lshlrev_b32_e32 v1, 2, v7
	ds_write_b32 v1, v9
	s_branch .LBB274_47
.LBB274_52:
	s_or_b64 exec, exec, s[16:17]
	v_lshlrev_b32_e32 v23, 1, v21
	ds_read_u16 v1, v23
	s_waitcnt lgkmcnt(0)
	v_add_u16_e32 v6, 2, v1
	ds_write_b16 v23, v6
	s_waitcnt lgkmcnt(0)
	; wave barrier
	s_waitcnt lgkmcnt(0)
	ds_read2_b32 v[14:15], v16 offset1:1
	ds_read2_b32 v[12:13], v16 offset0:2 offset1:3
	ds_read2_b32 v[6:7], v16 offset0:4 offset1:5
	ds_read2_b32 v[8:9], v16 offset0:6 offset1:7
	s_waitcnt lgkmcnt(3)
	v_add_u32_e32 v24, v15, v14
	s_waitcnt lgkmcnt(2)
	v_add3_u32 v24, v24, v12, v13
	s_waitcnt lgkmcnt(1)
	v_add3_u32 v24, v24, v6, v7
	;; [unrolled: 2-line block ×3, first 2 shown]
	s_nop 1
	v_mov_b32_dpp v24, v9 row_shr:1 row_mask:0xf bank_mask:0xf
	v_cndmask_b32_e64 v24, v24, 0, s[6:7]
	v_add_u32_e32 v9, v24, v9
	s_nop 1
	v_mov_b32_dpp v24, v9 row_shr:2 row_mask:0xf bank_mask:0xf
	v_cndmask_b32_e64 v24, 0, v24, s[8:9]
	v_add_u32_e32 v9, v9, v24
	;; [unrolled: 4-line block ×4, first 2 shown]
	s_and_saveexec_b64 s[6:7], s[4:5]
	s_cbranch_execz .LBB274_54
; %bb.53:
	v_mov_b32_e32 v24, 0
	ds_write_b32 v24, v9 offset:512
.LBB274_54:
	s_or_b64 exec, exec, s[6:7]
	ds_bpermute_b32 v9, v17, v9
	v_mov_b32_e32 v17, 0
	s_waitcnt lgkmcnt(0)
	; wave barrier
	s_waitcnt lgkmcnt(0)
	ds_read_b32 v17, v17 offset:512
	v_cndmask_b32_e64 v9, v9, 0, s[14:15]
	s_waitcnt lgkmcnt(0)
	v_lshl_add_u32 v9, v17, 16, v9
	v_add_u32_e32 v14, v9, v14
	v_add_u32_e32 v15, v14, v15
	v_add_u32_e32 v12, v15, v12
	v_add_u32_e32 v13, v12, v13
	v_add_u32_e32 v6, v13, v6
	v_add_u32_e32 v7, v6, v7
	v_add_u32_e32 v8, v7, v8
	ds_write2_b32 v16, v9, v14 offset1:1
	ds_write2_b32 v16, v15, v12 offset0:2 offset1:3
	ds_write2_b32 v16, v13, v6 offset0:4 offset1:5
	;; [unrolled: 1-line block ×3, first 2 shown]
	s_waitcnt lgkmcnt(0)
	; wave barrier
	s_waitcnt lgkmcnt(0)
	ds_read_u16 v6, v23
	v_add_u16_e32 v7, 1, v1
	s_waitcnt lgkmcnt(0)
	; wave barrier
	s_waitcnt lgkmcnt(0)
	v_add_u32_sdwa v1, v6, v1 dst_sel:DWORD dst_unused:UNUSED_PAD src0_sel:DWORD src1_sel:WORD_0
	v_add_u32_e32 v7, v6, v7
	ds_write_b8 v1, v18
	ds_write_b8 v7, v19
	s_waitcnt lgkmcnt(0)
	; wave barrier
	s_waitcnt lgkmcnt(0)
	ds_read_u8 v12, v21
	ds_read_u8 v13, v21 offset:1
	v_lshlrev_b32_e32 v1, 3, v1
	s_waitcnt lgkmcnt(0)
	; wave barrier
	s_waitcnt lgkmcnt(0)
	ds_write_b64 v1, v[2:3]
	v_lshlrev_b32_e32 v1, 3, v7
	ds_write_b64 v1, v[4:5]
	s_waitcnt lgkmcnt(0)
	; wave barrier
	s_waitcnt lgkmcnt(0)
	ds_read2_b64 v[6:9], v11 offset1:1
	v_mov_b32_e32 v2, 1
	v_xor_b32_e32 v1, 1, v12
	v_xor_b32_sdwa v2, v13, v2 dst_sel:BYTE_1 dst_unused:UNUSED_PAD src0_sel:DWORD src1_sel:DWORD
	v_or_b32_e32 v1, v1, v2
	v_and_b32_e32 v12, 0xffff, v1
.LBB274_55:
	v_lshrrev_b16_e32 v1, 8, v12
	s_waitcnt lgkmcnt(0)
	; wave barrier
	s_waitcnt lgkmcnt(0)
	ds_write_b8 v21, v12
	ds_write_b8 v21, v1 offset:1
	s_waitcnt lgkmcnt(0)
	; wave barrier
	s_waitcnt lgkmcnt(0)
	ds_read_u8 v1, v0 offset:16
	v_mov_b32_e32 v3, s27
	v_add_co_u32_e32 v2, vcc, s26, v20
	v_addc_co_u32_e32 v3, vcc, 0, v3, vcc
	s_and_saveexec_b64 s[4:5], s[0:1]
	s_cbranch_execz .LBB274_57
; %bb.56:
	ds_read_u8 v0, v0
	s_waitcnt lgkmcnt(0)
	global_store_byte v[2:3], v0, off
.LBB274_57:
	s_or_b64 exec, exec, s[4:5]
	s_and_saveexec_b64 s[4:5], s[2:3]
	s_cbranch_execz .LBB274_59
; %bb.58:
	s_lshl_b32 s6, s22, 4
	v_add_co_u32_e32 v2, vcc, s6, v2
	v_addc_co_u32_e32 v3, vcc, 0, v3, vcc
	s_waitcnt lgkmcnt(0)
	global_store_byte v[2:3], v1, off
.LBB274_59:
	s_or_b64 exec, exec, s[4:5]
	s_waitcnt lgkmcnt(0)
	; wave barrier
	s_waitcnt lgkmcnt(0)
	ds_write2_b64 v11, v[6:7], v[8:9] offset1:1
	s_waitcnt lgkmcnt(0)
	; wave barrier
	s_waitcnt lgkmcnt(0)
	ds_read_b64 v[0:1], v22 offset:128
	v_mov_b32_e32 v11, 0
	v_lshlrev_b64 v[2:3], 3, v[10:11]
	v_mov_b32_e32 v4, s25
	v_add_co_u32_e32 v2, vcc, s23, v2
	v_addc_co_u32_e32 v3, vcc, v4, v3, vcc
	s_and_saveexec_b64 s[4:5], s[0:1]
	s_cbranch_execz .LBB274_61
; %bb.60:
	ds_read_b64 v[4:5], v22
	s_waitcnt lgkmcnt(0)
	global_store_dwordx2 v[2:3], v[4:5], off
.LBB274_61:
	s_or_b64 exec, exec, s[4:5]
	s_and_saveexec_b64 s[0:1], s[2:3]
	s_cbranch_execz .LBB274_63
; %bb.62:
	s_lshl_b32 s0, s24, 4
	s_mov_b32 s1, 0
	s_lshl_b64 s[0:1], s[0:1], 3
	v_mov_b32_e32 v4, s1
	v_add_co_u32_e32 v2, vcc, s0, v2
	v_addc_co_u32_e32 v3, vcc, v3, v4, vcc
	s_waitcnt lgkmcnt(0)
	global_store_dwordx2 v[2:3], v[0:1], off
.LBB274_63:
	s_endpgm
	.section	.rodata,"a",@progbits
	.p2align	6, 0x0
	.amdhsa_kernel _ZN2at6native18radixSortKVInPlaceILin1ELin1ELi16ELi2EbljEEvNS_4cuda6detail10TensorInfoIT3_T5_EES6_S6_S6_NS4_IT4_S6_EES6_b
		.amdhsa_group_segment_fixed_size 528
		.amdhsa_private_segment_fixed_size 0
		.amdhsa_kernarg_size 712
		.amdhsa_user_sgpr_count 6
		.amdhsa_user_sgpr_private_segment_buffer 1
		.amdhsa_user_sgpr_dispatch_ptr 0
		.amdhsa_user_sgpr_queue_ptr 0
		.amdhsa_user_sgpr_kernarg_segment_ptr 1
		.amdhsa_user_sgpr_dispatch_id 0
		.amdhsa_user_sgpr_flat_scratch_init 0
		.amdhsa_user_sgpr_kernarg_preload_length 0
		.amdhsa_user_sgpr_kernarg_preload_offset 0
		.amdhsa_user_sgpr_private_segment_size 0
		.amdhsa_uses_dynamic_stack 0
		.amdhsa_system_sgpr_private_segment_wavefront_offset 0
		.amdhsa_system_sgpr_workgroup_id_x 1
		.amdhsa_system_sgpr_workgroup_id_y 1
		.amdhsa_system_sgpr_workgroup_id_z 1
		.amdhsa_system_sgpr_workgroup_info 0
		.amdhsa_system_vgpr_workitem_id 0
		.amdhsa_next_free_vgpr 32
		.amdhsa_next_free_sgpr 36
		.amdhsa_accum_offset 32
		.amdhsa_reserve_vcc 1
		.amdhsa_reserve_flat_scratch 0
		.amdhsa_float_round_mode_32 0
		.amdhsa_float_round_mode_16_64 0
		.amdhsa_float_denorm_mode_32 3
		.amdhsa_float_denorm_mode_16_64 3
		.amdhsa_dx10_clamp 1
		.amdhsa_ieee_mode 1
		.amdhsa_fp16_overflow 0
		.amdhsa_tg_split 0
		.amdhsa_exception_fp_ieee_invalid_op 0
		.amdhsa_exception_fp_denorm_src 0
		.amdhsa_exception_fp_ieee_div_zero 0
		.amdhsa_exception_fp_ieee_overflow 0
		.amdhsa_exception_fp_ieee_underflow 0
		.amdhsa_exception_fp_ieee_inexact 0
		.amdhsa_exception_int_div_zero 0
	.end_amdhsa_kernel
	.section	.text._ZN2at6native18radixSortKVInPlaceILin1ELin1ELi16ELi2EbljEEvNS_4cuda6detail10TensorInfoIT3_T5_EES6_S6_S6_NS4_IT4_S6_EES6_b,"axG",@progbits,_ZN2at6native18radixSortKVInPlaceILin1ELin1ELi16ELi2EbljEEvNS_4cuda6detail10TensorInfoIT3_T5_EES6_S6_S6_NS4_IT4_S6_EES6_b,comdat
.Lfunc_end274:
	.size	_ZN2at6native18radixSortKVInPlaceILin1ELin1ELi16ELi2EbljEEvNS_4cuda6detail10TensorInfoIT3_T5_EES6_S6_S6_NS4_IT4_S6_EES6_b, .Lfunc_end274-_ZN2at6native18radixSortKVInPlaceILin1ELin1ELi16ELi2EbljEEvNS_4cuda6detail10TensorInfoIT3_T5_EES6_S6_S6_NS4_IT4_S6_EES6_b
                                        ; -- End function
	.section	.AMDGPU.csdata,"",@progbits
; Kernel info:
; codeLenInByte = 4212
; NumSgprs: 40
; NumVgprs: 32
; NumAgprs: 0
; TotalNumVgprs: 32
; ScratchSize: 0
; MemoryBound: 0
; FloatMode: 240
; IeeeMode: 1
; LDSByteSize: 528 bytes/workgroup (compile time only)
; SGPRBlocks: 4
; VGPRBlocks: 3
; NumSGPRsForWavesPerEU: 40
; NumVGPRsForWavesPerEU: 32
; AccumOffset: 32
; Occupancy: 8
; WaveLimiterHint : 1
; COMPUTE_PGM_RSRC2:SCRATCH_EN: 0
; COMPUTE_PGM_RSRC2:USER_SGPR: 6
; COMPUTE_PGM_RSRC2:TRAP_HANDLER: 0
; COMPUTE_PGM_RSRC2:TGID_X_EN: 1
; COMPUTE_PGM_RSRC2:TGID_Y_EN: 1
; COMPUTE_PGM_RSRC2:TGID_Z_EN: 1
; COMPUTE_PGM_RSRC2:TIDIG_COMP_CNT: 0
; COMPUTE_PGM_RSRC3_GFX90A:ACCUM_OFFSET: 7
; COMPUTE_PGM_RSRC3_GFX90A:TG_SPLIT: 0
	.section	.text._ZN2at6native18radixSortKVInPlaceILin1ELin1ELi512ELi8EblmEEvNS_4cuda6detail10TensorInfoIT3_T5_EES6_S6_S6_NS4_IT4_S6_EES6_b,"axG",@progbits,_ZN2at6native18radixSortKVInPlaceILin1ELin1ELi512ELi8EblmEEvNS_4cuda6detail10TensorInfoIT3_T5_EES6_S6_S6_NS4_IT4_S6_EES6_b,comdat
	.protected	_ZN2at6native18radixSortKVInPlaceILin1ELin1ELi512ELi8EblmEEvNS_4cuda6detail10TensorInfoIT3_T5_EES6_S6_S6_NS4_IT4_S6_EES6_b ; -- Begin function _ZN2at6native18radixSortKVInPlaceILin1ELin1ELi512ELi8EblmEEvNS_4cuda6detail10TensorInfoIT3_T5_EES6_S6_S6_NS4_IT4_S6_EES6_b
	.globl	_ZN2at6native18radixSortKVInPlaceILin1ELin1ELi512ELi8EblmEEvNS_4cuda6detail10TensorInfoIT3_T5_EES6_S6_S6_NS4_IT4_S6_EES6_b
	.p2align	8
	.type	_ZN2at6native18radixSortKVInPlaceILin1ELin1ELi512ELi8EblmEEvNS_4cuda6detail10TensorInfoIT3_T5_EES6_S6_S6_NS4_IT4_S6_EES6_b,@function
_ZN2at6native18radixSortKVInPlaceILin1ELin1ELi512ELi8EblmEEvNS_4cuda6detail10TensorInfoIT3_T5_EES6_S6_S6_NS4_IT4_S6_EES6_b: ; @_ZN2at6native18radixSortKVInPlaceILin1ELin1ELi512ELi8EblmEEvNS_4cuda6detail10TensorInfoIT3_T5_EES6_S6_S6_NS4_IT4_S6_EES6_b
; %bb.0:
	s_load_dwordx4 s[12:15], s[4:5], 0x1a0
	s_load_dwordx2 s[0:1], s[4:5], 0x368
	s_add_u32 s54, s4, 0x368
	s_addc_u32 s55, s5, 0
	s_waitcnt lgkmcnt(0)
	v_mov_b32_e32 v2, s12
	s_mul_i32 s1, s1, s8
	s_add_i32 s1, s1, s7
	s_mul_i32 s0, s1, s0
	v_mov_b32_e32 v3, s13
	s_add_i32 s6, s0, s6
	s_mov_b32 s7, 0
	v_cmp_ge_u64_e32 vcc, s[6:7], v[2:3]
	s_cbranch_vccnz .LBB275_116
; %bb.1:
	s_load_dword s0, s[4:5], 0x198
	s_load_dwordx2 s[30:31], s[4:5], 0x1b0
	s_mov_b64 s[2:3], 0
	s_mov_b64 s[8:9], s[6:7]
	s_waitcnt lgkmcnt(0)
	s_cmp_lt_i32 s0, 2
	s_cbranch_scc1 .LBB275_9
; %bb.2:
	s_mov_b32 s10, 0
	s_add_i32 s15, s0, 1
	s_add_i32 s0, s0, -1
	s_mov_b32 s1, s10
	s_lshl_b64 s[0:1], s[0:1], 3
	s_add_u32 s0, s0, s4
	s_addc_u32 s1, s1, s5
	s_add_u32 s12, s0, 8
	s_addc_u32 s13, s1, 0
	s_mov_b64 s[16:17], s[6:7]
.LBB275_3:                              ; =>This Inner Loop Header: Depth=1
	s_load_dwordx2 s[18:19], s[12:13], 0x0
	s_waitcnt lgkmcnt(0)
	s_or_b64 s[0:1], s[16:17], s[18:19]
	s_mov_b32 s11, s1
	s_cmp_lg_u64 s[10:11], 0
	s_cbranch_scc0 .LBB275_8
; %bb.4:                                ;   in Loop: Header=BB275_3 Depth=1
	v_cvt_f32_u32_e32 v1, s18
	v_cvt_f32_u32_e32 v2, s19
	s_sub_u32 s0, 0, s18
	s_subb_u32 s1, 0, s19
	v_mac_f32_e32 v1, 0x4f800000, v2
	v_rcp_f32_e32 v1, v1
	v_mul_f32_e32 v1, 0x5f7ffffc, v1
	v_mul_f32_e32 v2, 0x2f800000, v1
	v_trunc_f32_e32 v2, v2
	v_mac_f32_e32 v1, 0xcf800000, v2
	v_cvt_u32_f32_e32 v2, v2
	v_cvt_u32_f32_e32 v1, v1
	v_readfirstlane_b32 s8, v2
	v_readfirstlane_b32 s9, v1
	s_mul_i32 s11, s0, s8
	s_mul_hi_u32 s21, s0, s9
	s_mul_i32 s20, s1, s9
	s_add_i32 s11, s21, s11
	s_mul_i32 s22, s0, s9
	s_add_i32 s11, s11, s20
	s_mul_hi_u32 s20, s9, s11
	s_mul_i32 s21, s9, s11
	s_mul_hi_u32 s9, s9, s22
	s_add_u32 s9, s9, s21
	s_addc_u32 s20, 0, s20
	s_mul_hi_u32 s23, s8, s22
	s_mul_i32 s22, s8, s22
	s_add_u32 s9, s9, s22
	s_mul_hi_u32 s21, s8, s11
	s_addc_u32 s9, s20, s23
	s_addc_u32 s20, s21, 0
	s_mul_i32 s11, s8, s11
	s_add_u32 s9, s9, s11
	s_addc_u32 s11, 0, s20
	v_add_co_u32_e32 v1, vcc, s9, v1
	s_cmp_lg_u64 vcc, 0
	s_addc_u32 s8, s8, s11
	v_readfirstlane_b32 s11, v1
	s_mul_i32 s9, s0, s8
	s_mul_hi_u32 s20, s0, s11
	s_add_i32 s9, s20, s9
	s_mul_i32 s1, s1, s11
	s_add_i32 s9, s9, s1
	s_mul_i32 s0, s0, s11
	s_mul_hi_u32 s20, s8, s0
	s_mul_i32 s21, s8, s0
	s_mul_i32 s23, s11, s9
	s_mul_hi_u32 s0, s11, s0
	s_mul_hi_u32 s22, s11, s9
	s_add_u32 s0, s0, s23
	s_addc_u32 s11, 0, s22
	s_add_u32 s0, s0, s21
	s_mul_hi_u32 s1, s8, s9
	s_addc_u32 s0, s11, s20
	s_addc_u32 s1, s1, 0
	s_mul_i32 s9, s8, s9
	s_add_u32 s0, s0, s9
	s_addc_u32 s1, 0, s1
	v_add_co_u32_e32 v1, vcc, s0, v1
	s_cmp_lg_u64 vcc, 0
	s_addc_u32 s0, s8, s1
	v_readfirstlane_b32 s9, v1
	s_mul_i32 s8, s16, s0
	s_mul_hi_u32 s11, s16, s9
	s_mul_hi_u32 s1, s16, s0
	s_add_u32 s8, s11, s8
	s_addc_u32 s1, 0, s1
	s_mul_hi_u32 s20, s17, s9
	s_mul_i32 s9, s17, s9
	s_add_u32 s8, s8, s9
	s_mul_hi_u32 s11, s17, s0
	s_addc_u32 s1, s1, s20
	s_addc_u32 s8, s11, 0
	s_mul_i32 s0, s17, s0
	s_add_u32 s11, s1, s0
	s_addc_u32 s8, 0, s8
	s_mul_i32 s0, s18, s8
	s_mul_hi_u32 s1, s18, s11
	s_add_i32 s0, s1, s0
	s_mul_i32 s1, s19, s11
	s_add_i32 s9, s0, s1
	s_mul_i32 s1, s18, s11
	v_mov_b32_e32 v1, s1
	s_sub_i32 s0, s17, s9
	v_sub_co_u32_e32 v1, vcc, s16, v1
	s_cmp_lg_u64 vcc, 0
	s_subb_u32 s20, s0, s19
	v_subrev_co_u32_e64 v2, s[0:1], s18, v1
	s_cmp_lg_u64 s[0:1], 0
	s_subb_u32 s0, s20, 0
	s_cmp_ge_u32 s0, s19
	v_readfirstlane_b32 s20, v2
	s_cselect_b32 s1, -1, 0
	s_cmp_ge_u32 s20, s18
	s_cselect_b32 s20, -1, 0
	s_cmp_eq_u32 s0, s19
	s_cselect_b32 s0, s20, s1
	s_add_u32 s1, s11, 1
	s_addc_u32 s20, s8, 0
	s_add_u32 s21, s11, 2
	s_addc_u32 s22, s8, 0
	s_cmp_lg_u32 s0, 0
	s_cselect_b32 s0, s21, s1
	s_cselect_b32 s1, s22, s20
	s_cmp_lg_u64 vcc, 0
	s_subb_u32 s9, s17, s9
	s_cmp_ge_u32 s9, s19
	v_readfirstlane_b32 s21, v1
	s_cselect_b32 s20, -1, 0
	s_cmp_ge_u32 s21, s18
	s_cselect_b32 s21, -1, 0
	s_cmp_eq_u32 s9, s19
	s_cselect_b32 s9, s21, s20
	s_cmp_lg_u32 s9, 0
	s_cselect_b32 s9, s1, s8
	s_cselect_b32 s8, s0, s11
	s_cbranch_execnz .LBB275_6
.LBB275_5:                              ;   in Loop: Header=BB275_3 Depth=1
	v_cvt_f32_u32_e32 v1, s18
	s_sub_i32 s0, 0, s18
	v_rcp_iflag_f32_e32 v1, v1
	v_mul_f32_e32 v1, 0x4f7ffffe, v1
	v_cvt_u32_f32_e32 v1, v1
	v_readfirstlane_b32 s1, v1
	s_mul_i32 s0, s0, s1
	s_mul_hi_u32 s0, s1, s0
	s_add_i32 s1, s1, s0
	s_mul_hi_u32 s0, s16, s1
	s_mul_i32 s8, s0, s18
	s_sub_i32 s8, s16, s8
	s_add_i32 s1, s0, 1
	s_sub_i32 s9, s8, s18
	s_cmp_ge_u32 s8, s18
	s_cselect_b32 s0, s1, s0
	s_cselect_b32 s8, s9, s8
	s_add_i32 s1, s0, 1
	s_cmp_ge_u32 s8, s18
	s_cselect_b32 s8, s1, s0
	s_mov_b32 s9, s10
.LBB275_6:                              ;   in Loop: Header=BB275_3 Depth=1
	s_mul_i32 s0, s8, s19
	s_mul_hi_u32 s1, s8, s18
	s_add_i32 s11, s1, s0
	s_load_dwordx2 s[0:1], s[12:13], 0xc8
	s_mul_i32 s19, s9, s18
	s_add_i32 s11, s11, s19
	s_mul_i32 s18, s8, s18
	s_sub_u32 s16, s16, s18
	s_subb_u32 s11, s17, s11
	s_waitcnt lgkmcnt(0)
	s_mul_i32 s11, s0, s11
	s_mul_hi_u32 s17, s0, s16
	s_add_i32 s11, s17, s11
	s_mul_i32 s1, s1, s16
	s_add_i32 s11, s11, s1
	s_mul_i32 s0, s0, s16
	s_add_u32 s2, s0, s2
	s_addc_u32 s3, s11, s3
	s_add_i32 s15, s15, -1
	s_add_u32 s12, s12, -8
	s_addc_u32 s13, s13, -1
	s_cmp_gt_u32 s15, 2
	s_cbranch_scc0 .LBB275_9
; %bb.7:                                ;   in Loop: Header=BB275_3 Depth=1
	s_mov_b64 s[16:17], s[8:9]
	s_branch .LBB275_3
.LBB275_8:                              ;   in Loop: Header=BB275_3 Depth=1
                                        ; implicit-def: $sgpr8_sgpr9
	s_branch .LBB275_5
.LBB275_9:
	s_load_dword s0, s[4:5], 0x350
	s_load_dwordx2 s[10:11], s[4:5], 0xd0
	s_mov_b64 s[20:21], 0
	s_waitcnt lgkmcnt(0)
	s_cmp_lt_i32 s0, 2
	s_cbranch_scc1 .LBB275_17
; %bb.10:
	s_mov_b32 s12, 0
	s_add_i32 s15, s0, 1
	s_add_i32 s0, s0, -1
	s_mov_b32 s1, s12
	s_lshl_b64 s[0:1], s[0:1], 3
	s_add_u32 s0, s0, s4
	s_addc_u32 s1, s1, s5
	s_add_u32 s16, s0, 0x1c0
	s_addc_u32 s17, s1, 0
.LBB275_11:                             ; =>This Inner Loop Header: Depth=1
	s_load_dwordx2 s[18:19], s[16:17], 0x0
	s_waitcnt lgkmcnt(0)
	s_or_b64 s[0:1], s[6:7], s[18:19]
	s_mov_b32 s13, s1
	s_cmp_lg_u64 s[12:13], 0
	s_cbranch_scc0 .LBB275_16
; %bb.12:                               ;   in Loop: Header=BB275_11 Depth=1
	v_cvt_f32_u32_e32 v1, s18
	v_cvt_f32_u32_e32 v2, s19
	s_sub_u32 s0, 0, s18
	s_subb_u32 s1, 0, s19
	v_mac_f32_e32 v1, 0x4f800000, v2
	v_rcp_f32_e32 v1, v1
	v_mul_f32_e32 v1, 0x5f7ffffc, v1
	v_mul_f32_e32 v2, 0x2f800000, v1
	v_trunc_f32_e32 v2, v2
	v_mac_f32_e32 v1, 0xcf800000, v2
	v_cvt_u32_f32_e32 v2, v2
	v_cvt_u32_f32_e32 v1, v1
	v_readfirstlane_b32 s13, v2
	v_readfirstlane_b32 s22, v1
	s_mul_i32 s23, s0, s13
	s_mul_hi_u32 s25, s0, s22
	s_mul_i32 s24, s1, s22
	s_add_i32 s23, s25, s23
	s_mul_i32 s26, s0, s22
	s_add_i32 s23, s23, s24
	s_mul_hi_u32 s24, s22, s23
	s_mul_i32 s25, s22, s23
	s_mul_hi_u32 s22, s22, s26
	s_add_u32 s22, s22, s25
	s_addc_u32 s24, 0, s24
	s_mul_hi_u32 s27, s13, s26
	s_mul_i32 s26, s13, s26
	s_add_u32 s22, s22, s26
	s_mul_hi_u32 s25, s13, s23
	s_addc_u32 s22, s24, s27
	s_addc_u32 s24, s25, 0
	s_mul_i32 s23, s13, s23
	s_add_u32 s22, s22, s23
	s_addc_u32 s23, 0, s24
	v_add_co_u32_e32 v1, vcc, s22, v1
	s_cmp_lg_u64 vcc, 0
	s_addc_u32 s13, s13, s23
	v_readfirstlane_b32 s23, v1
	s_mul_i32 s22, s0, s13
	s_mul_hi_u32 s24, s0, s23
	s_add_i32 s22, s24, s22
	s_mul_i32 s1, s1, s23
	s_add_i32 s22, s22, s1
	s_mul_i32 s0, s0, s23
	s_mul_hi_u32 s24, s13, s0
	s_mul_i32 s25, s13, s0
	s_mul_i32 s27, s23, s22
	s_mul_hi_u32 s0, s23, s0
	s_mul_hi_u32 s26, s23, s22
	s_add_u32 s0, s0, s27
	s_addc_u32 s23, 0, s26
	s_add_u32 s0, s0, s25
	s_mul_hi_u32 s1, s13, s22
	s_addc_u32 s0, s23, s24
	s_addc_u32 s1, s1, 0
	s_mul_i32 s22, s13, s22
	s_add_u32 s0, s0, s22
	s_addc_u32 s1, 0, s1
	v_add_co_u32_e32 v1, vcc, s0, v1
	s_cmp_lg_u64 vcc, 0
	s_addc_u32 s0, s13, s1
	v_readfirstlane_b32 s22, v1
	s_mul_i32 s13, s6, s0
	s_mul_hi_u32 s23, s6, s22
	s_mul_hi_u32 s1, s6, s0
	s_add_u32 s13, s23, s13
	s_addc_u32 s1, 0, s1
	s_mul_hi_u32 s24, s7, s22
	s_mul_i32 s22, s7, s22
	s_add_u32 s13, s13, s22
	s_mul_hi_u32 s23, s7, s0
	s_addc_u32 s1, s1, s24
	s_addc_u32 s13, s23, 0
	s_mul_i32 s0, s7, s0
	s_add_u32 s22, s1, s0
	s_addc_u32 s13, 0, s13
	s_mul_i32 s0, s18, s13
	s_mul_hi_u32 s1, s18, s22
	s_add_i32 s0, s1, s0
	s_mul_i32 s1, s19, s22
	s_add_i32 s23, s0, s1
	s_mul_i32 s1, s18, s22
	v_mov_b32_e32 v1, s1
	s_sub_i32 s0, s7, s23
	v_sub_co_u32_e32 v1, vcc, s6, v1
	s_cmp_lg_u64 vcc, 0
	s_subb_u32 s24, s0, s19
	v_subrev_co_u32_e64 v2, s[0:1], s18, v1
	s_cmp_lg_u64 s[0:1], 0
	s_subb_u32 s0, s24, 0
	s_cmp_ge_u32 s0, s19
	v_readfirstlane_b32 s24, v2
	s_cselect_b32 s1, -1, 0
	s_cmp_ge_u32 s24, s18
	s_cselect_b32 s24, -1, 0
	s_cmp_eq_u32 s0, s19
	s_cselect_b32 s0, s24, s1
	s_add_u32 s1, s22, 1
	s_addc_u32 s24, s13, 0
	s_add_u32 s25, s22, 2
	s_addc_u32 s26, s13, 0
	s_cmp_lg_u32 s0, 0
	s_cselect_b32 s0, s25, s1
	s_cselect_b32 s1, s26, s24
	s_cmp_lg_u64 vcc, 0
	s_subb_u32 s23, s7, s23
	s_cmp_ge_u32 s23, s19
	v_readfirstlane_b32 s25, v1
	s_cselect_b32 s24, -1, 0
	s_cmp_ge_u32 s25, s18
	s_cselect_b32 s25, -1, 0
	s_cmp_eq_u32 s23, s19
	s_cselect_b32 s23, s25, s24
	s_cmp_lg_u32 s23, 0
	s_cselect_b32 s23, s1, s13
	s_cselect_b32 s22, s0, s22
	s_cbranch_execnz .LBB275_14
.LBB275_13:                             ;   in Loop: Header=BB275_11 Depth=1
	v_cvt_f32_u32_e32 v1, s18
	s_sub_i32 s0, 0, s18
	s_mov_b32 s23, s12
	v_rcp_iflag_f32_e32 v1, v1
	v_mul_f32_e32 v1, 0x4f7ffffe, v1
	v_cvt_u32_f32_e32 v1, v1
	v_readfirstlane_b32 s1, v1
	s_mul_i32 s0, s0, s1
	s_mul_hi_u32 s0, s1, s0
	s_add_i32 s1, s1, s0
	s_mul_hi_u32 s0, s6, s1
	s_mul_i32 s13, s0, s18
	s_sub_i32 s13, s6, s13
	s_add_i32 s1, s0, 1
	s_sub_i32 s22, s13, s18
	s_cmp_ge_u32 s13, s18
	s_cselect_b32 s0, s1, s0
	s_cselect_b32 s13, s22, s13
	s_add_i32 s1, s0, 1
	s_cmp_ge_u32 s13, s18
	s_cselect_b32 s22, s1, s0
.LBB275_14:                             ;   in Loop: Header=BB275_11 Depth=1
	s_mul_i32 s0, s22, s19
	s_mul_hi_u32 s1, s22, s18
	s_add_i32 s13, s1, s0
	s_load_dwordx2 s[0:1], s[16:17], 0xc8
	s_mul_i32 s19, s23, s18
	s_add_i32 s13, s13, s19
	s_mul_i32 s18, s22, s18
	s_sub_u32 s6, s6, s18
	s_subb_u32 s7, s7, s13
	s_waitcnt lgkmcnt(0)
	s_mul_i32 s7, s0, s7
	s_mul_hi_u32 s13, s0, s6
	s_add_i32 s7, s13, s7
	s_mul_i32 s1, s1, s6
	s_add_i32 s7, s7, s1
	s_mul_i32 s0, s0, s6
	s_add_u32 s20, s0, s20
	s_addc_u32 s21, s7, s21
	s_add_i32 s15, s15, -1
	s_add_u32 s16, s16, -8
	s_addc_u32 s17, s17, -1
	s_cmp_gt_u32 s15, 2
	s_cbranch_scc0 .LBB275_18
; %bb.15:                               ;   in Loop: Header=BB275_11 Depth=1
	s_mov_b64 s[6:7], s[22:23]
	s_branch .LBB275_11
.LBB275_16:                             ;   in Loop: Header=BB275_11 Depth=1
                                        ; implicit-def: $sgpr22_sgpr23
	s_branch .LBB275_13
.LBB275_17:
	s_mov_b64 s[22:23], s[6:7]
.LBB275_18:
	s_mul_i32 s0, s10, s9
	s_mul_hi_u32 s1, s10, s8
	s_load_dword s7, s[4:5], 0x360
	s_add_i32 s6, s1, s0
	s_load_dwordx2 s[0:1], s[4:5], 0x0
	s_mul_i32 s9, s11, s8
	s_add_i32 s9, s6, s9
	s_mul_i32 s8, s10, s8
	s_waitcnt lgkmcnt(0)
	s_bitcmp1_b32 s7, 0
	s_cselect_b64 s[6:7], -1, 0
	s_add_u32 s0, s0, s8
	s_addc_u32 s1, s1, s9
	s_add_u32 s52, s0, s2
	s_addc_u32 s53, s1, s3
	s_xor_b64 s[18:19], s[6:7], -1
	v_cndmask_b32_e64 v4, 0, 1, s[18:19]
	v_lshlrev_b16_e32 v1, 8, v4
	v_or_b32_e32 v1, v4, v1
	v_lshlrev_b32_e32 v2, 16, v1
	v_and_b32_e32 v34, 0x3ff, v0
	v_or_b32_sdwa v2, v1, v2 dst_sel:DWORD dst_unused:UNUSED_PAD src0_sel:WORD_0 src1_sel:DWORD
	v_mov_b32_e32 v3, v2
	v_cmp_gt_u32_e64 s[0:1], s14, v34
	s_and_saveexec_b64 s[2:3], s[0:1]
	s_cbranch_execz .LBB275_20
; %bb.19:
	v_pk_mov_b32 v[4:5], s[52:53], s[52:53] op_sel:[0,1]
	v_mad_u64_u32 v[4:5], s[6:7], v34, s30, v[4:5]
	v_mov_b32_e32 v6, v5
	v_mad_u64_u32 v[6:7], s[6:7], v34, s31, v[6:7]
	v_mov_b32_e32 v5, v6
	global_load_ubyte v4, v[4:5], off
	s_mov_b32 s6, 0x3020104
	v_mov_b32_e32 v7, v2
	s_waitcnt vmcnt(0)
	v_perm_b32 v6, v4, v2, s6
	v_pk_mov_b32 v[2:3], v[6:7], v[6:7] op_sel:[0,1]
.LBB275_20:
	s_or_b64 exec, exec, s[2:3]
	v_add_u32_e32 v26, 0x200, v34
	v_cmp_gt_u32_e64 s[2:3], s14, v26
	s_and_saveexec_b64 s[6:7], s[2:3]
	s_cbranch_execz .LBB275_22
; %bb.21:
	v_pk_mov_b32 v[6:7], s[52:53], s[52:53] op_sel:[0,1]
	v_mad_u64_u32 v[6:7], s[8:9], v26, s30, v[6:7]
	v_mov_b32_e32 v8, v7
	v_mad_u64_u32 v[8:9], s[8:9], v26, s31, v[8:9]
	v_mov_b32_e32 v7, v8
	global_load_ubyte v1, v[6:7], off
	s_mov_b32 s8, 0x7060004
	s_waitcnt vmcnt(0)
	v_perm_b32 v2, v2, v1, s8
.LBB275_22:
	s_or_b64 exec, exec, s[6:7]
	v_or_b32_e32 v20, 0x400, v34
	v_cmp_gt_u32_e64 s[16:17], s14, v20
	s_and_saveexec_b64 s[6:7], s[16:17]
	s_cbranch_execz .LBB275_24
; %bb.23:
	v_pk_mov_b32 v[6:7], s[52:53], s[52:53] op_sel:[0,1]
	v_mad_u64_u32 v[6:7], s[8:9], v20, s30, v[6:7]
	v_mov_b32_e32 v8, v7
	v_mad_u64_u32 v[8:9], s[8:9], v20, s31, v[8:9]
	v_mov_b32_e32 v7, v8
	global_load_ubyte v1, v[6:7], off
	s_movk_i32 s8, 0xff00
	v_and_b32_sdwa v5, v2, s8 dst_sel:DWORD dst_unused:UNUSED_PAD src0_sel:WORD_1 src1_sel:DWORD
	s_mov_b32 s8, 0xffff
	s_waitcnt vmcnt(0)
	v_or_b32_sdwa v1, v1, v5 dst_sel:WORD_1 dst_unused:UNUSED_PAD src0_sel:DWORD src1_sel:DWORD
	v_and_or_b32 v2, v2, s8, v1
.LBB275_24:
	s_or_b64 exec, exec, s[6:7]
	v_add_u32_e32 v21, 0x600, v34
	v_cmp_gt_u32_e64 s[6:7], s14, v21
	s_and_saveexec_b64 s[8:9], s[6:7]
	s_cbranch_execz .LBB275_26
; %bb.25:
	v_pk_mov_b32 v[6:7], s[52:53], s[52:53] op_sel:[0,1]
	v_mad_u64_u32 v[6:7], s[10:11], v21, s30, v[6:7]
	v_mov_b32_e32 v8, v7
	v_mad_u64_u32 v[8:9], s[10:11], v21, s31, v[8:9]
	v_mov_b32_e32 v7, v8
	global_load_ubyte v1, v[6:7], off
	s_movk_i32 s10, 0xff
	v_and_b32_sdwa v5, v2, s10 dst_sel:DWORD dst_unused:UNUSED_PAD src0_sel:WORD_1 src1_sel:DWORD
	s_mov_b32 s10, 0xffff
	s_waitcnt vmcnt(0)
	v_lshlrev_b16_e32 v1, 8, v1
	v_or_b32_sdwa v1, v5, v1 dst_sel:WORD_1 dst_unused:UNUSED_PAD src0_sel:DWORD src1_sel:DWORD
	v_and_or_b32 v2, v2, s10, v1
.LBB275_26:
	s_or_b64 exec, exec, s[8:9]
	v_or_b32_e32 v22, 0x800, v34
	v_cmp_gt_u32_e64 s[8:9], s14, v22
	s_and_saveexec_b64 s[10:11], s[8:9]
	s_cbranch_execz .LBB275_28
; %bb.27:
	v_pk_mov_b32 v[6:7], s[52:53], s[52:53] op_sel:[0,1]
	v_mad_u64_u32 v[6:7], s[12:13], v22, s30, v[6:7]
	v_mov_b32_e32 v8, v7
	v_mad_u64_u32 v[8:9], s[12:13], v22, s31, v[8:9]
	v_mov_b32_e32 v7, v8
	global_load_ubyte v1, v[6:7], off
	s_mov_b32 s12, 0x3020104
	s_waitcnt vmcnt(0)
	v_perm_b32 v3, v1, v3, s12
.LBB275_28:
	s_or_b64 exec, exec, s[10:11]
	v_add_u32_e32 v19, 0xa00, v34
	v_cmp_gt_u32_e64 s[10:11], s14, v19
	s_and_saveexec_b64 s[12:13], s[10:11]
	s_cbranch_execz .LBB275_30
; %bb.29:
	v_pk_mov_b32 v[6:7], s[52:53], s[52:53] op_sel:[0,1]
	v_mad_u64_u32 v[6:7], s[24:25], v19, s30, v[6:7]
	v_mov_b32_e32 v8, v7
	v_mad_u64_u32 v[8:9], s[24:25], v19, s31, v[8:9]
	v_mov_b32_e32 v7, v8
	global_load_ubyte v1, v[6:7], off
	s_mov_b32 s15, 0x7060004
	s_waitcnt vmcnt(0)
	v_perm_b32 v3, v3, v1, s15
.LBB275_30:
	s_or_b64 exec, exec, s[12:13]
	s_load_dwordx2 s[26:27], s[4:5], 0x288
	s_load_dwordx2 s[24:25], s[4:5], 0x1b8
	v_or_b32_e32 v18, 0xc00, v34
	v_cmp_gt_u32_e64 s[12:13], s14, v18
	s_and_saveexec_b64 s[28:29], s[12:13]
	s_cbranch_execz .LBB275_32
; %bb.31:
	v_pk_mov_b32 v[6:7], s[52:53], s[52:53] op_sel:[0,1]
	v_mad_u64_u32 v[6:7], s[34:35], v18, s30, v[6:7]
	v_mov_b32_e32 v8, v7
	v_mad_u64_u32 v[8:9], s[34:35], v18, s31, v[8:9]
	v_mov_b32_e32 v7, v8
	global_load_ubyte v1, v[6:7], off
	s_mov_b32 s15, 0x7000504
	s_waitcnt vmcnt(0)
	v_perm_b32 v3, v3, v1, s15
.LBB275_32:
	s_or_b64 exec, exec, s[28:29]
	v_add_u32_e32 v1, 0xe00, v34
	v_cmp_gt_u32_e64 s[14:15], s14, v1
	s_and_saveexec_b64 s[28:29], s[14:15]
	s_cbranch_execz .LBB275_34
; %bb.33:
	v_pk_mov_b32 v[6:7], s[52:53], s[52:53] op_sel:[0,1]
	v_mad_u64_u32 v[6:7], s[34:35], v1, s30, v[6:7]
	v_mov_b32_e32 v8, v7
	v_mad_u64_u32 v[8:9], s[34:35], v1, s31, v[8:9]
	v_mov_b32_e32 v7, v8
	global_load_ubyte v5, v[6:7], off
	s_mov_b32 s33, 0x60504
	s_waitcnt vmcnt(0)
	v_perm_b32 v3, v3, v5, s33
.LBB275_34:
	s_or_b64 exec, exec, s[28:29]
	v_lshrrev_b32_e32 v32, 5, v34
	v_and_b32_e32 v5, 28, v32
	v_add_u32_e32 v35, v5, v34
	v_lshrrev_b32_e32 v31, 5, v26
	ds_write_b8 v35, v4
	v_and_b32_e32 v4, 60, v31
	v_lshrrev_b32_e32 v30, 5, v20
	v_add_u32_e32 v42, v4, v34
	v_and_b32_e32 v4, 60, v30
	v_lshrrev_b32_e32 v29, 5, v21
	v_lshrrev_b32_e32 v5, 8, v2
	v_add_u32_e32 v43, v4, v34
	v_and_b32_e32 v4, 0x7c, v29
	ds_write_b8 v42, v5 offset:512
	ds_write_b8_d16_hi v43, v2 offset:1024
	v_lshrrev_b32_e32 v2, 24, v2
	v_add_u32_e32 v44, v4, v34
	v_lshrrev_b32_e32 v28, 5, v22
	ds_write_b8 v44, v2 offset:1536
	v_and_b32_e32 v2, 0x5c, v28
	v_lshrrev_b32_e32 v25, 5, v19
	v_add_u32_e32 v45, v2, v34
	v_and_b32_e32 v2, 0x7c, v25
	v_lshrrev_b32_e32 v24, 5, v18
	v_add_u32_e32 v46, v2, v34
	v_and_b32_e32 v2, 0x7c, v24
	v_lshrrev_b32_e32 v23, 5, v1
	s_waitcnt lgkmcnt(0)
	s_mul_i32 s23, s26, s23
	s_mul_hi_u32 s28, s26, s22
	v_add_u32_e32 v47, v2, v34
	v_and_b32_e32 v2, 0xfc, v23
	v_lshrrev_b32_e32 v27, 2, v34
	s_add_i32 s23, s28, s23
	s_mul_i32 s27, s27, s22
	v_lshrrev_b32_e32 v4, 8, v3
	v_add_u32_e32 v48, v2, v34
	v_lshlrev_b32_e32 v50, 3, v34
	v_and_b32_e32 v2, 0xfc, v27
	s_add_i32 s23, s23, s27
	s_mul_i32 s22, s26, s22
	ds_write_b8 v45, v3 offset:2048
	ds_write_b8 v46, v4 offset:2560
	ds_write_b8_d16_hi v47, v3 offset:3072
	v_lshrrev_b32_e32 v3, 24, v3
	v_add_u32_e32 v49, v2, v50
	s_lshl_b64 s[22:23], s[22:23], 3
	s_load_dwordx2 s[34:35], s[4:5], 0x358
	ds_write_b8 v48, v3 offset:3584
	s_waitcnt lgkmcnt(0)
	s_barrier
	ds_read_b64 v[36:37], v49
	s_add_u32 s22, s24, s22
	s_mov_b32 s36, 0
	s_addc_u32 s23, s25, s23
	s_lshl_b64 s[20:21], s[20:21], 3
	s_mov_b32 s37, s36
	s_add_u32 s33, s22, s20
	s_mov_b32 s38, s36
	s_mov_b32 s39, s36
	;; [unrolled: 1-line block ×14, first 2 shown]
	v_pk_mov_b32 v[2:3], s[36:37], s[36:37] op_sel:[0,1]
	s_addc_u32 s56, s23, s21
	v_pk_mov_b32 v[4:5], s[38:39], s[38:39] op_sel:[0,1]
	v_pk_mov_b32 v[6:7], s[40:41], s[40:41] op_sel:[0,1]
	;; [unrolled: 1-line block ×7, first 2 shown]
	v_pk_mov_b32 v[2:3], 0, 0
	s_waitcnt lgkmcnt(0)
	s_barrier
	s_and_saveexec_b64 s[4:5], s[0:1]
	s_cbranch_execnz .LBB275_67
; %bb.35:
	s_or_b64 exec, exec, s[4:5]
	s_and_saveexec_b64 s[4:5], s[2:3]
	s_cbranch_execnz .LBB275_68
.LBB275_36:
	s_or_b64 exec, exec, s[4:5]
	s_and_saveexec_b64 s[4:5], s[16:17]
	s_cbranch_execnz .LBB275_69
.LBB275_37:
	s_or_b64 exec, exec, s[4:5]
	s_and_saveexec_b64 s[4:5], s[6:7]
	s_cbranch_execnz .LBB275_70
.LBB275_38:
	s_or_b64 exec, exec, s[4:5]
	s_and_saveexec_b64 s[4:5], s[8:9]
	s_cbranch_execnz .LBB275_71
.LBB275_39:
	s_or_b64 exec, exec, s[4:5]
	s_and_saveexec_b64 s[4:5], s[10:11]
	s_cbranch_execnz .LBB275_72
.LBB275_40:
	s_or_b64 exec, exec, s[4:5]
	s_and_saveexec_b64 s[4:5], s[12:13]
	s_cbranch_execnz .LBB275_73
.LBB275_41:
	s_or_b64 exec, exec, s[4:5]
	s_and_saveexec_b64 s[4:5], s[14:15]
	s_cbranch_execz .LBB275_43
.LBB275_42:
	v_mad_u64_u32 v[16:17], s[20:21], v1, s34, 0
	v_mov_b32_e32 v18, v17
	v_mad_u64_u32 v[18:19], s[20:21], v1, s35, v[18:19]
	v_mov_b32_e32 v17, v18
	v_lshlrev_b64 v[16:17], 3, v[16:17]
	v_mov_b32_e32 v1, s56
	v_add_co_u32_e32 v16, vcc, s33, v16
	v_addc_co_u32_e32 v17, vcc, v1, v17, vcc
	global_load_dwordx2 v[16:17], v[16:17], off
.LBB275_43:
	s_or_b64 exec, exec, s[4:5]
	v_lshrrev_b64 v[38:39], 24, v[36:37]
	v_add_lshl_u32 v39, v32, v34, 3
	v_add_lshl_u32 v51, v31, v34, 3
	;; [unrolled: 1-line block ×9, first 2 shown]
	s_waitcnt vmcnt(0)
	ds_write_b64 v39, v[2:3]
	ds_write_b64 v51, v[4:5] offset:4096
	ds_write_b64 v52, v[6:7] offset:8192
	;; [unrolled: 1-line block ×7, first 2 shown]
	s_waitcnt lgkmcnt(0)
	s_barrier
	ds_read2_b64 v[14:17], v58 offset1:1
	ds_read2_b64 v[10:13], v58 offset0:2 offset1:3
	ds_read2_b64 v[6:9], v58 offset0:4 offset1:5
	;; [unrolled: 1-line block ×3, first 2 shown]
	v_lshrrev_b32_e32 v62, 8, v36
	v_lshrrev_b32_e32 v63, 8, v37
	s_and_b64 vcc, exec, s[18:19]
	v_bfe_u32 v60, v0, 10, 10
	v_bfe_u32 v61, v0, 20, 10
	v_mbcnt_lo_u32_b32 v64, -1, 0
	v_lshlrev_b32_e32 v59, 4, v34
	s_waitcnt lgkmcnt(0)
	s_barrier
	s_cbranch_vccz .LBB275_74
; %bb.44:
	s_movk_i32 s4, 0xff
	v_mov_b32_e32 v1, 8
	v_lshlrev_b16_e32 v0, 8, v63
	v_lshlrev_b16_sdwa v1, v1, v37 dst_sel:DWORD dst_unused:UNUSED_PAD src0_sel:DWORD src1_sel:BYTE_3
	v_and_b32_sdwa v20, v37, s4 dst_sel:DWORD dst_unused:UNUSED_PAD src0_sel:WORD_1 src1_sel:DWORD
	v_or_b32_sdwa v0, v37, v0 dst_sel:DWORD dst_unused:UNUSED_PAD src0_sel:BYTE_0 src1_sel:DWORD
	v_or_b32_sdwa v1, v20, v1 dst_sel:WORD_1 dst_unused:UNUSED_PAD src0_sel:DWORD src1_sel:DWORD
	v_mbcnt_hi_u32_b32 v73, -1, v64
	v_and_b32_e32 v74, 0x3c0, v34
	v_or_b32_sdwa v1, v0, v1 dst_sel:DWORD dst_unused:UNUSED_PAD src0_sel:WORD_0 src1_sel:DWORD
	v_lshlrev_b16_e32 v0, 8, v62
	v_lshlrev_b16_e32 v20, 8, v38
	v_and_b32_sdwa v21, v36, s4 dst_sel:DWORD dst_unused:UNUSED_PAD src0_sel:WORD_1 src1_sel:DWORD
	v_add_u32_e32 v18, v73, v74
	v_or_b32_sdwa v0, v36, v0 dst_sel:DWORD dst_unused:UNUSED_PAD src0_sel:BYTE_0 src1_sel:DWORD
	v_or_b32_sdwa v20, v21, v20 dst_sel:WORD_1 dst_unused:UNUSED_PAD src0_sel:DWORD src1_sel:DWORD
	v_lshlrev_b32_e32 v19, 3, v18
	v_or_b32_sdwa v0, v0, v20 dst_sel:DWORD dst_unused:UNUSED_PAD src0_sel:WORD_0 src1_sel:DWORD
	s_movk_i32 s4, 0x1e00
	ds_write_b64 v19, v[0:1]
	v_and_or_b32 v0, v50, s4, v73
	; wave barrier
	ds_read_u8 v65, v0
	ds_read_u8 v66, v0 offset:64
	ds_read_u8 v67, v0 offset:128
	;; [unrolled: 1-line block ×7, first 2 shown]
	v_lshlrev_b32_e32 v1, 6, v18
	v_lshlrev_b32_e32 v0, 3, v0
	s_getpc_b64 s[4:5]
	s_add_u32 s4, s4, _ZN7rocprim17ROCPRIM_400000_NS16block_radix_sortIbLj512ELj8ElLj1ELj1ELj0ELNS0_26block_radix_rank_algorithmE1ELNS0_18block_padding_hintE2ELNS0_4arch9wavefront6targetE1EE19radix_bits_per_passE@rel32@lo+4
	s_addc_u32 s5, s5, _ZN7rocprim17ROCPRIM_400000_NS16block_radix_sortIbLj512ELj8ElLj1ELj1ELj0ELNS0_26block_radix_rank_algorithmE1ELNS0_18block_padding_hintE2ELNS0_4arch9wavefront6targetE1EE19radix_bits_per_passE@rel32@hi+12
	s_waitcnt lgkmcnt(0)
	s_barrier
	ds_write2_b64 v1, v[14:15], v[16:17] offset1:1
	ds_write2_b64 v1, v[10:11], v[12:13] offset0:2 offset1:3
	ds_write2_b64 v1, v[6:7], v[8:9] offset0:4 offset1:5
	;; [unrolled: 1-line block ×3, first 2 shown]
	; wave barrier
	ds_read2st64_b64 v[30:33], v0 offset1:1
	ds_read2st64_b64 v[26:29], v0 offset0:2 offset1:3
	ds_read2st64_b64 v[22:25], v0 offset0:4 offset1:5
	;; [unrolled: 1-line block ×3, first 2 shown]
	s_waitcnt lgkmcnt(0)
	s_barrier
	s_load_dword s18, s[4:5], 0x0
	s_load_dword s19, s[54:55], 0xc
	s_waitcnt lgkmcnt(0)
	s_min_u32 s18, s18, 8
	s_lshr_b32 s4, s19, 16
	s_and_b32 s5, s19, 0xffff
	v_mad_u32_u24 v0, v61, s4, v60
	v_mad_u64_u32 v[0:1], s[4:5], v0, s5, v[34:35]
	s_lshl_b32 s4, -1, s18
	s_not_b32 s18, s4
	v_lshrrev_b32_e32 v40, 6, v0
	v_and_b32_e32 v0, s18, v65
	v_mov_b32_e32 v1, 0
	v_and_b32_e32 v0, 1, v0
	ds_write2_b32 v59, v1, v1 offset0:8 offset1:9
	ds_write2_b32 v59, v1, v1 offset0:10 offset1:11
	v_lshlrev_b32_e32 v1, 3, v0
	v_cmp_ne_u32_e32 vcc, 0, v0
	v_add_co_u32_e64 v0, s[4:5], -1, v0
	v_add_lshl_u32 v75, v40, v1, 2
	v_addc_co_u32_e64 v1, s[4:5], 0, -1, s[4:5]
	v_xor_b32_e32 v0, vcc_lo, v0
	v_xor_b32_e32 v1, vcc_hi, v1
	v_and_b32_e32 v0, exec_lo, v0
	v_and_b32_e32 v1, exec_hi, v1
	v_mbcnt_lo_u32_b32 v41, v0, 0
	v_mbcnt_hi_u32_b32 v76, v1, v41
	v_cmp_eq_u32_e32 vcc, 0, v76
	v_cmp_ne_u64_e64 s[4:5], 0, v[0:1]
	s_and_b64 s[20:21], s[4:5], vcc
	s_waitcnt lgkmcnt(0)
	s_barrier
	s_waitcnt lgkmcnt(0)
	; wave barrier
	s_and_saveexec_b64 s[4:5], s[20:21]
	s_cbranch_execz .LBB275_46
; %bb.45:
	v_bcnt_u32_b32 v0, v0, 0
	v_bcnt_u32_b32 v0, v1, v0
	ds_write_b32 v75, v0 offset:32
.LBB275_46:
	s_or_b64 exec, exec, s[4:5]
	v_and_b32_e32 v0, s18, v66
	v_and_b32_e32 v0, 0xff, v0
	v_lshlrev_b32_e32 v1, 3, v0
	v_cmp_ne_u32_e32 vcc, 0, v0
	v_add_co_u32_e64 v0, s[4:5], -1, v0
	v_add_lshl_u32 v78, v40, v1, 2
	v_addc_co_u32_e64 v1, s[4:5], 0, -1, s[4:5]
	v_xor_b32_e32 v0, vcc_lo, v0
	; wave barrier
	ds_read_b32 v77, v78 offset:32
	v_xor_b32_e32 v1, vcc_hi, v1
	v_and_b32_e32 v0, exec_lo, v0
	v_and_b32_e32 v1, exec_hi, v1
	v_mbcnt_lo_u32_b32 v41, v0, 0
	v_mbcnt_hi_u32_b32 v79, v1, v41
	v_cmp_eq_u32_e32 vcc, 0, v79
	v_cmp_ne_u64_e64 s[4:5], 0, v[0:1]
	s_and_b64 s[20:21], s[4:5], vcc
	; wave barrier
	s_and_saveexec_b64 s[4:5], s[20:21]
	s_cbranch_execz .LBB275_48
; %bb.47:
	v_bcnt_u32_b32 v0, v0, 0
	v_bcnt_u32_b32 v0, v1, v0
	s_waitcnt lgkmcnt(0)
	v_add_u32_e32 v0, v77, v0
	ds_write_b32 v78, v0 offset:32
.LBB275_48:
	s_or_b64 exec, exec, s[4:5]
	v_and_b32_e32 v0, s18, v67
	v_and_b32_e32 v0, 0xff, v0
	v_lshlrev_b32_e32 v1, 3, v0
	v_cmp_ne_u32_e32 vcc, 0, v0
	v_add_co_u32_e64 v0, s[4:5], -1, v0
	v_add_lshl_u32 v81, v40, v1, 2
	v_addc_co_u32_e64 v1, s[4:5], 0, -1, s[4:5]
	v_xor_b32_e32 v0, vcc_lo, v0
	; wave barrier
	ds_read_b32 v80, v81 offset:32
	v_xor_b32_e32 v1, vcc_hi, v1
	v_and_b32_e32 v0, exec_lo, v0
	v_and_b32_e32 v1, exec_hi, v1
	v_mbcnt_lo_u32_b32 v41, v0, 0
	v_mbcnt_hi_u32_b32 v82, v1, v41
	v_cmp_eq_u32_e32 vcc, 0, v82
	v_cmp_ne_u64_e64 s[4:5], 0, v[0:1]
	s_and_b64 s[20:21], s[4:5], vcc
	; wave barrier
	s_and_saveexec_b64 s[4:5], s[20:21]
	s_cbranch_execz .LBB275_50
; %bb.49:
	v_bcnt_u32_b32 v0, v0, 0
	v_bcnt_u32_b32 v0, v1, v0
	s_waitcnt lgkmcnt(0)
	v_add_u32_e32 v0, v80, v0
	ds_write_b32 v81, v0 offset:32
.LBB275_50:
	;; [unrolled: 29-line block ×6, first 2 shown]
	s_or_b64 exec, exec, s[4:5]
	v_and_b32_e32 v0, s18, v72
	v_and_b32_e32 v0, 0xff, v0
	v_lshlrev_b32_e32 v1, 3, v0
	v_cmp_ne_u32_e32 vcc, 0, v0
	v_add_co_u32_e64 v0, s[4:5], -1, v0
	v_add_lshl_u32 v96, v40, v1, 2
	v_addc_co_u32_e64 v1, s[4:5], 0, -1, s[4:5]
	v_xor_b32_e32 v0, vcc_lo, v0
	; wave barrier
	ds_read_b32 v95, v96 offset:32
	v_xor_b32_e32 v1, vcc_hi, v1
	v_and_b32_e32 v0, exec_lo, v0
	v_and_b32_e32 v1, exec_hi, v1
	v_mbcnt_lo_u32_b32 v40, v0, 0
	v_mbcnt_hi_u32_b32 v97, v1, v40
	v_cmp_eq_u32_e32 vcc, 0, v97
	v_cmp_ne_u64_e64 s[4:5], 0, v[0:1]
	v_add_u32_e32 v98, 32, v59
	s_and_b64 s[18:19], s[4:5], vcc
	; wave barrier
	s_and_saveexec_b64 s[4:5], s[18:19]
	s_cbranch_execz .LBB275_60
; %bb.59:
	v_bcnt_u32_b32 v0, v0, 0
	v_bcnt_u32_b32 v0, v1, v0
	s_waitcnt lgkmcnt(0)
	v_add_u32_e32 v0, v95, v0
	ds_write_b32 v96, v0 offset:32
.LBB275_60:
	s_or_b64 exec, exec, s[4:5]
	; wave barrier
	s_waitcnt lgkmcnt(0)
	s_barrier
	ds_read2_b32 v[0:1], v59 offset0:8 offset1:9
	ds_read2_b32 v[40:41], v98 offset0:2 offset1:3
	v_min_u32_e32 v74, 0x1c0, v74
	v_or_b32_e32 v74, 63, v74
	s_waitcnt lgkmcnt(1)
	v_add_u32_e32 v99, v1, v0
	s_waitcnt lgkmcnt(0)
	v_add3_u32 v41, v99, v40, v41
	v_and_b32_e32 v99, 15, v73
	v_cmp_ne_u32_e32 vcc, 0, v99
	v_mov_b32_dpp v100, v41 row_shr:1 row_mask:0xf bank_mask:0xf
	v_cndmask_b32_e32 v100, 0, v100, vcc
	v_add_u32_e32 v41, v100, v41
	v_cmp_lt_u32_e32 vcc, 1, v99
	s_nop 0
	v_mov_b32_dpp v100, v41 row_shr:2 row_mask:0xf bank_mask:0xf
	v_cndmask_b32_e32 v100, 0, v100, vcc
	v_add_u32_e32 v41, v41, v100
	v_cmp_lt_u32_e32 vcc, 3, v99
	s_nop 0
	;; [unrolled: 5-line block ×3, first 2 shown]
	v_mov_b32_dpp v100, v41 row_shr:8 row_mask:0xf bank_mask:0xf
	v_cndmask_b32_e32 v99, 0, v100, vcc
	v_add_u32_e32 v41, v41, v99
	v_bfe_i32 v100, v73, 4, 1
	v_cmp_lt_u32_e32 vcc, 31, v73
	v_mov_b32_dpp v99, v41 row_bcast:15 row_mask:0xf bank_mask:0xf
	v_and_b32_e32 v99, v100, v99
	v_add_u32_e32 v41, v41, v99
	s_nop 1
	v_mov_b32_dpp v99, v41 row_bcast:31 row_mask:0xf bank_mask:0xf
	v_cndmask_b32_e32 v99, 0, v99, vcc
	v_add_u32_e32 v41, v41, v99
	v_lshrrev_b32_e32 v99, 6, v34
	v_cmp_eq_u32_e32 vcc, v74, v34
	s_and_saveexec_b64 s[4:5], vcc
	s_cbranch_execz .LBB275_62
; %bb.61:
	v_lshlrev_b32_e32 v74, 2, v99
	ds_write_b32 v74, v41
.LBB275_62:
	s_or_b64 exec, exec, s[4:5]
	v_cmp_gt_u32_e32 vcc, 8, v34
	s_waitcnt lgkmcnt(0)
	s_barrier
	s_and_saveexec_b64 s[4:5], vcc
	s_cbranch_execz .LBB275_64
; %bb.63:
	v_lshlrev_b32_e32 v74, 2, v34
	ds_read_b32 v100, v74
	v_and_b32_e32 v101, 7, v73
	v_cmp_ne_u32_e32 vcc, 0, v101
	s_waitcnt lgkmcnt(0)
	v_mov_b32_dpp v102, v100 row_shr:1 row_mask:0xf bank_mask:0xf
	v_cndmask_b32_e32 v102, 0, v102, vcc
	v_add_u32_e32 v100, v102, v100
	v_cmp_lt_u32_e32 vcc, 1, v101
	s_nop 0
	v_mov_b32_dpp v102, v100 row_shr:2 row_mask:0xf bank_mask:0xf
	v_cndmask_b32_e32 v102, 0, v102, vcc
	v_add_u32_e32 v100, v100, v102
	v_cmp_lt_u32_e32 vcc, 3, v101
	s_nop 0
	v_mov_b32_dpp v102, v100 row_shr:4 row_mask:0xf bank_mask:0xf
	v_cndmask_b32_e32 v101, 0, v102, vcc
	v_add_u32_e32 v100, v100, v101
	ds_write_b32 v74, v100
.LBB275_64:
	s_or_b64 exec, exec, s[4:5]
	v_cmp_lt_u32_e32 vcc, 63, v34
	v_mov_b32_e32 v74, 0
	s_waitcnt lgkmcnt(0)
	s_barrier
	s_and_saveexec_b64 s[4:5], vcc
	s_cbranch_execz .LBB275_66
; %bb.65:
	v_lshl_add_u32 v74, v99, 2, -4
	ds_read_b32 v74, v74
.LBB275_66:
	s_or_b64 exec, exec, s[4:5]
	v_add_u32_e32 v99, -1, v73
	v_and_b32_e32 v100, 64, v73
	v_cmp_lt_i32_e32 vcc, v99, v100
	v_cndmask_b32_e32 v99, v99, v73, vcc
	s_waitcnt lgkmcnt(0)
	v_add_u32_e32 v41, v74, v41
	v_lshlrev_b32_e32 v99, 2, v99
	ds_bpermute_b32 v41, v99, v41
	v_cmp_eq_u32_e32 vcc, 0, v73
	s_waitcnt lgkmcnt(0)
	v_cndmask_b32_e32 v41, v41, v74, vcc
	v_cmp_ne_u32_e32 vcc, 0, v34
	v_cndmask_b32_e32 v41, 0, v41, vcc
	v_add_u32_e32 v0, v41, v0
	v_add_u32_e32 v1, v0, v1
	;; [unrolled: 1-line block ×3, first 2 shown]
	ds_write2_b32 v59, v41, v0 offset0:8 offset1:9
	ds_write2_b32 v98, v1, v40 offset0:2 offset1:3
	s_waitcnt lgkmcnt(0)
	s_barrier
	ds_read_b32 v0, v75 offset:32
	ds_read_b32 v1, v78 offset:32
	ds_read_b32 v40, v81 offset:32
	ds_read_b32 v41, v84 offset:32
	ds_read_b32 v73, v87 offset:32
	ds_read_b32 v74, v90 offset:32
	ds_read_b32 v75, v93 offset:32
	ds_read_b32 v78, v96 offset:32
	s_waitcnt lgkmcnt(7)
	v_add_u32_e32 v76, v0, v76
	s_waitcnt lgkmcnt(6)
	v_add3_u32 v77, v79, v77, v1
	s_waitcnt lgkmcnt(5)
	v_add3_u32 v40, v82, v80, v40
	;; [unrolled: 2-line block ×7, first 2 shown]
	s_barrier
	ds_write_b8 v76, v65
	ds_write_b8 v77, v66
	;; [unrolled: 1-line block ×8, first 2 shown]
	v_lshlrev_b32_e32 v65, 3, v76
	s_waitcnt lgkmcnt(0)
	s_barrier
	ds_read_b64 v[0:1], v50
	s_waitcnt lgkmcnt(0)
	s_barrier
	ds_write_b64 v65, v[30:31]
	v_lshlrev_b32_e32 v30, 3, v77
	ds_write_b64 v30, v[32:33]
	v_lshlrev_b32_e32 v30, 3, v40
	;; [unrolled: 2-line block ×7, first 2 shown]
	v_lshlrev_b32_e32 v30, 3, v50
	ds_write_b64 v18, v[20:21]
	s_waitcnt lgkmcnt(0)
	s_barrier
	ds_read2_b64 v[18:21], v30 offset1:1
	ds_read2_b64 v[22:25], v30 offset0:2 offset1:3
	ds_read2_b64 v[26:29], v30 offset0:4 offset1:5
	;; [unrolled: 1-line block ×3, first 2 shown]
	s_branch .LBB275_98
.LBB275_67:
	v_mad_u64_u32 v[2:3], s[20:21], v34, s34, 0
	v_mov_b32_e32 v4, v3
	v_mad_u64_u32 v[4:5], s[20:21], v34, s35, v[4:5]
	v_mov_b32_e32 v3, v4
	v_lshlrev_b64 v[2:3], 3, v[2:3]
	v_mov_b32_e32 v4, s56
	v_add_co_u32_e32 v2, vcc, s33, v2
	v_addc_co_u32_e32 v3, vcc, v4, v3, vcc
	global_load_dwordx2 v[2:3], v[2:3], off
	v_mov_b32_e32 v4, 0
	v_mov_b32_e32 v5, v4
	;; [unrolled: 1-line block ×14, first 2 shown]
	s_or_b64 exec, exec, s[4:5]
	s_and_saveexec_b64 s[4:5], s[2:3]
	s_cbranch_execz .LBB275_36
.LBB275_68:
	v_mad_u64_u32 v[4:5], s[20:21], v26, s34, 0
	v_mov_b32_e32 v38, v5
	v_mad_u64_u32 v[38:39], s[20:21], v26, s35, v[38:39]
	v_mov_b32_e32 v5, v38
	v_lshlrev_b64 v[4:5], 3, v[4:5]
	v_mov_b32_e32 v26, s56
	v_add_co_u32_e32 v4, vcc, s33, v4
	v_addc_co_u32_e32 v5, vcc, v26, v5, vcc
	global_load_dwordx2 v[4:5], v[4:5], off
	s_or_b64 exec, exec, s[4:5]
	s_and_saveexec_b64 s[4:5], s[16:17]
	s_cbranch_execz .LBB275_37
.LBB275_69:
	v_mad_u64_u32 v[6:7], s[20:21], v20, s34, 0
	v_mov_b32_e32 v26, v7
	v_mad_u64_u32 v[38:39], s[20:21], v20, s35, v[26:27]
	v_mov_b32_e32 v7, v38
	v_lshlrev_b64 v[6:7], 3, v[6:7]
	v_mov_b32_e32 v20, s56
	v_add_co_u32_e32 v6, vcc, s33, v6
	v_addc_co_u32_e32 v7, vcc, v20, v7, vcc
	global_load_dwordx2 v[6:7], v[6:7], off
	s_or_b64 exec, exec, s[4:5]
	s_and_saveexec_b64 s[4:5], s[6:7]
	s_cbranch_execz .LBB275_38
.LBB275_70:
	v_mad_u64_u32 v[8:9], s[20:21], v21, s34, 0
	v_mov_b32_e32 v20, v9
	v_mad_u64_u32 v[20:21], s[20:21], v21, s35, v[20:21]
	v_mov_b32_e32 v9, v20
	v_lshlrev_b64 v[8:9], 3, v[8:9]
	v_mov_b32_e32 v20, s56
	v_add_co_u32_e32 v8, vcc, s33, v8
	v_addc_co_u32_e32 v9, vcc, v20, v9, vcc
	global_load_dwordx2 v[8:9], v[8:9], off
	s_or_b64 exec, exec, s[4:5]
	s_and_saveexec_b64 s[4:5], s[8:9]
	s_cbranch_execz .LBB275_39
.LBB275_71:
	v_mad_u64_u32 v[10:11], s[20:21], v22, s34, 0
	v_mov_b32_e32 v20, v11
	v_mad_u64_u32 v[20:21], s[20:21], v22, s35, v[20:21]
	v_mov_b32_e32 v11, v20
	v_lshlrev_b64 v[10:11], 3, v[10:11]
	v_mov_b32_e32 v20, s56
	v_add_co_u32_e32 v10, vcc, s33, v10
	v_addc_co_u32_e32 v11, vcc, v20, v11, vcc
	global_load_dwordx2 v[10:11], v[10:11], off
	s_or_b64 exec, exec, s[4:5]
	s_and_saveexec_b64 s[4:5], s[10:11]
	s_cbranch_execz .LBB275_40
.LBB275_72:
	v_mad_u64_u32 v[12:13], s[20:21], v19, s34, 0
	v_mov_b32_e32 v20, v13
	v_mad_u64_u32 v[20:21], s[20:21], v19, s35, v[20:21]
	v_mov_b32_e32 v13, v20
	v_lshlrev_b64 v[12:13], 3, v[12:13]
	v_mov_b32_e32 v19, s56
	v_add_co_u32_e32 v12, vcc, s33, v12
	v_addc_co_u32_e32 v13, vcc, v19, v13, vcc
	global_load_dwordx2 v[12:13], v[12:13], off
	s_or_b64 exec, exec, s[4:5]
	s_and_saveexec_b64 s[4:5], s[12:13]
	s_cbranch_execz .LBB275_41
.LBB275_73:
	v_mad_u64_u32 v[14:15], s[20:21], v18, s34, 0
	v_mov_b32_e32 v20, v15
	v_mad_u64_u32 v[18:19], s[20:21], v18, s35, v[20:21]
	v_mov_b32_e32 v15, v18
	v_lshlrev_b64 v[14:15], 3, v[14:15]
	v_mov_b32_e32 v18, s56
	v_add_co_u32_e32 v14, vcc, s33, v14
	v_addc_co_u32_e32 v15, vcc, v18, v15, vcc
	global_load_dwordx2 v[14:15], v[14:15], off
	s_or_b64 exec, exec, s[4:5]
	s_and_saveexec_b64 s[4:5], s[14:15]
	s_cbranch_execnz .LBB275_42
	s_branch .LBB275_43
.LBB275_74:
                                        ; implicit-def: $vgpr1
                                        ; implicit-def: $vgpr32_vgpr33
                                        ; implicit-def: $vgpr28_vgpr29
                                        ; implicit-def: $vgpr24_vgpr25
                                        ; implicit-def: $vgpr20_vgpr21
	s_cbranch_execz .LBB275_98
; %bb.75:
	v_and_b32_e32 v0, 1, v63
	v_cmp_eq_u32_e32 vcc, 1, v0
	v_and_b32_e32 v0, 1, v37
	v_cmp_eq_u32_e64 s[4:5], 1, v0
	v_mov_b32_e32 v0, 1
	v_and_b32_sdwa v1, v0, v37 dst_sel:DWORD dst_unused:UNUSED_PAD src0_sel:DWORD src1_sel:BYTE_3
	v_cmp_eq_u32_e64 s[18:19], 1, v1
	v_and_b32_sdwa v1, v0, v37 dst_sel:DWORD dst_unused:UNUSED_PAD src0_sel:DWORD src1_sel:WORD_1
	v_cmp_eq_u32_e64 s[20:21], 1, v1
	v_and_b32_e32 v1, 1, v62
	v_cmp_eq_u32_e64 s[22:23], 1, v1
	v_and_b32_e32 v1, 1, v36
	v_and_b32_sdwa v0, v0, v36 dst_sel:DWORD dst_unused:UNUSED_PAD src0_sel:DWORD src1_sel:WORD_1
	s_xor_b64 s[36:37], vcc, -1
	v_cmp_eq_u32_e64 s[24:25], 1, v1
	v_and_b32_e32 v1, 1, v38
	v_cmp_eq_u32_e64 s[28:29], 1, v0
	v_cndmask_b32_e64 v0, 0, 1, s[36:37]
	s_xor_b64 s[4:5], s[4:5], -1
	v_cmp_eq_u32_e64 s[26:27], 1, v1
	v_lshlrev_b16_e32 v0, 8, v0
	v_cndmask_b32_e64 v1, 0, 1, s[4:5]
	s_xor_b64 s[4:5], s[18:19], -1
	v_or_b32_e32 v0, v1, v0
	v_cndmask_b32_e64 v1, 0, 1, s[4:5]
	s_xor_b64 s[4:5], s[20:21], -1
	v_lshlrev_b16_e32 v1, 8, v1
	s_waitcnt lgkmcnt(3)
	v_cndmask_b32_e64 v21, 0, 1, s[4:5]
	v_or_b32_sdwa v1, v21, v1 dst_sel:WORD_1 dst_unused:UNUSED_PAD src0_sel:DWORD src1_sel:DWORD
	s_xor_b64 s[4:5], s[22:23], -1
	v_or_b32_sdwa v1, v0, v1 dst_sel:DWORD dst_unused:UNUSED_PAD src0_sel:WORD_0 src1_sel:DWORD
	v_cndmask_b32_e64 v0, 0, 1, s[4:5]
	s_xor_b64 s[4:5], s[24:25], -1
	v_lshlrev_b16_e32 v0, 8, v0
	v_cndmask_b32_e64 v21, 0, 1, s[4:5]
	s_xor_b64 s[4:5], s[26:27], -1
	v_or_b32_e32 v0, v21, v0
	v_cndmask_b32_e64 v21, 0, 1, s[4:5]
	s_xor_b64 s[4:5], s[28:29], -1
	v_mbcnt_hi_u32_b32 v20, -1, v64
	s_waitcnt lgkmcnt(1)
	v_and_b32_e32 v29, 0x3c0, v34
	v_lshlrev_b16_e32 v21, 8, v21
	v_cndmask_b32_e64 v22, 0, 1, s[4:5]
	v_add_u32_e32 v18, v20, v29
	v_or_b32_sdwa v21, v22, v21 dst_sel:WORD_1 dst_unused:UNUSED_PAD src0_sel:DWORD src1_sel:DWORD
	v_lshlrev_b32_e32 v19, 3, v18
	v_or_b32_sdwa v0, v0, v21 dst_sel:DWORD dst_unused:UNUSED_PAD src0_sel:WORD_0 src1_sel:DWORD
	s_movk_i32 s4, 0x1e00
	ds_write_b64 v19, v[0:1]
	v_and_or_b32 v0, v50, s4, v20
	; wave barrier
	ds_read_u8 v21, v0
	ds_read_u8 v22, v0 offset:64
	ds_read_u8 v23, v0 offset:128
	;; [unrolled: 1-line block ×7, first 2 shown]
	v_lshlrev_b32_e32 v1, 6, v18
	v_lshlrev_b32_e32 v0, 3, v0
	s_getpc_b64 s[4:5]
	s_add_u32 s4, s4, _ZN7rocprim17ROCPRIM_400000_NS16block_radix_sortIbLj512ELj8ElLj1ELj1ELj0ELNS0_26block_radix_rank_algorithmE1ELNS0_18block_padding_hintE2ELNS0_4arch9wavefront6targetE1EE19radix_bits_per_passE@rel32@lo+4
	s_addc_u32 s5, s5, _ZN7rocprim17ROCPRIM_400000_NS16block_radix_sortIbLj512ELj8ElLj1ELj1ELj0ELNS0_26block_radix_rank_algorithmE1ELNS0_18block_padding_hintE2ELNS0_4arch9wavefront6targetE1EE19radix_bits_per_passE@rel32@hi+12
	s_waitcnt lgkmcnt(0)
	s_barrier
	ds_write2_b64 v1, v[14:15], v[16:17] offset1:1
	ds_write2_b64 v1, v[10:11], v[12:13] offset0:2 offset1:3
	ds_write2_b64 v1, v[6:7], v[8:9] offset0:4 offset1:5
	;; [unrolled: 1-line block ×3, first 2 shown]
	; wave barrier
	ds_read2st64_b64 v[12:15], v0 offset1:1
	ds_read2st64_b64 v[8:11], v0 offset0:2 offset1:3
	ds_read2st64_b64 v[4:7], v0 offset0:4 offset1:5
	;; [unrolled: 1-line block ×3, first 2 shown]
	s_waitcnt lgkmcnt(0)
	s_barrier
	s_load_dword s18, s[4:5], 0x0
	s_load_dword s19, s[54:55], 0xc
	s_waitcnt lgkmcnt(0)
	s_min_u32 s18, s18, 8
	s_lshr_b32 s4, s19, 16
	s_and_b32 s5, s19, 0xffff
	v_mad_u32_u24 v16, v61, s4, v60
	v_mad_u64_u32 v[16:17], s[4:5], v16, s5, v[34:35]
	s_lshl_b32 s4, -1, s18
	s_not_b32 s18, s4
	v_lshrrev_b32_e32 v18, 6, v16
	v_and_b32_e32 v16, s18, v21
	v_mov_b32_e32 v17, 0
	v_and_b32_e32 v16, 1, v16
	ds_write2_b32 v59, v17, v17 offset0:8 offset1:9
	ds_write2_b32 v59, v17, v17 offset0:10 offset1:11
	v_lshlrev_b32_e32 v17, 3, v16
	v_cmp_ne_u32_e32 vcc, 0, v16
	v_add_co_u32_e64 v16, s[4:5], -1, v16
	v_add_lshl_u32 v30, v18, v17, 2
	v_addc_co_u32_e64 v17, s[4:5], 0, -1, s[4:5]
	v_xor_b32_e32 v16, vcc_lo, v16
	v_xor_b32_e32 v17, vcc_hi, v17
	v_and_b32_e32 v16, exec_lo, v16
	v_and_b32_e32 v17, exec_hi, v17
	v_mbcnt_lo_u32_b32 v19, v16, 0
	v_mbcnt_hi_u32_b32 v31, v17, v19
	v_cmp_eq_u32_e32 vcc, 0, v31
	v_cmp_ne_u64_e64 s[4:5], 0, v[16:17]
	s_and_b64 s[20:21], s[4:5], vcc
	s_waitcnt lgkmcnt(0)
	s_barrier
	s_waitcnt lgkmcnt(0)
	; wave barrier
	s_and_saveexec_b64 s[4:5], s[20:21]
	s_cbranch_execz .LBB275_77
; %bb.76:
	v_bcnt_u32_b32 v16, v16, 0
	v_bcnt_u32_b32 v16, v17, v16
	ds_write_b32 v30, v16 offset:32
.LBB275_77:
	s_or_b64 exec, exec, s[4:5]
	v_and_b32_e32 v16, s18, v22
	v_and_b32_e32 v16, 0xff, v16
	v_lshlrev_b32_e32 v17, 3, v16
	v_cmp_ne_u32_e32 vcc, 0, v16
	v_add_co_u32_e64 v16, s[4:5], -1, v16
	v_add_lshl_u32 v33, v18, v17, 2
	v_addc_co_u32_e64 v17, s[4:5], 0, -1, s[4:5]
	v_xor_b32_e32 v16, vcc_lo, v16
	; wave barrier
	ds_read_b32 v32, v33 offset:32
	v_xor_b32_e32 v17, vcc_hi, v17
	v_and_b32_e32 v16, exec_lo, v16
	v_and_b32_e32 v17, exec_hi, v17
	v_mbcnt_lo_u32_b32 v19, v16, 0
	v_mbcnt_hi_u32_b32 v36, v17, v19
	v_cmp_eq_u32_e32 vcc, 0, v36
	v_cmp_ne_u64_e64 s[4:5], 0, v[16:17]
	s_and_b64 s[20:21], s[4:5], vcc
	; wave barrier
	s_and_saveexec_b64 s[4:5], s[20:21]
	s_cbranch_execz .LBB275_79
; %bb.78:
	v_bcnt_u32_b32 v16, v16, 0
	v_bcnt_u32_b32 v16, v17, v16
	s_waitcnt lgkmcnt(0)
	v_add_u32_e32 v16, v32, v16
	ds_write_b32 v33, v16 offset:32
.LBB275_79:
	s_or_b64 exec, exec, s[4:5]
	v_and_b32_e32 v16, s18, v23
	v_and_b32_e32 v16, 0xff, v16
	v_lshlrev_b32_e32 v17, 3, v16
	v_cmp_ne_u32_e32 vcc, 0, v16
	v_add_co_u32_e64 v16, s[4:5], -1, v16
	v_add_lshl_u32 v38, v18, v17, 2
	v_addc_co_u32_e64 v17, s[4:5], 0, -1, s[4:5]
	v_xor_b32_e32 v16, vcc_lo, v16
	; wave barrier
	ds_read_b32 v37, v38 offset:32
	v_xor_b32_e32 v17, vcc_hi, v17
	v_and_b32_e32 v16, exec_lo, v16
	v_and_b32_e32 v17, exec_hi, v17
	v_mbcnt_lo_u32_b32 v19, v16, 0
	v_mbcnt_hi_u32_b32 v40, v17, v19
	v_cmp_eq_u32_e32 vcc, 0, v40
	v_cmp_ne_u64_e64 s[4:5], 0, v[16:17]
	s_and_b64 s[20:21], s[4:5], vcc
	; wave barrier
	s_and_saveexec_b64 s[4:5], s[20:21]
	s_cbranch_execz .LBB275_81
; %bb.80:
	v_bcnt_u32_b32 v16, v16, 0
	v_bcnt_u32_b32 v16, v17, v16
	s_waitcnt lgkmcnt(0)
	v_add_u32_e32 v16, v37, v16
	ds_write_b32 v38, v16 offset:32
.LBB275_81:
	;; [unrolled: 29-line block ×6, first 2 shown]
	s_or_b64 exec, exec, s[4:5]
	v_and_b32_e32 v16, s18, v28
	v_and_b32_e32 v16, 0xff, v16
	v_lshlrev_b32_e32 v17, 3, v16
	v_cmp_ne_u32_e32 vcc, 0, v16
	v_add_co_u32_e64 v16, s[4:5], -1, v16
	v_add_lshl_u32 v72, v18, v17, 2
	v_addc_co_u32_e64 v17, s[4:5], 0, -1, s[4:5]
	v_xor_b32_e32 v16, vcc_lo, v16
	; wave barrier
	ds_read_b32 v71, v72 offset:32
	v_xor_b32_e32 v17, vcc_hi, v17
	v_and_b32_e32 v16, exec_lo, v16
	v_and_b32_e32 v17, exec_hi, v17
	v_mbcnt_lo_u32_b32 v18, v16, 0
	v_mbcnt_hi_u32_b32 v73, v17, v18
	v_cmp_eq_u32_e32 vcc, 0, v73
	v_cmp_ne_u64_e64 s[4:5], 0, v[16:17]
	v_add_u32_e32 v74, 32, v59
	s_and_b64 s[18:19], s[4:5], vcc
	; wave barrier
	s_and_saveexec_b64 s[4:5], s[18:19]
	s_cbranch_execz .LBB275_91
; %bb.90:
	v_bcnt_u32_b32 v16, v16, 0
	v_bcnt_u32_b32 v16, v17, v16
	s_waitcnt lgkmcnt(0)
	v_add_u32_e32 v16, v71, v16
	ds_write_b32 v72, v16 offset:32
.LBB275_91:
	s_or_b64 exec, exec, s[4:5]
	; wave barrier
	s_waitcnt lgkmcnt(0)
	s_barrier
	ds_read2_b32 v[16:17], v59 offset0:8 offset1:9
	ds_read2_b32 v[18:19], v74 offset0:2 offset1:3
	v_min_u32_e32 v29, 0x1c0, v29
	v_or_b32_e32 v29, 63, v29
	s_waitcnt lgkmcnt(1)
	v_add_u32_e32 v75, v17, v16
	s_waitcnt lgkmcnt(0)
	v_add3_u32 v19, v75, v18, v19
	v_and_b32_e32 v75, 15, v20
	v_cmp_ne_u32_e32 vcc, 0, v75
	v_mov_b32_dpp v76, v19 row_shr:1 row_mask:0xf bank_mask:0xf
	v_cndmask_b32_e32 v76, 0, v76, vcc
	v_add_u32_e32 v19, v76, v19
	v_cmp_lt_u32_e32 vcc, 1, v75
	s_nop 0
	v_mov_b32_dpp v76, v19 row_shr:2 row_mask:0xf bank_mask:0xf
	v_cndmask_b32_e32 v76, 0, v76, vcc
	v_add_u32_e32 v19, v19, v76
	v_cmp_lt_u32_e32 vcc, 3, v75
	s_nop 0
	;; [unrolled: 5-line block ×3, first 2 shown]
	v_mov_b32_dpp v76, v19 row_shr:8 row_mask:0xf bank_mask:0xf
	v_cndmask_b32_e32 v75, 0, v76, vcc
	v_add_u32_e32 v19, v19, v75
	v_bfe_i32 v76, v20, 4, 1
	v_cmp_lt_u32_e32 vcc, 31, v20
	v_mov_b32_dpp v75, v19 row_bcast:15 row_mask:0xf bank_mask:0xf
	v_and_b32_e32 v75, v76, v75
	v_add_u32_e32 v19, v19, v75
	s_nop 1
	v_mov_b32_dpp v75, v19 row_bcast:31 row_mask:0xf bank_mask:0xf
	v_cndmask_b32_e32 v75, 0, v75, vcc
	v_add_u32_e32 v19, v19, v75
	v_lshrrev_b32_e32 v75, 6, v34
	v_cmp_eq_u32_e32 vcc, v29, v34
	s_and_saveexec_b64 s[4:5], vcc
	s_cbranch_execz .LBB275_93
; %bb.92:
	v_lshlrev_b32_e32 v29, 2, v75
	ds_write_b32 v29, v19
.LBB275_93:
	s_or_b64 exec, exec, s[4:5]
	v_cmp_gt_u32_e32 vcc, 8, v34
	s_waitcnt lgkmcnt(0)
	s_barrier
	s_and_saveexec_b64 s[4:5], vcc
	s_cbranch_execz .LBB275_95
; %bb.94:
	v_lshlrev_b32_e32 v29, 2, v34
	ds_read_b32 v76, v29
	v_and_b32_e32 v77, 7, v20
	v_cmp_ne_u32_e32 vcc, 0, v77
	s_waitcnt lgkmcnt(0)
	v_mov_b32_dpp v78, v76 row_shr:1 row_mask:0xf bank_mask:0xf
	v_cndmask_b32_e32 v78, 0, v78, vcc
	v_add_u32_e32 v76, v78, v76
	v_cmp_lt_u32_e32 vcc, 1, v77
	s_nop 0
	v_mov_b32_dpp v78, v76 row_shr:2 row_mask:0xf bank_mask:0xf
	v_cndmask_b32_e32 v78, 0, v78, vcc
	v_add_u32_e32 v76, v76, v78
	v_cmp_lt_u32_e32 vcc, 3, v77
	s_nop 0
	v_mov_b32_dpp v78, v76 row_shr:4 row_mask:0xf bank_mask:0xf
	v_cndmask_b32_e32 v77, 0, v78, vcc
	v_add_u32_e32 v76, v76, v77
	ds_write_b32 v29, v76
.LBB275_95:
	s_or_b64 exec, exec, s[4:5]
	v_cmp_lt_u32_e32 vcc, 63, v34
	v_mov_b32_e32 v29, 0
	s_waitcnt lgkmcnt(0)
	s_barrier
	s_and_saveexec_b64 s[4:5], vcc
	s_cbranch_execz .LBB275_97
; %bb.96:
	v_lshl_add_u32 v29, v75, 2, -4
	ds_read_b32 v29, v29
.LBB275_97:
	s_or_b64 exec, exec, s[4:5]
	v_add_u32_e32 v75, -1, v20
	v_and_b32_e32 v76, 64, v20
	v_cmp_lt_i32_e32 vcc, v75, v76
	v_cndmask_b32_e32 v75, v75, v20, vcc
	s_waitcnt lgkmcnt(0)
	v_add_u32_e32 v19, v29, v19
	v_lshlrev_b32_e32 v75, 2, v75
	ds_bpermute_b32 v19, v75, v19
	v_cmp_eq_u32_e32 vcc, 0, v20
	s_waitcnt lgkmcnt(0)
	v_cndmask_b32_e32 v19, v19, v29, vcc
	v_cmp_ne_u32_e32 vcc, 0, v34
	v_cndmask_b32_e32 v19, 0, v19, vcc
	v_add_u32_e32 v16, v19, v16
	v_add_u32_e32 v17, v16, v17
	;; [unrolled: 1-line block ×3, first 2 shown]
	ds_write2_b32 v59, v19, v16 offset0:8 offset1:9
	ds_write2_b32 v74, v17, v18 offset0:2 offset1:3
	s_waitcnt lgkmcnt(0)
	s_barrier
	ds_read_b32 v16, v30 offset:32
	ds_read_b32 v17, v33 offset:32
	;; [unrolled: 1-line block ×8, first 2 shown]
	s_waitcnt lgkmcnt(7)
	v_add_u32_e32 v31, v16, v31
	s_waitcnt lgkmcnt(6)
	v_add3_u32 v32, v36, v32, v17
	s_waitcnt lgkmcnt(5)
	v_add3_u32 v18, v40, v37, v18
	;; [unrolled: 2-line block ×7, first 2 shown]
	s_barrier
	ds_write_b8 v31, v21
	ds_write_b8 v32, v22
	;; [unrolled: 1-line block ×8, first 2 shown]
	v_lshlrev_b32_e32 v21, 3, v31
	s_waitcnt lgkmcnt(0)
	s_barrier
	ds_read_b64 v[16:17], v50
	s_waitcnt lgkmcnt(0)
	s_barrier
	ds_write_b64 v21, v[12:13]
	v_lshlrev_b32_e32 v12, 3, v32
	ds_write_b64 v12, v[14:15]
	v_lshlrev_b32_e32 v12, 3, v18
	;; [unrolled: 2-line block ×8, first 2 shown]
	s_waitcnt lgkmcnt(0)
	s_barrier
	ds_read2_b64 v[18:21], v0 offset1:1
	ds_read2_b64 v[22:25], v0 offset0:2 offset1:3
	ds_read2_b64 v[26:29], v0 offset0:4 offset1:5
	ds_read2_b64 v[30:33], v0 offset0:6 offset1:7
	v_lshrrev_b32_e32 v36, 8, v16
	v_mov_b32_e32 v1, 1
	v_lshrrev_b32_e32 v37, 8, v17
	v_xor_b32_e32 v0, 1, v16
	v_xor_b32_sdwa v2, v36, v1 dst_sel:BYTE_1 dst_unused:UNUSED_PAD src0_sel:DWORD src1_sel:DWORD
	v_xor_b32_sdwa v3, v16, v1 dst_sel:DWORD dst_unused:UNUSED_PAD src0_sel:WORD_1 src1_sel:DWORD
	v_xor_b32_sdwa v4, v16, v1 dst_sel:BYTE_1 dst_unused:UNUSED_PAD src0_sel:BYTE_3 src1_sel:DWORD
	v_xor_b32_e32 v5, 1, v17
	v_xor_b32_sdwa v6, v37, v1 dst_sel:BYTE_1 dst_unused:UNUSED_PAD src0_sel:DWORD src1_sel:DWORD
	v_xor_b32_sdwa v7, v17, v1 dst_sel:DWORD dst_unused:UNUSED_PAD src0_sel:WORD_1 src1_sel:DWORD
	v_xor_b32_sdwa v1, v17, v1 dst_sel:BYTE_1 dst_unused:UNUSED_PAD src0_sel:BYTE_3 src1_sel:DWORD
	v_or_b32_sdwa v0, v0, v2 dst_sel:DWORD dst_unused:UNUSED_PAD src0_sel:BYTE_0 src1_sel:DWORD
	v_or_b32_sdwa v2, v3, v4 dst_sel:WORD_1 dst_unused:UNUSED_PAD src0_sel:BYTE_0 src1_sel:DWORD
	v_or_b32_sdwa v0, v0, v2 dst_sel:DWORD dst_unused:UNUSED_PAD src0_sel:WORD_0 src1_sel:DWORD
	v_or_b32_sdwa v2, v5, v6 dst_sel:DWORD dst_unused:UNUSED_PAD src0_sel:BYTE_0 src1_sel:DWORD
	v_or_b32_sdwa v1, v7, v1 dst_sel:WORD_1 dst_unused:UNUSED_PAD src0_sel:BYTE_0 src1_sel:DWORD
	v_or_b32_sdwa v1, v2, v1 dst_sel:DWORD dst_unused:UNUSED_PAD src0_sel:WORD_0 src1_sel:DWORD
.LBB275_98:
	s_waitcnt lgkmcnt(0)
	s_barrier
	ds_write_b64 v49, v[0:1]
	s_waitcnt lgkmcnt(0)
	s_barrier
	ds_read_u8 v8, v42 offset:512
	ds_read_u8 v7, v43 offset:1024
	;; [unrolled: 1-line block ×7, first 2 shown]
	v_pk_mov_b32 v[0:1], s[52:53], s[52:53] op_sel:[0,1]
	v_mad_u64_u32 v[0:1], s[4:5], v34, s30, v[0:1]
	v_mov_b32_e32 v10, v1
	v_mad_u64_u32 v[10:11], s[4:5], v34, s31, v[10:11]
	v_mov_b32_e32 v1, v10
	s_and_saveexec_b64 s[4:5], s[0:1]
	s_cbranch_execnz .LBB275_117
; %bb.99:
	s_or_b64 exec, exec, s[4:5]
	s_and_saveexec_b64 s[4:5], s[2:3]
	s_cbranch_execnz .LBB275_118
.LBB275_100:
	s_or_b64 exec, exec, s[4:5]
	s_and_saveexec_b64 s[4:5], s[16:17]
	s_cbranch_execnz .LBB275_119
.LBB275_101:
	s_or_b64 exec, exec, s[4:5]
	s_and_saveexec_b64 s[4:5], s[6:7]
	s_cbranch_execnz .LBB275_120
.LBB275_102:
	s_or_b64 exec, exec, s[4:5]
	s_and_saveexec_b64 s[4:5], s[8:9]
	s_cbranch_execnz .LBB275_121
.LBB275_103:
	s_or_b64 exec, exec, s[4:5]
	s_and_saveexec_b64 s[4:5], s[10:11]
	s_cbranch_execnz .LBB275_122
.LBB275_104:
	s_or_b64 exec, exec, s[4:5]
	s_and_saveexec_b64 s[4:5], s[12:13]
	s_cbranch_execnz .LBB275_123
.LBB275_105:
	s_or_b64 exec, exec, s[4:5]
	s_and_saveexec_b64 s[4:5], s[14:15]
	s_cbranch_execz .LBB275_107
.LBB275_106:
	s_waitcnt lgkmcnt(1)
	v_mov_b32_e32 v3, 0xe00
	v_mad_u64_u32 v[0:1], s[18:19], s30, v3, v[0:1]
	s_mul_i32 s18, s31, 0xe00
	v_add_u32_e32 v1, s18, v1
	s_waitcnt lgkmcnt(0)
	global_store_byte v[0:1], v2, off
.LBB275_107:
	s_or_b64 exec, exec, s[4:5]
	s_waitcnt lgkmcnt(0)
	s_barrier
	ds_write2_b64 v58, v[18:19], v[20:21] offset1:1
	ds_write2_b64 v58, v[22:23], v[24:25] offset0:2 offset1:3
	ds_write2_b64 v58, v[26:27], v[28:29] offset0:4 offset1:5
	;; [unrolled: 1-line block ×3, first 2 shown]
	s_waitcnt lgkmcnt(0)
	s_barrier
	ds_read_b64 v[14:15], v51 offset:4096
	ds_read_b64 v[12:13], v52 offset:8192
	;; [unrolled: 1-line block ×7, first 2 shown]
	v_mad_u64_u32 v[4:5], s[4:5], v34, s34, 0
	v_mov_b32_e32 v16, v5
	v_mad_u64_u32 v[16:17], s[4:5], v34, s35, v[16:17]
	v_mov_b32_e32 v5, v16
	v_lshlrev_b64 v[4:5], 3, v[4:5]
	v_mov_b32_e32 v16, s56
	v_add_co_u32_e32 v4, vcc, s33, v4
	v_addc_co_u32_e32 v5, vcc, v16, v5, vcc
	s_and_saveexec_b64 s[4:5], s[0:1]
	s_cbranch_execnz .LBB275_124
; %bb.108:
	s_or_b64 exec, exec, s[4:5]
	s_and_saveexec_b64 s[0:1], s[2:3]
	s_cbranch_execnz .LBB275_125
.LBB275_109:
	s_or_b64 exec, exec, s[0:1]
	s_and_saveexec_b64 s[0:1], s[16:17]
	s_cbranch_execnz .LBB275_126
.LBB275_110:
	s_or_b64 exec, exec, s[0:1]
	s_and_saveexec_b64 s[0:1], s[6:7]
	s_cbranch_execnz .LBB275_127
.LBB275_111:
	s_or_b64 exec, exec, s[0:1]
	s_and_saveexec_b64 s[0:1], s[8:9]
	s_cbranch_execnz .LBB275_128
.LBB275_112:
	s_or_b64 exec, exec, s[0:1]
	s_and_saveexec_b64 s[0:1], s[10:11]
	s_cbranch_execnz .LBB275_129
.LBB275_113:
	s_or_b64 exec, exec, s[0:1]
	s_and_saveexec_b64 s[0:1], s[12:13]
	s_cbranch_execnz .LBB275_130
.LBB275_114:
	s_or_b64 exec, exec, s[0:1]
	s_and_saveexec_b64 s[0:1], s[14:15]
	s_cbranch_execz .LBB275_116
.LBB275_115:
	s_waitcnt lgkmcnt(1)
	v_mov_b32_e32 v2, 0x7000
	v_mad_u64_u32 v[2:3], s[0:1], s34, v2, v[4:5]
	s_mul_i32 s0, s35, 0x7000
	v_add_u32_e32 v3, s0, v3
	s_waitcnt lgkmcnt(0)
	global_store_dwordx2 v[2:3], v[0:1], off
.LBB275_116:
	s_endpgm
.LBB275_117:
	ds_read_u8 v9, v35
	s_waitcnt lgkmcnt(0)
	global_store_byte v[0:1], v9, off
	s_or_b64 exec, exec, s[4:5]
	s_and_saveexec_b64 s[4:5], s[2:3]
	s_cbranch_execz .LBB275_100
.LBB275_118:
	s_lshl_b64 s[18:19], s[30:31], 9
	v_mov_b32_e32 v9, s19
	v_add_co_u32_e32 v10, vcc, s18, v0
	v_addc_co_u32_e32 v11, vcc, v1, v9, vcc
	s_waitcnt lgkmcnt(6)
	global_store_byte v[10:11], v8, off
	s_or_b64 exec, exec, s[4:5]
	s_and_saveexec_b64 s[4:5], s[16:17]
	s_cbranch_execz .LBB275_101
.LBB275_119:
	s_lshl_b64 s[18:19], s[30:31], 10
	v_mov_b32_e32 v9, s19
	s_waitcnt lgkmcnt(6)
	v_add_co_u32_e32 v8, vcc, s18, v0
	v_addc_co_u32_e32 v9, vcc, v1, v9, vcc
	s_waitcnt lgkmcnt(5)
	global_store_byte v[8:9], v7, off
	s_or_b64 exec, exec, s[4:5]
	s_and_saveexec_b64 s[4:5], s[6:7]
	s_cbranch_execz .LBB275_102
.LBB275_120:
	s_waitcnt lgkmcnt(5)
	v_mov_b32_e32 v7, 0x600
	v_mad_u64_u32 v[8:9], s[18:19], s30, v7, v[0:1]
	s_mul_i32 s18, s31, 0x600
	v_add_u32_e32 v9, s18, v9
	s_waitcnt lgkmcnt(4)
	global_store_byte v[8:9], v6, off
	s_or_b64 exec, exec, s[4:5]
	s_and_saveexec_b64 s[4:5], s[8:9]
	s_cbranch_execz .LBB275_103
.LBB275_121:
	s_lshl_b64 s[18:19], s[30:31], 11
	s_waitcnt lgkmcnt(5)
	v_mov_b32_e32 v7, s19
	s_waitcnt lgkmcnt(4)
	v_add_co_u32_e32 v6, vcc, s18, v0
	v_addc_co_u32_e32 v7, vcc, v1, v7, vcc
	s_waitcnt lgkmcnt(3)
	global_store_byte v[6:7], v5, off
	s_or_b64 exec, exec, s[4:5]
	s_and_saveexec_b64 s[4:5], s[10:11]
	s_cbranch_execz .LBB275_104
.LBB275_122:
	s_waitcnt lgkmcnt(3)
	v_mov_b32_e32 v5, 0xa00
	v_mad_u64_u32 v[6:7], s[18:19], s30, v5, v[0:1]
	s_mul_i32 s18, s31, 0xa00
	v_add_u32_e32 v7, s18, v7
	s_waitcnt lgkmcnt(2)
	global_store_byte v[6:7], v4, off
	s_or_b64 exec, exec, s[4:5]
	s_and_saveexec_b64 s[4:5], s[12:13]
	s_cbranch_execz .LBB275_105
.LBB275_123:
	s_waitcnt lgkmcnt(2)
	v_mov_b32_e32 v4, 0xc00
	v_mad_u64_u32 v[4:5], s[18:19], s30, v4, v[0:1]
	s_mul_i32 s18, s31, 0xc00
	v_add_u32_e32 v5, s18, v5
	s_waitcnt lgkmcnt(1)
	global_store_byte v[4:5], v3, off
	s_or_b64 exec, exec, s[4:5]
	s_and_saveexec_b64 s[4:5], s[14:15]
	s_cbranch_execnz .LBB275_106
	s_branch .LBB275_107
.LBB275_124:
	ds_read_b64 v[16:17], v39
	s_waitcnt lgkmcnt(0)
	global_store_dwordx2 v[4:5], v[16:17], off
	s_or_b64 exec, exec, s[4:5]
	s_and_saveexec_b64 s[0:1], s[2:3]
	s_cbranch_execz .LBB275_109
.LBB275_125:
	s_lshl_b64 s[2:3], s[34:35], 12
	v_mov_b32_e32 v17, s3
	v_add_co_u32_e32 v16, vcc, s2, v4
	v_addc_co_u32_e32 v17, vcc, v5, v17, vcc
	s_waitcnt lgkmcnt(6)
	global_store_dwordx2 v[16:17], v[14:15], off
	s_or_b64 exec, exec, s[0:1]
	s_and_saveexec_b64 s[0:1], s[16:17]
	s_cbranch_execz .LBB275_110
.LBB275_126:
	s_lshl_b64 s[2:3], s[34:35], 13
	s_waitcnt lgkmcnt(6)
	v_mov_b32_e32 v15, s3
	v_add_co_u32_e32 v14, vcc, s2, v4
	v_addc_co_u32_e32 v15, vcc, v5, v15, vcc
	s_waitcnt lgkmcnt(5)
	global_store_dwordx2 v[14:15], v[12:13], off
	s_or_b64 exec, exec, s[0:1]
	s_and_saveexec_b64 s[0:1], s[6:7]
	s_cbranch_execz .LBB275_111
.LBB275_127:
	s_waitcnt lgkmcnt(5)
	v_mov_b32_e32 v12, 0x3000
	v_mad_u64_u32 v[12:13], s[2:3], s34, v12, v[4:5]
	s_mul_i32 s2, s35, 0x3000
	v_add_u32_e32 v13, s2, v13
	s_waitcnt lgkmcnt(4)
	global_store_dwordx2 v[12:13], v[10:11], off
	s_or_b64 exec, exec, s[0:1]
	s_and_saveexec_b64 s[0:1], s[8:9]
	s_cbranch_execz .LBB275_112
.LBB275_128:
	s_lshl_b64 s[2:3], s[34:35], 14
	s_waitcnt lgkmcnt(4)
	v_mov_b32_e32 v11, s3
	v_add_co_u32_e32 v10, vcc, s2, v4
	v_addc_co_u32_e32 v11, vcc, v5, v11, vcc
	s_waitcnt lgkmcnt(3)
	global_store_dwordx2 v[10:11], v[8:9], off
	s_or_b64 exec, exec, s[0:1]
	s_and_saveexec_b64 s[0:1], s[10:11]
	s_cbranch_execz .LBB275_113
.LBB275_129:
	s_waitcnt lgkmcnt(3)
	v_mov_b32_e32 v8, 0x5000
	v_mad_u64_u32 v[8:9], s[2:3], s34, v8, v[4:5]
	s_mul_i32 s2, s35, 0x5000
	v_add_u32_e32 v9, s2, v9
	s_waitcnt lgkmcnt(2)
	global_store_dwordx2 v[8:9], v[6:7], off
	s_or_b64 exec, exec, s[0:1]
	s_and_saveexec_b64 s[0:1], s[12:13]
	s_cbranch_execz .LBB275_114
.LBB275_130:
	s_waitcnt lgkmcnt(2)
	v_mov_b32_e32 v6, 0x6000
	v_mad_u64_u32 v[6:7], s[2:3], s34, v6, v[4:5]
	s_mul_i32 s2, s35, 0x6000
	v_add_u32_e32 v7, s2, v7
	s_waitcnt lgkmcnt(1)
	global_store_dwordx2 v[6:7], v[2:3], off
	s_or_b64 exec, exec, s[0:1]
	s_and_saveexec_b64 s[0:1], s[14:15]
	s_cbranch_execnz .LBB275_115
	s_branch .LBB275_116
	.section	.rodata,"a",@progbits
	.p2align	6, 0x0
	.amdhsa_kernel _ZN2at6native18radixSortKVInPlaceILin1ELin1ELi512ELi8EblmEEvNS_4cuda6detail10TensorInfoIT3_T5_EES6_S6_S6_NS4_IT4_S6_EES6_b
		.amdhsa_group_segment_fixed_size 33792
		.amdhsa_private_segment_fixed_size 0
		.amdhsa_kernarg_size 1128
		.amdhsa_user_sgpr_count 6
		.amdhsa_user_sgpr_private_segment_buffer 1
		.amdhsa_user_sgpr_dispatch_ptr 0
		.amdhsa_user_sgpr_queue_ptr 0
		.amdhsa_user_sgpr_kernarg_segment_ptr 1
		.amdhsa_user_sgpr_dispatch_id 0
		.amdhsa_user_sgpr_flat_scratch_init 0
		.amdhsa_user_sgpr_kernarg_preload_length 0
		.amdhsa_user_sgpr_kernarg_preload_offset 0
		.amdhsa_user_sgpr_private_segment_size 0
		.amdhsa_uses_dynamic_stack 0
		.amdhsa_system_sgpr_private_segment_wavefront_offset 0
		.amdhsa_system_sgpr_workgroup_id_x 1
		.amdhsa_system_sgpr_workgroup_id_y 1
		.amdhsa_system_sgpr_workgroup_id_z 1
		.amdhsa_system_sgpr_workgroup_info 0
		.amdhsa_system_vgpr_workitem_id 2
		.amdhsa_next_free_vgpr 103
		.amdhsa_next_free_sgpr 57
		.amdhsa_accum_offset 104
		.amdhsa_reserve_vcc 1
		.amdhsa_reserve_flat_scratch 0
		.amdhsa_float_round_mode_32 0
		.amdhsa_float_round_mode_16_64 0
		.amdhsa_float_denorm_mode_32 3
		.amdhsa_float_denorm_mode_16_64 3
		.amdhsa_dx10_clamp 1
		.amdhsa_ieee_mode 1
		.amdhsa_fp16_overflow 0
		.amdhsa_tg_split 0
		.amdhsa_exception_fp_ieee_invalid_op 0
		.amdhsa_exception_fp_denorm_src 0
		.amdhsa_exception_fp_ieee_div_zero 0
		.amdhsa_exception_fp_ieee_overflow 0
		.amdhsa_exception_fp_ieee_underflow 0
		.amdhsa_exception_fp_ieee_inexact 0
		.amdhsa_exception_int_div_zero 0
	.end_amdhsa_kernel
	.section	.text._ZN2at6native18radixSortKVInPlaceILin1ELin1ELi512ELi8EblmEEvNS_4cuda6detail10TensorInfoIT3_T5_EES6_S6_S6_NS4_IT4_S6_EES6_b,"axG",@progbits,_ZN2at6native18radixSortKVInPlaceILin1ELin1ELi512ELi8EblmEEvNS_4cuda6detail10TensorInfoIT3_T5_EES6_S6_S6_NS4_IT4_S6_EES6_b,comdat
.Lfunc_end275:
	.size	_ZN2at6native18radixSortKVInPlaceILin1ELin1ELi512ELi8EblmEEvNS_4cuda6detail10TensorInfoIT3_T5_EES6_S6_S6_NS4_IT4_S6_EES6_b, .Lfunc_end275-_ZN2at6native18radixSortKVInPlaceILin1ELin1ELi512ELi8EblmEEvNS_4cuda6detail10TensorInfoIT3_T5_EES6_S6_S6_NS4_IT4_S6_EES6_b
                                        ; -- End function
	.section	.AMDGPU.csdata,"",@progbits
; Kernel info:
; codeLenInByte = 10196
; NumSgprs: 61
; NumVgprs: 103
; NumAgprs: 0
; TotalNumVgprs: 103
; ScratchSize: 0
; MemoryBound: 0
; FloatMode: 240
; IeeeMode: 1
; LDSByteSize: 33792 bytes/workgroup (compile time only)
; SGPRBlocks: 7
; VGPRBlocks: 12
; NumSGPRsForWavesPerEU: 61
; NumVGPRsForWavesPerEU: 103
; AccumOffset: 104
; Occupancy: 2
; WaveLimiterHint : 1
; COMPUTE_PGM_RSRC2:SCRATCH_EN: 0
; COMPUTE_PGM_RSRC2:USER_SGPR: 6
; COMPUTE_PGM_RSRC2:TRAP_HANDLER: 0
; COMPUTE_PGM_RSRC2:TGID_X_EN: 1
; COMPUTE_PGM_RSRC2:TGID_Y_EN: 1
; COMPUTE_PGM_RSRC2:TGID_Z_EN: 1
; COMPUTE_PGM_RSRC2:TIDIG_COMP_CNT: 2
; COMPUTE_PGM_RSRC3_GFX90A:ACCUM_OFFSET: 25
; COMPUTE_PGM_RSRC3_GFX90A:TG_SPLIT: 0
	.section	.text._ZN2at6native18radixSortKVInPlaceILin1ELin1ELi256ELi8EblmEEvNS_4cuda6detail10TensorInfoIT3_T5_EES6_S6_S6_NS4_IT4_S6_EES6_b,"axG",@progbits,_ZN2at6native18radixSortKVInPlaceILin1ELin1ELi256ELi8EblmEEvNS_4cuda6detail10TensorInfoIT3_T5_EES6_S6_S6_NS4_IT4_S6_EES6_b,comdat
	.protected	_ZN2at6native18radixSortKVInPlaceILin1ELin1ELi256ELi8EblmEEvNS_4cuda6detail10TensorInfoIT3_T5_EES6_S6_S6_NS4_IT4_S6_EES6_b ; -- Begin function _ZN2at6native18radixSortKVInPlaceILin1ELin1ELi256ELi8EblmEEvNS_4cuda6detail10TensorInfoIT3_T5_EES6_S6_S6_NS4_IT4_S6_EES6_b
	.globl	_ZN2at6native18radixSortKVInPlaceILin1ELin1ELi256ELi8EblmEEvNS_4cuda6detail10TensorInfoIT3_T5_EES6_S6_S6_NS4_IT4_S6_EES6_b
	.p2align	8
	.type	_ZN2at6native18radixSortKVInPlaceILin1ELin1ELi256ELi8EblmEEvNS_4cuda6detail10TensorInfoIT3_T5_EES6_S6_S6_NS4_IT4_S6_EES6_b,@function
_ZN2at6native18radixSortKVInPlaceILin1ELin1ELi256ELi8EblmEEvNS_4cuda6detail10TensorInfoIT3_T5_EES6_S6_S6_NS4_IT4_S6_EES6_b: ; @_ZN2at6native18radixSortKVInPlaceILin1ELin1ELi256ELi8EblmEEvNS_4cuda6detail10TensorInfoIT3_T5_EES6_S6_S6_NS4_IT4_S6_EES6_b
; %bb.0:
	s_load_dwordx4 s[12:15], s[4:5], 0x1a0
	s_load_dwordx2 s[0:1], s[4:5], 0x368
	s_add_u32 s54, s4, 0x368
	s_addc_u32 s55, s5, 0
	s_waitcnt lgkmcnt(0)
	v_mov_b32_e32 v2, s12
	s_mul_i32 s1, s1, s8
	s_add_i32 s1, s1, s7
	s_mul_i32 s0, s1, s0
	v_mov_b32_e32 v3, s13
	s_add_i32 s6, s0, s6
	s_mov_b32 s7, 0
	v_cmp_ge_u64_e32 vcc, s[6:7], v[2:3]
	s_cbranch_vccnz .LBB276_116
; %bb.1:
	s_load_dword s0, s[4:5], 0x198
	s_load_dwordx2 s[30:31], s[4:5], 0x1b0
	s_mov_b64 s[2:3], 0
	s_mov_b64 s[8:9], s[6:7]
	s_waitcnt lgkmcnt(0)
	s_cmp_lt_i32 s0, 2
	s_cbranch_scc1 .LBB276_9
; %bb.2:
	s_mov_b32 s10, 0
	s_add_i32 s15, s0, 1
	s_add_i32 s0, s0, -1
	s_mov_b32 s1, s10
	s_lshl_b64 s[0:1], s[0:1], 3
	s_add_u32 s0, s0, s4
	s_addc_u32 s1, s1, s5
	s_add_u32 s12, s0, 8
	s_addc_u32 s13, s1, 0
	s_mov_b64 s[16:17], s[6:7]
.LBB276_3:                              ; =>This Inner Loop Header: Depth=1
	s_load_dwordx2 s[18:19], s[12:13], 0x0
	s_waitcnt lgkmcnt(0)
	s_or_b64 s[0:1], s[16:17], s[18:19]
	s_mov_b32 s11, s1
	s_cmp_lg_u64 s[10:11], 0
	s_cbranch_scc0 .LBB276_8
; %bb.4:                                ;   in Loop: Header=BB276_3 Depth=1
	v_cvt_f32_u32_e32 v1, s18
	v_cvt_f32_u32_e32 v2, s19
	s_sub_u32 s0, 0, s18
	s_subb_u32 s1, 0, s19
	v_mac_f32_e32 v1, 0x4f800000, v2
	v_rcp_f32_e32 v1, v1
	v_mul_f32_e32 v1, 0x5f7ffffc, v1
	v_mul_f32_e32 v2, 0x2f800000, v1
	v_trunc_f32_e32 v2, v2
	v_mac_f32_e32 v1, 0xcf800000, v2
	v_cvt_u32_f32_e32 v2, v2
	v_cvt_u32_f32_e32 v1, v1
	v_readfirstlane_b32 s8, v2
	v_readfirstlane_b32 s9, v1
	s_mul_i32 s11, s0, s8
	s_mul_hi_u32 s21, s0, s9
	s_mul_i32 s20, s1, s9
	s_add_i32 s11, s21, s11
	s_mul_i32 s22, s0, s9
	s_add_i32 s11, s11, s20
	s_mul_hi_u32 s20, s9, s11
	s_mul_i32 s21, s9, s11
	s_mul_hi_u32 s9, s9, s22
	s_add_u32 s9, s9, s21
	s_addc_u32 s20, 0, s20
	s_mul_hi_u32 s23, s8, s22
	s_mul_i32 s22, s8, s22
	s_add_u32 s9, s9, s22
	s_mul_hi_u32 s21, s8, s11
	s_addc_u32 s9, s20, s23
	s_addc_u32 s20, s21, 0
	s_mul_i32 s11, s8, s11
	s_add_u32 s9, s9, s11
	s_addc_u32 s11, 0, s20
	v_add_co_u32_e32 v1, vcc, s9, v1
	s_cmp_lg_u64 vcc, 0
	s_addc_u32 s8, s8, s11
	v_readfirstlane_b32 s11, v1
	s_mul_i32 s9, s0, s8
	s_mul_hi_u32 s20, s0, s11
	s_add_i32 s9, s20, s9
	s_mul_i32 s1, s1, s11
	s_add_i32 s9, s9, s1
	s_mul_i32 s0, s0, s11
	s_mul_hi_u32 s20, s8, s0
	s_mul_i32 s21, s8, s0
	s_mul_i32 s23, s11, s9
	s_mul_hi_u32 s0, s11, s0
	s_mul_hi_u32 s22, s11, s9
	s_add_u32 s0, s0, s23
	s_addc_u32 s11, 0, s22
	s_add_u32 s0, s0, s21
	s_mul_hi_u32 s1, s8, s9
	s_addc_u32 s0, s11, s20
	s_addc_u32 s1, s1, 0
	s_mul_i32 s9, s8, s9
	s_add_u32 s0, s0, s9
	s_addc_u32 s1, 0, s1
	v_add_co_u32_e32 v1, vcc, s0, v1
	s_cmp_lg_u64 vcc, 0
	s_addc_u32 s0, s8, s1
	v_readfirstlane_b32 s9, v1
	s_mul_i32 s8, s16, s0
	s_mul_hi_u32 s11, s16, s9
	s_mul_hi_u32 s1, s16, s0
	s_add_u32 s8, s11, s8
	s_addc_u32 s1, 0, s1
	s_mul_hi_u32 s20, s17, s9
	s_mul_i32 s9, s17, s9
	s_add_u32 s8, s8, s9
	s_mul_hi_u32 s11, s17, s0
	s_addc_u32 s1, s1, s20
	s_addc_u32 s8, s11, 0
	s_mul_i32 s0, s17, s0
	s_add_u32 s11, s1, s0
	s_addc_u32 s8, 0, s8
	s_mul_i32 s0, s18, s8
	s_mul_hi_u32 s1, s18, s11
	s_add_i32 s0, s1, s0
	s_mul_i32 s1, s19, s11
	s_add_i32 s9, s0, s1
	s_mul_i32 s1, s18, s11
	v_mov_b32_e32 v1, s1
	s_sub_i32 s0, s17, s9
	v_sub_co_u32_e32 v1, vcc, s16, v1
	s_cmp_lg_u64 vcc, 0
	s_subb_u32 s20, s0, s19
	v_subrev_co_u32_e64 v2, s[0:1], s18, v1
	s_cmp_lg_u64 s[0:1], 0
	s_subb_u32 s0, s20, 0
	s_cmp_ge_u32 s0, s19
	v_readfirstlane_b32 s20, v2
	s_cselect_b32 s1, -1, 0
	s_cmp_ge_u32 s20, s18
	s_cselect_b32 s20, -1, 0
	s_cmp_eq_u32 s0, s19
	s_cselect_b32 s0, s20, s1
	s_add_u32 s1, s11, 1
	s_addc_u32 s20, s8, 0
	s_add_u32 s21, s11, 2
	s_addc_u32 s22, s8, 0
	s_cmp_lg_u32 s0, 0
	s_cselect_b32 s0, s21, s1
	s_cselect_b32 s1, s22, s20
	s_cmp_lg_u64 vcc, 0
	s_subb_u32 s9, s17, s9
	s_cmp_ge_u32 s9, s19
	v_readfirstlane_b32 s21, v1
	s_cselect_b32 s20, -1, 0
	s_cmp_ge_u32 s21, s18
	s_cselect_b32 s21, -1, 0
	s_cmp_eq_u32 s9, s19
	s_cselect_b32 s9, s21, s20
	s_cmp_lg_u32 s9, 0
	s_cselect_b32 s9, s1, s8
	s_cselect_b32 s8, s0, s11
	s_cbranch_execnz .LBB276_6
.LBB276_5:                              ;   in Loop: Header=BB276_3 Depth=1
	v_cvt_f32_u32_e32 v1, s18
	s_sub_i32 s0, 0, s18
	v_rcp_iflag_f32_e32 v1, v1
	v_mul_f32_e32 v1, 0x4f7ffffe, v1
	v_cvt_u32_f32_e32 v1, v1
	v_readfirstlane_b32 s1, v1
	s_mul_i32 s0, s0, s1
	s_mul_hi_u32 s0, s1, s0
	s_add_i32 s1, s1, s0
	s_mul_hi_u32 s0, s16, s1
	s_mul_i32 s8, s0, s18
	s_sub_i32 s8, s16, s8
	s_add_i32 s1, s0, 1
	s_sub_i32 s9, s8, s18
	s_cmp_ge_u32 s8, s18
	s_cselect_b32 s0, s1, s0
	s_cselect_b32 s8, s9, s8
	s_add_i32 s1, s0, 1
	s_cmp_ge_u32 s8, s18
	s_cselect_b32 s8, s1, s0
	s_mov_b32 s9, s10
.LBB276_6:                              ;   in Loop: Header=BB276_3 Depth=1
	s_mul_i32 s0, s8, s19
	s_mul_hi_u32 s1, s8, s18
	s_add_i32 s11, s1, s0
	s_load_dwordx2 s[0:1], s[12:13], 0xc8
	s_mul_i32 s19, s9, s18
	s_add_i32 s11, s11, s19
	s_mul_i32 s18, s8, s18
	s_sub_u32 s16, s16, s18
	s_subb_u32 s11, s17, s11
	s_waitcnt lgkmcnt(0)
	s_mul_i32 s11, s0, s11
	s_mul_hi_u32 s17, s0, s16
	s_add_i32 s11, s17, s11
	s_mul_i32 s1, s1, s16
	s_add_i32 s11, s11, s1
	s_mul_i32 s0, s0, s16
	s_add_u32 s2, s0, s2
	s_addc_u32 s3, s11, s3
	s_add_i32 s15, s15, -1
	s_add_u32 s12, s12, -8
	s_addc_u32 s13, s13, -1
	s_cmp_gt_u32 s15, 2
	s_cbranch_scc0 .LBB276_9
; %bb.7:                                ;   in Loop: Header=BB276_3 Depth=1
	s_mov_b64 s[16:17], s[8:9]
	s_branch .LBB276_3
.LBB276_8:                              ;   in Loop: Header=BB276_3 Depth=1
                                        ; implicit-def: $sgpr8_sgpr9
	s_branch .LBB276_5
.LBB276_9:
	s_load_dword s0, s[4:5], 0x350
	s_load_dwordx2 s[10:11], s[4:5], 0xd0
	s_mov_b64 s[20:21], 0
	s_waitcnt lgkmcnt(0)
	s_cmp_lt_i32 s0, 2
	s_cbranch_scc1 .LBB276_17
; %bb.10:
	s_mov_b32 s12, 0
	s_add_i32 s15, s0, 1
	s_add_i32 s0, s0, -1
	s_mov_b32 s1, s12
	s_lshl_b64 s[0:1], s[0:1], 3
	s_add_u32 s0, s0, s4
	s_addc_u32 s1, s1, s5
	s_add_u32 s16, s0, 0x1c0
	s_addc_u32 s17, s1, 0
.LBB276_11:                             ; =>This Inner Loop Header: Depth=1
	s_load_dwordx2 s[18:19], s[16:17], 0x0
	s_waitcnt lgkmcnt(0)
	s_or_b64 s[0:1], s[6:7], s[18:19]
	s_mov_b32 s13, s1
	s_cmp_lg_u64 s[12:13], 0
	s_cbranch_scc0 .LBB276_16
; %bb.12:                               ;   in Loop: Header=BB276_11 Depth=1
	v_cvt_f32_u32_e32 v1, s18
	v_cvt_f32_u32_e32 v2, s19
	s_sub_u32 s0, 0, s18
	s_subb_u32 s1, 0, s19
	v_mac_f32_e32 v1, 0x4f800000, v2
	v_rcp_f32_e32 v1, v1
	v_mul_f32_e32 v1, 0x5f7ffffc, v1
	v_mul_f32_e32 v2, 0x2f800000, v1
	v_trunc_f32_e32 v2, v2
	v_mac_f32_e32 v1, 0xcf800000, v2
	v_cvt_u32_f32_e32 v2, v2
	v_cvt_u32_f32_e32 v1, v1
	v_readfirstlane_b32 s13, v2
	v_readfirstlane_b32 s22, v1
	s_mul_i32 s23, s0, s13
	s_mul_hi_u32 s25, s0, s22
	s_mul_i32 s24, s1, s22
	s_add_i32 s23, s25, s23
	s_mul_i32 s26, s0, s22
	s_add_i32 s23, s23, s24
	s_mul_hi_u32 s24, s22, s23
	s_mul_i32 s25, s22, s23
	s_mul_hi_u32 s22, s22, s26
	s_add_u32 s22, s22, s25
	s_addc_u32 s24, 0, s24
	s_mul_hi_u32 s27, s13, s26
	s_mul_i32 s26, s13, s26
	s_add_u32 s22, s22, s26
	s_mul_hi_u32 s25, s13, s23
	s_addc_u32 s22, s24, s27
	s_addc_u32 s24, s25, 0
	s_mul_i32 s23, s13, s23
	s_add_u32 s22, s22, s23
	s_addc_u32 s23, 0, s24
	v_add_co_u32_e32 v1, vcc, s22, v1
	s_cmp_lg_u64 vcc, 0
	s_addc_u32 s13, s13, s23
	v_readfirstlane_b32 s23, v1
	s_mul_i32 s22, s0, s13
	s_mul_hi_u32 s24, s0, s23
	s_add_i32 s22, s24, s22
	s_mul_i32 s1, s1, s23
	s_add_i32 s22, s22, s1
	s_mul_i32 s0, s0, s23
	s_mul_hi_u32 s24, s13, s0
	s_mul_i32 s25, s13, s0
	s_mul_i32 s27, s23, s22
	s_mul_hi_u32 s0, s23, s0
	s_mul_hi_u32 s26, s23, s22
	s_add_u32 s0, s0, s27
	s_addc_u32 s23, 0, s26
	s_add_u32 s0, s0, s25
	s_mul_hi_u32 s1, s13, s22
	s_addc_u32 s0, s23, s24
	s_addc_u32 s1, s1, 0
	s_mul_i32 s22, s13, s22
	s_add_u32 s0, s0, s22
	s_addc_u32 s1, 0, s1
	v_add_co_u32_e32 v1, vcc, s0, v1
	s_cmp_lg_u64 vcc, 0
	s_addc_u32 s0, s13, s1
	v_readfirstlane_b32 s22, v1
	s_mul_i32 s13, s6, s0
	s_mul_hi_u32 s23, s6, s22
	s_mul_hi_u32 s1, s6, s0
	s_add_u32 s13, s23, s13
	s_addc_u32 s1, 0, s1
	s_mul_hi_u32 s24, s7, s22
	s_mul_i32 s22, s7, s22
	s_add_u32 s13, s13, s22
	s_mul_hi_u32 s23, s7, s0
	s_addc_u32 s1, s1, s24
	s_addc_u32 s13, s23, 0
	s_mul_i32 s0, s7, s0
	s_add_u32 s22, s1, s0
	s_addc_u32 s13, 0, s13
	s_mul_i32 s0, s18, s13
	s_mul_hi_u32 s1, s18, s22
	s_add_i32 s0, s1, s0
	s_mul_i32 s1, s19, s22
	s_add_i32 s23, s0, s1
	s_mul_i32 s1, s18, s22
	v_mov_b32_e32 v1, s1
	s_sub_i32 s0, s7, s23
	v_sub_co_u32_e32 v1, vcc, s6, v1
	s_cmp_lg_u64 vcc, 0
	s_subb_u32 s24, s0, s19
	v_subrev_co_u32_e64 v2, s[0:1], s18, v1
	s_cmp_lg_u64 s[0:1], 0
	s_subb_u32 s0, s24, 0
	s_cmp_ge_u32 s0, s19
	v_readfirstlane_b32 s24, v2
	s_cselect_b32 s1, -1, 0
	s_cmp_ge_u32 s24, s18
	s_cselect_b32 s24, -1, 0
	s_cmp_eq_u32 s0, s19
	s_cselect_b32 s0, s24, s1
	s_add_u32 s1, s22, 1
	s_addc_u32 s24, s13, 0
	s_add_u32 s25, s22, 2
	s_addc_u32 s26, s13, 0
	s_cmp_lg_u32 s0, 0
	s_cselect_b32 s0, s25, s1
	s_cselect_b32 s1, s26, s24
	s_cmp_lg_u64 vcc, 0
	s_subb_u32 s23, s7, s23
	s_cmp_ge_u32 s23, s19
	v_readfirstlane_b32 s25, v1
	s_cselect_b32 s24, -1, 0
	s_cmp_ge_u32 s25, s18
	s_cselect_b32 s25, -1, 0
	s_cmp_eq_u32 s23, s19
	s_cselect_b32 s23, s25, s24
	s_cmp_lg_u32 s23, 0
	s_cselect_b32 s23, s1, s13
	s_cselect_b32 s22, s0, s22
	s_cbranch_execnz .LBB276_14
.LBB276_13:                             ;   in Loop: Header=BB276_11 Depth=1
	v_cvt_f32_u32_e32 v1, s18
	s_sub_i32 s0, 0, s18
	s_mov_b32 s23, s12
	v_rcp_iflag_f32_e32 v1, v1
	v_mul_f32_e32 v1, 0x4f7ffffe, v1
	v_cvt_u32_f32_e32 v1, v1
	v_readfirstlane_b32 s1, v1
	s_mul_i32 s0, s0, s1
	s_mul_hi_u32 s0, s1, s0
	s_add_i32 s1, s1, s0
	s_mul_hi_u32 s0, s6, s1
	s_mul_i32 s13, s0, s18
	s_sub_i32 s13, s6, s13
	s_add_i32 s1, s0, 1
	s_sub_i32 s22, s13, s18
	s_cmp_ge_u32 s13, s18
	s_cselect_b32 s0, s1, s0
	s_cselect_b32 s13, s22, s13
	s_add_i32 s1, s0, 1
	s_cmp_ge_u32 s13, s18
	s_cselect_b32 s22, s1, s0
.LBB276_14:                             ;   in Loop: Header=BB276_11 Depth=1
	s_mul_i32 s0, s22, s19
	s_mul_hi_u32 s1, s22, s18
	s_add_i32 s13, s1, s0
	s_load_dwordx2 s[0:1], s[16:17], 0xc8
	s_mul_i32 s19, s23, s18
	s_add_i32 s13, s13, s19
	s_mul_i32 s18, s22, s18
	s_sub_u32 s6, s6, s18
	s_subb_u32 s7, s7, s13
	s_waitcnt lgkmcnt(0)
	s_mul_i32 s7, s0, s7
	s_mul_hi_u32 s13, s0, s6
	s_add_i32 s7, s13, s7
	s_mul_i32 s1, s1, s6
	s_add_i32 s7, s7, s1
	s_mul_i32 s0, s0, s6
	s_add_u32 s20, s0, s20
	s_addc_u32 s21, s7, s21
	s_add_i32 s15, s15, -1
	s_add_u32 s16, s16, -8
	s_addc_u32 s17, s17, -1
	s_cmp_gt_u32 s15, 2
	s_cbranch_scc0 .LBB276_18
; %bb.15:                               ;   in Loop: Header=BB276_11 Depth=1
	s_mov_b64 s[6:7], s[22:23]
	s_branch .LBB276_11
.LBB276_16:                             ;   in Loop: Header=BB276_11 Depth=1
                                        ; implicit-def: $sgpr22_sgpr23
	s_branch .LBB276_13
.LBB276_17:
	s_mov_b64 s[22:23], s[6:7]
.LBB276_18:
	s_mul_i32 s0, s10, s9
	s_mul_hi_u32 s1, s10, s8
	s_load_dword s7, s[4:5], 0x360
	s_add_i32 s6, s1, s0
	s_load_dwordx2 s[0:1], s[4:5], 0x0
	s_mul_i32 s9, s11, s8
	s_add_i32 s9, s6, s9
	s_mul_i32 s8, s10, s8
	s_waitcnt lgkmcnt(0)
	s_bitcmp1_b32 s7, 0
	s_cselect_b64 s[6:7], -1, 0
	s_add_u32 s0, s0, s8
	s_addc_u32 s1, s1, s9
	s_add_u32 s52, s0, s2
	s_addc_u32 s53, s1, s3
	s_xor_b64 s[18:19], s[6:7], -1
	v_cndmask_b32_e64 v4, 0, 1, s[18:19]
	v_lshlrev_b16_e32 v1, 8, v4
	v_or_b32_e32 v1, v4, v1
	v_lshlrev_b32_e32 v2, 16, v1
	v_and_b32_e32 v34, 0x3ff, v0
	v_or_b32_sdwa v2, v1, v2 dst_sel:DWORD dst_unused:UNUSED_PAD src0_sel:WORD_0 src1_sel:DWORD
	v_mov_b32_e32 v3, v2
	v_cmp_gt_u32_e64 s[0:1], s14, v34
	s_and_saveexec_b64 s[2:3], s[0:1]
	s_cbranch_execz .LBB276_20
; %bb.19:
	v_pk_mov_b32 v[4:5], s[52:53], s[52:53] op_sel:[0,1]
	v_mad_u64_u32 v[4:5], s[6:7], v34, s30, v[4:5]
	v_mov_b32_e32 v6, v5
	v_mad_u64_u32 v[6:7], s[6:7], v34, s31, v[6:7]
	v_mov_b32_e32 v5, v6
	global_load_ubyte v4, v[4:5], off
	s_mov_b32 s6, 0x3020104
	v_mov_b32_e32 v7, v2
	s_waitcnt vmcnt(0)
	v_perm_b32 v6, v4, v2, s6
	v_pk_mov_b32 v[2:3], v[6:7], v[6:7] op_sel:[0,1]
.LBB276_20:
	s_or_b64 exec, exec, s[2:3]
	v_add_u32_e32 v26, 0x100, v34
	v_cmp_gt_u32_e64 s[2:3], s14, v26
	s_and_saveexec_b64 s[6:7], s[2:3]
	s_cbranch_execz .LBB276_22
; %bb.21:
	v_pk_mov_b32 v[6:7], s[52:53], s[52:53] op_sel:[0,1]
	v_mad_u64_u32 v[6:7], s[8:9], v26, s30, v[6:7]
	v_mov_b32_e32 v8, v7
	v_mad_u64_u32 v[8:9], s[8:9], v26, s31, v[8:9]
	v_mov_b32_e32 v7, v8
	global_load_ubyte v1, v[6:7], off
	s_mov_b32 s8, 0x7060004
	s_waitcnt vmcnt(0)
	v_perm_b32 v2, v2, v1, s8
.LBB276_22:
	s_or_b64 exec, exec, s[6:7]
	v_add_u32_e32 v20, 0x200, v34
	v_cmp_gt_u32_e64 s[16:17], s14, v20
	s_and_saveexec_b64 s[6:7], s[16:17]
	s_cbranch_execz .LBB276_24
; %bb.23:
	v_pk_mov_b32 v[6:7], s[52:53], s[52:53] op_sel:[0,1]
	v_mad_u64_u32 v[6:7], s[8:9], v20, s30, v[6:7]
	v_mov_b32_e32 v8, v7
	v_mad_u64_u32 v[8:9], s[8:9], v20, s31, v[8:9]
	v_mov_b32_e32 v7, v8
	global_load_ubyte v1, v[6:7], off
	s_movk_i32 s8, 0xff00
	v_and_b32_sdwa v5, v2, s8 dst_sel:DWORD dst_unused:UNUSED_PAD src0_sel:WORD_1 src1_sel:DWORD
	s_mov_b32 s8, 0xffff
	s_waitcnt vmcnt(0)
	v_or_b32_sdwa v1, v1, v5 dst_sel:WORD_1 dst_unused:UNUSED_PAD src0_sel:DWORD src1_sel:DWORD
	v_and_or_b32 v2, v2, s8, v1
.LBB276_24:
	s_or_b64 exec, exec, s[6:7]
	v_add_u32_e32 v21, 0x300, v34
	v_cmp_gt_u32_e64 s[6:7], s14, v21
	s_and_saveexec_b64 s[8:9], s[6:7]
	s_cbranch_execz .LBB276_26
; %bb.25:
	v_pk_mov_b32 v[6:7], s[52:53], s[52:53] op_sel:[0,1]
	v_mad_u64_u32 v[6:7], s[10:11], v21, s30, v[6:7]
	v_mov_b32_e32 v8, v7
	v_mad_u64_u32 v[8:9], s[10:11], v21, s31, v[8:9]
	v_mov_b32_e32 v7, v8
	global_load_ubyte v1, v[6:7], off
	s_movk_i32 s10, 0xff
	v_and_b32_sdwa v5, v2, s10 dst_sel:DWORD dst_unused:UNUSED_PAD src0_sel:WORD_1 src1_sel:DWORD
	s_mov_b32 s10, 0xffff
	s_waitcnt vmcnt(0)
	v_lshlrev_b16_e32 v1, 8, v1
	v_or_b32_sdwa v1, v5, v1 dst_sel:WORD_1 dst_unused:UNUSED_PAD src0_sel:DWORD src1_sel:DWORD
	v_and_or_b32 v2, v2, s10, v1
.LBB276_26:
	s_or_b64 exec, exec, s[8:9]
	v_or_b32_e32 v22, 0x400, v34
	v_cmp_gt_u32_e64 s[8:9], s14, v22
	s_and_saveexec_b64 s[10:11], s[8:9]
	s_cbranch_execz .LBB276_28
; %bb.27:
	v_pk_mov_b32 v[6:7], s[52:53], s[52:53] op_sel:[0,1]
	v_mad_u64_u32 v[6:7], s[12:13], v22, s30, v[6:7]
	v_mov_b32_e32 v8, v7
	v_mad_u64_u32 v[8:9], s[12:13], v22, s31, v[8:9]
	v_mov_b32_e32 v7, v8
	global_load_ubyte v1, v[6:7], off
	s_mov_b32 s12, 0x3020104
	s_waitcnt vmcnt(0)
	v_perm_b32 v3, v1, v3, s12
.LBB276_28:
	s_or_b64 exec, exec, s[10:11]
	v_add_u32_e32 v19, 0x500, v34
	v_cmp_gt_u32_e64 s[10:11], s14, v19
	s_and_saveexec_b64 s[12:13], s[10:11]
	s_cbranch_execz .LBB276_30
; %bb.29:
	v_pk_mov_b32 v[6:7], s[52:53], s[52:53] op_sel:[0,1]
	v_mad_u64_u32 v[6:7], s[24:25], v19, s30, v[6:7]
	v_mov_b32_e32 v8, v7
	v_mad_u64_u32 v[8:9], s[24:25], v19, s31, v[8:9]
	v_mov_b32_e32 v7, v8
	global_load_ubyte v1, v[6:7], off
	s_mov_b32 s15, 0x7060004
	s_waitcnt vmcnt(0)
	v_perm_b32 v3, v3, v1, s15
.LBB276_30:
	s_or_b64 exec, exec, s[12:13]
	s_load_dwordx2 s[26:27], s[4:5], 0x288
	s_load_dwordx2 s[24:25], s[4:5], 0x1b8
	v_add_u32_e32 v18, 0x600, v34
	v_cmp_gt_u32_e64 s[12:13], s14, v18
	s_and_saveexec_b64 s[28:29], s[12:13]
	s_cbranch_execz .LBB276_32
; %bb.31:
	v_pk_mov_b32 v[6:7], s[52:53], s[52:53] op_sel:[0,1]
	v_mad_u64_u32 v[6:7], s[34:35], v18, s30, v[6:7]
	v_mov_b32_e32 v8, v7
	v_mad_u64_u32 v[8:9], s[34:35], v18, s31, v[8:9]
	v_mov_b32_e32 v7, v8
	global_load_ubyte v1, v[6:7], off
	s_mov_b32 s15, 0x7000504
	s_waitcnt vmcnt(0)
	v_perm_b32 v3, v3, v1, s15
.LBB276_32:
	s_or_b64 exec, exec, s[28:29]
	v_add_u32_e32 v1, 0x700, v34
	v_cmp_gt_u32_e64 s[14:15], s14, v1
	s_and_saveexec_b64 s[28:29], s[14:15]
	s_cbranch_execz .LBB276_34
; %bb.33:
	v_pk_mov_b32 v[6:7], s[52:53], s[52:53] op_sel:[0,1]
	v_mad_u64_u32 v[6:7], s[34:35], v1, s30, v[6:7]
	v_mov_b32_e32 v8, v7
	v_mad_u64_u32 v[8:9], s[34:35], v1, s31, v[8:9]
	v_mov_b32_e32 v7, v8
	global_load_ubyte v5, v[6:7], off
	s_mov_b32 s33, 0x60504
	s_waitcnt vmcnt(0)
	v_perm_b32 v3, v3, v5, s33
.LBB276_34:
	s_or_b64 exec, exec, s[28:29]
	v_lshrrev_b32_e32 v32, 5, v34
	v_and_b32_e32 v5, 28, v32
	v_add_u32_e32 v35, v5, v34
	v_lshrrev_b32_e32 v31, 5, v26
	ds_write_b8 v35, v4
	v_and_b32_e32 v4, 60, v31
	v_lshrrev_b32_e32 v30, 5, v20
	v_add_u32_e32 v42, v4, v34
	v_and_b32_e32 v4, 60, v30
	v_lshrrev_b32_e32 v29, 5, v21
	v_lshrrev_b32_e32 v5, 8, v2
	v_add_u32_e32 v43, v4, v34
	v_and_b32_e32 v4, 60, v29
	ds_write_b8 v42, v5 offset:256
	ds_write_b8_d16_hi v43, v2 offset:512
	v_lshrrev_b32_e32 v2, 24, v2
	v_add_u32_e32 v44, v4, v34
	v_lshrrev_b32_e32 v28, 5, v22
	ds_write_b8 v44, v2 offset:768
	v_and_b32_e32 v2, 60, v28
	v_lshrrev_b32_e32 v25, 5, v19
	v_add_u32_e32 v45, v2, v34
	v_and_b32_e32 v2, 0x7c, v25
	v_lshrrev_b32_e32 v24, 5, v18
	v_add_u32_e32 v46, v2, v34
	v_and_b32_e32 v2, 0x7c, v24
	v_lshrrev_b32_e32 v23, 5, v1
	s_waitcnt lgkmcnt(0)
	s_mul_i32 s23, s26, s23
	s_mul_hi_u32 s28, s26, s22
	v_add_u32_e32 v47, v2, v34
	v_and_b32_e32 v2, 0x7c, v23
	v_lshrrev_b32_e32 v27, 2, v34
	s_add_i32 s23, s28, s23
	s_mul_i32 s27, s27, s22
	v_lshrrev_b32_e32 v4, 8, v3
	v_add_u32_e32 v48, v2, v34
	v_lshlrev_b32_e32 v50, 3, v34
	v_and_b32_e32 v2, 0xfc, v27
	s_add_i32 s23, s23, s27
	s_mul_i32 s22, s26, s22
	ds_write_b8 v45, v3 offset:1024
	ds_write_b8 v46, v4 offset:1280
	ds_write_b8_d16_hi v47, v3 offset:1536
	v_lshrrev_b32_e32 v3, 24, v3
	v_add_u32_e32 v49, v2, v50
	s_lshl_b64 s[22:23], s[22:23], 3
	s_load_dwordx2 s[34:35], s[4:5], 0x358
	ds_write_b8 v48, v3 offset:1792
	s_waitcnt lgkmcnt(0)
	s_barrier
	ds_read_b64 v[36:37], v49
	s_add_u32 s22, s24, s22
	s_mov_b32 s36, 0
	s_addc_u32 s23, s25, s23
	s_lshl_b64 s[20:21], s[20:21], 3
	s_mov_b32 s37, s36
	s_add_u32 s33, s22, s20
	s_mov_b32 s38, s36
	s_mov_b32 s39, s36
	;; [unrolled: 1-line block ×14, first 2 shown]
	v_pk_mov_b32 v[2:3], s[36:37], s[36:37] op_sel:[0,1]
	s_addc_u32 s56, s23, s21
	v_pk_mov_b32 v[4:5], s[38:39], s[38:39] op_sel:[0,1]
	v_pk_mov_b32 v[6:7], s[40:41], s[40:41] op_sel:[0,1]
	;; [unrolled: 1-line block ×7, first 2 shown]
	v_pk_mov_b32 v[2:3], 0, 0
	s_waitcnt lgkmcnt(0)
	s_barrier
	s_and_saveexec_b64 s[4:5], s[0:1]
	s_cbranch_execnz .LBB276_67
; %bb.35:
	s_or_b64 exec, exec, s[4:5]
	s_and_saveexec_b64 s[4:5], s[2:3]
	s_cbranch_execnz .LBB276_68
.LBB276_36:
	s_or_b64 exec, exec, s[4:5]
	s_and_saveexec_b64 s[4:5], s[16:17]
	s_cbranch_execnz .LBB276_69
.LBB276_37:
	s_or_b64 exec, exec, s[4:5]
	s_and_saveexec_b64 s[4:5], s[6:7]
	s_cbranch_execnz .LBB276_70
.LBB276_38:
	s_or_b64 exec, exec, s[4:5]
	s_and_saveexec_b64 s[4:5], s[8:9]
	s_cbranch_execnz .LBB276_71
.LBB276_39:
	s_or_b64 exec, exec, s[4:5]
	s_and_saveexec_b64 s[4:5], s[10:11]
	s_cbranch_execnz .LBB276_72
.LBB276_40:
	s_or_b64 exec, exec, s[4:5]
	s_and_saveexec_b64 s[4:5], s[12:13]
	s_cbranch_execnz .LBB276_73
.LBB276_41:
	s_or_b64 exec, exec, s[4:5]
	s_and_saveexec_b64 s[4:5], s[14:15]
	s_cbranch_execz .LBB276_43
.LBB276_42:
	v_mad_u64_u32 v[16:17], s[20:21], v1, s34, 0
	v_mov_b32_e32 v18, v17
	v_mad_u64_u32 v[18:19], s[20:21], v1, s35, v[18:19]
	v_mov_b32_e32 v17, v18
	v_lshlrev_b64 v[16:17], 3, v[16:17]
	v_mov_b32_e32 v1, s56
	v_add_co_u32_e32 v16, vcc, s33, v16
	v_addc_co_u32_e32 v17, vcc, v1, v17, vcc
	global_load_dwordx2 v[16:17], v[16:17], off
.LBB276_43:
	s_or_b64 exec, exec, s[4:5]
	v_lshrrev_b64 v[38:39], 24, v[36:37]
	v_add_lshl_u32 v39, v32, v34, 3
	v_add_lshl_u32 v51, v31, v34, 3
	;; [unrolled: 1-line block ×9, first 2 shown]
	s_waitcnt vmcnt(0)
	ds_write_b64 v39, v[2:3]
	ds_write_b64 v51, v[4:5] offset:2048
	ds_write_b64 v52, v[6:7] offset:4096
	;; [unrolled: 1-line block ×7, first 2 shown]
	s_waitcnt lgkmcnt(0)
	s_barrier
	ds_read2_b64 v[14:17], v58 offset1:1
	ds_read2_b64 v[10:13], v58 offset0:2 offset1:3
	ds_read2_b64 v[6:9], v58 offset0:4 offset1:5
	;; [unrolled: 1-line block ×3, first 2 shown]
	v_lshrrev_b32_e32 v62, 8, v36
	v_lshrrev_b32_e32 v63, 8, v37
	s_and_b64 vcc, exec, s[18:19]
	v_bfe_u32 v60, v0, 10, 10
	v_bfe_u32 v61, v0, 20, 10
	v_mbcnt_lo_u32_b32 v64, -1, 0
	v_lshlrev_b32_e32 v59, 4, v34
	s_waitcnt lgkmcnt(0)
	s_barrier
	s_cbranch_vccz .LBB276_74
; %bb.44:
	s_movk_i32 s4, 0xff
	v_mov_b32_e32 v1, 8
	v_lshlrev_b16_e32 v0, 8, v63
	v_lshlrev_b16_sdwa v1, v1, v37 dst_sel:DWORD dst_unused:UNUSED_PAD src0_sel:DWORD src1_sel:BYTE_3
	v_and_b32_sdwa v20, v37, s4 dst_sel:DWORD dst_unused:UNUSED_PAD src0_sel:WORD_1 src1_sel:DWORD
	v_or_b32_sdwa v0, v37, v0 dst_sel:DWORD dst_unused:UNUSED_PAD src0_sel:BYTE_0 src1_sel:DWORD
	v_or_b32_sdwa v1, v20, v1 dst_sel:WORD_1 dst_unused:UNUSED_PAD src0_sel:DWORD src1_sel:DWORD
	v_mbcnt_hi_u32_b32 v73, -1, v64
	v_and_b32_e32 v74, 0x3c0, v34
	v_or_b32_sdwa v1, v0, v1 dst_sel:DWORD dst_unused:UNUSED_PAD src0_sel:WORD_0 src1_sel:DWORD
	v_lshlrev_b16_e32 v0, 8, v62
	v_lshlrev_b16_e32 v20, 8, v38
	v_and_b32_sdwa v21, v36, s4 dst_sel:DWORD dst_unused:UNUSED_PAD src0_sel:WORD_1 src1_sel:DWORD
	v_add_u32_e32 v18, v73, v74
	v_or_b32_sdwa v0, v36, v0 dst_sel:DWORD dst_unused:UNUSED_PAD src0_sel:BYTE_0 src1_sel:DWORD
	v_or_b32_sdwa v20, v21, v20 dst_sel:WORD_1 dst_unused:UNUSED_PAD src0_sel:DWORD src1_sel:DWORD
	v_lshlrev_b32_e32 v19, 3, v18
	v_or_b32_sdwa v0, v0, v20 dst_sel:DWORD dst_unused:UNUSED_PAD src0_sel:WORD_0 src1_sel:DWORD
	s_movk_i32 s4, 0x1e00
	ds_write_b64 v19, v[0:1]
	v_and_or_b32 v0, v50, s4, v73
	; wave barrier
	ds_read_u8 v65, v0
	ds_read_u8 v66, v0 offset:64
	ds_read_u8 v67, v0 offset:128
	;; [unrolled: 1-line block ×7, first 2 shown]
	v_lshlrev_b32_e32 v1, 6, v18
	v_lshlrev_b32_e32 v0, 3, v0
	s_getpc_b64 s[4:5]
	s_add_u32 s4, s4, _ZN7rocprim17ROCPRIM_400000_NS16block_radix_sortIbLj256ELj8ElLj1ELj1ELj0ELNS0_26block_radix_rank_algorithmE1ELNS0_18block_padding_hintE2ELNS0_4arch9wavefront6targetE1EE19radix_bits_per_passE@rel32@lo+4
	s_addc_u32 s5, s5, _ZN7rocprim17ROCPRIM_400000_NS16block_radix_sortIbLj256ELj8ElLj1ELj1ELj0ELNS0_26block_radix_rank_algorithmE1ELNS0_18block_padding_hintE2ELNS0_4arch9wavefront6targetE1EE19radix_bits_per_passE@rel32@hi+12
	s_waitcnt lgkmcnt(0)
	s_barrier
	ds_write2_b64 v1, v[14:15], v[16:17] offset1:1
	ds_write2_b64 v1, v[10:11], v[12:13] offset0:2 offset1:3
	ds_write2_b64 v1, v[6:7], v[8:9] offset0:4 offset1:5
	;; [unrolled: 1-line block ×3, first 2 shown]
	; wave barrier
	ds_read2st64_b64 v[30:33], v0 offset1:1
	ds_read2st64_b64 v[26:29], v0 offset0:2 offset1:3
	ds_read2st64_b64 v[22:25], v0 offset0:4 offset1:5
	;; [unrolled: 1-line block ×3, first 2 shown]
	s_waitcnt lgkmcnt(0)
	s_barrier
	s_load_dword s18, s[4:5], 0x0
	s_load_dword s19, s[54:55], 0xc
	s_waitcnt lgkmcnt(0)
	s_min_u32 s18, s18, 8
	s_lshr_b32 s4, s19, 16
	s_and_b32 s5, s19, 0xffff
	v_mad_u32_u24 v0, v61, s4, v60
	v_mad_u64_u32 v[0:1], s[4:5], v0, s5, v[34:35]
	s_lshl_b32 s4, -1, s18
	s_not_b32 s18, s4
	v_lshrrev_b32_e32 v40, 6, v0
	v_and_b32_e32 v0, s18, v65
	v_mov_b32_e32 v1, 0
	v_and_b32_e32 v0, 1, v0
	ds_write2_b32 v59, v1, v1 offset0:4 offset1:5
	ds_write2_b32 v59, v1, v1 offset0:6 offset1:7
	v_lshlrev_b32_e32 v1, 2, v0
	v_cmp_ne_u32_e32 vcc, 0, v0
	v_add_co_u32_e64 v0, s[4:5], -1, v0
	v_add_lshl_u32 v75, v40, v1, 2
	v_addc_co_u32_e64 v1, s[4:5], 0, -1, s[4:5]
	v_xor_b32_e32 v0, vcc_lo, v0
	v_xor_b32_e32 v1, vcc_hi, v1
	v_and_b32_e32 v0, exec_lo, v0
	v_and_b32_e32 v1, exec_hi, v1
	v_mbcnt_lo_u32_b32 v41, v0, 0
	v_mbcnt_hi_u32_b32 v76, v1, v41
	v_cmp_eq_u32_e32 vcc, 0, v76
	v_cmp_ne_u64_e64 s[4:5], 0, v[0:1]
	s_and_b64 s[20:21], s[4:5], vcc
	s_waitcnt lgkmcnt(0)
	s_barrier
	s_waitcnt lgkmcnt(0)
	; wave barrier
	s_and_saveexec_b64 s[4:5], s[20:21]
	s_cbranch_execz .LBB276_46
; %bb.45:
	v_bcnt_u32_b32 v0, v0, 0
	v_bcnt_u32_b32 v0, v1, v0
	ds_write_b32 v75, v0 offset:16
.LBB276_46:
	s_or_b64 exec, exec, s[4:5]
	v_and_b32_e32 v0, s18, v66
	v_and_b32_e32 v0, 0xff, v0
	v_lshlrev_b32_e32 v1, 2, v0
	v_cmp_ne_u32_e32 vcc, 0, v0
	v_add_co_u32_e64 v0, s[4:5], -1, v0
	v_add_lshl_u32 v78, v40, v1, 2
	v_addc_co_u32_e64 v1, s[4:5], 0, -1, s[4:5]
	v_xor_b32_e32 v0, vcc_lo, v0
	; wave barrier
	ds_read_b32 v77, v78 offset:16
	v_xor_b32_e32 v1, vcc_hi, v1
	v_and_b32_e32 v0, exec_lo, v0
	v_and_b32_e32 v1, exec_hi, v1
	v_mbcnt_lo_u32_b32 v41, v0, 0
	v_mbcnt_hi_u32_b32 v79, v1, v41
	v_cmp_eq_u32_e32 vcc, 0, v79
	v_cmp_ne_u64_e64 s[4:5], 0, v[0:1]
	s_and_b64 s[20:21], s[4:5], vcc
	; wave barrier
	s_and_saveexec_b64 s[4:5], s[20:21]
	s_cbranch_execz .LBB276_48
; %bb.47:
	v_bcnt_u32_b32 v0, v0, 0
	v_bcnt_u32_b32 v0, v1, v0
	s_waitcnt lgkmcnt(0)
	v_add_u32_e32 v0, v77, v0
	ds_write_b32 v78, v0 offset:16
.LBB276_48:
	s_or_b64 exec, exec, s[4:5]
	v_and_b32_e32 v0, s18, v67
	v_and_b32_e32 v0, 0xff, v0
	v_lshlrev_b32_e32 v1, 2, v0
	v_cmp_ne_u32_e32 vcc, 0, v0
	v_add_co_u32_e64 v0, s[4:5], -1, v0
	v_add_lshl_u32 v81, v40, v1, 2
	v_addc_co_u32_e64 v1, s[4:5], 0, -1, s[4:5]
	v_xor_b32_e32 v0, vcc_lo, v0
	; wave barrier
	ds_read_b32 v80, v81 offset:16
	v_xor_b32_e32 v1, vcc_hi, v1
	v_and_b32_e32 v0, exec_lo, v0
	v_and_b32_e32 v1, exec_hi, v1
	v_mbcnt_lo_u32_b32 v41, v0, 0
	v_mbcnt_hi_u32_b32 v82, v1, v41
	v_cmp_eq_u32_e32 vcc, 0, v82
	v_cmp_ne_u64_e64 s[4:5], 0, v[0:1]
	s_and_b64 s[20:21], s[4:5], vcc
	; wave barrier
	s_and_saveexec_b64 s[4:5], s[20:21]
	s_cbranch_execz .LBB276_50
; %bb.49:
	v_bcnt_u32_b32 v0, v0, 0
	v_bcnt_u32_b32 v0, v1, v0
	s_waitcnt lgkmcnt(0)
	v_add_u32_e32 v0, v80, v0
	ds_write_b32 v81, v0 offset:16
.LBB276_50:
	;; [unrolled: 29-line block ×6, first 2 shown]
	s_or_b64 exec, exec, s[4:5]
	v_and_b32_e32 v0, s18, v72
	v_and_b32_e32 v0, 0xff, v0
	v_lshlrev_b32_e32 v1, 2, v0
	v_cmp_ne_u32_e32 vcc, 0, v0
	v_add_co_u32_e64 v0, s[4:5], -1, v0
	v_add_lshl_u32 v96, v40, v1, 2
	v_addc_co_u32_e64 v1, s[4:5], 0, -1, s[4:5]
	v_xor_b32_e32 v0, vcc_lo, v0
	; wave barrier
	ds_read_b32 v95, v96 offset:16
	v_xor_b32_e32 v1, vcc_hi, v1
	v_and_b32_e32 v0, exec_lo, v0
	v_and_b32_e32 v1, exec_hi, v1
	v_mbcnt_lo_u32_b32 v40, v0, 0
	v_mbcnt_hi_u32_b32 v97, v1, v40
	v_cmp_eq_u32_e32 vcc, 0, v97
	v_cmp_ne_u64_e64 s[4:5], 0, v[0:1]
	v_add_u32_e32 v98, 16, v59
	s_and_b64 s[18:19], s[4:5], vcc
	; wave barrier
	s_and_saveexec_b64 s[4:5], s[18:19]
	s_cbranch_execz .LBB276_60
; %bb.59:
	v_bcnt_u32_b32 v0, v0, 0
	v_bcnt_u32_b32 v0, v1, v0
	s_waitcnt lgkmcnt(0)
	v_add_u32_e32 v0, v95, v0
	ds_write_b32 v96, v0 offset:16
.LBB276_60:
	s_or_b64 exec, exec, s[4:5]
	; wave barrier
	s_waitcnt lgkmcnt(0)
	s_barrier
	ds_read2_b32 v[0:1], v59 offset0:4 offset1:5
	ds_read2_b32 v[40:41], v98 offset0:2 offset1:3
	v_min_u32_e32 v74, 0xc0, v74
	v_or_b32_e32 v74, 63, v74
	s_waitcnt lgkmcnt(1)
	v_add_u32_e32 v99, v1, v0
	s_waitcnt lgkmcnt(0)
	v_add3_u32 v41, v99, v40, v41
	v_and_b32_e32 v99, 15, v73
	v_cmp_ne_u32_e32 vcc, 0, v99
	v_mov_b32_dpp v100, v41 row_shr:1 row_mask:0xf bank_mask:0xf
	v_cndmask_b32_e32 v100, 0, v100, vcc
	v_add_u32_e32 v41, v100, v41
	v_cmp_lt_u32_e32 vcc, 1, v99
	s_nop 0
	v_mov_b32_dpp v100, v41 row_shr:2 row_mask:0xf bank_mask:0xf
	v_cndmask_b32_e32 v100, 0, v100, vcc
	v_add_u32_e32 v41, v41, v100
	v_cmp_lt_u32_e32 vcc, 3, v99
	s_nop 0
	;; [unrolled: 5-line block ×3, first 2 shown]
	v_mov_b32_dpp v100, v41 row_shr:8 row_mask:0xf bank_mask:0xf
	v_cndmask_b32_e32 v99, 0, v100, vcc
	v_add_u32_e32 v41, v41, v99
	v_bfe_i32 v100, v73, 4, 1
	v_cmp_lt_u32_e32 vcc, 31, v73
	v_mov_b32_dpp v99, v41 row_bcast:15 row_mask:0xf bank_mask:0xf
	v_and_b32_e32 v99, v100, v99
	v_add_u32_e32 v41, v41, v99
	s_nop 1
	v_mov_b32_dpp v99, v41 row_bcast:31 row_mask:0xf bank_mask:0xf
	v_cndmask_b32_e32 v99, 0, v99, vcc
	v_add_u32_e32 v41, v41, v99
	v_lshrrev_b32_e32 v99, 6, v34
	v_cmp_eq_u32_e32 vcc, v74, v34
	s_and_saveexec_b64 s[4:5], vcc
	s_cbranch_execz .LBB276_62
; %bb.61:
	v_lshlrev_b32_e32 v74, 2, v99
	ds_write_b32 v74, v41
.LBB276_62:
	s_or_b64 exec, exec, s[4:5]
	v_cmp_gt_u32_e32 vcc, 4, v34
	s_waitcnt lgkmcnt(0)
	s_barrier
	s_and_saveexec_b64 s[4:5], vcc
	s_cbranch_execz .LBB276_64
; %bb.63:
	v_lshlrev_b32_e32 v74, 2, v34
	ds_read_b32 v100, v74
	v_and_b32_e32 v101, 3, v73
	v_cmp_ne_u32_e32 vcc, 0, v101
	s_waitcnt lgkmcnt(0)
	v_mov_b32_dpp v102, v100 row_shr:1 row_mask:0xf bank_mask:0xf
	v_cndmask_b32_e32 v102, 0, v102, vcc
	v_add_u32_e32 v100, v102, v100
	v_cmp_lt_u32_e32 vcc, 1, v101
	s_nop 0
	v_mov_b32_dpp v102, v100 row_shr:2 row_mask:0xf bank_mask:0xf
	v_cndmask_b32_e32 v101, 0, v102, vcc
	v_add_u32_e32 v100, v100, v101
	ds_write_b32 v74, v100
.LBB276_64:
	s_or_b64 exec, exec, s[4:5]
	v_cmp_lt_u32_e32 vcc, 63, v34
	v_mov_b32_e32 v74, 0
	s_waitcnt lgkmcnt(0)
	s_barrier
	s_and_saveexec_b64 s[4:5], vcc
	s_cbranch_execz .LBB276_66
; %bb.65:
	v_lshl_add_u32 v74, v99, 2, -4
	ds_read_b32 v74, v74
.LBB276_66:
	s_or_b64 exec, exec, s[4:5]
	v_add_u32_e32 v99, -1, v73
	v_and_b32_e32 v100, 64, v73
	v_cmp_lt_i32_e32 vcc, v99, v100
	v_cndmask_b32_e32 v99, v99, v73, vcc
	s_waitcnt lgkmcnt(0)
	v_add_u32_e32 v41, v74, v41
	v_lshlrev_b32_e32 v99, 2, v99
	ds_bpermute_b32 v41, v99, v41
	v_cmp_eq_u32_e32 vcc, 0, v73
	s_waitcnt lgkmcnt(0)
	v_cndmask_b32_e32 v41, v41, v74, vcc
	v_cmp_ne_u32_e32 vcc, 0, v34
	v_cndmask_b32_e32 v41, 0, v41, vcc
	v_add_u32_e32 v0, v41, v0
	v_add_u32_e32 v1, v0, v1
	;; [unrolled: 1-line block ×3, first 2 shown]
	ds_write2_b32 v59, v41, v0 offset0:4 offset1:5
	ds_write2_b32 v98, v1, v40 offset0:2 offset1:3
	s_waitcnt lgkmcnt(0)
	s_barrier
	ds_read_b32 v0, v75 offset:16
	ds_read_b32 v1, v78 offset:16
	;; [unrolled: 1-line block ×8, first 2 shown]
	s_waitcnt lgkmcnt(7)
	v_add_u32_e32 v76, v0, v76
	s_waitcnt lgkmcnt(6)
	v_add3_u32 v77, v79, v77, v1
	s_waitcnt lgkmcnt(5)
	v_add3_u32 v40, v82, v80, v40
	;; [unrolled: 2-line block ×7, first 2 shown]
	s_barrier
	ds_write_b8 v76, v65
	ds_write_b8 v77, v66
	ds_write_b8 v40, v67
	ds_write_b8 v41, v68
	ds_write_b8 v73, v69
	ds_write_b8 v74, v70
	ds_write_b8 v75, v71
	ds_write_b8 v78, v72
	v_lshlrev_b32_e32 v65, 3, v76
	s_waitcnt lgkmcnt(0)
	s_barrier
	ds_read_b64 v[0:1], v50
	s_waitcnt lgkmcnt(0)
	s_barrier
	ds_write_b64 v65, v[30:31]
	v_lshlrev_b32_e32 v30, 3, v77
	ds_write_b64 v30, v[32:33]
	v_lshlrev_b32_e32 v30, 3, v40
	;; [unrolled: 2-line block ×7, first 2 shown]
	v_lshlrev_b32_e32 v30, 3, v50
	ds_write_b64 v18, v[20:21]
	s_waitcnt lgkmcnt(0)
	s_barrier
	ds_read2_b64 v[18:21], v30 offset1:1
	ds_read2_b64 v[22:25], v30 offset0:2 offset1:3
	ds_read2_b64 v[26:29], v30 offset0:4 offset1:5
	;; [unrolled: 1-line block ×3, first 2 shown]
	s_branch .LBB276_98
.LBB276_67:
	v_mad_u64_u32 v[2:3], s[20:21], v34, s34, 0
	v_mov_b32_e32 v4, v3
	v_mad_u64_u32 v[4:5], s[20:21], v34, s35, v[4:5]
	v_mov_b32_e32 v3, v4
	v_lshlrev_b64 v[2:3], 3, v[2:3]
	v_mov_b32_e32 v4, s56
	v_add_co_u32_e32 v2, vcc, s33, v2
	v_addc_co_u32_e32 v3, vcc, v4, v3, vcc
	global_load_dwordx2 v[2:3], v[2:3], off
	v_mov_b32_e32 v4, 0
	v_mov_b32_e32 v5, v4
	;; [unrolled: 1-line block ×14, first 2 shown]
	s_or_b64 exec, exec, s[4:5]
	s_and_saveexec_b64 s[4:5], s[2:3]
	s_cbranch_execz .LBB276_36
.LBB276_68:
	v_mad_u64_u32 v[4:5], s[20:21], v26, s34, 0
	v_mov_b32_e32 v38, v5
	v_mad_u64_u32 v[38:39], s[20:21], v26, s35, v[38:39]
	v_mov_b32_e32 v5, v38
	v_lshlrev_b64 v[4:5], 3, v[4:5]
	v_mov_b32_e32 v26, s56
	v_add_co_u32_e32 v4, vcc, s33, v4
	v_addc_co_u32_e32 v5, vcc, v26, v5, vcc
	global_load_dwordx2 v[4:5], v[4:5], off
	s_or_b64 exec, exec, s[4:5]
	s_and_saveexec_b64 s[4:5], s[16:17]
	s_cbranch_execz .LBB276_37
.LBB276_69:
	v_mad_u64_u32 v[6:7], s[20:21], v20, s34, 0
	v_mov_b32_e32 v26, v7
	v_mad_u64_u32 v[38:39], s[20:21], v20, s35, v[26:27]
	v_mov_b32_e32 v7, v38
	v_lshlrev_b64 v[6:7], 3, v[6:7]
	v_mov_b32_e32 v20, s56
	v_add_co_u32_e32 v6, vcc, s33, v6
	v_addc_co_u32_e32 v7, vcc, v20, v7, vcc
	global_load_dwordx2 v[6:7], v[6:7], off
	s_or_b64 exec, exec, s[4:5]
	s_and_saveexec_b64 s[4:5], s[6:7]
	s_cbranch_execz .LBB276_38
.LBB276_70:
	v_mad_u64_u32 v[8:9], s[20:21], v21, s34, 0
	v_mov_b32_e32 v20, v9
	v_mad_u64_u32 v[20:21], s[20:21], v21, s35, v[20:21]
	v_mov_b32_e32 v9, v20
	v_lshlrev_b64 v[8:9], 3, v[8:9]
	v_mov_b32_e32 v20, s56
	v_add_co_u32_e32 v8, vcc, s33, v8
	v_addc_co_u32_e32 v9, vcc, v20, v9, vcc
	global_load_dwordx2 v[8:9], v[8:9], off
	s_or_b64 exec, exec, s[4:5]
	s_and_saveexec_b64 s[4:5], s[8:9]
	s_cbranch_execz .LBB276_39
.LBB276_71:
	v_mad_u64_u32 v[10:11], s[20:21], v22, s34, 0
	v_mov_b32_e32 v20, v11
	v_mad_u64_u32 v[20:21], s[20:21], v22, s35, v[20:21]
	v_mov_b32_e32 v11, v20
	v_lshlrev_b64 v[10:11], 3, v[10:11]
	v_mov_b32_e32 v20, s56
	v_add_co_u32_e32 v10, vcc, s33, v10
	v_addc_co_u32_e32 v11, vcc, v20, v11, vcc
	global_load_dwordx2 v[10:11], v[10:11], off
	s_or_b64 exec, exec, s[4:5]
	s_and_saveexec_b64 s[4:5], s[10:11]
	s_cbranch_execz .LBB276_40
.LBB276_72:
	v_mad_u64_u32 v[12:13], s[20:21], v19, s34, 0
	v_mov_b32_e32 v20, v13
	v_mad_u64_u32 v[20:21], s[20:21], v19, s35, v[20:21]
	v_mov_b32_e32 v13, v20
	v_lshlrev_b64 v[12:13], 3, v[12:13]
	v_mov_b32_e32 v19, s56
	v_add_co_u32_e32 v12, vcc, s33, v12
	v_addc_co_u32_e32 v13, vcc, v19, v13, vcc
	global_load_dwordx2 v[12:13], v[12:13], off
	s_or_b64 exec, exec, s[4:5]
	s_and_saveexec_b64 s[4:5], s[12:13]
	s_cbranch_execz .LBB276_41
.LBB276_73:
	v_mad_u64_u32 v[14:15], s[20:21], v18, s34, 0
	v_mov_b32_e32 v20, v15
	v_mad_u64_u32 v[18:19], s[20:21], v18, s35, v[20:21]
	v_mov_b32_e32 v15, v18
	v_lshlrev_b64 v[14:15], 3, v[14:15]
	v_mov_b32_e32 v18, s56
	v_add_co_u32_e32 v14, vcc, s33, v14
	v_addc_co_u32_e32 v15, vcc, v18, v15, vcc
	global_load_dwordx2 v[14:15], v[14:15], off
	s_or_b64 exec, exec, s[4:5]
	s_and_saveexec_b64 s[4:5], s[14:15]
	s_cbranch_execnz .LBB276_42
	s_branch .LBB276_43
.LBB276_74:
                                        ; implicit-def: $vgpr1
                                        ; implicit-def: $vgpr32_vgpr33
                                        ; implicit-def: $vgpr28_vgpr29
                                        ; implicit-def: $vgpr24_vgpr25
                                        ; implicit-def: $vgpr20_vgpr21
	s_cbranch_execz .LBB276_98
; %bb.75:
	v_and_b32_e32 v0, 1, v63
	v_cmp_eq_u32_e32 vcc, 1, v0
	v_and_b32_e32 v0, 1, v37
	v_cmp_eq_u32_e64 s[4:5], 1, v0
	v_mov_b32_e32 v0, 1
	v_and_b32_sdwa v1, v0, v37 dst_sel:DWORD dst_unused:UNUSED_PAD src0_sel:DWORD src1_sel:BYTE_3
	v_cmp_eq_u32_e64 s[18:19], 1, v1
	v_and_b32_sdwa v1, v0, v37 dst_sel:DWORD dst_unused:UNUSED_PAD src0_sel:DWORD src1_sel:WORD_1
	v_cmp_eq_u32_e64 s[20:21], 1, v1
	v_and_b32_e32 v1, 1, v62
	v_cmp_eq_u32_e64 s[22:23], 1, v1
	v_and_b32_e32 v1, 1, v36
	v_and_b32_sdwa v0, v0, v36 dst_sel:DWORD dst_unused:UNUSED_PAD src0_sel:DWORD src1_sel:WORD_1
	s_xor_b64 s[36:37], vcc, -1
	v_cmp_eq_u32_e64 s[24:25], 1, v1
	v_and_b32_e32 v1, 1, v38
	v_cmp_eq_u32_e64 s[28:29], 1, v0
	v_cndmask_b32_e64 v0, 0, 1, s[36:37]
	s_xor_b64 s[4:5], s[4:5], -1
	v_cmp_eq_u32_e64 s[26:27], 1, v1
	v_lshlrev_b16_e32 v0, 8, v0
	v_cndmask_b32_e64 v1, 0, 1, s[4:5]
	s_xor_b64 s[4:5], s[18:19], -1
	v_or_b32_e32 v0, v1, v0
	v_cndmask_b32_e64 v1, 0, 1, s[4:5]
	s_xor_b64 s[4:5], s[20:21], -1
	v_lshlrev_b16_e32 v1, 8, v1
	s_waitcnt lgkmcnt(3)
	v_cndmask_b32_e64 v21, 0, 1, s[4:5]
	v_or_b32_sdwa v1, v21, v1 dst_sel:WORD_1 dst_unused:UNUSED_PAD src0_sel:DWORD src1_sel:DWORD
	s_xor_b64 s[4:5], s[22:23], -1
	v_or_b32_sdwa v1, v0, v1 dst_sel:DWORD dst_unused:UNUSED_PAD src0_sel:WORD_0 src1_sel:DWORD
	v_cndmask_b32_e64 v0, 0, 1, s[4:5]
	s_xor_b64 s[4:5], s[24:25], -1
	v_lshlrev_b16_e32 v0, 8, v0
	v_cndmask_b32_e64 v21, 0, 1, s[4:5]
	s_xor_b64 s[4:5], s[26:27], -1
	v_or_b32_e32 v0, v21, v0
	v_cndmask_b32_e64 v21, 0, 1, s[4:5]
	s_xor_b64 s[4:5], s[28:29], -1
	v_mbcnt_hi_u32_b32 v20, -1, v64
	s_waitcnt lgkmcnt(1)
	v_and_b32_e32 v29, 0x3c0, v34
	v_lshlrev_b16_e32 v21, 8, v21
	v_cndmask_b32_e64 v22, 0, 1, s[4:5]
	v_add_u32_e32 v18, v20, v29
	v_or_b32_sdwa v21, v22, v21 dst_sel:WORD_1 dst_unused:UNUSED_PAD src0_sel:DWORD src1_sel:DWORD
	v_lshlrev_b32_e32 v19, 3, v18
	v_or_b32_sdwa v0, v0, v21 dst_sel:DWORD dst_unused:UNUSED_PAD src0_sel:WORD_0 src1_sel:DWORD
	s_movk_i32 s4, 0x1e00
	ds_write_b64 v19, v[0:1]
	v_and_or_b32 v0, v50, s4, v20
	; wave barrier
	ds_read_u8 v21, v0
	ds_read_u8 v22, v0 offset:64
	ds_read_u8 v23, v0 offset:128
	ds_read_u8 v24, v0 offset:192
	ds_read_u8 v25, v0 offset:256
	ds_read_u8 v26, v0 offset:320
	ds_read_u8 v27, v0 offset:384
	ds_read_u8 v28, v0 offset:448
	v_lshlrev_b32_e32 v1, 6, v18
	v_lshlrev_b32_e32 v0, 3, v0
	s_getpc_b64 s[4:5]
	s_add_u32 s4, s4, _ZN7rocprim17ROCPRIM_400000_NS16block_radix_sortIbLj256ELj8ElLj1ELj1ELj0ELNS0_26block_radix_rank_algorithmE1ELNS0_18block_padding_hintE2ELNS0_4arch9wavefront6targetE1EE19radix_bits_per_passE@rel32@lo+4
	s_addc_u32 s5, s5, _ZN7rocprim17ROCPRIM_400000_NS16block_radix_sortIbLj256ELj8ElLj1ELj1ELj0ELNS0_26block_radix_rank_algorithmE1ELNS0_18block_padding_hintE2ELNS0_4arch9wavefront6targetE1EE19radix_bits_per_passE@rel32@hi+12
	s_waitcnt lgkmcnt(0)
	s_barrier
	ds_write2_b64 v1, v[14:15], v[16:17] offset1:1
	ds_write2_b64 v1, v[10:11], v[12:13] offset0:2 offset1:3
	ds_write2_b64 v1, v[6:7], v[8:9] offset0:4 offset1:5
	;; [unrolled: 1-line block ×3, first 2 shown]
	; wave barrier
	ds_read2st64_b64 v[12:15], v0 offset1:1
	ds_read2st64_b64 v[8:11], v0 offset0:2 offset1:3
	ds_read2st64_b64 v[4:7], v0 offset0:4 offset1:5
	ds_read2st64_b64 v[0:3], v0 offset0:6 offset1:7
	s_waitcnt lgkmcnt(0)
	s_barrier
	s_load_dword s18, s[4:5], 0x0
	s_load_dword s19, s[54:55], 0xc
	s_waitcnt lgkmcnt(0)
	s_min_u32 s18, s18, 8
	s_lshr_b32 s4, s19, 16
	s_and_b32 s5, s19, 0xffff
	v_mad_u32_u24 v16, v61, s4, v60
	v_mad_u64_u32 v[16:17], s[4:5], v16, s5, v[34:35]
	s_lshl_b32 s4, -1, s18
	s_not_b32 s18, s4
	v_lshrrev_b32_e32 v18, 6, v16
	v_and_b32_e32 v16, s18, v21
	v_mov_b32_e32 v17, 0
	v_and_b32_e32 v16, 1, v16
	ds_write2_b32 v59, v17, v17 offset0:4 offset1:5
	ds_write2_b32 v59, v17, v17 offset0:6 offset1:7
	v_lshlrev_b32_e32 v17, 2, v16
	v_cmp_ne_u32_e32 vcc, 0, v16
	v_add_co_u32_e64 v16, s[4:5], -1, v16
	v_add_lshl_u32 v30, v18, v17, 2
	v_addc_co_u32_e64 v17, s[4:5], 0, -1, s[4:5]
	v_xor_b32_e32 v16, vcc_lo, v16
	v_xor_b32_e32 v17, vcc_hi, v17
	v_and_b32_e32 v16, exec_lo, v16
	v_and_b32_e32 v17, exec_hi, v17
	v_mbcnt_lo_u32_b32 v19, v16, 0
	v_mbcnt_hi_u32_b32 v31, v17, v19
	v_cmp_eq_u32_e32 vcc, 0, v31
	v_cmp_ne_u64_e64 s[4:5], 0, v[16:17]
	s_and_b64 s[20:21], s[4:5], vcc
	s_waitcnt lgkmcnt(0)
	s_barrier
	s_waitcnt lgkmcnt(0)
	; wave barrier
	s_and_saveexec_b64 s[4:5], s[20:21]
	s_cbranch_execz .LBB276_77
; %bb.76:
	v_bcnt_u32_b32 v16, v16, 0
	v_bcnt_u32_b32 v16, v17, v16
	ds_write_b32 v30, v16 offset:16
.LBB276_77:
	s_or_b64 exec, exec, s[4:5]
	v_and_b32_e32 v16, s18, v22
	v_and_b32_e32 v16, 0xff, v16
	v_lshlrev_b32_e32 v17, 2, v16
	v_cmp_ne_u32_e32 vcc, 0, v16
	v_add_co_u32_e64 v16, s[4:5], -1, v16
	v_add_lshl_u32 v33, v18, v17, 2
	v_addc_co_u32_e64 v17, s[4:5], 0, -1, s[4:5]
	v_xor_b32_e32 v16, vcc_lo, v16
	; wave barrier
	ds_read_b32 v32, v33 offset:16
	v_xor_b32_e32 v17, vcc_hi, v17
	v_and_b32_e32 v16, exec_lo, v16
	v_and_b32_e32 v17, exec_hi, v17
	v_mbcnt_lo_u32_b32 v19, v16, 0
	v_mbcnt_hi_u32_b32 v36, v17, v19
	v_cmp_eq_u32_e32 vcc, 0, v36
	v_cmp_ne_u64_e64 s[4:5], 0, v[16:17]
	s_and_b64 s[20:21], s[4:5], vcc
	; wave barrier
	s_and_saveexec_b64 s[4:5], s[20:21]
	s_cbranch_execz .LBB276_79
; %bb.78:
	v_bcnt_u32_b32 v16, v16, 0
	v_bcnt_u32_b32 v16, v17, v16
	s_waitcnt lgkmcnt(0)
	v_add_u32_e32 v16, v32, v16
	ds_write_b32 v33, v16 offset:16
.LBB276_79:
	s_or_b64 exec, exec, s[4:5]
	v_and_b32_e32 v16, s18, v23
	v_and_b32_e32 v16, 0xff, v16
	v_lshlrev_b32_e32 v17, 2, v16
	v_cmp_ne_u32_e32 vcc, 0, v16
	v_add_co_u32_e64 v16, s[4:5], -1, v16
	v_add_lshl_u32 v38, v18, v17, 2
	v_addc_co_u32_e64 v17, s[4:5], 0, -1, s[4:5]
	v_xor_b32_e32 v16, vcc_lo, v16
	; wave barrier
	ds_read_b32 v37, v38 offset:16
	v_xor_b32_e32 v17, vcc_hi, v17
	v_and_b32_e32 v16, exec_lo, v16
	v_and_b32_e32 v17, exec_hi, v17
	v_mbcnt_lo_u32_b32 v19, v16, 0
	v_mbcnt_hi_u32_b32 v40, v17, v19
	v_cmp_eq_u32_e32 vcc, 0, v40
	v_cmp_ne_u64_e64 s[4:5], 0, v[16:17]
	s_and_b64 s[20:21], s[4:5], vcc
	; wave barrier
	s_and_saveexec_b64 s[4:5], s[20:21]
	s_cbranch_execz .LBB276_81
; %bb.80:
	v_bcnt_u32_b32 v16, v16, 0
	v_bcnt_u32_b32 v16, v17, v16
	s_waitcnt lgkmcnt(0)
	v_add_u32_e32 v16, v37, v16
	ds_write_b32 v38, v16 offset:16
.LBB276_81:
	;; [unrolled: 29-line block ×6, first 2 shown]
	s_or_b64 exec, exec, s[4:5]
	v_and_b32_e32 v16, s18, v28
	v_and_b32_e32 v16, 0xff, v16
	v_lshlrev_b32_e32 v17, 2, v16
	v_cmp_ne_u32_e32 vcc, 0, v16
	v_add_co_u32_e64 v16, s[4:5], -1, v16
	v_add_lshl_u32 v72, v18, v17, 2
	v_addc_co_u32_e64 v17, s[4:5], 0, -1, s[4:5]
	v_xor_b32_e32 v16, vcc_lo, v16
	; wave barrier
	ds_read_b32 v71, v72 offset:16
	v_xor_b32_e32 v17, vcc_hi, v17
	v_and_b32_e32 v16, exec_lo, v16
	v_and_b32_e32 v17, exec_hi, v17
	v_mbcnt_lo_u32_b32 v18, v16, 0
	v_mbcnt_hi_u32_b32 v73, v17, v18
	v_cmp_eq_u32_e32 vcc, 0, v73
	v_cmp_ne_u64_e64 s[4:5], 0, v[16:17]
	v_add_u32_e32 v74, 16, v59
	s_and_b64 s[18:19], s[4:5], vcc
	; wave barrier
	s_and_saveexec_b64 s[4:5], s[18:19]
	s_cbranch_execz .LBB276_91
; %bb.90:
	v_bcnt_u32_b32 v16, v16, 0
	v_bcnt_u32_b32 v16, v17, v16
	s_waitcnt lgkmcnt(0)
	v_add_u32_e32 v16, v71, v16
	ds_write_b32 v72, v16 offset:16
.LBB276_91:
	s_or_b64 exec, exec, s[4:5]
	; wave barrier
	s_waitcnt lgkmcnt(0)
	s_barrier
	ds_read2_b32 v[16:17], v59 offset0:4 offset1:5
	ds_read2_b32 v[18:19], v74 offset0:2 offset1:3
	v_min_u32_e32 v29, 0xc0, v29
	v_or_b32_e32 v29, 63, v29
	s_waitcnt lgkmcnt(1)
	v_add_u32_e32 v75, v17, v16
	s_waitcnt lgkmcnt(0)
	v_add3_u32 v19, v75, v18, v19
	v_and_b32_e32 v75, 15, v20
	v_cmp_ne_u32_e32 vcc, 0, v75
	v_mov_b32_dpp v76, v19 row_shr:1 row_mask:0xf bank_mask:0xf
	v_cndmask_b32_e32 v76, 0, v76, vcc
	v_add_u32_e32 v19, v76, v19
	v_cmp_lt_u32_e32 vcc, 1, v75
	s_nop 0
	v_mov_b32_dpp v76, v19 row_shr:2 row_mask:0xf bank_mask:0xf
	v_cndmask_b32_e32 v76, 0, v76, vcc
	v_add_u32_e32 v19, v19, v76
	v_cmp_lt_u32_e32 vcc, 3, v75
	s_nop 0
	;; [unrolled: 5-line block ×3, first 2 shown]
	v_mov_b32_dpp v76, v19 row_shr:8 row_mask:0xf bank_mask:0xf
	v_cndmask_b32_e32 v75, 0, v76, vcc
	v_add_u32_e32 v19, v19, v75
	v_bfe_i32 v76, v20, 4, 1
	v_cmp_lt_u32_e32 vcc, 31, v20
	v_mov_b32_dpp v75, v19 row_bcast:15 row_mask:0xf bank_mask:0xf
	v_and_b32_e32 v75, v76, v75
	v_add_u32_e32 v19, v19, v75
	s_nop 1
	v_mov_b32_dpp v75, v19 row_bcast:31 row_mask:0xf bank_mask:0xf
	v_cndmask_b32_e32 v75, 0, v75, vcc
	v_add_u32_e32 v19, v19, v75
	v_lshrrev_b32_e32 v75, 6, v34
	v_cmp_eq_u32_e32 vcc, v29, v34
	s_and_saveexec_b64 s[4:5], vcc
	s_cbranch_execz .LBB276_93
; %bb.92:
	v_lshlrev_b32_e32 v29, 2, v75
	ds_write_b32 v29, v19
.LBB276_93:
	s_or_b64 exec, exec, s[4:5]
	v_cmp_gt_u32_e32 vcc, 4, v34
	s_waitcnt lgkmcnt(0)
	s_barrier
	s_and_saveexec_b64 s[4:5], vcc
	s_cbranch_execz .LBB276_95
; %bb.94:
	v_lshlrev_b32_e32 v29, 2, v34
	ds_read_b32 v76, v29
	v_and_b32_e32 v77, 3, v20
	v_cmp_ne_u32_e32 vcc, 0, v77
	s_waitcnt lgkmcnt(0)
	v_mov_b32_dpp v78, v76 row_shr:1 row_mask:0xf bank_mask:0xf
	v_cndmask_b32_e32 v78, 0, v78, vcc
	v_add_u32_e32 v76, v78, v76
	v_cmp_lt_u32_e32 vcc, 1, v77
	s_nop 0
	v_mov_b32_dpp v78, v76 row_shr:2 row_mask:0xf bank_mask:0xf
	v_cndmask_b32_e32 v77, 0, v78, vcc
	v_add_u32_e32 v76, v76, v77
	ds_write_b32 v29, v76
.LBB276_95:
	s_or_b64 exec, exec, s[4:5]
	v_cmp_lt_u32_e32 vcc, 63, v34
	v_mov_b32_e32 v29, 0
	s_waitcnt lgkmcnt(0)
	s_barrier
	s_and_saveexec_b64 s[4:5], vcc
	s_cbranch_execz .LBB276_97
; %bb.96:
	v_lshl_add_u32 v29, v75, 2, -4
	ds_read_b32 v29, v29
.LBB276_97:
	s_or_b64 exec, exec, s[4:5]
	v_add_u32_e32 v75, -1, v20
	v_and_b32_e32 v76, 64, v20
	v_cmp_lt_i32_e32 vcc, v75, v76
	v_cndmask_b32_e32 v75, v75, v20, vcc
	s_waitcnt lgkmcnt(0)
	v_add_u32_e32 v19, v29, v19
	v_lshlrev_b32_e32 v75, 2, v75
	ds_bpermute_b32 v19, v75, v19
	v_cmp_eq_u32_e32 vcc, 0, v20
	s_waitcnt lgkmcnt(0)
	v_cndmask_b32_e32 v19, v19, v29, vcc
	v_cmp_ne_u32_e32 vcc, 0, v34
	v_cndmask_b32_e32 v19, 0, v19, vcc
	v_add_u32_e32 v16, v19, v16
	v_add_u32_e32 v17, v16, v17
	;; [unrolled: 1-line block ×3, first 2 shown]
	ds_write2_b32 v59, v19, v16 offset0:4 offset1:5
	ds_write2_b32 v74, v17, v18 offset0:2 offset1:3
	s_waitcnt lgkmcnt(0)
	s_barrier
	ds_read_b32 v16, v30 offset:16
	ds_read_b32 v17, v33 offset:16
	;; [unrolled: 1-line block ×8, first 2 shown]
	s_waitcnt lgkmcnt(7)
	v_add_u32_e32 v31, v16, v31
	s_waitcnt lgkmcnt(6)
	v_add3_u32 v32, v36, v32, v17
	s_waitcnt lgkmcnt(5)
	v_add3_u32 v18, v40, v37, v18
	;; [unrolled: 2-line block ×7, first 2 shown]
	s_barrier
	ds_write_b8 v31, v21
	ds_write_b8 v32, v22
	;; [unrolled: 1-line block ×8, first 2 shown]
	v_lshlrev_b32_e32 v21, 3, v31
	s_waitcnt lgkmcnt(0)
	s_barrier
	ds_read_b64 v[16:17], v50
	s_waitcnt lgkmcnt(0)
	s_barrier
	ds_write_b64 v21, v[12:13]
	v_lshlrev_b32_e32 v12, 3, v32
	ds_write_b64 v12, v[14:15]
	v_lshlrev_b32_e32 v12, 3, v18
	ds_write_b64 v12, v[8:9]
	v_lshlrev_b32_e32 v8, 3, v19
	ds_write_b64 v8, v[10:11]
	v_lshlrev_b32_e32 v8, 3, v20
	ds_write_b64 v8, v[4:5]
	v_lshlrev_b32_e32 v4, 3, v29
	ds_write_b64 v4, v[6:7]
	v_lshlrev_b32_e32 v4, 3, v30
	ds_write_b64 v4, v[0:1]
	v_lshlrev_b32_e32 v0, 3, v33
	ds_write_b64 v0, v[2:3]
	v_lshlrev_b32_e32 v0, 3, v50
	s_waitcnt lgkmcnt(0)
	s_barrier
	ds_read2_b64 v[18:21], v0 offset1:1
	ds_read2_b64 v[22:25], v0 offset0:2 offset1:3
	ds_read2_b64 v[26:29], v0 offset0:4 offset1:5
	;; [unrolled: 1-line block ×3, first 2 shown]
	v_lshrrev_b32_e32 v36, 8, v16
	v_mov_b32_e32 v1, 1
	v_lshrrev_b32_e32 v37, 8, v17
	v_xor_b32_e32 v0, 1, v16
	v_xor_b32_sdwa v2, v36, v1 dst_sel:BYTE_1 dst_unused:UNUSED_PAD src0_sel:DWORD src1_sel:DWORD
	v_xor_b32_sdwa v3, v16, v1 dst_sel:DWORD dst_unused:UNUSED_PAD src0_sel:WORD_1 src1_sel:DWORD
	v_xor_b32_sdwa v4, v16, v1 dst_sel:BYTE_1 dst_unused:UNUSED_PAD src0_sel:BYTE_3 src1_sel:DWORD
	v_xor_b32_e32 v5, 1, v17
	v_xor_b32_sdwa v6, v37, v1 dst_sel:BYTE_1 dst_unused:UNUSED_PAD src0_sel:DWORD src1_sel:DWORD
	v_xor_b32_sdwa v7, v17, v1 dst_sel:DWORD dst_unused:UNUSED_PAD src0_sel:WORD_1 src1_sel:DWORD
	v_xor_b32_sdwa v1, v17, v1 dst_sel:BYTE_1 dst_unused:UNUSED_PAD src0_sel:BYTE_3 src1_sel:DWORD
	v_or_b32_sdwa v0, v0, v2 dst_sel:DWORD dst_unused:UNUSED_PAD src0_sel:BYTE_0 src1_sel:DWORD
	v_or_b32_sdwa v2, v3, v4 dst_sel:WORD_1 dst_unused:UNUSED_PAD src0_sel:BYTE_0 src1_sel:DWORD
	v_or_b32_sdwa v0, v0, v2 dst_sel:DWORD dst_unused:UNUSED_PAD src0_sel:WORD_0 src1_sel:DWORD
	v_or_b32_sdwa v2, v5, v6 dst_sel:DWORD dst_unused:UNUSED_PAD src0_sel:BYTE_0 src1_sel:DWORD
	v_or_b32_sdwa v1, v7, v1 dst_sel:WORD_1 dst_unused:UNUSED_PAD src0_sel:BYTE_0 src1_sel:DWORD
	v_or_b32_sdwa v1, v2, v1 dst_sel:DWORD dst_unused:UNUSED_PAD src0_sel:WORD_0 src1_sel:DWORD
.LBB276_98:
	s_waitcnt lgkmcnt(0)
	s_barrier
	ds_write_b64 v49, v[0:1]
	s_waitcnt lgkmcnt(0)
	s_barrier
	ds_read_u8 v8, v42 offset:256
	ds_read_u8 v7, v43 offset:512
	;; [unrolled: 1-line block ×7, first 2 shown]
	v_pk_mov_b32 v[0:1], s[52:53], s[52:53] op_sel:[0,1]
	v_mad_u64_u32 v[0:1], s[4:5], v34, s30, v[0:1]
	v_mov_b32_e32 v10, v1
	v_mad_u64_u32 v[10:11], s[4:5], v34, s31, v[10:11]
	v_mov_b32_e32 v1, v10
	s_and_saveexec_b64 s[4:5], s[0:1]
	s_cbranch_execnz .LBB276_117
; %bb.99:
	s_or_b64 exec, exec, s[4:5]
	s_and_saveexec_b64 s[4:5], s[2:3]
	s_cbranch_execnz .LBB276_118
.LBB276_100:
	s_or_b64 exec, exec, s[4:5]
	s_and_saveexec_b64 s[4:5], s[16:17]
	s_cbranch_execnz .LBB276_119
.LBB276_101:
	s_or_b64 exec, exec, s[4:5]
	s_and_saveexec_b64 s[4:5], s[6:7]
	s_cbranch_execnz .LBB276_120
.LBB276_102:
	s_or_b64 exec, exec, s[4:5]
	s_and_saveexec_b64 s[4:5], s[8:9]
	s_cbranch_execnz .LBB276_121
.LBB276_103:
	s_or_b64 exec, exec, s[4:5]
	s_and_saveexec_b64 s[4:5], s[10:11]
	s_cbranch_execnz .LBB276_122
.LBB276_104:
	s_or_b64 exec, exec, s[4:5]
	s_and_saveexec_b64 s[4:5], s[12:13]
	s_cbranch_execnz .LBB276_123
.LBB276_105:
	s_or_b64 exec, exec, s[4:5]
	s_and_saveexec_b64 s[4:5], s[14:15]
	s_cbranch_execz .LBB276_107
.LBB276_106:
	s_waitcnt lgkmcnt(1)
	v_mov_b32_e32 v3, 0x700
	v_mad_u64_u32 v[0:1], s[18:19], s30, v3, v[0:1]
	s_mul_i32 s18, s31, 0x700
	v_add_u32_e32 v1, s18, v1
	s_waitcnt lgkmcnt(0)
	global_store_byte v[0:1], v2, off
.LBB276_107:
	s_or_b64 exec, exec, s[4:5]
	s_waitcnt lgkmcnt(0)
	s_barrier
	ds_write2_b64 v58, v[18:19], v[20:21] offset1:1
	ds_write2_b64 v58, v[22:23], v[24:25] offset0:2 offset1:3
	ds_write2_b64 v58, v[26:27], v[28:29] offset0:4 offset1:5
	;; [unrolled: 1-line block ×3, first 2 shown]
	s_waitcnt lgkmcnt(0)
	s_barrier
	ds_read_b64 v[14:15], v51 offset:2048
	ds_read_b64 v[12:13], v52 offset:4096
	;; [unrolled: 1-line block ×7, first 2 shown]
	v_mad_u64_u32 v[4:5], s[4:5], v34, s34, 0
	v_mov_b32_e32 v16, v5
	v_mad_u64_u32 v[16:17], s[4:5], v34, s35, v[16:17]
	v_mov_b32_e32 v5, v16
	v_lshlrev_b64 v[4:5], 3, v[4:5]
	v_mov_b32_e32 v16, s56
	v_add_co_u32_e32 v4, vcc, s33, v4
	v_addc_co_u32_e32 v5, vcc, v16, v5, vcc
	s_and_saveexec_b64 s[4:5], s[0:1]
	s_cbranch_execnz .LBB276_124
; %bb.108:
	s_or_b64 exec, exec, s[4:5]
	s_and_saveexec_b64 s[0:1], s[2:3]
	s_cbranch_execnz .LBB276_125
.LBB276_109:
	s_or_b64 exec, exec, s[0:1]
	s_and_saveexec_b64 s[0:1], s[16:17]
	s_cbranch_execnz .LBB276_126
.LBB276_110:
	s_or_b64 exec, exec, s[0:1]
	s_and_saveexec_b64 s[0:1], s[6:7]
	s_cbranch_execnz .LBB276_127
.LBB276_111:
	s_or_b64 exec, exec, s[0:1]
	s_and_saveexec_b64 s[0:1], s[8:9]
	s_cbranch_execnz .LBB276_128
.LBB276_112:
	s_or_b64 exec, exec, s[0:1]
	s_and_saveexec_b64 s[0:1], s[10:11]
	s_cbranch_execnz .LBB276_129
.LBB276_113:
	s_or_b64 exec, exec, s[0:1]
	s_and_saveexec_b64 s[0:1], s[12:13]
	s_cbranch_execnz .LBB276_130
.LBB276_114:
	s_or_b64 exec, exec, s[0:1]
	s_and_saveexec_b64 s[0:1], s[14:15]
	s_cbranch_execz .LBB276_116
.LBB276_115:
	s_waitcnt lgkmcnt(1)
	v_mov_b32_e32 v2, 0x3800
	v_mad_u64_u32 v[2:3], s[0:1], s34, v2, v[4:5]
	s_mul_i32 s0, s35, 0x3800
	v_add_u32_e32 v3, s0, v3
	s_waitcnt lgkmcnt(0)
	global_store_dwordx2 v[2:3], v[0:1], off
.LBB276_116:
	s_endpgm
.LBB276_117:
	ds_read_u8 v9, v35
	s_waitcnt lgkmcnt(0)
	global_store_byte v[0:1], v9, off
	s_or_b64 exec, exec, s[4:5]
	s_and_saveexec_b64 s[4:5], s[2:3]
	s_cbranch_execz .LBB276_100
.LBB276_118:
	s_lshl_b64 s[18:19], s[30:31], 8
	v_mov_b32_e32 v9, s19
	v_add_co_u32_e32 v10, vcc, s18, v0
	v_addc_co_u32_e32 v11, vcc, v1, v9, vcc
	s_waitcnt lgkmcnt(6)
	global_store_byte v[10:11], v8, off
	s_or_b64 exec, exec, s[4:5]
	s_and_saveexec_b64 s[4:5], s[16:17]
	s_cbranch_execz .LBB276_101
.LBB276_119:
	s_lshl_b64 s[18:19], s[30:31], 9
	v_mov_b32_e32 v9, s19
	s_waitcnt lgkmcnt(6)
	v_add_co_u32_e32 v8, vcc, s18, v0
	v_addc_co_u32_e32 v9, vcc, v1, v9, vcc
	s_waitcnt lgkmcnt(5)
	global_store_byte v[8:9], v7, off
	s_or_b64 exec, exec, s[4:5]
	s_and_saveexec_b64 s[4:5], s[6:7]
	s_cbranch_execz .LBB276_102
.LBB276_120:
	s_waitcnt lgkmcnt(5)
	v_mov_b32_e32 v7, 0x300
	v_mad_u64_u32 v[8:9], s[18:19], s30, v7, v[0:1]
	s_mul_i32 s18, s31, 0x300
	v_add_u32_e32 v9, s18, v9
	s_waitcnt lgkmcnt(4)
	global_store_byte v[8:9], v6, off
	s_or_b64 exec, exec, s[4:5]
	s_and_saveexec_b64 s[4:5], s[8:9]
	s_cbranch_execz .LBB276_103
.LBB276_121:
	s_lshl_b64 s[18:19], s[30:31], 10
	s_waitcnt lgkmcnt(5)
	v_mov_b32_e32 v7, s19
	s_waitcnt lgkmcnt(4)
	v_add_co_u32_e32 v6, vcc, s18, v0
	v_addc_co_u32_e32 v7, vcc, v1, v7, vcc
	s_waitcnt lgkmcnt(3)
	global_store_byte v[6:7], v5, off
	s_or_b64 exec, exec, s[4:5]
	s_and_saveexec_b64 s[4:5], s[10:11]
	s_cbranch_execz .LBB276_104
.LBB276_122:
	s_waitcnt lgkmcnt(3)
	v_mov_b32_e32 v5, 0x500
	v_mad_u64_u32 v[6:7], s[18:19], s30, v5, v[0:1]
	s_mul_i32 s18, s31, 0x500
	v_add_u32_e32 v7, s18, v7
	s_waitcnt lgkmcnt(2)
	global_store_byte v[6:7], v4, off
	s_or_b64 exec, exec, s[4:5]
	s_and_saveexec_b64 s[4:5], s[12:13]
	s_cbranch_execz .LBB276_105
.LBB276_123:
	s_waitcnt lgkmcnt(2)
	v_mov_b32_e32 v4, 0x600
	v_mad_u64_u32 v[4:5], s[18:19], s30, v4, v[0:1]
	s_mul_i32 s18, s31, 0x600
	v_add_u32_e32 v5, s18, v5
	s_waitcnt lgkmcnt(1)
	global_store_byte v[4:5], v3, off
	s_or_b64 exec, exec, s[4:5]
	s_and_saveexec_b64 s[4:5], s[14:15]
	s_cbranch_execnz .LBB276_106
	s_branch .LBB276_107
.LBB276_124:
	ds_read_b64 v[16:17], v39
	s_waitcnt lgkmcnt(0)
	global_store_dwordx2 v[4:5], v[16:17], off
	s_or_b64 exec, exec, s[4:5]
	s_and_saveexec_b64 s[0:1], s[2:3]
	s_cbranch_execz .LBB276_109
.LBB276_125:
	s_lshl_b64 s[2:3], s[34:35], 11
	v_mov_b32_e32 v17, s3
	v_add_co_u32_e32 v16, vcc, s2, v4
	v_addc_co_u32_e32 v17, vcc, v5, v17, vcc
	s_waitcnt lgkmcnt(6)
	global_store_dwordx2 v[16:17], v[14:15], off
	s_or_b64 exec, exec, s[0:1]
	s_and_saveexec_b64 s[0:1], s[16:17]
	s_cbranch_execz .LBB276_110
.LBB276_126:
	s_lshl_b64 s[2:3], s[34:35], 12
	s_waitcnt lgkmcnt(6)
	v_mov_b32_e32 v15, s3
	v_add_co_u32_e32 v14, vcc, s2, v4
	v_addc_co_u32_e32 v15, vcc, v5, v15, vcc
	s_waitcnt lgkmcnt(5)
	global_store_dwordx2 v[14:15], v[12:13], off
	s_or_b64 exec, exec, s[0:1]
	s_and_saveexec_b64 s[0:1], s[6:7]
	s_cbranch_execz .LBB276_111
.LBB276_127:
	s_waitcnt lgkmcnt(5)
	v_mov_b32_e32 v12, 0x1800
	v_mad_u64_u32 v[12:13], s[2:3], s34, v12, v[4:5]
	s_mul_i32 s2, s35, 0x1800
	v_add_u32_e32 v13, s2, v13
	s_waitcnt lgkmcnt(4)
	global_store_dwordx2 v[12:13], v[10:11], off
	s_or_b64 exec, exec, s[0:1]
	s_and_saveexec_b64 s[0:1], s[8:9]
	s_cbranch_execz .LBB276_112
.LBB276_128:
	s_lshl_b64 s[2:3], s[34:35], 13
	s_waitcnt lgkmcnt(4)
	v_mov_b32_e32 v11, s3
	v_add_co_u32_e32 v10, vcc, s2, v4
	v_addc_co_u32_e32 v11, vcc, v5, v11, vcc
	s_waitcnt lgkmcnt(3)
	global_store_dwordx2 v[10:11], v[8:9], off
	s_or_b64 exec, exec, s[0:1]
	s_and_saveexec_b64 s[0:1], s[10:11]
	s_cbranch_execz .LBB276_113
.LBB276_129:
	s_waitcnt lgkmcnt(3)
	v_mov_b32_e32 v8, 0x2800
	v_mad_u64_u32 v[8:9], s[2:3], s34, v8, v[4:5]
	s_mul_i32 s2, s35, 0x2800
	v_add_u32_e32 v9, s2, v9
	s_waitcnt lgkmcnt(2)
	global_store_dwordx2 v[8:9], v[6:7], off
	s_or_b64 exec, exec, s[0:1]
	s_and_saveexec_b64 s[0:1], s[12:13]
	s_cbranch_execz .LBB276_114
.LBB276_130:
	s_waitcnt lgkmcnt(2)
	v_mov_b32_e32 v6, 0x3000
	v_mad_u64_u32 v[6:7], s[2:3], s34, v6, v[4:5]
	s_mul_i32 s2, s35, 0x3000
	v_add_u32_e32 v7, s2, v7
	s_waitcnt lgkmcnt(1)
	global_store_dwordx2 v[6:7], v[2:3], off
	s_or_b64 exec, exec, s[0:1]
	s_and_saveexec_b64 s[0:1], s[14:15]
	s_cbranch_execnz .LBB276_115
	s_branch .LBB276_116
	.section	.rodata,"a",@progbits
	.p2align	6, 0x0
	.amdhsa_kernel _ZN2at6native18radixSortKVInPlaceILin1ELin1ELi256ELi8EblmEEvNS_4cuda6detail10TensorInfoIT3_T5_EES6_S6_S6_NS4_IT4_S6_EES6_b
		.amdhsa_group_segment_fixed_size 16896
		.amdhsa_private_segment_fixed_size 0
		.amdhsa_kernarg_size 1128
		.amdhsa_user_sgpr_count 6
		.amdhsa_user_sgpr_private_segment_buffer 1
		.amdhsa_user_sgpr_dispatch_ptr 0
		.amdhsa_user_sgpr_queue_ptr 0
		.amdhsa_user_sgpr_kernarg_segment_ptr 1
		.amdhsa_user_sgpr_dispatch_id 0
		.amdhsa_user_sgpr_flat_scratch_init 0
		.amdhsa_user_sgpr_kernarg_preload_length 0
		.amdhsa_user_sgpr_kernarg_preload_offset 0
		.amdhsa_user_sgpr_private_segment_size 0
		.amdhsa_uses_dynamic_stack 0
		.amdhsa_system_sgpr_private_segment_wavefront_offset 0
		.amdhsa_system_sgpr_workgroup_id_x 1
		.amdhsa_system_sgpr_workgroup_id_y 1
		.amdhsa_system_sgpr_workgroup_id_z 1
		.amdhsa_system_sgpr_workgroup_info 0
		.amdhsa_system_vgpr_workitem_id 2
		.amdhsa_next_free_vgpr 103
		.amdhsa_next_free_sgpr 57
		.amdhsa_accum_offset 104
		.amdhsa_reserve_vcc 1
		.amdhsa_reserve_flat_scratch 0
		.amdhsa_float_round_mode_32 0
		.amdhsa_float_round_mode_16_64 0
		.amdhsa_float_denorm_mode_32 3
		.amdhsa_float_denorm_mode_16_64 3
		.amdhsa_dx10_clamp 1
		.amdhsa_ieee_mode 1
		.amdhsa_fp16_overflow 0
		.amdhsa_tg_split 0
		.amdhsa_exception_fp_ieee_invalid_op 0
		.amdhsa_exception_fp_denorm_src 0
		.amdhsa_exception_fp_ieee_div_zero 0
		.amdhsa_exception_fp_ieee_overflow 0
		.amdhsa_exception_fp_ieee_underflow 0
		.amdhsa_exception_fp_ieee_inexact 0
		.amdhsa_exception_int_div_zero 0
	.end_amdhsa_kernel
	.section	.text._ZN2at6native18radixSortKVInPlaceILin1ELin1ELi256ELi8EblmEEvNS_4cuda6detail10TensorInfoIT3_T5_EES6_S6_S6_NS4_IT4_S6_EES6_b,"axG",@progbits,_ZN2at6native18radixSortKVInPlaceILin1ELin1ELi256ELi8EblmEEvNS_4cuda6detail10TensorInfoIT3_T5_EES6_S6_S6_NS4_IT4_S6_EES6_b,comdat
.Lfunc_end276:
	.size	_ZN2at6native18radixSortKVInPlaceILin1ELin1ELi256ELi8EblmEEvNS_4cuda6detail10TensorInfoIT3_T5_EES6_S6_S6_NS4_IT4_S6_EES6_b, .Lfunc_end276-_ZN2at6native18radixSortKVInPlaceILin1ELin1ELi256ELi8EblmEEvNS_4cuda6detail10TensorInfoIT3_T5_EES6_S6_S6_NS4_IT4_S6_EES6_b
                                        ; -- End function
	.section	.AMDGPU.csdata,"",@progbits
; Kernel info:
; codeLenInByte = 10140
; NumSgprs: 61
; NumVgprs: 103
; NumAgprs: 0
; TotalNumVgprs: 103
; ScratchSize: 0
; MemoryBound: 0
; FloatMode: 240
; IeeeMode: 1
; LDSByteSize: 16896 bytes/workgroup (compile time only)
; SGPRBlocks: 7
; VGPRBlocks: 12
; NumSGPRsForWavesPerEU: 61
; NumVGPRsForWavesPerEU: 103
; AccumOffset: 104
; Occupancy: 3
; WaveLimiterHint : 1
; COMPUTE_PGM_RSRC2:SCRATCH_EN: 0
; COMPUTE_PGM_RSRC2:USER_SGPR: 6
; COMPUTE_PGM_RSRC2:TRAP_HANDLER: 0
; COMPUTE_PGM_RSRC2:TGID_X_EN: 1
; COMPUTE_PGM_RSRC2:TGID_Y_EN: 1
; COMPUTE_PGM_RSRC2:TGID_Z_EN: 1
; COMPUTE_PGM_RSRC2:TIDIG_COMP_CNT: 2
; COMPUTE_PGM_RSRC3_GFX90A:ACCUM_OFFSET: 25
; COMPUTE_PGM_RSRC3_GFX90A:TG_SPLIT: 0
	.section	.text._ZN2at6native18radixSortKVInPlaceILin1ELin1ELi128ELi8EblmEEvNS_4cuda6detail10TensorInfoIT3_T5_EES6_S6_S6_NS4_IT4_S6_EES6_b,"axG",@progbits,_ZN2at6native18radixSortKVInPlaceILin1ELin1ELi128ELi8EblmEEvNS_4cuda6detail10TensorInfoIT3_T5_EES6_S6_S6_NS4_IT4_S6_EES6_b,comdat
	.protected	_ZN2at6native18radixSortKVInPlaceILin1ELin1ELi128ELi8EblmEEvNS_4cuda6detail10TensorInfoIT3_T5_EES6_S6_S6_NS4_IT4_S6_EES6_b ; -- Begin function _ZN2at6native18radixSortKVInPlaceILin1ELin1ELi128ELi8EblmEEvNS_4cuda6detail10TensorInfoIT3_T5_EES6_S6_S6_NS4_IT4_S6_EES6_b
	.globl	_ZN2at6native18radixSortKVInPlaceILin1ELin1ELi128ELi8EblmEEvNS_4cuda6detail10TensorInfoIT3_T5_EES6_S6_S6_NS4_IT4_S6_EES6_b
	.p2align	8
	.type	_ZN2at6native18radixSortKVInPlaceILin1ELin1ELi128ELi8EblmEEvNS_4cuda6detail10TensorInfoIT3_T5_EES6_S6_S6_NS4_IT4_S6_EES6_b,@function
_ZN2at6native18radixSortKVInPlaceILin1ELin1ELi128ELi8EblmEEvNS_4cuda6detail10TensorInfoIT3_T5_EES6_S6_S6_NS4_IT4_S6_EES6_b: ; @_ZN2at6native18radixSortKVInPlaceILin1ELin1ELi128ELi8EblmEEvNS_4cuda6detail10TensorInfoIT3_T5_EES6_S6_S6_NS4_IT4_S6_EES6_b
; %bb.0:
	s_load_dwordx4 s[12:15], s[4:5], 0x1a0
	s_load_dwordx2 s[0:1], s[4:5], 0x368
	s_add_u32 s54, s4, 0x368
	s_addc_u32 s55, s5, 0
	s_waitcnt lgkmcnt(0)
	v_mov_b32_e32 v2, s12
	s_mul_i32 s1, s1, s8
	s_add_i32 s1, s1, s7
	s_mul_i32 s0, s1, s0
	v_mov_b32_e32 v3, s13
	s_add_i32 s6, s0, s6
	s_mov_b32 s7, 0
	v_cmp_ge_u64_e32 vcc, s[6:7], v[2:3]
	s_cbranch_vccnz .LBB277_116
; %bb.1:
	s_load_dword s0, s[4:5], 0x198
	s_load_dwordx2 s[30:31], s[4:5], 0x1b0
	s_mov_b64 s[2:3], 0
	s_mov_b64 s[8:9], s[6:7]
	s_waitcnt lgkmcnt(0)
	s_cmp_lt_i32 s0, 2
	s_cbranch_scc1 .LBB277_9
; %bb.2:
	s_mov_b32 s10, 0
	s_add_i32 s15, s0, 1
	s_add_i32 s0, s0, -1
	s_mov_b32 s1, s10
	s_lshl_b64 s[0:1], s[0:1], 3
	s_add_u32 s0, s0, s4
	s_addc_u32 s1, s1, s5
	s_add_u32 s12, s0, 8
	s_addc_u32 s13, s1, 0
	s_mov_b64 s[16:17], s[6:7]
.LBB277_3:                              ; =>This Inner Loop Header: Depth=1
	s_load_dwordx2 s[18:19], s[12:13], 0x0
	s_waitcnt lgkmcnt(0)
	s_or_b64 s[0:1], s[16:17], s[18:19]
	s_mov_b32 s11, s1
	s_cmp_lg_u64 s[10:11], 0
	s_cbranch_scc0 .LBB277_8
; %bb.4:                                ;   in Loop: Header=BB277_3 Depth=1
	v_cvt_f32_u32_e32 v1, s18
	v_cvt_f32_u32_e32 v2, s19
	s_sub_u32 s0, 0, s18
	s_subb_u32 s1, 0, s19
	v_mac_f32_e32 v1, 0x4f800000, v2
	v_rcp_f32_e32 v1, v1
	v_mul_f32_e32 v1, 0x5f7ffffc, v1
	v_mul_f32_e32 v2, 0x2f800000, v1
	v_trunc_f32_e32 v2, v2
	v_mac_f32_e32 v1, 0xcf800000, v2
	v_cvt_u32_f32_e32 v2, v2
	v_cvt_u32_f32_e32 v1, v1
	v_readfirstlane_b32 s8, v2
	v_readfirstlane_b32 s9, v1
	s_mul_i32 s11, s0, s8
	s_mul_hi_u32 s21, s0, s9
	s_mul_i32 s20, s1, s9
	s_add_i32 s11, s21, s11
	s_mul_i32 s22, s0, s9
	s_add_i32 s11, s11, s20
	s_mul_hi_u32 s20, s9, s11
	s_mul_i32 s21, s9, s11
	s_mul_hi_u32 s9, s9, s22
	s_add_u32 s9, s9, s21
	s_addc_u32 s20, 0, s20
	s_mul_hi_u32 s23, s8, s22
	s_mul_i32 s22, s8, s22
	s_add_u32 s9, s9, s22
	s_mul_hi_u32 s21, s8, s11
	s_addc_u32 s9, s20, s23
	s_addc_u32 s20, s21, 0
	s_mul_i32 s11, s8, s11
	s_add_u32 s9, s9, s11
	s_addc_u32 s11, 0, s20
	v_add_co_u32_e32 v1, vcc, s9, v1
	s_cmp_lg_u64 vcc, 0
	s_addc_u32 s8, s8, s11
	v_readfirstlane_b32 s11, v1
	s_mul_i32 s9, s0, s8
	s_mul_hi_u32 s20, s0, s11
	s_add_i32 s9, s20, s9
	s_mul_i32 s1, s1, s11
	s_add_i32 s9, s9, s1
	s_mul_i32 s0, s0, s11
	s_mul_hi_u32 s20, s8, s0
	s_mul_i32 s21, s8, s0
	s_mul_i32 s23, s11, s9
	s_mul_hi_u32 s0, s11, s0
	s_mul_hi_u32 s22, s11, s9
	s_add_u32 s0, s0, s23
	s_addc_u32 s11, 0, s22
	s_add_u32 s0, s0, s21
	s_mul_hi_u32 s1, s8, s9
	s_addc_u32 s0, s11, s20
	s_addc_u32 s1, s1, 0
	s_mul_i32 s9, s8, s9
	s_add_u32 s0, s0, s9
	s_addc_u32 s1, 0, s1
	v_add_co_u32_e32 v1, vcc, s0, v1
	s_cmp_lg_u64 vcc, 0
	s_addc_u32 s0, s8, s1
	v_readfirstlane_b32 s9, v1
	s_mul_i32 s8, s16, s0
	s_mul_hi_u32 s11, s16, s9
	s_mul_hi_u32 s1, s16, s0
	s_add_u32 s8, s11, s8
	s_addc_u32 s1, 0, s1
	s_mul_hi_u32 s20, s17, s9
	s_mul_i32 s9, s17, s9
	s_add_u32 s8, s8, s9
	s_mul_hi_u32 s11, s17, s0
	s_addc_u32 s1, s1, s20
	s_addc_u32 s8, s11, 0
	s_mul_i32 s0, s17, s0
	s_add_u32 s11, s1, s0
	s_addc_u32 s8, 0, s8
	s_mul_i32 s0, s18, s8
	s_mul_hi_u32 s1, s18, s11
	s_add_i32 s0, s1, s0
	s_mul_i32 s1, s19, s11
	s_add_i32 s9, s0, s1
	s_mul_i32 s1, s18, s11
	v_mov_b32_e32 v1, s1
	s_sub_i32 s0, s17, s9
	v_sub_co_u32_e32 v1, vcc, s16, v1
	s_cmp_lg_u64 vcc, 0
	s_subb_u32 s20, s0, s19
	v_subrev_co_u32_e64 v2, s[0:1], s18, v1
	s_cmp_lg_u64 s[0:1], 0
	s_subb_u32 s0, s20, 0
	s_cmp_ge_u32 s0, s19
	v_readfirstlane_b32 s20, v2
	s_cselect_b32 s1, -1, 0
	s_cmp_ge_u32 s20, s18
	s_cselect_b32 s20, -1, 0
	s_cmp_eq_u32 s0, s19
	s_cselect_b32 s0, s20, s1
	s_add_u32 s1, s11, 1
	s_addc_u32 s20, s8, 0
	s_add_u32 s21, s11, 2
	s_addc_u32 s22, s8, 0
	s_cmp_lg_u32 s0, 0
	s_cselect_b32 s0, s21, s1
	s_cselect_b32 s1, s22, s20
	s_cmp_lg_u64 vcc, 0
	s_subb_u32 s9, s17, s9
	s_cmp_ge_u32 s9, s19
	v_readfirstlane_b32 s21, v1
	s_cselect_b32 s20, -1, 0
	s_cmp_ge_u32 s21, s18
	s_cselect_b32 s21, -1, 0
	s_cmp_eq_u32 s9, s19
	s_cselect_b32 s9, s21, s20
	s_cmp_lg_u32 s9, 0
	s_cselect_b32 s9, s1, s8
	s_cselect_b32 s8, s0, s11
	s_cbranch_execnz .LBB277_6
.LBB277_5:                              ;   in Loop: Header=BB277_3 Depth=1
	v_cvt_f32_u32_e32 v1, s18
	s_sub_i32 s0, 0, s18
	v_rcp_iflag_f32_e32 v1, v1
	v_mul_f32_e32 v1, 0x4f7ffffe, v1
	v_cvt_u32_f32_e32 v1, v1
	v_readfirstlane_b32 s1, v1
	s_mul_i32 s0, s0, s1
	s_mul_hi_u32 s0, s1, s0
	s_add_i32 s1, s1, s0
	s_mul_hi_u32 s0, s16, s1
	s_mul_i32 s8, s0, s18
	s_sub_i32 s8, s16, s8
	s_add_i32 s1, s0, 1
	s_sub_i32 s9, s8, s18
	s_cmp_ge_u32 s8, s18
	s_cselect_b32 s0, s1, s0
	s_cselect_b32 s8, s9, s8
	s_add_i32 s1, s0, 1
	s_cmp_ge_u32 s8, s18
	s_cselect_b32 s8, s1, s0
	s_mov_b32 s9, s10
.LBB277_6:                              ;   in Loop: Header=BB277_3 Depth=1
	s_mul_i32 s0, s8, s19
	s_mul_hi_u32 s1, s8, s18
	s_add_i32 s11, s1, s0
	s_load_dwordx2 s[0:1], s[12:13], 0xc8
	s_mul_i32 s19, s9, s18
	s_add_i32 s11, s11, s19
	s_mul_i32 s18, s8, s18
	s_sub_u32 s16, s16, s18
	s_subb_u32 s11, s17, s11
	s_waitcnt lgkmcnt(0)
	s_mul_i32 s11, s0, s11
	s_mul_hi_u32 s17, s0, s16
	s_add_i32 s11, s17, s11
	s_mul_i32 s1, s1, s16
	s_add_i32 s11, s11, s1
	s_mul_i32 s0, s0, s16
	s_add_u32 s2, s0, s2
	s_addc_u32 s3, s11, s3
	s_add_i32 s15, s15, -1
	s_add_u32 s12, s12, -8
	s_addc_u32 s13, s13, -1
	s_cmp_gt_u32 s15, 2
	s_cbranch_scc0 .LBB277_9
; %bb.7:                                ;   in Loop: Header=BB277_3 Depth=1
	s_mov_b64 s[16:17], s[8:9]
	s_branch .LBB277_3
.LBB277_8:                              ;   in Loop: Header=BB277_3 Depth=1
                                        ; implicit-def: $sgpr8_sgpr9
	s_branch .LBB277_5
.LBB277_9:
	s_load_dword s0, s[4:5], 0x350
	s_load_dwordx2 s[10:11], s[4:5], 0xd0
	s_mov_b64 s[20:21], 0
	s_waitcnt lgkmcnt(0)
	s_cmp_lt_i32 s0, 2
	s_cbranch_scc1 .LBB277_17
; %bb.10:
	s_mov_b32 s12, 0
	s_add_i32 s15, s0, 1
	s_add_i32 s0, s0, -1
	s_mov_b32 s1, s12
	s_lshl_b64 s[0:1], s[0:1], 3
	s_add_u32 s0, s0, s4
	s_addc_u32 s1, s1, s5
	s_add_u32 s16, s0, 0x1c0
	s_addc_u32 s17, s1, 0
.LBB277_11:                             ; =>This Inner Loop Header: Depth=1
	s_load_dwordx2 s[18:19], s[16:17], 0x0
	s_waitcnt lgkmcnt(0)
	s_or_b64 s[0:1], s[6:7], s[18:19]
	s_mov_b32 s13, s1
	s_cmp_lg_u64 s[12:13], 0
	s_cbranch_scc0 .LBB277_16
; %bb.12:                               ;   in Loop: Header=BB277_11 Depth=1
	v_cvt_f32_u32_e32 v1, s18
	v_cvt_f32_u32_e32 v2, s19
	s_sub_u32 s0, 0, s18
	s_subb_u32 s1, 0, s19
	v_mac_f32_e32 v1, 0x4f800000, v2
	v_rcp_f32_e32 v1, v1
	v_mul_f32_e32 v1, 0x5f7ffffc, v1
	v_mul_f32_e32 v2, 0x2f800000, v1
	v_trunc_f32_e32 v2, v2
	v_mac_f32_e32 v1, 0xcf800000, v2
	v_cvt_u32_f32_e32 v2, v2
	v_cvt_u32_f32_e32 v1, v1
	v_readfirstlane_b32 s13, v2
	v_readfirstlane_b32 s22, v1
	s_mul_i32 s23, s0, s13
	s_mul_hi_u32 s25, s0, s22
	s_mul_i32 s24, s1, s22
	s_add_i32 s23, s25, s23
	s_mul_i32 s26, s0, s22
	s_add_i32 s23, s23, s24
	s_mul_hi_u32 s24, s22, s23
	s_mul_i32 s25, s22, s23
	s_mul_hi_u32 s22, s22, s26
	s_add_u32 s22, s22, s25
	s_addc_u32 s24, 0, s24
	s_mul_hi_u32 s27, s13, s26
	s_mul_i32 s26, s13, s26
	s_add_u32 s22, s22, s26
	s_mul_hi_u32 s25, s13, s23
	s_addc_u32 s22, s24, s27
	s_addc_u32 s24, s25, 0
	s_mul_i32 s23, s13, s23
	s_add_u32 s22, s22, s23
	s_addc_u32 s23, 0, s24
	v_add_co_u32_e32 v1, vcc, s22, v1
	s_cmp_lg_u64 vcc, 0
	s_addc_u32 s13, s13, s23
	v_readfirstlane_b32 s23, v1
	s_mul_i32 s22, s0, s13
	s_mul_hi_u32 s24, s0, s23
	s_add_i32 s22, s24, s22
	s_mul_i32 s1, s1, s23
	s_add_i32 s22, s22, s1
	s_mul_i32 s0, s0, s23
	s_mul_hi_u32 s24, s13, s0
	s_mul_i32 s25, s13, s0
	s_mul_i32 s27, s23, s22
	s_mul_hi_u32 s0, s23, s0
	s_mul_hi_u32 s26, s23, s22
	s_add_u32 s0, s0, s27
	s_addc_u32 s23, 0, s26
	s_add_u32 s0, s0, s25
	s_mul_hi_u32 s1, s13, s22
	s_addc_u32 s0, s23, s24
	s_addc_u32 s1, s1, 0
	s_mul_i32 s22, s13, s22
	s_add_u32 s0, s0, s22
	s_addc_u32 s1, 0, s1
	v_add_co_u32_e32 v1, vcc, s0, v1
	s_cmp_lg_u64 vcc, 0
	s_addc_u32 s0, s13, s1
	v_readfirstlane_b32 s22, v1
	s_mul_i32 s13, s6, s0
	s_mul_hi_u32 s23, s6, s22
	s_mul_hi_u32 s1, s6, s0
	s_add_u32 s13, s23, s13
	s_addc_u32 s1, 0, s1
	s_mul_hi_u32 s24, s7, s22
	s_mul_i32 s22, s7, s22
	s_add_u32 s13, s13, s22
	s_mul_hi_u32 s23, s7, s0
	s_addc_u32 s1, s1, s24
	s_addc_u32 s13, s23, 0
	s_mul_i32 s0, s7, s0
	s_add_u32 s22, s1, s0
	s_addc_u32 s13, 0, s13
	s_mul_i32 s0, s18, s13
	s_mul_hi_u32 s1, s18, s22
	s_add_i32 s0, s1, s0
	s_mul_i32 s1, s19, s22
	s_add_i32 s23, s0, s1
	s_mul_i32 s1, s18, s22
	v_mov_b32_e32 v1, s1
	s_sub_i32 s0, s7, s23
	v_sub_co_u32_e32 v1, vcc, s6, v1
	s_cmp_lg_u64 vcc, 0
	s_subb_u32 s24, s0, s19
	v_subrev_co_u32_e64 v2, s[0:1], s18, v1
	s_cmp_lg_u64 s[0:1], 0
	s_subb_u32 s0, s24, 0
	s_cmp_ge_u32 s0, s19
	v_readfirstlane_b32 s24, v2
	s_cselect_b32 s1, -1, 0
	s_cmp_ge_u32 s24, s18
	s_cselect_b32 s24, -1, 0
	s_cmp_eq_u32 s0, s19
	s_cselect_b32 s0, s24, s1
	s_add_u32 s1, s22, 1
	s_addc_u32 s24, s13, 0
	s_add_u32 s25, s22, 2
	s_addc_u32 s26, s13, 0
	s_cmp_lg_u32 s0, 0
	s_cselect_b32 s0, s25, s1
	s_cselect_b32 s1, s26, s24
	s_cmp_lg_u64 vcc, 0
	s_subb_u32 s23, s7, s23
	s_cmp_ge_u32 s23, s19
	v_readfirstlane_b32 s25, v1
	s_cselect_b32 s24, -1, 0
	s_cmp_ge_u32 s25, s18
	s_cselect_b32 s25, -1, 0
	s_cmp_eq_u32 s23, s19
	s_cselect_b32 s23, s25, s24
	s_cmp_lg_u32 s23, 0
	s_cselect_b32 s23, s1, s13
	s_cselect_b32 s22, s0, s22
	s_cbranch_execnz .LBB277_14
.LBB277_13:                             ;   in Loop: Header=BB277_11 Depth=1
	v_cvt_f32_u32_e32 v1, s18
	s_sub_i32 s0, 0, s18
	s_mov_b32 s23, s12
	v_rcp_iflag_f32_e32 v1, v1
	v_mul_f32_e32 v1, 0x4f7ffffe, v1
	v_cvt_u32_f32_e32 v1, v1
	v_readfirstlane_b32 s1, v1
	s_mul_i32 s0, s0, s1
	s_mul_hi_u32 s0, s1, s0
	s_add_i32 s1, s1, s0
	s_mul_hi_u32 s0, s6, s1
	s_mul_i32 s13, s0, s18
	s_sub_i32 s13, s6, s13
	s_add_i32 s1, s0, 1
	s_sub_i32 s22, s13, s18
	s_cmp_ge_u32 s13, s18
	s_cselect_b32 s0, s1, s0
	s_cselect_b32 s13, s22, s13
	s_add_i32 s1, s0, 1
	s_cmp_ge_u32 s13, s18
	s_cselect_b32 s22, s1, s0
.LBB277_14:                             ;   in Loop: Header=BB277_11 Depth=1
	s_mul_i32 s0, s22, s19
	s_mul_hi_u32 s1, s22, s18
	s_add_i32 s13, s1, s0
	s_load_dwordx2 s[0:1], s[16:17], 0xc8
	s_mul_i32 s19, s23, s18
	s_add_i32 s13, s13, s19
	s_mul_i32 s18, s22, s18
	s_sub_u32 s6, s6, s18
	s_subb_u32 s7, s7, s13
	s_waitcnt lgkmcnt(0)
	s_mul_i32 s7, s0, s7
	s_mul_hi_u32 s13, s0, s6
	s_add_i32 s7, s13, s7
	s_mul_i32 s1, s1, s6
	s_add_i32 s7, s7, s1
	s_mul_i32 s0, s0, s6
	s_add_u32 s20, s0, s20
	s_addc_u32 s21, s7, s21
	s_add_i32 s15, s15, -1
	s_add_u32 s16, s16, -8
	s_addc_u32 s17, s17, -1
	s_cmp_gt_u32 s15, 2
	s_cbranch_scc0 .LBB277_18
; %bb.15:                               ;   in Loop: Header=BB277_11 Depth=1
	s_mov_b64 s[6:7], s[22:23]
	s_branch .LBB277_11
.LBB277_16:                             ;   in Loop: Header=BB277_11 Depth=1
                                        ; implicit-def: $sgpr22_sgpr23
	s_branch .LBB277_13
.LBB277_17:
	s_mov_b64 s[22:23], s[6:7]
.LBB277_18:
	s_mul_i32 s0, s10, s9
	s_mul_hi_u32 s1, s10, s8
	s_load_dword s7, s[4:5], 0x360
	s_add_i32 s6, s1, s0
	s_load_dwordx2 s[0:1], s[4:5], 0x0
	s_mul_i32 s9, s11, s8
	s_add_i32 s9, s6, s9
	s_mul_i32 s8, s10, s8
	s_waitcnt lgkmcnt(0)
	s_bitcmp1_b32 s7, 0
	s_cselect_b64 s[6:7], -1, 0
	s_add_u32 s0, s0, s8
	s_addc_u32 s1, s1, s9
	s_add_u32 s52, s0, s2
	s_addc_u32 s53, s1, s3
	s_xor_b64 s[18:19], s[6:7], -1
	v_cndmask_b32_e64 v4, 0, 1, s[18:19]
	v_lshlrev_b16_e32 v1, 8, v4
	v_or_b32_e32 v1, v4, v1
	v_lshlrev_b32_e32 v2, 16, v1
	v_and_b32_e32 v34, 0x3ff, v0
	v_or_b32_sdwa v2, v1, v2 dst_sel:DWORD dst_unused:UNUSED_PAD src0_sel:WORD_0 src1_sel:DWORD
	v_mov_b32_e32 v3, v2
	v_cmp_gt_u32_e64 s[0:1], s14, v34
	s_and_saveexec_b64 s[2:3], s[0:1]
	s_cbranch_execz .LBB277_20
; %bb.19:
	v_pk_mov_b32 v[4:5], s[52:53], s[52:53] op_sel:[0,1]
	v_mad_u64_u32 v[4:5], s[6:7], v34, s30, v[4:5]
	v_mov_b32_e32 v6, v5
	v_mad_u64_u32 v[6:7], s[6:7], v34, s31, v[6:7]
	v_mov_b32_e32 v5, v6
	global_load_ubyte v4, v[4:5], off
	s_mov_b32 s6, 0x3020104
	v_mov_b32_e32 v7, v2
	s_waitcnt vmcnt(0)
	v_perm_b32 v6, v4, v2, s6
	v_pk_mov_b32 v[2:3], v[6:7], v[6:7] op_sel:[0,1]
.LBB277_20:
	s_or_b64 exec, exec, s[2:3]
	v_add_u32_e32 v26, 0x80, v34
	v_cmp_gt_u32_e64 s[2:3], s14, v26
	s_and_saveexec_b64 s[6:7], s[2:3]
	s_cbranch_execz .LBB277_22
; %bb.21:
	v_pk_mov_b32 v[6:7], s[52:53], s[52:53] op_sel:[0,1]
	v_mad_u64_u32 v[6:7], s[8:9], v26, s30, v[6:7]
	v_mov_b32_e32 v8, v7
	v_mad_u64_u32 v[8:9], s[8:9], v26, s31, v[8:9]
	v_mov_b32_e32 v7, v8
	global_load_ubyte v1, v[6:7], off
	s_mov_b32 s8, 0x7060004
	s_waitcnt vmcnt(0)
	v_perm_b32 v2, v2, v1, s8
.LBB277_22:
	s_or_b64 exec, exec, s[6:7]
	v_add_u32_e32 v20, 0x100, v34
	v_cmp_gt_u32_e64 s[16:17], s14, v20
	s_and_saveexec_b64 s[6:7], s[16:17]
	s_cbranch_execz .LBB277_24
; %bb.23:
	v_pk_mov_b32 v[6:7], s[52:53], s[52:53] op_sel:[0,1]
	v_mad_u64_u32 v[6:7], s[8:9], v20, s30, v[6:7]
	v_mov_b32_e32 v8, v7
	v_mad_u64_u32 v[8:9], s[8:9], v20, s31, v[8:9]
	v_mov_b32_e32 v7, v8
	global_load_ubyte v1, v[6:7], off
	s_movk_i32 s8, 0xff00
	v_and_b32_sdwa v5, v2, s8 dst_sel:DWORD dst_unused:UNUSED_PAD src0_sel:WORD_1 src1_sel:DWORD
	s_mov_b32 s8, 0xffff
	s_waitcnt vmcnt(0)
	v_or_b32_sdwa v1, v1, v5 dst_sel:WORD_1 dst_unused:UNUSED_PAD src0_sel:DWORD src1_sel:DWORD
	v_and_or_b32 v2, v2, s8, v1
.LBB277_24:
	s_or_b64 exec, exec, s[6:7]
	v_add_u32_e32 v21, 0x180, v34
	v_cmp_gt_u32_e64 s[6:7], s14, v21
	s_and_saveexec_b64 s[8:9], s[6:7]
	s_cbranch_execz .LBB277_26
; %bb.25:
	v_pk_mov_b32 v[6:7], s[52:53], s[52:53] op_sel:[0,1]
	v_mad_u64_u32 v[6:7], s[10:11], v21, s30, v[6:7]
	v_mov_b32_e32 v8, v7
	v_mad_u64_u32 v[8:9], s[10:11], v21, s31, v[8:9]
	v_mov_b32_e32 v7, v8
	global_load_ubyte v1, v[6:7], off
	s_movk_i32 s10, 0xff
	v_and_b32_sdwa v5, v2, s10 dst_sel:DWORD dst_unused:UNUSED_PAD src0_sel:WORD_1 src1_sel:DWORD
	s_mov_b32 s10, 0xffff
	s_waitcnt vmcnt(0)
	v_lshlrev_b16_e32 v1, 8, v1
	v_or_b32_sdwa v1, v5, v1 dst_sel:WORD_1 dst_unused:UNUSED_PAD src0_sel:DWORD src1_sel:DWORD
	v_and_or_b32 v2, v2, s10, v1
.LBB277_26:
	s_or_b64 exec, exec, s[8:9]
	v_add_u32_e32 v22, 0x200, v34
	v_cmp_gt_u32_e64 s[8:9], s14, v22
	s_and_saveexec_b64 s[10:11], s[8:9]
	s_cbranch_execz .LBB277_28
; %bb.27:
	v_pk_mov_b32 v[6:7], s[52:53], s[52:53] op_sel:[0,1]
	v_mad_u64_u32 v[6:7], s[12:13], v22, s30, v[6:7]
	v_mov_b32_e32 v8, v7
	v_mad_u64_u32 v[8:9], s[12:13], v22, s31, v[8:9]
	v_mov_b32_e32 v7, v8
	global_load_ubyte v1, v[6:7], off
	s_mov_b32 s12, 0x3020104
	s_waitcnt vmcnt(0)
	v_perm_b32 v3, v1, v3, s12
.LBB277_28:
	s_or_b64 exec, exec, s[10:11]
	v_add_u32_e32 v19, 0x280, v34
	v_cmp_gt_u32_e64 s[10:11], s14, v19
	s_and_saveexec_b64 s[12:13], s[10:11]
	s_cbranch_execz .LBB277_30
; %bb.29:
	v_pk_mov_b32 v[6:7], s[52:53], s[52:53] op_sel:[0,1]
	v_mad_u64_u32 v[6:7], s[24:25], v19, s30, v[6:7]
	v_mov_b32_e32 v8, v7
	v_mad_u64_u32 v[8:9], s[24:25], v19, s31, v[8:9]
	v_mov_b32_e32 v7, v8
	global_load_ubyte v1, v[6:7], off
	s_mov_b32 s15, 0x7060004
	s_waitcnt vmcnt(0)
	v_perm_b32 v3, v3, v1, s15
.LBB277_30:
	s_or_b64 exec, exec, s[12:13]
	s_load_dwordx2 s[26:27], s[4:5], 0x288
	s_load_dwordx2 s[24:25], s[4:5], 0x1b8
	v_add_u32_e32 v18, 0x300, v34
	v_cmp_gt_u32_e64 s[12:13], s14, v18
	s_and_saveexec_b64 s[28:29], s[12:13]
	s_cbranch_execz .LBB277_32
; %bb.31:
	v_pk_mov_b32 v[6:7], s[52:53], s[52:53] op_sel:[0,1]
	v_mad_u64_u32 v[6:7], s[34:35], v18, s30, v[6:7]
	v_mov_b32_e32 v8, v7
	v_mad_u64_u32 v[8:9], s[34:35], v18, s31, v[8:9]
	v_mov_b32_e32 v7, v8
	global_load_ubyte v1, v[6:7], off
	s_mov_b32 s15, 0x7000504
	s_waitcnt vmcnt(0)
	v_perm_b32 v3, v3, v1, s15
.LBB277_32:
	s_or_b64 exec, exec, s[28:29]
	v_add_u32_e32 v1, 0x380, v34
	v_cmp_gt_u32_e64 s[14:15], s14, v1
	s_and_saveexec_b64 s[28:29], s[14:15]
	s_cbranch_execz .LBB277_34
; %bb.33:
	v_pk_mov_b32 v[6:7], s[52:53], s[52:53] op_sel:[0,1]
	v_mad_u64_u32 v[6:7], s[34:35], v1, s30, v[6:7]
	v_mov_b32_e32 v8, v7
	v_mad_u64_u32 v[8:9], s[34:35], v1, s31, v[8:9]
	v_mov_b32_e32 v7, v8
	global_load_ubyte v5, v[6:7], off
	s_mov_b32 s33, 0x60504
	s_waitcnt vmcnt(0)
	v_perm_b32 v3, v3, v5, s33
.LBB277_34:
	s_or_b64 exec, exec, s[28:29]
	v_lshrrev_b32_e32 v32, 5, v34
	v_and_b32_e32 v5, 28, v32
	v_add_u32_e32 v35, v5, v34
	v_lshrrev_b32_e32 v31, 5, v26
	ds_write_b8 v35, v4
	v_and_b32_e32 v4, 60, v31
	v_lshrrev_b32_e32 v30, 5, v20
	v_add_u32_e32 v42, v4, v34
	v_and_b32_e32 v4, 60, v30
	v_lshrrev_b32_e32 v29, 5, v21
	v_lshrrev_b32_e32 v5, 8, v2
	v_add_u32_e32 v43, v4, v34
	v_and_b32_e32 v4, 60, v29
	ds_write_b8 v42, v5 offset:128
	ds_write_b8_d16_hi v43, v2 offset:256
	v_lshrrev_b32_e32 v2, 24, v2
	v_add_u32_e32 v44, v4, v34
	v_lshrrev_b32_e32 v28, 5, v22
	ds_write_b8 v44, v2 offset:384
	v_and_b32_e32 v2, 60, v28
	v_lshrrev_b32_e32 v25, 5, v19
	v_add_u32_e32 v45, v2, v34
	v_and_b32_e32 v2, 60, v25
	v_lshrrev_b32_e32 v24, 5, v18
	v_add_u32_e32 v46, v2, v34
	v_and_b32_e32 v2, 60, v24
	v_lshrrev_b32_e32 v23, 5, v1
	s_waitcnt lgkmcnt(0)
	s_mul_i32 s23, s26, s23
	s_mul_hi_u32 s28, s26, s22
	v_add_u32_e32 v47, v2, v34
	v_and_b32_e32 v2, 60, v23
	v_lshrrev_b32_e32 v27, 2, v34
	s_add_i32 s23, s28, s23
	s_mul_i32 s27, s27, s22
	v_lshrrev_b32_e32 v4, 8, v3
	v_add_u32_e32 v48, v2, v34
	v_lshlrev_b32_e32 v50, 3, v34
	v_and_b32_e32 v2, 0xfc, v27
	s_add_i32 s23, s23, s27
	s_mul_i32 s22, s26, s22
	ds_write_b8 v45, v3 offset:512
	ds_write_b8 v46, v4 offset:640
	ds_write_b8_d16_hi v47, v3 offset:768
	v_lshrrev_b32_e32 v3, 24, v3
	v_add_u32_e32 v49, v2, v50
	s_lshl_b64 s[22:23], s[22:23], 3
	s_load_dwordx2 s[34:35], s[4:5], 0x358
	ds_write_b8 v48, v3 offset:896
	s_waitcnt lgkmcnt(0)
	s_barrier
	ds_read_b64 v[36:37], v49
	s_add_u32 s22, s24, s22
	s_mov_b32 s36, 0
	s_addc_u32 s23, s25, s23
	s_lshl_b64 s[20:21], s[20:21], 3
	s_mov_b32 s37, s36
	s_add_u32 s33, s22, s20
	s_mov_b32 s38, s36
	s_mov_b32 s39, s36
	;; [unrolled: 1-line block ×14, first 2 shown]
	v_pk_mov_b32 v[2:3], s[36:37], s[36:37] op_sel:[0,1]
	s_addc_u32 s56, s23, s21
	v_pk_mov_b32 v[4:5], s[38:39], s[38:39] op_sel:[0,1]
	v_pk_mov_b32 v[6:7], s[40:41], s[40:41] op_sel:[0,1]
	v_pk_mov_b32 v[8:9], s[42:43], s[42:43] op_sel:[0,1]
	v_pk_mov_b32 v[10:11], s[44:45], s[44:45] op_sel:[0,1]
	v_pk_mov_b32 v[12:13], s[46:47], s[46:47] op_sel:[0,1]
	v_pk_mov_b32 v[14:15], s[48:49], s[48:49] op_sel:[0,1]
	v_pk_mov_b32 v[16:17], s[50:51], s[50:51] op_sel:[0,1]
	v_pk_mov_b32 v[2:3], 0, 0
	s_waitcnt lgkmcnt(0)
	s_barrier
	s_and_saveexec_b64 s[4:5], s[0:1]
	s_cbranch_execnz .LBB277_67
; %bb.35:
	s_or_b64 exec, exec, s[4:5]
	s_and_saveexec_b64 s[4:5], s[2:3]
	s_cbranch_execnz .LBB277_68
.LBB277_36:
	s_or_b64 exec, exec, s[4:5]
	s_and_saveexec_b64 s[4:5], s[16:17]
	s_cbranch_execnz .LBB277_69
.LBB277_37:
	s_or_b64 exec, exec, s[4:5]
	s_and_saveexec_b64 s[4:5], s[6:7]
	s_cbranch_execnz .LBB277_70
.LBB277_38:
	s_or_b64 exec, exec, s[4:5]
	s_and_saveexec_b64 s[4:5], s[8:9]
	s_cbranch_execnz .LBB277_71
.LBB277_39:
	s_or_b64 exec, exec, s[4:5]
	s_and_saveexec_b64 s[4:5], s[10:11]
	s_cbranch_execnz .LBB277_72
.LBB277_40:
	s_or_b64 exec, exec, s[4:5]
	s_and_saveexec_b64 s[4:5], s[12:13]
	s_cbranch_execnz .LBB277_73
.LBB277_41:
	s_or_b64 exec, exec, s[4:5]
	s_and_saveexec_b64 s[4:5], s[14:15]
	s_cbranch_execz .LBB277_43
.LBB277_42:
	v_mad_u64_u32 v[16:17], s[20:21], v1, s34, 0
	v_mov_b32_e32 v18, v17
	v_mad_u64_u32 v[18:19], s[20:21], v1, s35, v[18:19]
	v_mov_b32_e32 v17, v18
	v_lshlrev_b64 v[16:17], 3, v[16:17]
	v_mov_b32_e32 v1, s56
	v_add_co_u32_e32 v16, vcc, s33, v16
	v_addc_co_u32_e32 v17, vcc, v1, v17, vcc
	global_load_dwordx2 v[16:17], v[16:17], off
.LBB277_43:
	s_or_b64 exec, exec, s[4:5]
	v_lshrrev_b64 v[38:39], 24, v[36:37]
	v_add_lshl_u32 v39, v32, v34, 3
	v_add_lshl_u32 v51, v31, v34, 3
	;; [unrolled: 1-line block ×9, first 2 shown]
	s_waitcnt vmcnt(0)
	ds_write_b64 v39, v[2:3]
	ds_write_b64 v51, v[4:5] offset:1024
	ds_write_b64 v52, v[6:7] offset:2048
	;; [unrolled: 1-line block ×7, first 2 shown]
	s_waitcnt lgkmcnt(0)
	s_barrier
	ds_read2_b64 v[14:17], v58 offset1:1
	ds_read2_b64 v[10:13], v58 offset0:2 offset1:3
	ds_read2_b64 v[6:9], v58 offset0:4 offset1:5
	;; [unrolled: 1-line block ×3, first 2 shown]
	v_lshrrev_b32_e32 v62, 8, v36
	v_lshrrev_b32_e32 v63, 8, v37
	s_and_b64 vcc, exec, s[18:19]
	v_bfe_u32 v60, v0, 10, 10
	v_bfe_u32 v61, v0, 20, 10
	v_mbcnt_lo_u32_b32 v64, -1, 0
	v_lshlrev_b32_e32 v59, 4, v34
	s_waitcnt lgkmcnt(0)
	s_barrier
	s_cbranch_vccz .LBB277_74
; %bb.44:
	s_movk_i32 s4, 0xff
	v_mov_b32_e32 v1, 8
	v_lshlrev_b16_e32 v0, 8, v63
	v_lshlrev_b16_sdwa v1, v1, v37 dst_sel:DWORD dst_unused:UNUSED_PAD src0_sel:DWORD src1_sel:BYTE_3
	v_and_b32_sdwa v20, v37, s4 dst_sel:DWORD dst_unused:UNUSED_PAD src0_sel:WORD_1 src1_sel:DWORD
	v_or_b32_sdwa v0, v37, v0 dst_sel:DWORD dst_unused:UNUSED_PAD src0_sel:BYTE_0 src1_sel:DWORD
	v_or_b32_sdwa v1, v20, v1 dst_sel:WORD_1 dst_unused:UNUSED_PAD src0_sel:DWORD src1_sel:DWORD
	v_mbcnt_hi_u32_b32 v73, -1, v64
	v_and_b32_e32 v74, 0x3c0, v34
	v_or_b32_sdwa v1, v0, v1 dst_sel:DWORD dst_unused:UNUSED_PAD src0_sel:WORD_0 src1_sel:DWORD
	v_lshlrev_b16_e32 v0, 8, v62
	v_lshlrev_b16_e32 v20, 8, v38
	v_and_b32_sdwa v21, v36, s4 dst_sel:DWORD dst_unused:UNUSED_PAD src0_sel:WORD_1 src1_sel:DWORD
	v_add_u32_e32 v18, v73, v74
	v_or_b32_sdwa v0, v36, v0 dst_sel:DWORD dst_unused:UNUSED_PAD src0_sel:BYTE_0 src1_sel:DWORD
	v_or_b32_sdwa v20, v21, v20 dst_sel:WORD_1 dst_unused:UNUSED_PAD src0_sel:DWORD src1_sel:DWORD
	v_lshlrev_b32_e32 v19, 3, v18
	v_or_b32_sdwa v0, v0, v20 dst_sel:DWORD dst_unused:UNUSED_PAD src0_sel:WORD_0 src1_sel:DWORD
	s_movk_i32 s4, 0x1e00
	ds_write_b64 v19, v[0:1]
	v_and_or_b32 v0, v50, s4, v73
	; wave barrier
	ds_read_u8 v65, v0
	ds_read_u8 v66, v0 offset:64
	ds_read_u8 v67, v0 offset:128
	;; [unrolled: 1-line block ×7, first 2 shown]
	v_lshlrev_b32_e32 v1, 6, v18
	v_lshlrev_b32_e32 v0, 3, v0
	s_getpc_b64 s[4:5]
	s_add_u32 s4, s4, _ZN7rocprim17ROCPRIM_400000_NS16block_radix_sortIbLj128ELj8ElLj1ELj1ELj0ELNS0_26block_radix_rank_algorithmE1ELNS0_18block_padding_hintE2ELNS0_4arch9wavefront6targetE1EE19radix_bits_per_passE@rel32@lo+4
	s_addc_u32 s5, s5, _ZN7rocprim17ROCPRIM_400000_NS16block_radix_sortIbLj128ELj8ElLj1ELj1ELj0ELNS0_26block_radix_rank_algorithmE1ELNS0_18block_padding_hintE2ELNS0_4arch9wavefront6targetE1EE19radix_bits_per_passE@rel32@hi+12
	s_waitcnt lgkmcnt(0)
	s_barrier
	ds_write2_b64 v1, v[14:15], v[16:17] offset1:1
	ds_write2_b64 v1, v[10:11], v[12:13] offset0:2 offset1:3
	ds_write2_b64 v1, v[6:7], v[8:9] offset0:4 offset1:5
	;; [unrolled: 1-line block ×3, first 2 shown]
	; wave barrier
	ds_read2st64_b64 v[30:33], v0 offset1:1
	ds_read2st64_b64 v[26:29], v0 offset0:2 offset1:3
	ds_read2st64_b64 v[22:25], v0 offset0:4 offset1:5
	;; [unrolled: 1-line block ×3, first 2 shown]
	s_waitcnt lgkmcnt(0)
	s_barrier
	s_load_dword s18, s[4:5], 0x0
	s_load_dword s19, s[54:55], 0xc
	s_waitcnt lgkmcnt(0)
	s_min_u32 s18, s18, 8
	s_lshr_b32 s4, s19, 16
	s_and_b32 s5, s19, 0xffff
	v_mad_u32_u24 v0, v61, s4, v60
	v_mad_u64_u32 v[0:1], s[4:5], v0, s5, v[34:35]
	s_lshl_b32 s4, -1, s18
	s_not_b32 s18, s4
	v_lshrrev_b32_e32 v40, 6, v0
	v_and_b32_e32 v0, s18, v65
	v_mov_b32_e32 v1, 0
	v_and_b32_e32 v0, 1, v0
	ds_write2_b32 v59, v1, v1 offset0:2 offset1:3
	ds_write2_b32 v59, v1, v1 offset0:4 offset1:5
	v_lshlrev_b32_e32 v1, 1, v0
	v_cmp_ne_u32_e32 vcc, 0, v0
	v_add_co_u32_e64 v0, s[4:5], -1, v0
	v_add_lshl_u32 v75, v40, v1, 2
	v_addc_co_u32_e64 v1, s[4:5], 0, -1, s[4:5]
	v_xor_b32_e32 v0, vcc_lo, v0
	v_xor_b32_e32 v1, vcc_hi, v1
	v_and_b32_e32 v0, exec_lo, v0
	v_and_b32_e32 v1, exec_hi, v1
	v_mbcnt_lo_u32_b32 v41, v0, 0
	v_mbcnt_hi_u32_b32 v76, v1, v41
	v_cmp_eq_u32_e32 vcc, 0, v76
	v_cmp_ne_u64_e64 s[4:5], 0, v[0:1]
	s_and_b64 s[20:21], s[4:5], vcc
	s_waitcnt lgkmcnt(0)
	s_barrier
	s_waitcnt lgkmcnt(0)
	; wave barrier
	s_and_saveexec_b64 s[4:5], s[20:21]
	s_cbranch_execz .LBB277_46
; %bb.45:
	v_bcnt_u32_b32 v0, v0, 0
	v_bcnt_u32_b32 v0, v1, v0
	ds_write_b32 v75, v0 offset:8
.LBB277_46:
	s_or_b64 exec, exec, s[4:5]
	v_and_b32_e32 v0, s18, v66
	v_and_b32_e32 v0, 0xff, v0
	v_lshlrev_b32_e32 v1, 1, v0
	v_cmp_ne_u32_e32 vcc, 0, v0
	v_add_co_u32_e64 v0, s[4:5], -1, v0
	v_add_lshl_u32 v78, v40, v1, 2
	v_addc_co_u32_e64 v1, s[4:5], 0, -1, s[4:5]
	v_xor_b32_e32 v0, vcc_lo, v0
	; wave barrier
	ds_read_b32 v77, v78 offset:8
	v_xor_b32_e32 v1, vcc_hi, v1
	v_and_b32_e32 v0, exec_lo, v0
	v_and_b32_e32 v1, exec_hi, v1
	v_mbcnt_lo_u32_b32 v41, v0, 0
	v_mbcnt_hi_u32_b32 v79, v1, v41
	v_cmp_eq_u32_e32 vcc, 0, v79
	v_cmp_ne_u64_e64 s[4:5], 0, v[0:1]
	s_and_b64 s[20:21], s[4:5], vcc
	; wave barrier
	s_and_saveexec_b64 s[4:5], s[20:21]
	s_cbranch_execz .LBB277_48
; %bb.47:
	v_bcnt_u32_b32 v0, v0, 0
	v_bcnt_u32_b32 v0, v1, v0
	s_waitcnt lgkmcnt(0)
	v_add_u32_e32 v0, v77, v0
	ds_write_b32 v78, v0 offset:8
.LBB277_48:
	s_or_b64 exec, exec, s[4:5]
	v_and_b32_e32 v0, s18, v67
	v_and_b32_e32 v0, 0xff, v0
	v_lshlrev_b32_e32 v1, 1, v0
	v_cmp_ne_u32_e32 vcc, 0, v0
	v_add_co_u32_e64 v0, s[4:5], -1, v0
	v_add_lshl_u32 v81, v40, v1, 2
	v_addc_co_u32_e64 v1, s[4:5], 0, -1, s[4:5]
	v_xor_b32_e32 v0, vcc_lo, v0
	; wave barrier
	ds_read_b32 v80, v81 offset:8
	v_xor_b32_e32 v1, vcc_hi, v1
	v_and_b32_e32 v0, exec_lo, v0
	v_and_b32_e32 v1, exec_hi, v1
	v_mbcnt_lo_u32_b32 v41, v0, 0
	v_mbcnt_hi_u32_b32 v82, v1, v41
	v_cmp_eq_u32_e32 vcc, 0, v82
	v_cmp_ne_u64_e64 s[4:5], 0, v[0:1]
	s_and_b64 s[20:21], s[4:5], vcc
	; wave barrier
	s_and_saveexec_b64 s[4:5], s[20:21]
	s_cbranch_execz .LBB277_50
; %bb.49:
	v_bcnt_u32_b32 v0, v0, 0
	v_bcnt_u32_b32 v0, v1, v0
	s_waitcnt lgkmcnt(0)
	v_add_u32_e32 v0, v80, v0
	ds_write_b32 v81, v0 offset:8
.LBB277_50:
	;; [unrolled: 29-line block ×6, first 2 shown]
	s_or_b64 exec, exec, s[4:5]
	v_and_b32_e32 v0, s18, v72
	v_and_b32_e32 v0, 0xff, v0
	v_lshlrev_b32_e32 v1, 1, v0
	v_cmp_ne_u32_e32 vcc, 0, v0
	v_add_co_u32_e64 v0, s[4:5], -1, v0
	v_add_lshl_u32 v96, v40, v1, 2
	v_addc_co_u32_e64 v1, s[4:5], 0, -1, s[4:5]
	v_xor_b32_e32 v0, vcc_lo, v0
	; wave barrier
	ds_read_b32 v95, v96 offset:8
	v_xor_b32_e32 v1, vcc_hi, v1
	v_and_b32_e32 v0, exec_lo, v0
	v_and_b32_e32 v1, exec_hi, v1
	v_mbcnt_lo_u32_b32 v40, v0, 0
	v_mbcnt_hi_u32_b32 v97, v1, v40
	v_cmp_eq_u32_e32 vcc, 0, v97
	v_cmp_ne_u64_e64 s[4:5], 0, v[0:1]
	v_or_b32_e32 v98, 8, v59
	s_and_b64 s[18:19], s[4:5], vcc
	; wave barrier
	s_and_saveexec_b64 s[4:5], s[18:19]
	s_cbranch_execz .LBB277_60
; %bb.59:
	v_bcnt_u32_b32 v0, v0, 0
	v_bcnt_u32_b32 v0, v1, v0
	s_waitcnt lgkmcnt(0)
	v_add_u32_e32 v0, v95, v0
	ds_write_b32 v96, v0 offset:8
.LBB277_60:
	s_or_b64 exec, exec, s[4:5]
	; wave barrier
	s_waitcnt lgkmcnt(0)
	s_barrier
	ds_read2_b32 v[0:1], v59 offset0:2 offset1:3
	ds_read2_b32 v[40:41], v98 offset0:2 offset1:3
	v_min_u32_e32 v74, 64, v74
	v_or_b32_e32 v74, 63, v74
	s_waitcnt lgkmcnt(1)
	v_add_u32_e32 v99, v1, v0
	s_waitcnt lgkmcnt(0)
	v_add3_u32 v41, v99, v40, v41
	v_and_b32_e32 v99, 15, v73
	v_cmp_ne_u32_e32 vcc, 0, v99
	v_mov_b32_dpp v100, v41 row_shr:1 row_mask:0xf bank_mask:0xf
	v_cndmask_b32_e32 v100, 0, v100, vcc
	v_add_u32_e32 v41, v100, v41
	v_cmp_lt_u32_e32 vcc, 1, v99
	s_nop 0
	v_mov_b32_dpp v100, v41 row_shr:2 row_mask:0xf bank_mask:0xf
	v_cndmask_b32_e32 v100, 0, v100, vcc
	v_add_u32_e32 v41, v41, v100
	v_cmp_lt_u32_e32 vcc, 3, v99
	s_nop 0
	;; [unrolled: 5-line block ×3, first 2 shown]
	v_mov_b32_dpp v100, v41 row_shr:8 row_mask:0xf bank_mask:0xf
	v_cndmask_b32_e32 v99, 0, v100, vcc
	v_add_u32_e32 v41, v41, v99
	v_bfe_i32 v100, v73, 4, 1
	v_cmp_lt_u32_e32 vcc, 31, v73
	v_mov_b32_dpp v99, v41 row_bcast:15 row_mask:0xf bank_mask:0xf
	v_and_b32_e32 v99, v100, v99
	v_add_u32_e32 v41, v41, v99
	s_nop 1
	v_mov_b32_dpp v99, v41 row_bcast:31 row_mask:0xf bank_mask:0xf
	v_cndmask_b32_e32 v99, 0, v99, vcc
	v_add_u32_e32 v41, v41, v99
	v_lshrrev_b32_e32 v99, 6, v34
	v_cmp_eq_u32_e32 vcc, v74, v34
	s_and_saveexec_b64 s[4:5], vcc
	s_cbranch_execz .LBB277_62
; %bb.61:
	v_lshlrev_b32_e32 v74, 2, v99
	ds_write_b32 v74, v41
.LBB277_62:
	s_or_b64 exec, exec, s[4:5]
	v_cmp_gt_u32_e32 vcc, 2, v34
	s_waitcnt lgkmcnt(0)
	s_barrier
	s_and_saveexec_b64 s[4:5], vcc
	s_cbranch_execz .LBB277_64
; %bb.63:
	v_lshlrev_b32_e32 v74, 2, v34
	ds_read_b32 v100, v74
	v_bfe_i32 v101, v73, 0, 1
	s_waitcnt lgkmcnt(0)
	v_mov_b32_dpp v102, v100 row_shr:1 row_mask:0xf bank_mask:0xf
	v_and_b32_e32 v101, v101, v102
	v_add_u32_e32 v100, v101, v100
	ds_write_b32 v74, v100
.LBB277_64:
	s_or_b64 exec, exec, s[4:5]
	v_cmp_lt_u32_e32 vcc, 63, v34
	v_mov_b32_e32 v74, 0
	s_waitcnt lgkmcnt(0)
	s_barrier
	s_and_saveexec_b64 s[4:5], vcc
	s_cbranch_execz .LBB277_66
; %bb.65:
	v_lshl_add_u32 v74, v99, 2, -4
	ds_read_b32 v74, v74
.LBB277_66:
	s_or_b64 exec, exec, s[4:5]
	v_add_u32_e32 v99, -1, v73
	v_and_b32_e32 v100, 64, v73
	v_cmp_lt_i32_e32 vcc, v99, v100
	v_cndmask_b32_e32 v99, v99, v73, vcc
	s_waitcnt lgkmcnt(0)
	v_add_u32_e32 v41, v74, v41
	v_lshlrev_b32_e32 v99, 2, v99
	ds_bpermute_b32 v41, v99, v41
	v_cmp_eq_u32_e32 vcc, 0, v73
	s_waitcnt lgkmcnt(0)
	v_cndmask_b32_e32 v41, v41, v74, vcc
	v_cmp_ne_u32_e32 vcc, 0, v34
	v_cndmask_b32_e32 v41, 0, v41, vcc
	v_add_u32_e32 v0, v41, v0
	v_add_u32_e32 v1, v0, v1
	;; [unrolled: 1-line block ×3, first 2 shown]
	ds_write2_b32 v59, v41, v0 offset0:2 offset1:3
	ds_write2_b32 v98, v1, v40 offset0:2 offset1:3
	s_waitcnt lgkmcnt(0)
	s_barrier
	ds_read_b32 v0, v75 offset:8
	ds_read_b32 v1, v78 offset:8
	;; [unrolled: 1-line block ×8, first 2 shown]
	s_waitcnt lgkmcnt(7)
	v_add_u32_e32 v76, v0, v76
	s_waitcnt lgkmcnt(6)
	v_add3_u32 v77, v79, v77, v1
	s_waitcnt lgkmcnt(5)
	v_add3_u32 v40, v82, v80, v40
	;; [unrolled: 2-line block ×7, first 2 shown]
	s_barrier
	ds_write_b8 v76, v65
	ds_write_b8 v77, v66
	;; [unrolled: 1-line block ×8, first 2 shown]
	v_lshlrev_b32_e32 v65, 3, v76
	s_waitcnt lgkmcnt(0)
	s_barrier
	ds_read_b64 v[0:1], v50
	s_waitcnt lgkmcnt(0)
	s_barrier
	ds_write_b64 v65, v[30:31]
	v_lshlrev_b32_e32 v30, 3, v77
	ds_write_b64 v30, v[32:33]
	v_lshlrev_b32_e32 v30, 3, v40
	;; [unrolled: 2-line block ×7, first 2 shown]
	v_lshlrev_b32_e32 v30, 3, v50
	ds_write_b64 v18, v[20:21]
	s_waitcnt lgkmcnt(0)
	s_barrier
	ds_read2_b64 v[18:21], v30 offset1:1
	ds_read2_b64 v[22:25], v30 offset0:2 offset1:3
	ds_read2_b64 v[26:29], v30 offset0:4 offset1:5
	;; [unrolled: 1-line block ×3, first 2 shown]
	s_branch .LBB277_98
.LBB277_67:
	v_mad_u64_u32 v[2:3], s[20:21], v34, s34, 0
	v_mov_b32_e32 v4, v3
	v_mad_u64_u32 v[4:5], s[20:21], v34, s35, v[4:5]
	v_mov_b32_e32 v3, v4
	v_lshlrev_b64 v[2:3], 3, v[2:3]
	v_mov_b32_e32 v4, s56
	v_add_co_u32_e32 v2, vcc, s33, v2
	v_addc_co_u32_e32 v3, vcc, v4, v3, vcc
	global_load_dwordx2 v[2:3], v[2:3], off
	v_mov_b32_e32 v4, 0
	v_mov_b32_e32 v5, v4
	;; [unrolled: 1-line block ×14, first 2 shown]
	s_or_b64 exec, exec, s[4:5]
	s_and_saveexec_b64 s[4:5], s[2:3]
	s_cbranch_execz .LBB277_36
.LBB277_68:
	v_mad_u64_u32 v[4:5], s[20:21], v26, s34, 0
	v_mov_b32_e32 v38, v5
	v_mad_u64_u32 v[38:39], s[20:21], v26, s35, v[38:39]
	v_mov_b32_e32 v5, v38
	v_lshlrev_b64 v[4:5], 3, v[4:5]
	v_mov_b32_e32 v26, s56
	v_add_co_u32_e32 v4, vcc, s33, v4
	v_addc_co_u32_e32 v5, vcc, v26, v5, vcc
	global_load_dwordx2 v[4:5], v[4:5], off
	s_or_b64 exec, exec, s[4:5]
	s_and_saveexec_b64 s[4:5], s[16:17]
	s_cbranch_execz .LBB277_37
.LBB277_69:
	v_mad_u64_u32 v[6:7], s[20:21], v20, s34, 0
	v_mov_b32_e32 v26, v7
	v_mad_u64_u32 v[38:39], s[20:21], v20, s35, v[26:27]
	v_mov_b32_e32 v7, v38
	v_lshlrev_b64 v[6:7], 3, v[6:7]
	v_mov_b32_e32 v20, s56
	v_add_co_u32_e32 v6, vcc, s33, v6
	v_addc_co_u32_e32 v7, vcc, v20, v7, vcc
	global_load_dwordx2 v[6:7], v[6:7], off
	s_or_b64 exec, exec, s[4:5]
	s_and_saveexec_b64 s[4:5], s[6:7]
	s_cbranch_execz .LBB277_38
.LBB277_70:
	v_mad_u64_u32 v[8:9], s[20:21], v21, s34, 0
	v_mov_b32_e32 v20, v9
	v_mad_u64_u32 v[20:21], s[20:21], v21, s35, v[20:21]
	v_mov_b32_e32 v9, v20
	v_lshlrev_b64 v[8:9], 3, v[8:9]
	v_mov_b32_e32 v20, s56
	v_add_co_u32_e32 v8, vcc, s33, v8
	v_addc_co_u32_e32 v9, vcc, v20, v9, vcc
	global_load_dwordx2 v[8:9], v[8:9], off
	s_or_b64 exec, exec, s[4:5]
	s_and_saveexec_b64 s[4:5], s[8:9]
	s_cbranch_execz .LBB277_39
.LBB277_71:
	v_mad_u64_u32 v[10:11], s[20:21], v22, s34, 0
	v_mov_b32_e32 v20, v11
	v_mad_u64_u32 v[20:21], s[20:21], v22, s35, v[20:21]
	v_mov_b32_e32 v11, v20
	v_lshlrev_b64 v[10:11], 3, v[10:11]
	v_mov_b32_e32 v20, s56
	v_add_co_u32_e32 v10, vcc, s33, v10
	v_addc_co_u32_e32 v11, vcc, v20, v11, vcc
	global_load_dwordx2 v[10:11], v[10:11], off
	s_or_b64 exec, exec, s[4:5]
	s_and_saveexec_b64 s[4:5], s[10:11]
	s_cbranch_execz .LBB277_40
.LBB277_72:
	v_mad_u64_u32 v[12:13], s[20:21], v19, s34, 0
	v_mov_b32_e32 v20, v13
	v_mad_u64_u32 v[20:21], s[20:21], v19, s35, v[20:21]
	v_mov_b32_e32 v13, v20
	v_lshlrev_b64 v[12:13], 3, v[12:13]
	v_mov_b32_e32 v19, s56
	v_add_co_u32_e32 v12, vcc, s33, v12
	v_addc_co_u32_e32 v13, vcc, v19, v13, vcc
	global_load_dwordx2 v[12:13], v[12:13], off
	s_or_b64 exec, exec, s[4:5]
	s_and_saveexec_b64 s[4:5], s[12:13]
	s_cbranch_execz .LBB277_41
.LBB277_73:
	v_mad_u64_u32 v[14:15], s[20:21], v18, s34, 0
	v_mov_b32_e32 v20, v15
	v_mad_u64_u32 v[18:19], s[20:21], v18, s35, v[20:21]
	v_mov_b32_e32 v15, v18
	v_lshlrev_b64 v[14:15], 3, v[14:15]
	v_mov_b32_e32 v18, s56
	v_add_co_u32_e32 v14, vcc, s33, v14
	v_addc_co_u32_e32 v15, vcc, v18, v15, vcc
	global_load_dwordx2 v[14:15], v[14:15], off
	s_or_b64 exec, exec, s[4:5]
	s_and_saveexec_b64 s[4:5], s[14:15]
	s_cbranch_execnz .LBB277_42
	s_branch .LBB277_43
.LBB277_74:
                                        ; implicit-def: $vgpr1
                                        ; implicit-def: $vgpr32_vgpr33
                                        ; implicit-def: $vgpr28_vgpr29
                                        ; implicit-def: $vgpr24_vgpr25
                                        ; implicit-def: $vgpr20_vgpr21
	s_cbranch_execz .LBB277_98
; %bb.75:
	v_and_b32_e32 v0, 1, v63
	v_cmp_eq_u32_e32 vcc, 1, v0
	v_and_b32_e32 v0, 1, v37
	v_cmp_eq_u32_e64 s[4:5], 1, v0
	v_mov_b32_e32 v0, 1
	v_and_b32_sdwa v1, v0, v37 dst_sel:DWORD dst_unused:UNUSED_PAD src0_sel:DWORD src1_sel:BYTE_3
	v_cmp_eq_u32_e64 s[18:19], 1, v1
	v_and_b32_sdwa v1, v0, v37 dst_sel:DWORD dst_unused:UNUSED_PAD src0_sel:DWORD src1_sel:WORD_1
	v_cmp_eq_u32_e64 s[20:21], 1, v1
	v_and_b32_e32 v1, 1, v62
	v_cmp_eq_u32_e64 s[22:23], 1, v1
	v_and_b32_e32 v1, 1, v36
	v_and_b32_sdwa v0, v0, v36 dst_sel:DWORD dst_unused:UNUSED_PAD src0_sel:DWORD src1_sel:WORD_1
	s_xor_b64 s[36:37], vcc, -1
	v_cmp_eq_u32_e64 s[24:25], 1, v1
	v_and_b32_e32 v1, 1, v38
	v_cmp_eq_u32_e64 s[28:29], 1, v0
	v_cndmask_b32_e64 v0, 0, 1, s[36:37]
	s_xor_b64 s[4:5], s[4:5], -1
	v_cmp_eq_u32_e64 s[26:27], 1, v1
	v_lshlrev_b16_e32 v0, 8, v0
	v_cndmask_b32_e64 v1, 0, 1, s[4:5]
	s_xor_b64 s[4:5], s[18:19], -1
	v_or_b32_e32 v0, v1, v0
	v_cndmask_b32_e64 v1, 0, 1, s[4:5]
	s_xor_b64 s[4:5], s[20:21], -1
	v_lshlrev_b16_e32 v1, 8, v1
	s_waitcnt lgkmcnt(3)
	v_cndmask_b32_e64 v21, 0, 1, s[4:5]
	v_or_b32_sdwa v1, v21, v1 dst_sel:WORD_1 dst_unused:UNUSED_PAD src0_sel:DWORD src1_sel:DWORD
	s_xor_b64 s[4:5], s[22:23], -1
	v_or_b32_sdwa v1, v0, v1 dst_sel:DWORD dst_unused:UNUSED_PAD src0_sel:WORD_0 src1_sel:DWORD
	v_cndmask_b32_e64 v0, 0, 1, s[4:5]
	s_xor_b64 s[4:5], s[24:25], -1
	v_lshlrev_b16_e32 v0, 8, v0
	v_cndmask_b32_e64 v21, 0, 1, s[4:5]
	s_xor_b64 s[4:5], s[26:27], -1
	v_or_b32_e32 v0, v21, v0
	v_cndmask_b32_e64 v21, 0, 1, s[4:5]
	s_xor_b64 s[4:5], s[28:29], -1
	v_mbcnt_hi_u32_b32 v20, -1, v64
	s_waitcnt lgkmcnt(1)
	v_and_b32_e32 v29, 0x3c0, v34
	v_lshlrev_b16_e32 v21, 8, v21
	v_cndmask_b32_e64 v22, 0, 1, s[4:5]
	v_add_u32_e32 v18, v20, v29
	v_or_b32_sdwa v21, v22, v21 dst_sel:WORD_1 dst_unused:UNUSED_PAD src0_sel:DWORD src1_sel:DWORD
	v_lshlrev_b32_e32 v19, 3, v18
	v_or_b32_sdwa v0, v0, v21 dst_sel:DWORD dst_unused:UNUSED_PAD src0_sel:WORD_0 src1_sel:DWORD
	s_movk_i32 s4, 0x1e00
	ds_write_b64 v19, v[0:1]
	v_and_or_b32 v0, v50, s4, v20
	; wave barrier
	ds_read_u8 v21, v0
	ds_read_u8 v22, v0 offset:64
	ds_read_u8 v23, v0 offset:128
	;; [unrolled: 1-line block ×7, first 2 shown]
	v_lshlrev_b32_e32 v1, 6, v18
	v_lshlrev_b32_e32 v0, 3, v0
	s_getpc_b64 s[4:5]
	s_add_u32 s4, s4, _ZN7rocprim17ROCPRIM_400000_NS16block_radix_sortIbLj128ELj8ElLj1ELj1ELj0ELNS0_26block_radix_rank_algorithmE1ELNS0_18block_padding_hintE2ELNS0_4arch9wavefront6targetE1EE19radix_bits_per_passE@rel32@lo+4
	s_addc_u32 s5, s5, _ZN7rocprim17ROCPRIM_400000_NS16block_radix_sortIbLj128ELj8ElLj1ELj1ELj0ELNS0_26block_radix_rank_algorithmE1ELNS0_18block_padding_hintE2ELNS0_4arch9wavefront6targetE1EE19radix_bits_per_passE@rel32@hi+12
	s_waitcnt lgkmcnt(0)
	s_barrier
	ds_write2_b64 v1, v[14:15], v[16:17] offset1:1
	ds_write2_b64 v1, v[10:11], v[12:13] offset0:2 offset1:3
	ds_write2_b64 v1, v[6:7], v[8:9] offset0:4 offset1:5
	;; [unrolled: 1-line block ×3, first 2 shown]
	; wave barrier
	ds_read2st64_b64 v[12:15], v0 offset1:1
	ds_read2st64_b64 v[8:11], v0 offset0:2 offset1:3
	ds_read2st64_b64 v[4:7], v0 offset0:4 offset1:5
	;; [unrolled: 1-line block ×3, first 2 shown]
	s_waitcnt lgkmcnt(0)
	s_barrier
	s_load_dword s18, s[4:5], 0x0
	s_load_dword s19, s[54:55], 0xc
	s_waitcnt lgkmcnt(0)
	s_min_u32 s18, s18, 8
	s_lshr_b32 s4, s19, 16
	s_and_b32 s5, s19, 0xffff
	v_mad_u32_u24 v16, v61, s4, v60
	v_mad_u64_u32 v[16:17], s[4:5], v16, s5, v[34:35]
	s_lshl_b32 s4, -1, s18
	s_not_b32 s18, s4
	v_lshrrev_b32_e32 v18, 6, v16
	v_and_b32_e32 v16, s18, v21
	v_mov_b32_e32 v17, 0
	v_and_b32_e32 v16, 1, v16
	ds_write2_b32 v59, v17, v17 offset0:2 offset1:3
	ds_write2_b32 v59, v17, v17 offset0:4 offset1:5
	v_lshlrev_b32_e32 v17, 1, v16
	v_cmp_ne_u32_e32 vcc, 0, v16
	v_add_co_u32_e64 v16, s[4:5], -1, v16
	v_add_lshl_u32 v30, v18, v17, 2
	v_addc_co_u32_e64 v17, s[4:5], 0, -1, s[4:5]
	v_xor_b32_e32 v16, vcc_lo, v16
	v_xor_b32_e32 v17, vcc_hi, v17
	v_and_b32_e32 v16, exec_lo, v16
	v_and_b32_e32 v17, exec_hi, v17
	v_mbcnt_lo_u32_b32 v19, v16, 0
	v_mbcnt_hi_u32_b32 v31, v17, v19
	v_cmp_eq_u32_e32 vcc, 0, v31
	v_cmp_ne_u64_e64 s[4:5], 0, v[16:17]
	s_and_b64 s[20:21], s[4:5], vcc
	s_waitcnt lgkmcnt(0)
	s_barrier
	s_waitcnt lgkmcnt(0)
	; wave barrier
	s_and_saveexec_b64 s[4:5], s[20:21]
	s_cbranch_execz .LBB277_77
; %bb.76:
	v_bcnt_u32_b32 v16, v16, 0
	v_bcnt_u32_b32 v16, v17, v16
	ds_write_b32 v30, v16 offset:8
.LBB277_77:
	s_or_b64 exec, exec, s[4:5]
	v_and_b32_e32 v16, s18, v22
	v_and_b32_e32 v16, 0xff, v16
	v_lshlrev_b32_e32 v17, 1, v16
	v_cmp_ne_u32_e32 vcc, 0, v16
	v_add_co_u32_e64 v16, s[4:5], -1, v16
	v_add_lshl_u32 v33, v18, v17, 2
	v_addc_co_u32_e64 v17, s[4:5], 0, -1, s[4:5]
	v_xor_b32_e32 v16, vcc_lo, v16
	; wave barrier
	ds_read_b32 v32, v33 offset:8
	v_xor_b32_e32 v17, vcc_hi, v17
	v_and_b32_e32 v16, exec_lo, v16
	v_and_b32_e32 v17, exec_hi, v17
	v_mbcnt_lo_u32_b32 v19, v16, 0
	v_mbcnt_hi_u32_b32 v36, v17, v19
	v_cmp_eq_u32_e32 vcc, 0, v36
	v_cmp_ne_u64_e64 s[4:5], 0, v[16:17]
	s_and_b64 s[20:21], s[4:5], vcc
	; wave barrier
	s_and_saveexec_b64 s[4:5], s[20:21]
	s_cbranch_execz .LBB277_79
; %bb.78:
	v_bcnt_u32_b32 v16, v16, 0
	v_bcnt_u32_b32 v16, v17, v16
	s_waitcnt lgkmcnt(0)
	v_add_u32_e32 v16, v32, v16
	ds_write_b32 v33, v16 offset:8
.LBB277_79:
	s_or_b64 exec, exec, s[4:5]
	v_and_b32_e32 v16, s18, v23
	v_and_b32_e32 v16, 0xff, v16
	v_lshlrev_b32_e32 v17, 1, v16
	v_cmp_ne_u32_e32 vcc, 0, v16
	v_add_co_u32_e64 v16, s[4:5], -1, v16
	v_add_lshl_u32 v38, v18, v17, 2
	v_addc_co_u32_e64 v17, s[4:5], 0, -1, s[4:5]
	v_xor_b32_e32 v16, vcc_lo, v16
	; wave barrier
	ds_read_b32 v37, v38 offset:8
	v_xor_b32_e32 v17, vcc_hi, v17
	v_and_b32_e32 v16, exec_lo, v16
	v_and_b32_e32 v17, exec_hi, v17
	v_mbcnt_lo_u32_b32 v19, v16, 0
	v_mbcnt_hi_u32_b32 v40, v17, v19
	v_cmp_eq_u32_e32 vcc, 0, v40
	v_cmp_ne_u64_e64 s[4:5], 0, v[16:17]
	s_and_b64 s[20:21], s[4:5], vcc
	; wave barrier
	s_and_saveexec_b64 s[4:5], s[20:21]
	s_cbranch_execz .LBB277_81
; %bb.80:
	v_bcnt_u32_b32 v16, v16, 0
	v_bcnt_u32_b32 v16, v17, v16
	s_waitcnt lgkmcnt(0)
	v_add_u32_e32 v16, v37, v16
	ds_write_b32 v38, v16 offset:8
.LBB277_81:
	;; [unrolled: 29-line block ×6, first 2 shown]
	s_or_b64 exec, exec, s[4:5]
	v_and_b32_e32 v16, s18, v28
	v_and_b32_e32 v16, 0xff, v16
	v_lshlrev_b32_e32 v17, 1, v16
	v_cmp_ne_u32_e32 vcc, 0, v16
	v_add_co_u32_e64 v16, s[4:5], -1, v16
	v_add_lshl_u32 v72, v18, v17, 2
	v_addc_co_u32_e64 v17, s[4:5], 0, -1, s[4:5]
	v_xor_b32_e32 v16, vcc_lo, v16
	; wave barrier
	ds_read_b32 v71, v72 offset:8
	v_xor_b32_e32 v17, vcc_hi, v17
	v_and_b32_e32 v16, exec_lo, v16
	v_and_b32_e32 v17, exec_hi, v17
	v_mbcnt_lo_u32_b32 v18, v16, 0
	v_mbcnt_hi_u32_b32 v73, v17, v18
	v_cmp_eq_u32_e32 vcc, 0, v73
	v_cmp_ne_u64_e64 s[4:5], 0, v[16:17]
	v_or_b32_e32 v74, 8, v59
	s_and_b64 s[18:19], s[4:5], vcc
	; wave barrier
	s_and_saveexec_b64 s[4:5], s[18:19]
	s_cbranch_execz .LBB277_91
; %bb.90:
	v_bcnt_u32_b32 v16, v16, 0
	v_bcnt_u32_b32 v16, v17, v16
	s_waitcnt lgkmcnt(0)
	v_add_u32_e32 v16, v71, v16
	ds_write_b32 v72, v16 offset:8
.LBB277_91:
	s_or_b64 exec, exec, s[4:5]
	; wave barrier
	s_waitcnt lgkmcnt(0)
	s_barrier
	ds_read2_b32 v[16:17], v59 offset0:2 offset1:3
	ds_read2_b32 v[18:19], v74 offset0:2 offset1:3
	v_min_u32_e32 v29, 64, v29
	v_or_b32_e32 v29, 63, v29
	s_waitcnt lgkmcnt(1)
	v_add_u32_e32 v75, v17, v16
	s_waitcnt lgkmcnt(0)
	v_add3_u32 v19, v75, v18, v19
	v_and_b32_e32 v75, 15, v20
	v_cmp_ne_u32_e32 vcc, 0, v75
	v_mov_b32_dpp v76, v19 row_shr:1 row_mask:0xf bank_mask:0xf
	v_cndmask_b32_e32 v76, 0, v76, vcc
	v_add_u32_e32 v19, v76, v19
	v_cmp_lt_u32_e32 vcc, 1, v75
	s_nop 0
	v_mov_b32_dpp v76, v19 row_shr:2 row_mask:0xf bank_mask:0xf
	v_cndmask_b32_e32 v76, 0, v76, vcc
	v_add_u32_e32 v19, v19, v76
	v_cmp_lt_u32_e32 vcc, 3, v75
	s_nop 0
	;; [unrolled: 5-line block ×3, first 2 shown]
	v_mov_b32_dpp v76, v19 row_shr:8 row_mask:0xf bank_mask:0xf
	v_cndmask_b32_e32 v75, 0, v76, vcc
	v_add_u32_e32 v19, v19, v75
	v_bfe_i32 v76, v20, 4, 1
	v_cmp_lt_u32_e32 vcc, 31, v20
	v_mov_b32_dpp v75, v19 row_bcast:15 row_mask:0xf bank_mask:0xf
	v_and_b32_e32 v75, v76, v75
	v_add_u32_e32 v19, v19, v75
	s_nop 1
	v_mov_b32_dpp v75, v19 row_bcast:31 row_mask:0xf bank_mask:0xf
	v_cndmask_b32_e32 v75, 0, v75, vcc
	v_add_u32_e32 v19, v19, v75
	v_lshrrev_b32_e32 v75, 6, v34
	v_cmp_eq_u32_e32 vcc, v29, v34
	s_and_saveexec_b64 s[4:5], vcc
	s_cbranch_execz .LBB277_93
; %bb.92:
	v_lshlrev_b32_e32 v29, 2, v75
	ds_write_b32 v29, v19
.LBB277_93:
	s_or_b64 exec, exec, s[4:5]
	v_cmp_gt_u32_e32 vcc, 2, v34
	s_waitcnt lgkmcnt(0)
	s_barrier
	s_and_saveexec_b64 s[4:5], vcc
	s_cbranch_execz .LBB277_95
; %bb.94:
	v_lshlrev_b32_e32 v29, 2, v34
	ds_read_b32 v76, v29
	v_bfe_i32 v77, v20, 0, 1
	s_waitcnt lgkmcnt(0)
	v_mov_b32_dpp v78, v76 row_shr:1 row_mask:0xf bank_mask:0xf
	v_and_b32_e32 v77, v77, v78
	v_add_u32_e32 v76, v77, v76
	ds_write_b32 v29, v76
.LBB277_95:
	s_or_b64 exec, exec, s[4:5]
	v_cmp_lt_u32_e32 vcc, 63, v34
	v_mov_b32_e32 v29, 0
	s_waitcnt lgkmcnt(0)
	s_barrier
	s_and_saveexec_b64 s[4:5], vcc
	s_cbranch_execz .LBB277_97
; %bb.96:
	v_lshl_add_u32 v29, v75, 2, -4
	ds_read_b32 v29, v29
.LBB277_97:
	s_or_b64 exec, exec, s[4:5]
	v_add_u32_e32 v75, -1, v20
	v_and_b32_e32 v76, 64, v20
	v_cmp_lt_i32_e32 vcc, v75, v76
	v_cndmask_b32_e32 v75, v75, v20, vcc
	s_waitcnt lgkmcnt(0)
	v_add_u32_e32 v19, v29, v19
	v_lshlrev_b32_e32 v75, 2, v75
	ds_bpermute_b32 v19, v75, v19
	v_cmp_eq_u32_e32 vcc, 0, v20
	s_waitcnt lgkmcnt(0)
	v_cndmask_b32_e32 v19, v19, v29, vcc
	v_cmp_ne_u32_e32 vcc, 0, v34
	v_cndmask_b32_e32 v19, 0, v19, vcc
	v_add_u32_e32 v16, v19, v16
	v_add_u32_e32 v17, v16, v17
	;; [unrolled: 1-line block ×3, first 2 shown]
	ds_write2_b32 v59, v19, v16 offset0:2 offset1:3
	ds_write2_b32 v74, v17, v18 offset0:2 offset1:3
	s_waitcnt lgkmcnt(0)
	s_barrier
	ds_read_b32 v16, v30 offset:8
	ds_read_b32 v17, v33 offset:8
	;; [unrolled: 1-line block ×8, first 2 shown]
	s_waitcnt lgkmcnt(7)
	v_add_u32_e32 v31, v16, v31
	s_waitcnt lgkmcnt(6)
	v_add3_u32 v32, v36, v32, v17
	s_waitcnt lgkmcnt(5)
	v_add3_u32 v18, v40, v37, v18
	;; [unrolled: 2-line block ×7, first 2 shown]
	s_barrier
	ds_write_b8 v31, v21
	ds_write_b8 v32, v22
	;; [unrolled: 1-line block ×8, first 2 shown]
	v_lshlrev_b32_e32 v21, 3, v31
	s_waitcnt lgkmcnt(0)
	s_barrier
	ds_read_b64 v[16:17], v50
	s_waitcnt lgkmcnt(0)
	s_barrier
	ds_write_b64 v21, v[12:13]
	v_lshlrev_b32_e32 v12, 3, v32
	ds_write_b64 v12, v[14:15]
	v_lshlrev_b32_e32 v12, 3, v18
	;; [unrolled: 2-line block ×8, first 2 shown]
	s_waitcnt lgkmcnt(0)
	s_barrier
	ds_read2_b64 v[18:21], v0 offset1:1
	ds_read2_b64 v[22:25], v0 offset0:2 offset1:3
	ds_read2_b64 v[26:29], v0 offset0:4 offset1:5
	ds_read2_b64 v[30:33], v0 offset0:6 offset1:7
	v_lshrrev_b32_e32 v36, 8, v16
	v_mov_b32_e32 v1, 1
	v_lshrrev_b32_e32 v37, 8, v17
	v_xor_b32_e32 v0, 1, v16
	v_xor_b32_sdwa v2, v36, v1 dst_sel:BYTE_1 dst_unused:UNUSED_PAD src0_sel:DWORD src1_sel:DWORD
	v_xor_b32_sdwa v3, v16, v1 dst_sel:DWORD dst_unused:UNUSED_PAD src0_sel:WORD_1 src1_sel:DWORD
	v_xor_b32_sdwa v4, v16, v1 dst_sel:BYTE_1 dst_unused:UNUSED_PAD src0_sel:BYTE_3 src1_sel:DWORD
	v_xor_b32_e32 v5, 1, v17
	v_xor_b32_sdwa v6, v37, v1 dst_sel:BYTE_1 dst_unused:UNUSED_PAD src0_sel:DWORD src1_sel:DWORD
	v_xor_b32_sdwa v7, v17, v1 dst_sel:DWORD dst_unused:UNUSED_PAD src0_sel:WORD_1 src1_sel:DWORD
	v_xor_b32_sdwa v1, v17, v1 dst_sel:BYTE_1 dst_unused:UNUSED_PAD src0_sel:BYTE_3 src1_sel:DWORD
	v_or_b32_sdwa v0, v0, v2 dst_sel:DWORD dst_unused:UNUSED_PAD src0_sel:BYTE_0 src1_sel:DWORD
	v_or_b32_sdwa v2, v3, v4 dst_sel:WORD_1 dst_unused:UNUSED_PAD src0_sel:BYTE_0 src1_sel:DWORD
	v_or_b32_sdwa v0, v0, v2 dst_sel:DWORD dst_unused:UNUSED_PAD src0_sel:WORD_0 src1_sel:DWORD
	v_or_b32_sdwa v2, v5, v6 dst_sel:DWORD dst_unused:UNUSED_PAD src0_sel:BYTE_0 src1_sel:DWORD
	v_or_b32_sdwa v1, v7, v1 dst_sel:WORD_1 dst_unused:UNUSED_PAD src0_sel:BYTE_0 src1_sel:DWORD
	v_or_b32_sdwa v1, v2, v1 dst_sel:DWORD dst_unused:UNUSED_PAD src0_sel:WORD_0 src1_sel:DWORD
.LBB277_98:
	s_waitcnt lgkmcnt(0)
	s_barrier
	ds_write_b64 v49, v[0:1]
	s_waitcnt lgkmcnt(0)
	s_barrier
	ds_read_u8 v8, v42 offset:128
	ds_read_u8 v7, v43 offset:256
	;; [unrolled: 1-line block ×7, first 2 shown]
	v_pk_mov_b32 v[0:1], s[52:53], s[52:53] op_sel:[0,1]
	v_mad_u64_u32 v[0:1], s[4:5], v34, s30, v[0:1]
	v_mov_b32_e32 v10, v1
	v_mad_u64_u32 v[10:11], s[4:5], v34, s31, v[10:11]
	v_mov_b32_e32 v1, v10
	s_and_saveexec_b64 s[4:5], s[0:1]
	s_cbranch_execnz .LBB277_117
; %bb.99:
	s_or_b64 exec, exec, s[4:5]
	s_and_saveexec_b64 s[4:5], s[2:3]
	s_cbranch_execnz .LBB277_118
.LBB277_100:
	s_or_b64 exec, exec, s[4:5]
	s_and_saveexec_b64 s[4:5], s[16:17]
	s_cbranch_execnz .LBB277_119
.LBB277_101:
	s_or_b64 exec, exec, s[4:5]
	s_and_saveexec_b64 s[4:5], s[6:7]
	s_cbranch_execnz .LBB277_120
.LBB277_102:
	s_or_b64 exec, exec, s[4:5]
	s_and_saveexec_b64 s[4:5], s[8:9]
	s_cbranch_execnz .LBB277_121
.LBB277_103:
	s_or_b64 exec, exec, s[4:5]
	s_and_saveexec_b64 s[4:5], s[10:11]
	s_cbranch_execnz .LBB277_122
.LBB277_104:
	s_or_b64 exec, exec, s[4:5]
	s_and_saveexec_b64 s[4:5], s[12:13]
	s_cbranch_execnz .LBB277_123
.LBB277_105:
	s_or_b64 exec, exec, s[4:5]
	s_and_saveexec_b64 s[4:5], s[14:15]
	s_cbranch_execz .LBB277_107
.LBB277_106:
	s_waitcnt lgkmcnt(1)
	v_mov_b32_e32 v3, 0x380
	v_mad_u64_u32 v[0:1], s[18:19], s30, v3, v[0:1]
	s_mul_i32 s18, s31, 0x380
	v_add_u32_e32 v1, s18, v1
	s_waitcnt lgkmcnt(0)
	global_store_byte v[0:1], v2, off
.LBB277_107:
	s_or_b64 exec, exec, s[4:5]
	s_waitcnt lgkmcnt(0)
	s_barrier
	ds_write2_b64 v58, v[18:19], v[20:21] offset1:1
	ds_write2_b64 v58, v[22:23], v[24:25] offset0:2 offset1:3
	ds_write2_b64 v58, v[26:27], v[28:29] offset0:4 offset1:5
	;; [unrolled: 1-line block ×3, first 2 shown]
	s_waitcnt lgkmcnt(0)
	s_barrier
	ds_read_b64 v[14:15], v51 offset:1024
	ds_read_b64 v[12:13], v52 offset:2048
	;; [unrolled: 1-line block ×7, first 2 shown]
	v_mad_u64_u32 v[4:5], s[4:5], v34, s34, 0
	v_mov_b32_e32 v16, v5
	v_mad_u64_u32 v[16:17], s[4:5], v34, s35, v[16:17]
	v_mov_b32_e32 v5, v16
	v_lshlrev_b64 v[4:5], 3, v[4:5]
	v_mov_b32_e32 v16, s56
	v_add_co_u32_e32 v4, vcc, s33, v4
	v_addc_co_u32_e32 v5, vcc, v16, v5, vcc
	s_and_saveexec_b64 s[4:5], s[0:1]
	s_cbranch_execnz .LBB277_124
; %bb.108:
	s_or_b64 exec, exec, s[4:5]
	s_and_saveexec_b64 s[0:1], s[2:3]
	s_cbranch_execnz .LBB277_125
.LBB277_109:
	s_or_b64 exec, exec, s[0:1]
	s_and_saveexec_b64 s[0:1], s[16:17]
	s_cbranch_execnz .LBB277_126
.LBB277_110:
	s_or_b64 exec, exec, s[0:1]
	s_and_saveexec_b64 s[0:1], s[6:7]
	s_cbranch_execnz .LBB277_127
.LBB277_111:
	s_or_b64 exec, exec, s[0:1]
	s_and_saveexec_b64 s[0:1], s[8:9]
	s_cbranch_execnz .LBB277_128
.LBB277_112:
	s_or_b64 exec, exec, s[0:1]
	s_and_saveexec_b64 s[0:1], s[10:11]
	s_cbranch_execnz .LBB277_129
.LBB277_113:
	s_or_b64 exec, exec, s[0:1]
	s_and_saveexec_b64 s[0:1], s[12:13]
	s_cbranch_execnz .LBB277_130
.LBB277_114:
	s_or_b64 exec, exec, s[0:1]
	s_and_saveexec_b64 s[0:1], s[14:15]
	s_cbranch_execz .LBB277_116
.LBB277_115:
	s_waitcnt lgkmcnt(1)
	v_mov_b32_e32 v2, 0x1c00
	v_mad_u64_u32 v[2:3], s[0:1], s34, v2, v[4:5]
	s_mul_i32 s0, s35, 0x1c00
	v_add_u32_e32 v3, s0, v3
	s_waitcnt lgkmcnt(0)
	global_store_dwordx2 v[2:3], v[0:1], off
.LBB277_116:
	s_endpgm
.LBB277_117:
	ds_read_u8 v9, v35
	s_waitcnt lgkmcnt(0)
	global_store_byte v[0:1], v9, off
	s_or_b64 exec, exec, s[4:5]
	s_and_saveexec_b64 s[4:5], s[2:3]
	s_cbranch_execz .LBB277_100
.LBB277_118:
	s_lshl_b64 s[18:19], s[30:31], 7
	v_mov_b32_e32 v9, s19
	v_add_co_u32_e32 v10, vcc, s18, v0
	v_addc_co_u32_e32 v11, vcc, v1, v9, vcc
	s_waitcnt lgkmcnt(6)
	global_store_byte v[10:11], v8, off
	s_or_b64 exec, exec, s[4:5]
	s_and_saveexec_b64 s[4:5], s[16:17]
	s_cbranch_execz .LBB277_101
.LBB277_119:
	s_lshl_b64 s[18:19], s[30:31], 8
	v_mov_b32_e32 v9, s19
	s_waitcnt lgkmcnt(6)
	v_add_co_u32_e32 v8, vcc, s18, v0
	v_addc_co_u32_e32 v9, vcc, v1, v9, vcc
	s_waitcnt lgkmcnt(5)
	global_store_byte v[8:9], v7, off
	s_or_b64 exec, exec, s[4:5]
	s_and_saveexec_b64 s[4:5], s[6:7]
	s_cbranch_execz .LBB277_102
.LBB277_120:
	s_waitcnt lgkmcnt(5)
	v_mov_b32_e32 v7, 0x180
	v_mad_u64_u32 v[8:9], s[18:19], s30, v7, v[0:1]
	s_mul_i32 s18, s31, 0x180
	v_add_u32_e32 v9, s18, v9
	s_waitcnt lgkmcnt(4)
	global_store_byte v[8:9], v6, off
	s_or_b64 exec, exec, s[4:5]
	s_and_saveexec_b64 s[4:5], s[8:9]
	s_cbranch_execz .LBB277_103
.LBB277_121:
	s_lshl_b64 s[18:19], s[30:31], 9
	s_waitcnt lgkmcnt(5)
	v_mov_b32_e32 v7, s19
	s_waitcnt lgkmcnt(4)
	v_add_co_u32_e32 v6, vcc, s18, v0
	v_addc_co_u32_e32 v7, vcc, v1, v7, vcc
	s_waitcnt lgkmcnt(3)
	global_store_byte v[6:7], v5, off
	s_or_b64 exec, exec, s[4:5]
	s_and_saveexec_b64 s[4:5], s[10:11]
	s_cbranch_execz .LBB277_104
.LBB277_122:
	s_waitcnt lgkmcnt(3)
	v_mov_b32_e32 v5, 0x280
	v_mad_u64_u32 v[6:7], s[18:19], s30, v5, v[0:1]
	s_mul_i32 s18, s31, 0x280
	v_add_u32_e32 v7, s18, v7
	s_waitcnt lgkmcnt(2)
	global_store_byte v[6:7], v4, off
	s_or_b64 exec, exec, s[4:5]
	s_and_saveexec_b64 s[4:5], s[12:13]
	s_cbranch_execz .LBB277_105
.LBB277_123:
	s_waitcnt lgkmcnt(2)
	v_mov_b32_e32 v4, 0x300
	v_mad_u64_u32 v[4:5], s[18:19], s30, v4, v[0:1]
	s_mul_i32 s18, s31, 0x300
	v_add_u32_e32 v5, s18, v5
	s_waitcnt lgkmcnt(1)
	global_store_byte v[4:5], v3, off
	s_or_b64 exec, exec, s[4:5]
	s_and_saveexec_b64 s[4:5], s[14:15]
	s_cbranch_execnz .LBB277_106
	s_branch .LBB277_107
.LBB277_124:
	ds_read_b64 v[16:17], v39
	s_waitcnt lgkmcnt(0)
	global_store_dwordx2 v[4:5], v[16:17], off
	s_or_b64 exec, exec, s[4:5]
	s_and_saveexec_b64 s[0:1], s[2:3]
	s_cbranch_execz .LBB277_109
.LBB277_125:
	s_lshl_b64 s[2:3], s[34:35], 10
	v_mov_b32_e32 v17, s3
	v_add_co_u32_e32 v16, vcc, s2, v4
	v_addc_co_u32_e32 v17, vcc, v5, v17, vcc
	s_waitcnt lgkmcnt(6)
	global_store_dwordx2 v[16:17], v[14:15], off
	s_or_b64 exec, exec, s[0:1]
	s_and_saveexec_b64 s[0:1], s[16:17]
	s_cbranch_execz .LBB277_110
.LBB277_126:
	s_lshl_b64 s[2:3], s[34:35], 11
	s_waitcnt lgkmcnt(6)
	v_mov_b32_e32 v15, s3
	v_add_co_u32_e32 v14, vcc, s2, v4
	v_addc_co_u32_e32 v15, vcc, v5, v15, vcc
	s_waitcnt lgkmcnt(5)
	global_store_dwordx2 v[14:15], v[12:13], off
	s_or_b64 exec, exec, s[0:1]
	s_and_saveexec_b64 s[0:1], s[6:7]
	s_cbranch_execz .LBB277_111
.LBB277_127:
	s_waitcnt lgkmcnt(5)
	v_mov_b32_e32 v12, 0xc00
	v_mad_u64_u32 v[12:13], s[2:3], s34, v12, v[4:5]
	s_mul_i32 s2, s35, 0xc00
	v_add_u32_e32 v13, s2, v13
	s_waitcnt lgkmcnt(4)
	global_store_dwordx2 v[12:13], v[10:11], off
	s_or_b64 exec, exec, s[0:1]
	s_and_saveexec_b64 s[0:1], s[8:9]
	s_cbranch_execz .LBB277_112
.LBB277_128:
	s_lshl_b64 s[2:3], s[34:35], 12
	s_waitcnt lgkmcnt(4)
	v_mov_b32_e32 v11, s3
	v_add_co_u32_e32 v10, vcc, s2, v4
	v_addc_co_u32_e32 v11, vcc, v5, v11, vcc
	s_waitcnt lgkmcnt(3)
	global_store_dwordx2 v[10:11], v[8:9], off
	s_or_b64 exec, exec, s[0:1]
	s_and_saveexec_b64 s[0:1], s[10:11]
	s_cbranch_execz .LBB277_113
.LBB277_129:
	s_waitcnt lgkmcnt(3)
	v_mov_b32_e32 v8, 0x1400
	v_mad_u64_u32 v[8:9], s[2:3], s34, v8, v[4:5]
	s_mul_i32 s2, s35, 0x1400
	v_add_u32_e32 v9, s2, v9
	s_waitcnt lgkmcnt(2)
	global_store_dwordx2 v[8:9], v[6:7], off
	s_or_b64 exec, exec, s[0:1]
	s_and_saveexec_b64 s[0:1], s[12:13]
	s_cbranch_execz .LBB277_114
.LBB277_130:
	s_waitcnt lgkmcnt(2)
	v_mov_b32_e32 v6, 0x1800
	v_mad_u64_u32 v[6:7], s[2:3], s34, v6, v[4:5]
	s_mul_i32 s2, s35, 0x1800
	v_add_u32_e32 v7, s2, v7
	s_waitcnt lgkmcnt(1)
	global_store_dwordx2 v[6:7], v[2:3], off
	s_or_b64 exec, exec, s[0:1]
	s_and_saveexec_b64 s[0:1], s[14:15]
	s_cbranch_execnz .LBB277_115
	s_branch .LBB277_116
	.section	.rodata,"a",@progbits
	.p2align	6, 0x0
	.amdhsa_kernel _ZN2at6native18radixSortKVInPlaceILin1ELin1ELi128ELi8EblmEEvNS_4cuda6detail10TensorInfoIT3_T5_EES6_S6_S6_NS4_IT4_S6_EES6_b
		.amdhsa_group_segment_fixed_size 8448
		.amdhsa_private_segment_fixed_size 0
		.amdhsa_kernarg_size 1128
		.amdhsa_user_sgpr_count 6
		.amdhsa_user_sgpr_private_segment_buffer 1
		.amdhsa_user_sgpr_dispatch_ptr 0
		.amdhsa_user_sgpr_queue_ptr 0
		.amdhsa_user_sgpr_kernarg_segment_ptr 1
		.amdhsa_user_sgpr_dispatch_id 0
		.amdhsa_user_sgpr_flat_scratch_init 0
		.amdhsa_user_sgpr_kernarg_preload_length 0
		.amdhsa_user_sgpr_kernarg_preload_offset 0
		.amdhsa_user_sgpr_private_segment_size 0
		.amdhsa_uses_dynamic_stack 0
		.amdhsa_system_sgpr_private_segment_wavefront_offset 0
		.amdhsa_system_sgpr_workgroup_id_x 1
		.amdhsa_system_sgpr_workgroup_id_y 1
		.amdhsa_system_sgpr_workgroup_id_z 1
		.amdhsa_system_sgpr_workgroup_info 0
		.amdhsa_system_vgpr_workitem_id 2
		.amdhsa_next_free_vgpr 103
		.amdhsa_next_free_sgpr 57
		.amdhsa_accum_offset 104
		.amdhsa_reserve_vcc 1
		.amdhsa_reserve_flat_scratch 0
		.amdhsa_float_round_mode_32 0
		.amdhsa_float_round_mode_16_64 0
		.amdhsa_float_denorm_mode_32 3
		.amdhsa_float_denorm_mode_16_64 3
		.amdhsa_dx10_clamp 1
		.amdhsa_ieee_mode 1
		.amdhsa_fp16_overflow 0
		.amdhsa_tg_split 0
		.amdhsa_exception_fp_ieee_invalid_op 0
		.amdhsa_exception_fp_denorm_src 0
		.amdhsa_exception_fp_ieee_div_zero 0
		.amdhsa_exception_fp_ieee_overflow 0
		.amdhsa_exception_fp_ieee_underflow 0
		.amdhsa_exception_fp_ieee_inexact 0
		.amdhsa_exception_int_div_zero 0
	.end_amdhsa_kernel
	.section	.text._ZN2at6native18radixSortKVInPlaceILin1ELin1ELi128ELi8EblmEEvNS_4cuda6detail10TensorInfoIT3_T5_EES6_S6_S6_NS4_IT4_S6_EES6_b,"axG",@progbits,_ZN2at6native18radixSortKVInPlaceILin1ELin1ELi128ELi8EblmEEvNS_4cuda6detail10TensorInfoIT3_T5_EES6_S6_S6_NS4_IT4_S6_EES6_b,comdat
.Lfunc_end277:
	.size	_ZN2at6native18radixSortKVInPlaceILin1ELin1ELi128ELi8EblmEEvNS_4cuda6detail10TensorInfoIT3_T5_EES6_S6_S6_NS4_IT4_S6_EES6_b, .Lfunc_end277-_ZN2at6native18radixSortKVInPlaceILin1ELin1ELi128ELi8EblmEEvNS_4cuda6detail10TensorInfoIT3_T5_EES6_S6_S6_NS4_IT4_S6_EES6_b
                                        ; -- End function
	.section	.AMDGPU.csdata,"",@progbits
; Kernel info:
; codeLenInByte = 10072
; NumSgprs: 61
; NumVgprs: 103
; NumAgprs: 0
; TotalNumVgprs: 103
; ScratchSize: 0
; MemoryBound: 0
; FloatMode: 240
; IeeeMode: 1
; LDSByteSize: 8448 bytes/workgroup (compile time only)
; SGPRBlocks: 7
; VGPRBlocks: 12
; NumSGPRsForWavesPerEU: 61
; NumVGPRsForWavesPerEU: 103
; AccumOffset: 104
; Occupancy: 4
; WaveLimiterHint : 1
; COMPUTE_PGM_RSRC2:SCRATCH_EN: 0
; COMPUTE_PGM_RSRC2:USER_SGPR: 6
; COMPUTE_PGM_RSRC2:TRAP_HANDLER: 0
; COMPUTE_PGM_RSRC2:TGID_X_EN: 1
; COMPUTE_PGM_RSRC2:TGID_Y_EN: 1
; COMPUTE_PGM_RSRC2:TGID_Z_EN: 1
; COMPUTE_PGM_RSRC2:TIDIG_COMP_CNT: 2
; COMPUTE_PGM_RSRC3_GFX90A:ACCUM_OFFSET: 25
; COMPUTE_PGM_RSRC3_GFX90A:TG_SPLIT: 0
	.section	.text._ZN2at6native18radixSortKVInPlaceILin1ELin1ELi32ELi4EblmEEvNS_4cuda6detail10TensorInfoIT3_T5_EES6_S6_S6_NS4_IT4_S6_EES6_b,"axG",@progbits,_ZN2at6native18radixSortKVInPlaceILin1ELin1ELi32ELi4EblmEEvNS_4cuda6detail10TensorInfoIT3_T5_EES6_S6_S6_NS4_IT4_S6_EES6_b,comdat
	.protected	_ZN2at6native18radixSortKVInPlaceILin1ELin1ELi32ELi4EblmEEvNS_4cuda6detail10TensorInfoIT3_T5_EES6_S6_S6_NS4_IT4_S6_EES6_b ; -- Begin function _ZN2at6native18radixSortKVInPlaceILin1ELin1ELi32ELi4EblmEEvNS_4cuda6detail10TensorInfoIT3_T5_EES6_S6_S6_NS4_IT4_S6_EES6_b
	.globl	_ZN2at6native18radixSortKVInPlaceILin1ELin1ELi32ELi4EblmEEvNS_4cuda6detail10TensorInfoIT3_T5_EES6_S6_S6_NS4_IT4_S6_EES6_b
	.p2align	8
	.type	_ZN2at6native18radixSortKVInPlaceILin1ELin1ELi32ELi4EblmEEvNS_4cuda6detail10TensorInfoIT3_T5_EES6_S6_S6_NS4_IT4_S6_EES6_b,@function
_ZN2at6native18radixSortKVInPlaceILin1ELin1ELi32ELi4EblmEEvNS_4cuda6detail10TensorInfoIT3_T5_EES6_S6_S6_NS4_IT4_S6_EES6_b: ; @_ZN2at6native18radixSortKVInPlaceILin1ELin1ELi32ELi4EblmEEvNS_4cuda6detail10TensorInfoIT3_T5_EES6_S6_S6_NS4_IT4_S6_EES6_b
; %bb.0:
	s_load_dwordx4 s[12:15], s[4:5], 0x1a0
	s_load_dwordx2 s[0:1], s[4:5], 0x368
	s_waitcnt lgkmcnt(0)
	v_mov_b32_e32 v2, s12
	s_mul_i32 s1, s1, s8
	s_add_i32 s1, s1, s7
	s_mul_i32 s0, s1, s0
	v_mov_b32_e32 v3, s13
	s_add_i32 s6, s0, s6
	s_mov_b32 s7, 0
	v_cmp_ge_u64_e32 vcc, s[6:7], v[2:3]
	s_cbranch_vccnz .LBB278_84
; %bb.1:
	s_load_dword s0, s[4:5], 0x198
	s_load_dwordx2 s[28:29], s[4:5], 0x1b0
	s_mov_b64 s[2:3], 0
	s_mov_b64 s[8:9], s[6:7]
	s_waitcnt lgkmcnt(0)
	s_cmp_lt_i32 s0, 2
	s_cbranch_scc1 .LBB278_9
; %bb.2:
	s_mov_b32 s10, 0
	s_add_i32 s15, s0, 1
	s_add_i32 s0, s0, -1
	s_mov_b32 s1, s10
	s_lshl_b64 s[0:1], s[0:1], 3
	s_add_u32 s0, s0, s4
	s_addc_u32 s1, s1, s5
	s_add_u32 s12, s0, 8
	s_addc_u32 s13, s1, 0
	s_mov_b64 s[16:17], s[6:7]
.LBB278_3:                              ; =>This Inner Loop Header: Depth=1
	s_load_dwordx2 s[18:19], s[12:13], 0x0
	s_waitcnt lgkmcnt(0)
	s_or_b64 s[0:1], s[16:17], s[18:19]
	s_mov_b32 s11, s1
	s_cmp_lg_u64 s[10:11], 0
	s_cbranch_scc0 .LBB278_8
; %bb.4:                                ;   in Loop: Header=BB278_3 Depth=1
	v_cvt_f32_u32_e32 v1, s18
	v_cvt_f32_u32_e32 v2, s19
	s_sub_u32 s0, 0, s18
	s_subb_u32 s1, 0, s19
	v_mac_f32_e32 v1, 0x4f800000, v2
	v_rcp_f32_e32 v1, v1
	v_mul_f32_e32 v1, 0x5f7ffffc, v1
	v_mul_f32_e32 v2, 0x2f800000, v1
	v_trunc_f32_e32 v2, v2
	v_mac_f32_e32 v1, 0xcf800000, v2
	v_cvt_u32_f32_e32 v2, v2
	v_cvt_u32_f32_e32 v1, v1
	v_readfirstlane_b32 s8, v2
	v_readfirstlane_b32 s9, v1
	s_mul_i32 s11, s0, s8
	s_mul_hi_u32 s21, s0, s9
	s_mul_i32 s20, s1, s9
	s_add_i32 s11, s21, s11
	s_mul_i32 s22, s0, s9
	s_add_i32 s11, s11, s20
	s_mul_hi_u32 s20, s9, s11
	s_mul_i32 s21, s9, s11
	s_mul_hi_u32 s9, s9, s22
	s_add_u32 s9, s9, s21
	s_addc_u32 s20, 0, s20
	s_mul_hi_u32 s23, s8, s22
	s_mul_i32 s22, s8, s22
	s_add_u32 s9, s9, s22
	s_mul_hi_u32 s21, s8, s11
	s_addc_u32 s9, s20, s23
	s_addc_u32 s20, s21, 0
	s_mul_i32 s11, s8, s11
	s_add_u32 s9, s9, s11
	s_addc_u32 s11, 0, s20
	v_add_co_u32_e32 v1, vcc, s9, v1
	s_cmp_lg_u64 vcc, 0
	s_addc_u32 s8, s8, s11
	v_readfirstlane_b32 s11, v1
	s_mul_i32 s9, s0, s8
	s_mul_hi_u32 s20, s0, s11
	s_add_i32 s9, s20, s9
	s_mul_i32 s1, s1, s11
	s_add_i32 s9, s9, s1
	s_mul_i32 s0, s0, s11
	s_mul_hi_u32 s20, s8, s0
	s_mul_i32 s21, s8, s0
	s_mul_i32 s23, s11, s9
	s_mul_hi_u32 s0, s11, s0
	s_mul_hi_u32 s22, s11, s9
	s_add_u32 s0, s0, s23
	s_addc_u32 s11, 0, s22
	s_add_u32 s0, s0, s21
	s_mul_hi_u32 s1, s8, s9
	s_addc_u32 s0, s11, s20
	s_addc_u32 s1, s1, 0
	s_mul_i32 s9, s8, s9
	s_add_u32 s0, s0, s9
	s_addc_u32 s1, 0, s1
	v_add_co_u32_e32 v1, vcc, s0, v1
	s_cmp_lg_u64 vcc, 0
	s_addc_u32 s0, s8, s1
	v_readfirstlane_b32 s9, v1
	s_mul_i32 s8, s16, s0
	s_mul_hi_u32 s11, s16, s9
	s_mul_hi_u32 s1, s16, s0
	s_add_u32 s8, s11, s8
	s_addc_u32 s1, 0, s1
	s_mul_hi_u32 s20, s17, s9
	s_mul_i32 s9, s17, s9
	s_add_u32 s8, s8, s9
	s_mul_hi_u32 s11, s17, s0
	s_addc_u32 s1, s1, s20
	s_addc_u32 s8, s11, 0
	s_mul_i32 s0, s17, s0
	s_add_u32 s11, s1, s0
	s_addc_u32 s8, 0, s8
	s_mul_i32 s0, s18, s8
	s_mul_hi_u32 s1, s18, s11
	s_add_i32 s0, s1, s0
	s_mul_i32 s1, s19, s11
	s_add_i32 s9, s0, s1
	s_mul_i32 s1, s18, s11
	v_mov_b32_e32 v1, s1
	s_sub_i32 s0, s17, s9
	v_sub_co_u32_e32 v1, vcc, s16, v1
	s_cmp_lg_u64 vcc, 0
	s_subb_u32 s20, s0, s19
	v_subrev_co_u32_e64 v2, s[0:1], s18, v1
	s_cmp_lg_u64 s[0:1], 0
	s_subb_u32 s0, s20, 0
	s_cmp_ge_u32 s0, s19
	v_readfirstlane_b32 s20, v2
	s_cselect_b32 s1, -1, 0
	s_cmp_ge_u32 s20, s18
	s_cselect_b32 s20, -1, 0
	s_cmp_eq_u32 s0, s19
	s_cselect_b32 s0, s20, s1
	s_add_u32 s1, s11, 1
	s_addc_u32 s20, s8, 0
	s_add_u32 s21, s11, 2
	s_addc_u32 s22, s8, 0
	s_cmp_lg_u32 s0, 0
	s_cselect_b32 s0, s21, s1
	s_cselect_b32 s1, s22, s20
	s_cmp_lg_u64 vcc, 0
	s_subb_u32 s9, s17, s9
	s_cmp_ge_u32 s9, s19
	v_readfirstlane_b32 s21, v1
	s_cselect_b32 s20, -1, 0
	s_cmp_ge_u32 s21, s18
	s_cselect_b32 s21, -1, 0
	s_cmp_eq_u32 s9, s19
	s_cselect_b32 s9, s21, s20
	s_cmp_lg_u32 s9, 0
	s_cselect_b32 s9, s1, s8
	s_cselect_b32 s8, s0, s11
	s_cbranch_execnz .LBB278_6
.LBB278_5:                              ;   in Loop: Header=BB278_3 Depth=1
	v_cvt_f32_u32_e32 v1, s18
	s_sub_i32 s0, 0, s18
	v_rcp_iflag_f32_e32 v1, v1
	v_mul_f32_e32 v1, 0x4f7ffffe, v1
	v_cvt_u32_f32_e32 v1, v1
	v_readfirstlane_b32 s1, v1
	s_mul_i32 s0, s0, s1
	s_mul_hi_u32 s0, s1, s0
	s_add_i32 s1, s1, s0
	s_mul_hi_u32 s0, s16, s1
	s_mul_i32 s8, s0, s18
	s_sub_i32 s8, s16, s8
	s_add_i32 s1, s0, 1
	s_sub_i32 s9, s8, s18
	s_cmp_ge_u32 s8, s18
	s_cselect_b32 s0, s1, s0
	s_cselect_b32 s8, s9, s8
	s_add_i32 s1, s0, 1
	s_cmp_ge_u32 s8, s18
	s_cselect_b32 s8, s1, s0
	s_mov_b32 s9, s10
.LBB278_6:                              ;   in Loop: Header=BB278_3 Depth=1
	s_mul_i32 s0, s8, s19
	s_mul_hi_u32 s1, s8, s18
	s_add_i32 s11, s1, s0
	s_load_dwordx2 s[0:1], s[12:13], 0xc8
	s_mul_i32 s19, s9, s18
	s_add_i32 s11, s11, s19
	s_mul_i32 s18, s8, s18
	s_sub_u32 s16, s16, s18
	s_subb_u32 s11, s17, s11
	s_waitcnt lgkmcnt(0)
	s_mul_i32 s11, s0, s11
	s_mul_hi_u32 s17, s0, s16
	s_add_i32 s11, s17, s11
	s_mul_i32 s1, s1, s16
	s_add_i32 s11, s11, s1
	s_mul_i32 s0, s0, s16
	s_add_u32 s2, s0, s2
	s_addc_u32 s3, s11, s3
	s_add_i32 s15, s15, -1
	s_add_u32 s12, s12, -8
	s_addc_u32 s13, s13, -1
	s_cmp_gt_u32 s15, 2
	s_cbranch_scc0 .LBB278_9
; %bb.7:                                ;   in Loop: Header=BB278_3 Depth=1
	s_mov_b64 s[16:17], s[8:9]
	s_branch .LBB278_3
.LBB278_8:                              ;   in Loop: Header=BB278_3 Depth=1
                                        ; implicit-def: $sgpr8_sgpr9
	s_branch .LBB278_5
.LBB278_9:
	s_load_dword s0, s[4:5], 0x350
	s_load_dwordx2 s[12:13], s[4:5], 0xd0
	s_mov_b64 s[10:11], 0
	s_waitcnt lgkmcnt(0)
	s_cmp_lt_i32 s0, 2
	s_cbranch_scc1 .LBB278_17
; %bb.10:
	s_mov_b32 s16, 0
	s_add_i32 s15, s0, 1
	s_add_i32 s0, s0, -1
	s_mov_b32 s1, s16
	s_lshl_b64 s[0:1], s[0:1], 3
	s_add_u32 s0, s0, s4
	s_addc_u32 s1, s1, s5
	s_add_u32 s18, s0, 0x1c0
	s_addc_u32 s19, s1, 0
.LBB278_11:                             ; =>This Inner Loop Header: Depth=1
	s_load_dwordx2 s[22:23], s[18:19], 0x0
	s_waitcnt lgkmcnt(0)
	s_or_b64 s[0:1], s[6:7], s[22:23]
	s_mov_b32 s17, s1
	s_cmp_lg_u64 s[16:17], 0
	s_cbranch_scc0 .LBB278_16
; %bb.12:                               ;   in Loop: Header=BB278_11 Depth=1
	v_cvt_f32_u32_e32 v1, s22
	v_cvt_f32_u32_e32 v2, s23
	s_sub_u32 s0, 0, s22
	s_subb_u32 s1, 0, s23
	v_mac_f32_e32 v1, 0x4f800000, v2
	v_rcp_f32_e32 v1, v1
	v_mul_f32_e32 v1, 0x5f7ffffc, v1
	v_mul_f32_e32 v2, 0x2f800000, v1
	v_trunc_f32_e32 v2, v2
	v_mac_f32_e32 v1, 0xcf800000, v2
	v_cvt_u32_f32_e32 v2, v2
	v_cvt_u32_f32_e32 v1, v1
	v_readfirstlane_b32 s17, v2
	v_readfirstlane_b32 s20, v1
	s_mul_i32 s21, s0, s17
	s_mul_hi_u32 s25, s0, s20
	s_mul_i32 s24, s1, s20
	s_add_i32 s21, s25, s21
	s_mul_i32 s26, s0, s20
	s_add_i32 s21, s21, s24
	s_mul_hi_u32 s24, s20, s21
	s_mul_i32 s25, s20, s21
	s_mul_hi_u32 s20, s20, s26
	s_add_u32 s20, s20, s25
	s_addc_u32 s24, 0, s24
	s_mul_hi_u32 s27, s17, s26
	s_mul_i32 s26, s17, s26
	s_add_u32 s20, s20, s26
	s_mul_hi_u32 s25, s17, s21
	s_addc_u32 s20, s24, s27
	s_addc_u32 s24, s25, 0
	s_mul_i32 s21, s17, s21
	s_add_u32 s20, s20, s21
	s_addc_u32 s21, 0, s24
	v_add_co_u32_e32 v1, vcc, s20, v1
	s_cmp_lg_u64 vcc, 0
	s_addc_u32 s17, s17, s21
	v_readfirstlane_b32 s21, v1
	s_mul_i32 s20, s0, s17
	s_mul_hi_u32 s24, s0, s21
	s_add_i32 s20, s24, s20
	s_mul_i32 s1, s1, s21
	s_add_i32 s20, s20, s1
	s_mul_i32 s0, s0, s21
	s_mul_hi_u32 s24, s17, s0
	s_mul_i32 s25, s17, s0
	s_mul_i32 s27, s21, s20
	s_mul_hi_u32 s0, s21, s0
	s_mul_hi_u32 s26, s21, s20
	s_add_u32 s0, s0, s27
	s_addc_u32 s21, 0, s26
	s_add_u32 s0, s0, s25
	s_mul_hi_u32 s1, s17, s20
	s_addc_u32 s0, s21, s24
	s_addc_u32 s1, s1, 0
	s_mul_i32 s20, s17, s20
	s_add_u32 s0, s0, s20
	s_addc_u32 s1, 0, s1
	v_add_co_u32_e32 v1, vcc, s0, v1
	s_cmp_lg_u64 vcc, 0
	s_addc_u32 s0, s17, s1
	v_readfirstlane_b32 s20, v1
	s_mul_i32 s17, s6, s0
	s_mul_hi_u32 s21, s6, s20
	s_mul_hi_u32 s1, s6, s0
	s_add_u32 s17, s21, s17
	s_addc_u32 s1, 0, s1
	s_mul_hi_u32 s24, s7, s20
	s_mul_i32 s20, s7, s20
	s_add_u32 s17, s17, s20
	s_mul_hi_u32 s21, s7, s0
	s_addc_u32 s1, s1, s24
	s_addc_u32 s17, s21, 0
	s_mul_i32 s0, s7, s0
	s_add_u32 s20, s1, s0
	s_addc_u32 s17, 0, s17
	s_mul_i32 s0, s22, s17
	s_mul_hi_u32 s1, s22, s20
	s_add_i32 s0, s1, s0
	s_mul_i32 s1, s23, s20
	s_add_i32 s21, s0, s1
	s_mul_i32 s1, s22, s20
	v_mov_b32_e32 v1, s1
	s_sub_i32 s0, s7, s21
	v_sub_co_u32_e32 v1, vcc, s6, v1
	s_cmp_lg_u64 vcc, 0
	s_subb_u32 s24, s0, s23
	v_subrev_co_u32_e64 v2, s[0:1], s22, v1
	s_cmp_lg_u64 s[0:1], 0
	s_subb_u32 s0, s24, 0
	s_cmp_ge_u32 s0, s23
	v_readfirstlane_b32 s24, v2
	s_cselect_b32 s1, -1, 0
	s_cmp_ge_u32 s24, s22
	s_cselect_b32 s24, -1, 0
	s_cmp_eq_u32 s0, s23
	s_cselect_b32 s0, s24, s1
	s_add_u32 s1, s20, 1
	s_addc_u32 s24, s17, 0
	s_add_u32 s25, s20, 2
	s_addc_u32 s26, s17, 0
	s_cmp_lg_u32 s0, 0
	s_cselect_b32 s0, s25, s1
	s_cselect_b32 s1, s26, s24
	s_cmp_lg_u64 vcc, 0
	s_subb_u32 s21, s7, s21
	s_cmp_ge_u32 s21, s23
	v_readfirstlane_b32 s25, v1
	s_cselect_b32 s24, -1, 0
	s_cmp_ge_u32 s25, s22
	s_cselect_b32 s25, -1, 0
	s_cmp_eq_u32 s21, s23
	s_cselect_b32 s21, s25, s24
	s_cmp_lg_u32 s21, 0
	s_cselect_b32 s21, s1, s17
	s_cselect_b32 s20, s0, s20
	s_cbranch_execnz .LBB278_14
.LBB278_13:                             ;   in Loop: Header=BB278_11 Depth=1
	v_cvt_f32_u32_e32 v1, s22
	s_sub_i32 s0, 0, s22
	s_mov_b32 s21, s16
	v_rcp_iflag_f32_e32 v1, v1
	v_mul_f32_e32 v1, 0x4f7ffffe, v1
	v_cvt_u32_f32_e32 v1, v1
	v_readfirstlane_b32 s1, v1
	s_mul_i32 s0, s0, s1
	s_mul_hi_u32 s0, s1, s0
	s_add_i32 s1, s1, s0
	s_mul_hi_u32 s0, s6, s1
	s_mul_i32 s17, s0, s22
	s_sub_i32 s17, s6, s17
	s_add_i32 s1, s0, 1
	s_sub_i32 s20, s17, s22
	s_cmp_ge_u32 s17, s22
	s_cselect_b32 s0, s1, s0
	s_cselect_b32 s17, s20, s17
	s_add_i32 s1, s0, 1
	s_cmp_ge_u32 s17, s22
	s_cselect_b32 s20, s1, s0
.LBB278_14:                             ;   in Loop: Header=BB278_11 Depth=1
	s_mul_i32 s0, s20, s23
	s_mul_hi_u32 s1, s20, s22
	s_add_i32 s17, s1, s0
	s_load_dwordx2 s[0:1], s[18:19], 0xc8
	s_mul_i32 s23, s21, s22
	s_add_i32 s17, s17, s23
	s_mul_i32 s22, s20, s22
	s_sub_u32 s6, s6, s22
	s_subb_u32 s7, s7, s17
	s_waitcnt lgkmcnt(0)
	s_mul_i32 s7, s0, s7
	s_mul_hi_u32 s17, s0, s6
	s_add_i32 s7, s17, s7
	s_mul_i32 s1, s1, s6
	s_add_i32 s7, s7, s1
	s_mul_i32 s0, s0, s6
	s_add_u32 s10, s0, s10
	s_addc_u32 s11, s7, s11
	s_add_i32 s15, s15, -1
	s_add_u32 s18, s18, -8
	s_addc_u32 s19, s19, -1
	s_cmp_gt_u32 s15, 2
	s_cbranch_scc0 .LBB278_18
; %bb.15:                               ;   in Loop: Header=BB278_11 Depth=1
	s_mov_b64 s[6:7], s[20:21]
	s_branch .LBB278_11
.LBB278_16:                             ;   in Loop: Header=BB278_11 Depth=1
                                        ; implicit-def: $sgpr20_sgpr21
	s_branch .LBB278_13
.LBB278_17:
	s_mov_b64 s[20:21], s[6:7]
.LBB278_18:
	s_mul_i32 s0, s12, s9
	s_mul_hi_u32 s1, s12, s8
	s_load_dword s7, s[4:5], 0x360
	s_add_i32 s6, s1, s0
	s_load_dwordx2 s[0:1], s[4:5], 0x0
	s_mul_i32 s9, s13, s8
	s_add_i32 s9, s6, s9
	s_mul_i32 s8, s12, s8
	s_waitcnt lgkmcnt(0)
	s_bitcmp1_b32 s7, 0
	s_cselect_b64 s[6:7], -1, 0
	s_add_u32 s0, s0, s8
	s_addc_u32 s1, s1, s9
	s_add_u32 s34, s0, s2
	s_addc_u32 s35, s1, s3
	s_xor_b64 s[12:13], s[6:7], -1
	v_cndmask_b32_e64 v3, 0, 1, s[12:13]
	v_lshlrev_b16_e32 v1, 8, v3
	v_or_b32_e32 v1, v3, v1
	v_lshlrev_b32_e32 v2, 16, v1
	v_or_b32_sdwa v2, v1, v2 dst_sel:DWORD dst_unused:UNUSED_PAD src0_sel:WORD_0 src1_sel:DWORD
	v_cmp_gt_u32_e64 s[0:1], s14, v0
	s_and_saveexec_b64 s[2:3], s[0:1]
	s_cbranch_execz .LBB278_20
; %bb.19:
	v_pk_mov_b32 v[4:5], s[34:35], s[34:35] op_sel:[0,1]
	v_mad_u64_u32 v[4:5], s[6:7], v0, s28, v[4:5]
	v_mov_b32_e32 v6, v5
	v_mad_u64_u32 v[6:7], s[6:7], v0, s29, v[6:7]
	v_mov_b32_e32 v5, v6
	global_load_ubyte v3, v[4:5], off
	s_mov_b32 s6, 0x3020104
	s_waitcnt vmcnt(0)
	v_perm_b32 v2, v3, v2, s6
.LBB278_20:
	s_or_b64 exec, exec, s[2:3]
	v_or_b32_e32 v1, 32, v0
	v_cmp_gt_u32_e64 s[2:3], s14, v1
	s_and_saveexec_b64 s[6:7], s[2:3]
	s_cbranch_execz .LBB278_22
; %bb.21:
	v_pk_mov_b32 v[4:5], s[34:35], s[34:35] op_sel:[0,1]
	v_mad_u64_u32 v[4:5], s[8:9], v1, s28, v[4:5]
	v_mov_b32_e32 v6, v5
	v_mad_u64_u32 v[6:7], s[8:9], v1, s29, v[6:7]
	v_mov_b32_e32 v5, v6
	global_load_ubyte v4, v[4:5], off
	s_mov_b32 s8, 0x7060004
	s_waitcnt vmcnt(0)
	v_perm_b32 v2, v2, v4, s8
.LBB278_22:
	s_or_b64 exec, exec, s[6:7]
	s_load_dwordx2 s[18:19], s[4:5], 0x288
	s_load_dwordx2 s[16:17], s[4:5], 0x1b8
	v_or_b32_e32 v10, 64, v0
	v_cmp_gt_u32_e64 s[8:9], s14, v10
	s_and_saveexec_b64 s[6:7], s[8:9]
	s_cbranch_execz .LBB278_24
; %bb.23:
	v_pk_mov_b32 v[4:5], s[34:35], s[34:35] op_sel:[0,1]
	v_mad_u64_u32 v[4:5], s[22:23], v10, s28, v[4:5]
	v_mov_b32_e32 v6, v5
	v_mad_u64_u32 v[6:7], s[22:23], v10, s29, v[6:7]
	v_mov_b32_e32 v5, v6
	global_load_ubyte v4, v[4:5], off
	s_mov_b32 s15, 0x7000504
	s_waitcnt vmcnt(0)
	v_perm_b32 v2, v2, v4, s15
.LBB278_24:
	s_or_b64 exec, exec, s[6:7]
	v_or_b32_e32 v11, 0x60, v0
	v_cmp_gt_u32_e64 s[6:7], s14, v11
	s_and_saveexec_b64 s[14:15], s[6:7]
	s_cbranch_execz .LBB278_26
; %bb.25:
	v_pk_mov_b32 v[4:5], s[34:35], s[34:35] op_sel:[0,1]
	v_mad_u64_u32 v[4:5], s[22:23], v11, s28, v[4:5]
	v_mov_b32_e32 v6, v5
	v_mad_u64_u32 v[6:7], s[22:23], v11, s29, v[6:7]
	v_mov_b32_e32 v5, v6
	global_load_ubyte v4, v[4:5], off
	s_mov_b32 s22, 0x60504
	s_waitcnt vmcnt(0)
	v_perm_b32 v2, v2, v4, s22
.LBB278_26:
	s_or_b64 exec, exec, s[14:15]
	ds_write_b8 v0, v3
	v_lshrrev_b32_e32 v3, 8, v2
	s_waitcnt lgkmcnt(0)
	s_mul_i32 s14, s18, s21
	s_mul_hi_u32 s15, s18, s20
	ds_write_b8 v0, v3 offset:32
	ds_write_b8_d16_hi v0, v2 offset:64
	v_lshrrev_b32_e32 v2, 24, v2
	v_lshlrev_b32_e32 v26, 2, v0
	s_add_i32 s14, s15, s14
	s_mul_i32 s15, s19, s20
	ds_write_b8 v0, v2 offset:96
	s_waitcnt lgkmcnt(0)
	; wave barrier
	s_waitcnt lgkmcnt(0)
	ds_read_u8 v35, v26
	ds_read_u8 v34, v26 offset:1
	ds_read_u8 v33, v26 offset:2
	;; [unrolled: 1-line block ×3, first 2 shown]
	s_add_i32 s15, s14, s15
	s_mul_i32 s14, s18, s20
	s_lshl_b64 s[14:15], s[14:15], 3
	s_load_dwordx2 s[30:31], s[4:5], 0x358
	s_add_u32 s14, s16, s14
	s_mov_b32 s16, 0
	s_addc_u32 s15, s17, s15
	s_lshl_b64 s[10:11], s[10:11], 3
	s_mov_b32 s17, s16
	s_add_u32 s33, s14, s10
	s_mov_b32 s18, s16
	s_mov_b32 s19, s16
	;; [unrolled: 1-line block ×6, first 2 shown]
	v_pk_mov_b32 v[2:3], s[16:17], s[16:17] op_sel:[0,1]
	s_addc_u32 s38, s15, s11
	v_pk_mov_b32 v[4:5], s[18:19], s[18:19] op_sel:[0,1]
	v_pk_mov_b32 v[6:7], s[20:21], s[20:21] op_sel:[0,1]
	v_pk_mov_b32 v[8:9], s[22:23], s[22:23] op_sel:[0,1]
	v_pk_mov_b32 v[2:3], 0, 0
	s_waitcnt lgkmcnt(0)
	; wave barrier
	s_waitcnt lgkmcnt(0)
	s_and_saveexec_b64 s[4:5], s[0:1]
	s_cbranch_execnz .LBB278_40
; %bb.27:
	s_or_b64 exec, exec, s[4:5]
	s_and_saveexec_b64 s[4:5], s[2:3]
	s_cbranch_execnz .LBB278_41
.LBB278_28:
	s_or_b64 exec, exec, s[4:5]
	s_and_saveexec_b64 s[4:5], s[8:9]
	s_cbranch_execz .LBB278_30
.LBB278_29:
	v_mad_u64_u32 v[6:7], s[10:11], v10, s30, 0
	v_mov_b32_e32 v12, v7
	v_mad_u64_u32 v[12:13], s[10:11], v10, s31, v[12:13]
	v_mov_b32_e32 v7, v12
	v_lshlrev_b64 v[6:7], 3, v[6:7]
	v_mov_b32_e32 v12, s38
	v_add_co_u32_e32 v6, vcc, s33, v6
	v_addc_co_u32_e32 v7, vcc, v12, v7, vcc
	global_load_dwordx2 v[6:7], v[6:7], off
.LBB278_30:
	s_or_b64 exec, exec, s[4:5]
	v_lshrrev_b32_e32 v14, 5, v1
	v_lshrrev_b32_e32 v13, 5, v10
	;; [unrolled: 1-line block ×4, first 2 shown]
	s_and_saveexec_b64 s[4:5], s[6:7]
	s_cbranch_execz .LBB278_32
; %bb.31:
	v_mad_u64_u32 v[8:9], s[10:11], v11, s30, 0
	v_mov_b32_e32 v16, v9
	v_mad_u64_u32 v[16:17], s[10:11], v11, s31, v[16:17]
	v_mov_b32_e32 v9, v16
	v_lshlrev_b64 v[8:9], 3, v[8:9]
	v_mov_b32_e32 v11, s38
	v_add_co_u32_e32 v8, vcc, s33, v8
	v_addc_co_u32_e32 v9, vcc, v11, v9, vcc
	global_load_dwordx2 v[8:9], v[8:9], off
.LBB278_32:
	s_or_b64 exec, exec, s[4:5]
	v_lshlrev_b32_e32 v27, 3, v0
	v_add_lshl_u32 v28, v14, v0, 3
	v_add_lshl_u32 v29, v13, v0, 3
	;; [unrolled: 1-line block ×4, first 2 shown]
	s_waitcnt vmcnt(0)
	ds_write_b64 v27, v[2:3]
	ds_write_b64 v28, v[4:5] offset:256
	ds_write_b64 v29, v[6:7] offset:512
	;; [unrolled: 1-line block ×3, first 2 shown]
	s_waitcnt lgkmcnt(0)
	; wave barrier
	s_waitcnt lgkmcnt(0)
	ds_read2_b64 v[2:5], v31 offset1:1
	ds_read2_b64 v[6:9], v31 offset0:2 offset1:3
	s_and_b64 vcc, exec, s[12:13]
	s_waitcnt lgkmcnt(0)
	; wave barrier
	s_waitcnt lgkmcnt(0)
	s_cbranch_vccz .LBB278_42
; %bb.33:
	s_movk_i32 s10, 0x100
	v_cmp_gt_u32_e32 vcc, s10, v0
	s_getpc_b64 s[4:5]
	s_add_u32 s4, s4, _ZN7rocprim17ROCPRIM_400000_NS16block_radix_sortIbLj32ELj4ElLj1ELj1ELj0ELNS0_26block_radix_rank_algorithmE1ELNS0_18block_padding_hintE2ELNS0_4arch9wavefront6targetE1EE19radix_bits_per_passE@rel32@lo+4
	s_addc_u32 s5, s5, _ZN7rocprim17ROCPRIM_400000_NS16block_radix_sortIbLj32ELj4ElLj1ELj1ELj0ELNS0_26block_radix_rank_algorithmE1ELNS0_18block_padding_hintE2ELNS0_4arch9wavefront6targetE1EE19radix_bits_per_passE@rel32@hi+12
	s_and_saveexec_b64 s[10:11], vcc
	s_cbranch_execz .LBB278_43
; %bb.34:
	s_mov_b32 s18, 0
	s_mov_b64 s[12:13], 0
	v_mov_b32_e32 v12, 0
	v_pk_mov_b32 v[10:11], v[0:1], v[0:1] op_sel:[0,1]
	s_branch .LBB278_36
.LBB278_35:                             ;   in Loop: Header=BB278_36 Depth=1
	s_or_b64 exec, exec, s[16:17]
	s_add_i32 s18, s18, 2
	v_cmp_eq_u32_e64 s[14:15], 8, s18
	v_add_u32_e32 v11, 64, v11
	s_or_b64 s[12:13], s[14:15], s[12:13]
	v_add_u32_e32 v10, 64, v10
	s_andn2_b64 exec, exec, s[12:13]
	s_cbranch_execz .LBB278_43
.LBB278_36:                             ; =>This Inner Loop Header: Depth=1
	s_or_b32 s14, s18, 1
	v_cmp_le_u32_e64 s[14:15], s14, 7
	v_cmp_le_u32_e64 s[20:21], s18, 7
	s_and_saveexec_b64 s[16:17], s[20:21]
	s_cbranch_execz .LBB278_38
; %bb.37:                               ;   in Loop: Header=BB278_36 Depth=1
	v_lshlrev_b32_e32 v13, 2, v10
	ds_write_b32 v13, v12
.LBB278_38:                             ;   in Loop: Header=BB278_36 Depth=1
	s_or_b64 exec, exec, s[16:17]
	s_and_saveexec_b64 s[16:17], s[14:15]
	s_cbranch_execz .LBB278_35
; %bb.39:                               ;   in Loop: Header=BB278_36 Depth=1
	v_lshlrev_b32_e32 v13, 2, v11
	ds_write_b32 v13, v12
	s_branch .LBB278_35
.LBB278_40:
	v_mad_u64_u32 v[2:3], s[10:11], v0, s30, 0
	v_mov_b32_e32 v4, v3
	v_mad_u64_u32 v[4:5], s[10:11], v0, s31, v[4:5]
	v_mov_b32_e32 v3, v4
	v_lshlrev_b64 v[2:3], 3, v[2:3]
	v_mov_b32_e32 v4, s38
	v_add_co_u32_e32 v2, vcc, s33, v2
	v_addc_co_u32_e32 v3, vcc, v4, v3, vcc
	global_load_dwordx2 v[2:3], v[2:3], off
	v_mov_b32_e32 v4, 0
	v_mov_b32_e32 v5, v4
	;; [unrolled: 1-line block ×6, first 2 shown]
	s_or_b64 exec, exec, s[4:5]
	s_and_saveexec_b64 s[4:5], s[2:3]
	s_cbranch_execz .LBB278_28
.LBB278_41:
	v_mad_u64_u32 v[4:5], s[10:11], v1, s30, 0
	v_mov_b32_e32 v12, v5
	v_mad_u64_u32 v[12:13], s[10:11], v1, s31, v[12:13]
	v_mov_b32_e32 v5, v12
	v_lshlrev_b64 v[4:5], 3, v[4:5]
	v_mov_b32_e32 v12, s38
	v_add_co_u32_e32 v4, vcc, s33, v4
	v_addc_co_u32_e32 v5, vcc, v12, v5, vcc
	global_load_dwordx2 v[4:5], v[4:5], off
	s_or_b64 exec, exec, s[4:5]
	s_and_saveexec_b64 s[4:5], s[8:9]
	s_cbranch_execnz .LBB278_29
	s_branch .LBB278_30
.LBB278_42:
                                        ; implicit-def: $vgpr16_vgpr17
                                        ; implicit-def: $vgpr12_vgpr13
                                        ; implicit-def: $vgpr18
	s_cbranch_execnz .LBB278_55
	s_branch .LBB278_74
.LBB278_43:
	s_or_b64 exec, exec, s[10:11]
	s_load_dword s4, s[4:5], 0x0
	v_lshlrev_b32_e32 v36, 5, v0
	v_cmp_eq_u32_e64 s[10:11], 31, v0
	s_waitcnt lgkmcnt(0)
	s_min_u32 s4, s4, 8
	s_lshl_b32 s4, -1, s4
	s_not_b32 s4, s4
	v_and_b32_e32 v10, s4, v35
	v_and_b32_e32 v10, 0xff, v10
	v_lshl_or_b32 v19, v10, 7, v26
	ds_read_u16 v18, v19
	v_and_b32_e32 v10, s4, v34
	v_and_b32_e32 v10, 0xff, v10
	v_lshl_or_b32 v22, v10, 7, v26
	v_and_b32_e32 v11, s4, v33
	s_waitcnt lgkmcnt(0)
	v_add_u16_e32 v10, 1, v18
	ds_write_b16 v19, v10
	ds_read_u16 v21, v22
	v_and_b32_e32 v11, 0xff, v11
	v_lshl_or_b32 v24, v11, 7, v26
	v_mbcnt_lo_u32_b32 v10, -1, 0
	v_mbcnt_hi_u32_b32 v39, -1, v10
	s_waitcnt lgkmcnt(0)
	v_add_u16_e32 v11, 1, v21
	ds_write_b16 v22, v11
	ds_read_u16 v23, v24
	v_and_b32_e32 v10, s4, v32
	v_and_b32_e32 v10, 0xff, v10
	v_lshl_or_b32 v37, v10, 7, v26
	v_and_b32_e32 v20, 15, v39
	s_waitcnt lgkmcnt(0)
	v_add_u16_e32 v10, 1, v23
	ds_write_b16 v24, v10
	ds_read_u16 v25, v37
	v_and_b32_e32 v10, 16, v39
	v_cmp_eq_u32_e64 s[4:5], 0, v10
	v_cmp_eq_u32_e64 s[14:15], 0, v20
	v_cmp_lt_u32_e64 s[16:17], 1, v20
	s_waitcnt lgkmcnt(0)
	v_add_u16_e32 v10, 1, v25
	ds_write_b16 v37, v10
	s_waitcnt lgkmcnt(0)
	; wave barrier
	s_waitcnt lgkmcnt(0)
	ds_read2_b32 v[16:17], v36 offset1:1
	ds_read2_b32 v[14:15], v36 offset0:2 offset1:3
	ds_read2_b32 v[10:11], v36 offset0:4 offset1:5
	;; [unrolled: 1-line block ×3, first 2 shown]
	v_cmp_lt_u32_e64 s[18:19], 3, v20
	s_waitcnt lgkmcnt(3)
	v_add_u32_e32 v40, v17, v16
	s_waitcnt lgkmcnt(2)
	v_add3_u32 v40, v40, v14, v15
	s_waitcnt lgkmcnt(1)
	v_add3_u32 v40, v40, v10, v11
	;; [unrolled: 2-line block ×3, first 2 shown]
	v_cmp_lt_u32_e64 s[20:21], 7, v20
	v_bfe_i32 v38, v39, 4, 1
	v_mov_b32_dpp v40, v13 row_shr:1 row_mask:0xf bank_mask:0xf
	v_cndmask_b32_e64 v40, v40, 0, s[14:15]
	v_add_u32_e32 v13, v40, v13
	s_nop 1
	v_mov_b32_dpp v40, v13 row_shr:2 row_mask:0xf bank_mask:0xf
	v_cndmask_b32_e64 v40, 0, v40, s[16:17]
	v_add_u32_e32 v13, v13, v40
	s_nop 1
	;; [unrolled: 4-line block ×4, first 2 shown]
	v_mov_b32_dpp v20, v13 row_bcast:15 row_mask:0xf bank_mask:0xf
	v_and_b32_e32 v20, v38, v20
	v_add_u32_e32 v13, v13, v20
	s_and_saveexec_b64 s[12:13], s[10:11]
	s_cbranch_execz .LBB278_45
; %bb.44:
	v_mov_b32_e32 v20, 0
	ds_write_b32 v20, v13 offset:1024
.LBB278_45:
	s_or_b64 exec, exec, s[12:13]
	v_add_u32_e32 v20, -1, v39
	v_and_b32_e32 v38, 0x60, v39
	v_cmp_lt_i32_e64 s[12:13], v20, v38
	v_cndmask_b32_e64 v20, v20, v39, s[12:13]
	v_lshlrev_b32_e32 v38, 2, v20
	ds_bpermute_b32 v13, v38, v13
	v_mov_b32_e32 v20, 0
	s_waitcnt lgkmcnt(0)
	; wave barrier
	s_waitcnt lgkmcnt(0)
	ds_read_b32 v40, v20 offset:1024
	v_cmp_eq_u32_e64 s[12:13], 0, v39
	v_cndmask_b32_e64 v13, v13, 0, s[12:13]
	s_waitcnt lgkmcnt(0)
	v_lshl_add_u32 v13, v40, 16, v13
	v_add_u32_e32 v16, v13, v16
	v_add_u32_e32 v17, v16, v17
	;; [unrolled: 1-line block ×7, first 2 shown]
	ds_write2_b32 v36, v13, v16 offset1:1
	ds_write2_b32 v36, v17, v14 offset0:2 offset1:3
	ds_write2_b32 v36, v15, v10 offset0:4 offset1:5
	;; [unrolled: 1-line block ×3, first 2 shown]
	s_waitcnt lgkmcnt(0)
	; wave barrier
	s_waitcnt lgkmcnt(0)
	ds_read_u16 v10, v19
	ds_read_u16 v11, v22
	;; [unrolled: 1-line block ×4, first 2 shown]
	s_waitcnt lgkmcnt(0)
	v_add_u32_sdwa v10, v10, v18 dst_sel:DWORD dst_unused:UNUSED_PAD src0_sel:DWORD src1_sel:WORD_0
	v_add_u32_sdwa v11, v11, v21 dst_sel:DWORD dst_unused:UNUSED_PAD src0_sel:DWORD src1_sel:WORD_0
	;; [unrolled: 1-line block ×4, first 2 shown]
	; wave barrier
	ds_write_b8 v10, v35
	ds_write_b8 v11, v34
	;; [unrolled: 1-line block ×4, first 2 shown]
	v_lshlrev_b32_e32 v10, 3, v10
	s_waitcnt lgkmcnt(0)
	; wave barrier
	s_waitcnt lgkmcnt(0)
	ds_read_u8 v39, v26
	ds_read_u8 v40, v26 offset:1
	ds_read_u8 v41, v26 offset:2
	;; [unrolled: 1-line block ×3, first 2 shown]
	s_waitcnt lgkmcnt(0)
	; wave barrier
	s_waitcnt lgkmcnt(0)
	ds_write_b64 v10, v[2:3]
	v_lshlrev_b32_e32 v10, 3, v11
	ds_write_b64 v10, v[4:5]
	v_lshlrev_b32_e32 v10, 3, v12
	v_lshlrev_b32_e32 v37, 3, v26
	ds_write_b64 v10, v[6:7]
	v_lshlrev_b32_e32 v10, 3, v13
	ds_write_b64 v10, v[8:9]
	s_waitcnt lgkmcnt(0)
	; wave barrier
	s_waitcnt lgkmcnt(0)
	ds_read2_b64 v[14:17], v37 offset1:1
	ds_read2_b64 v[10:13], v37 offset0:2 offset1:3
	s_waitcnt lgkmcnt(0)
	; wave barrier
	s_waitcnt lgkmcnt(0)
	s_and_saveexec_b64 s[22:23], vcc
	s_cbranch_execz .LBB278_52
; %bb.46:
	s_mov_b32 s39, 0
	s_mov_b64 s[24:25], 0
	v_pk_mov_b32 v[18:19], v[0:1], v[0:1] op_sel:[0,1]
	s_branch .LBB278_48
.LBB278_47:                             ;   in Loop: Header=BB278_48 Depth=1
	s_or_b64 exec, exec, s[36:37]
	s_add_i32 s39, s39, 2
	v_cmp_eq_u32_e64 s[26:27], 8, s39
	v_add_u32_e32 v19, 64, v19
	s_or_b64 s[24:25], s[26:27], s[24:25]
	v_add_u32_e32 v18, 64, v18
	s_andn2_b64 exec, exec, s[24:25]
	s_cbranch_execz .LBB278_52
.LBB278_48:                             ; =>This Inner Loop Header: Depth=1
	s_or_b32 s26, s39, 1
	v_cmp_le_u32_e64 s[26:27], s26, 7
	v_cmp_le_u32_e64 s[40:41], s39, 7
	s_and_saveexec_b64 s[36:37], s[40:41]
	s_cbranch_execz .LBB278_50
; %bb.49:                               ;   in Loop: Header=BB278_48 Depth=1
	v_lshlrev_b32_e32 v21, 2, v18
	ds_write_b32 v21, v20
.LBB278_50:                             ;   in Loop: Header=BB278_48 Depth=1
	s_or_b64 exec, exec, s[36:37]
	s_and_saveexec_b64 s[36:37], s[26:27]
	s_cbranch_execz .LBB278_47
; %bb.51:                               ;   in Loop: Header=BB278_48 Depth=1
	v_lshlrev_b32_e32 v21, 2, v19
	ds_write_b32 v21, v20
	s_branch .LBB278_47
.LBB278_52:
	s_or_b64 exec, exec, s[22:23]
	v_lshlrev_b32_e32 v18, 1, v0
	v_lshlrev_b32_e32 v44, 1, v18
	ds_read_u16 v43, v44
	s_waitcnt lgkmcnt(0)
	v_add_u16_e32 v18, 4, v43
	ds_write_b16 v44, v18
	s_waitcnt lgkmcnt(0)
	; wave barrier
	s_waitcnt lgkmcnt(0)
	ds_read2_b32 v[24:25], v36 offset1:1
	ds_read2_b32 v[22:23], v36 offset0:2 offset1:3
	ds_read2_b32 v[18:19], v36 offset0:4 offset1:5
	;; [unrolled: 1-line block ×3, first 2 shown]
	s_waitcnt lgkmcnt(3)
	v_add_u32_e32 v45, v25, v24
	s_waitcnt lgkmcnt(2)
	v_add3_u32 v45, v45, v22, v23
	s_waitcnt lgkmcnt(1)
	v_add3_u32 v45, v45, v18, v19
	;; [unrolled: 2-line block ×3, first 2 shown]
	s_nop 1
	v_mov_b32_dpp v45, v21 row_shr:1 row_mask:0xf bank_mask:0xf
	v_cndmask_b32_e64 v45, v45, 0, s[14:15]
	v_add_u32_e32 v21, v45, v21
	s_nop 1
	v_mov_b32_dpp v45, v21 row_shr:2 row_mask:0xf bank_mask:0xf
	v_cndmask_b32_e64 v45, 0, v45, s[16:17]
	v_add_u32_e32 v21, v21, v45
	;; [unrolled: 4-line block ×4, first 2 shown]
	s_nop 1
	v_mov_b32_dpp v45, v21 row_bcast:15 row_mask:0xf bank_mask:0xf
	v_cndmask_b32_e64 v45, v45, 0, s[4:5]
	v_add_u32_e32 v21, v21, v45
	s_and_saveexec_b64 s[4:5], s[10:11]
	s_cbranch_execz .LBB278_54
; %bb.53:
	v_mov_b32_e32 v45, 0
	ds_write_b32 v45, v21 offset:1024
.LBB278_54:
	s_or_b64 exec, exec, s[4:5]
	ds_bpermute_b32 v21, v38, v21
	v_mov_b32_e32 v38, 0
	s_waitcnt lgkmcnt(0)
	; wave barrier
	s_waitcnt lgkmcnt(0)
	ds_read_b32 v38, v38 offset:1024
	v_cndmask_b32_e64 v21, v21, 0, s[12:13]
	s_waitcnt lgkmcnt(0)
	v_lshl_add_u32 v21, v38, 16, v21
	v_add_u32_e32 v24, v21, v24
	v_add_u32_e32 v25, v24, v25
	;; [unrolled: 1-line block ×7, first 2 shown]
	ds_write2_b32 v36, v21, v24 offset1:1
	ds_write2_b32 v36, v25, v22 offset0:2 offset1:3
	ds_write2_b32 v36, v23, v18 offset0:4 offset1:5
	;; [unrolled: 1-line block ×3, first 2 shown]
	s_waitcnt lgkmcnt(0)
	; wave barrier
	s_waitcnt lgkmcnt(0)
	ds_read_u16 v18, v44
	v_pk_sub_u16 v19, v43, -2 op_sel:[0,1] op_sel_hi:[0,0]
	v_add_u16_e32 v20, 3, v43
	s_waitcnt lgkmcnt(0)
	; wave barrier
	s_waitcnt lgkmcnt(0)
	v_add_u32_e32 v20, v18, v20
	v_add_u32_sdwa v21, v18, v19 dst_sel:DWORD dst_unused:UNUSED_PAD src0_sel:DWORD src1_sel:WORD_1
	v_add_u32_sdwa v19, v18, v19 dst_sel:DWORD dst_unused:UNUSED_PAD src0_sel:DWORD src1_sel:WORD_0
	v_add_u32_sdwa v18, v18, v43 dst_sel:DWORD dst_unused:UNUSED_PAD src0_sel:DWORD src1_sel:WORD_0
	ds_write_b8 v18, v39
	ds_write_b8 v19, v40
	;; [unrolled: 1-line block ×4, first 2 shown]
	v_lshlrev_b32_e32 v18, 3, v18
	s_waitcnt lgkmcnt(0)
	; wave barrier
	s_waitcnt lgkmcnt(0)
	ds_read_u8 v22, v26
	ds_read_u8 v23, v26 offset:1
	ds_read_u8 v24, v26 offset:2
	;; [unrolled: 1-line block ×3, first 2 shown]
	s_waitcnt lgkmcnt(0)
	; wave barrier
	s_waitcnt lgkmcnt(0)
	ds_write_b64 v18, v[14:15]
	v_lshlrev_b32_e32 v14, 3, v19
	ds_write_b64 v14, v[16:17]
	v_lshlrev_b32_e32 v14, 3, v21
	;; [unrolled: 2-line block ×3, first 2 shown]
	ds_write_b64 v10, v[12:13]
	s_waitcnt lgkmcnt(0)
	; wave barrier
	s_waitcnt lgkmcnt(0)
	ds_read2_b64 v[10:13], v37 offset1:1
	ds_read2_b64 v[14:17], v37 offset0:2 offset1:3
	v_lshlrev_b16_e32 v18, 8, v23
	v_lshlrev_b16_e32 v19, 8, v25
	v_or_b32_e32 v18, v22, v18
	v_or_b32_sdwa v19, v24, v19 dst_sel:WORD_1 dst_unused:UNUSED_PAD src0_sel:DWORD src1_sel:DWORD
	v_or_b32_sdwa v18, v18, v19 dst_sel:DWORD dst_unused:UNUSED_PAD src0_sel:WORD_0 src1_sel:DWORD
	s_branch .LBB278_74
.LBB278_55:
	s_movk_i32 s10, 0x100
	v_cmp_gt_u32_e32 vcc, s10, v0
	s_getpc_b64 s[4:5]
	s_add_u32 s4, s4, _ZN7rocprim17ROCPRIM_400000_NS16block_radix_sortIbLj32ELj4ElLj1ELj1ELj0ELNS0_26block_radix_rank_algorithmE1ELNS0_18block_padding_hintE2ELNS0_4arch9wavefront6targetE1EE19radix_bits_per_passE@rel32@lo+4
	s_addc_u32 s5, s5, _ZN7rocprim17ROCPRIM_400000_NS16block_radix_sortIbLj32ELj4ElLj1ELj1ELj0ELNS0_26block_radix_rank_algorithmE1ELNS0_18block_padding_hintE2ELNS0_4arch9wavefront6targetE1EE19radix_bits_per_passE@rel32@hi+12
	s_and_saveexec_b64 s[10:11], vcc
	s_cbranch_execz .LBB278_62
; %bb.56:
	s_mov_b32 s18, 0
	s_mov_b64 s[12:13], 0
	s_waitcnt lgkmcnt(1)
	v_mov_b32_e32 v12, 0
	v_pk_mov_b32 v[10:11], v[0:1], v[0:1] op_sel:[0,1]
	s_branch .LBB278_58
.LBB278_57:                             ;   in Loop: Header=BB278_58 Depth=1
	s_or_b64 exec, exec, s[16:17]
	s_add_i32 s18, s18, 2
	v_cmp_eq_u32_e64 s[14:15], 8, s18
	v_add_u32_e32 v11, 64, v11
	s_or_b64 s[12:13], s[14:15], s[12:13]
	v_add_u32_e32 v10, 64, v10
	s_andn2_b64 exec, exec, s[12:13]
	s_cbranch_execz .LBB278_62
.LBB278_58:                             ; =>This Inner Loop Header: Depth=1
	s_or_b32 s14, s18, 1
	v_cmp_le_u32_e64 s[14:15], s14, 7
	v_cmp_le_u32_e64 s[20:21], s18, 7
	s_and_saveexec_b64 s[16:17], s[20:21]
	s_cbranch_execz .LBB278_60
; %bb.59:                               ;   in Loop: Header=BB278_58 Depth=1
	v_lshlrev_b32_e32 v13, 2, v10
	ds_write_b32 v13, v12
.LBB278_60:                             ;   in Loop: Header=BB278_58 Depth=1
	s_or_b64 exec, exec, s[16:17]
	s_and_saveexec_b64 s[16:17], s[14:15]
	s_cbranch_execz .LBB278_57
; %bb.61:                               ;   in Loop: Header=BB278_58 Depth=1
	v_lshlrev_b32_e32 v13, 2, v11
	ds_write_b32 v13, v12
	s_branch .LBB278_57
.LBB278_62:
	s_or_b64 exec, exec, s[10:11]
	s_load_dword s4, s[4:5], 0x0
	s_waitcnt lgkmcnt(0)
	v_and_b32_e32 v10, 1, v35
	v_cmp_eq_u32_e64 s[20:21], 1, v10
	v_lshlrev_b32_e32 v18, 5, v0
	v_cmp_eq_u32_e64 s[10:11], 31, v0
	s_min_u32 s4, s4, 8
	s_lshl_b32 s4, -1, s4
	s_not_b32 s4, s4
	s_lshl_b32 s4, s4, 6
	s_and_b32 s4, s4, 64
	v_mov_b32_e32 v11, s4
	v_cndmask_b32_e64 v10, v11, 0, s[20:21]
	v_lshl_or_b32 v19, v10, 1, v26
	ds_read_u16 v21, v19
	v_and_b32_e32 v10, 1, v34
	v_cmp_eq_u32_e64 s[24:25], 1, v10
	v_cndmask_b32_e64 v10, v11, 0, s[24:25]
	v_lshl_or_b32 v23, v10, 1, v26
	s_waitcnt lgkmcnt(0)
	v_add_u16_e32 v12, 1, v21
	ds_write_b16 v19, v12
	ds_read_u16 v22, v23
	v_and_b32_e32 v10, 1, v33
	v_cmp_eq_u32_e64 s[26:27], 1, v10
	v_cndmask_b32_e64 v10, v11, 0, s[26:27]
	v_lshl_or_b32 v25, v10, 1, v26
	s_waitcnt lgkmcnt(0)
	v_add_u16_e32 v12, 1, v22
	ds_write_b16 v23, v12
	ds_read_u16 v24, v25
	v_and_b32_e32 v10, 1, v32
	v_mbcnt_lo_u32_b32 v12, -1, 0
	v_cmp_eq_u32_e64 s[22:23], 1, v10
	v_mbcnt_hi_u32_b32 v34, -1, v12
	s_waitcnt lgkmcnt(0)
	v_add_u16_e32 v12, 1, v24
	v_cndmask_b32_e64 v10, v11, 0, s[22:23]
	ds_write_b16 v25, v12
	v_lshl_or_b32 v33, v10, 1, v26
	ds_read_u16 v32, v33
	v_and_b32_e32 v10, 16, v34
	v_cmp_eq_u32_e64 s[4:5], 0, v10
	v_and_b32_e32 v20, 15, v34
	v_cmp_eq_u32_e64 s[12:13], 0, v20
	s_waitcnt lgkmcnt(0)
	v_add_u16_e32 v10, 1, v32
	ds_write_b16 v33, v10
	s_waitcnt lgkmcnt(0)
	; wave barrier
	s_waitcnt lgkmcnt(0)
	ds_read2_b32 v[16:17], v18 offset1:1
	ds_read2_b32 v[14:15], v18 offset0:2 offset1:3
	ds_read2_b32 v[10:11], v18 offset0:4 offset1:5
	;; [unrolled: 1-line block ×3, first 2 shown]
	v_cmp_lt_u32_e64 s[14:15], 1, v20
	s_waitcnt lgkmcnt(3)
	v_add_u32_e32 v36, v17, v16
	s_waitcnt lgkmcnt(2)
	v_add3_u32 v36, v36, v14, v15
	s_waitcnt lgkmcnt(1)
	v_add3_u32 v36, v36, v10, v11
	;; [unrolled: 2-line block ×3, first 2 shown]
	v_cmp_lt_u32_e64 s[16:17], 3, v20
	v_cmp_lt_u32_e64 s[18:19], 7, v20
	v_mov_b32_dpp v36, v13 row_shr:1 row_mask:0xf bank_mask:0xf
	v_cndmask_b32_e64 v36, v36, 0, s[12:13]
	v_add_u32_e32 v13, v36, v13
	v_bfe_i32 v35, v34, 4, 1
	s_nop 0
	v_mov_b32_dpp v36, v13 row_shr:2 row_mask:0xf bank_mask:0xf
	v_cndmask_b32_e64 v36, 0, v36, s[14:15]
	v_add_u32_e32 v13, v13, v36
	s_nop 1
	v_mov_b32_dpp v36, v13 row_shr:4 row_mask:0xf bank_mask:0xf
	v_cndmask_b32_e64 v36, 0, v36, s[16:17]
	v_add_u32_e32 v13, v13, v36
	;; [unrolled: 4-line block ×3, first 2 shown]
	s_nop 1
	v_mov_b32_dpp v20, v13 row_bcast:15 row_mask:0xf bank_mask:0xf
	v_and_b32_e32 v20, v35, v20
	v_add_u32_e32 v13, v13, v20
	s_and_saveexec_b64 s[36:37], s[10:11]
	s_cbranch_execz .LBB278_64
; %bb.63:
	v_mov_b32_e32 v20, 0
	ds_write_b32 v20, v13 offset:1024
.LBB278_64:
	s_or_b64 exec, exec, s[36:37]
	s_xor_b64 s[20:21], s[20:21], -1
	v_cndmask_b32_e64 v35, 0, 1, s[20:21]
	s_xor_b64 s[20:21], s[24:25], -1
	v_cndmask_b32_e64 v36, 0, 1, s[20:21]
	s_xor_b64 s[20:21], s[26:27], -1
	v_add_u32_e32 v20, -1, v34
	v_and_b32_e32 v38, 0x60, v34
	v_cndmask_b32_e64 v37, 0, 1, s[20:21]
	v_cmp_lt_i32_e64 s[20:21], v20, v38
	v_cndmask_b32_e64 v20, v20, v34, s[20:21]
	v_lshlrev_b32_e32 v20, 2, v20
	ds_bpermute_b32 v38, v20, v13
	v_mov_b32_e32 v13, 0
	s_waitcnt lgkmcnt(0)
	; wave barrier
	s_waitcnt lgkmcnt(0)
	ds_read_b32 v39, v13 offset:1024
	s_xor_b64 s[20:21], s[22:23], -1
	v_cndmask_b32_e64 v40, 0, 1, s[20:21]
	v_cmp_eq_u32_e64 s[20:21], 0, v34
	v_cndmask_b32_e64 v34, v38, 0, s[20:21]
	s_waitcnt lgkmcnt(0)
	v_lshl_add_u32 v34, v39, 16, v34
	v_add_u32_e32 v16, v34, v16
	v_add_u32_e32 v17, v16, v17
	v_add_u32_e32 v14, v17, v14
	v_add_u32_e32 v15, v14, v15
	v_add_u32_e32 v10, v15, v10
	v_add_u32_e32 v11, v10, v11
	v_add_u32_e32 v12, v11, v12
	ds_write2_b32 v18, v34, v16 offset1:1
	ds_write2_b32 v18, v17, v14 offset0:2 offset1:3
	ds_write2_b32 v18, v15, v10 offset0:4 offset1:5
	;; [unrolled: 1-line block ×3, first 2 shown]
	s_waitcnt lgkmcnt(0)
	; wave barrier
	s_waitcnt lgkmcnt(0)
	ds_read_u16 v10, v19
	ds_read_u16 v11, v23
	;; [unrolled: 1-line block ×4, first 2 shown]
	s_waitcnt lgkmcnt(0)
	v_add_u32_sdwa v10, v10, v21 dst_sel:DWORD dst_unused:UNUSED_PAD src0_sel:DWORD src1_sel:WORD_0
	v_add_u32_sdwa v11, v11, v22 dst_sel:DWORD dst_unused:UNUSED_PAD src0_sel:DWORD src1_sel:WORD_0
	;; [unrolled: 1-line block ×4, first 2 shown]
	; wave barrier
	ds_write_b8 v10, v35
	ds_write_b8 v11, v36
	;; [unrolled: 1-line block ×4, first 2 shown]
	v_lshlrev_b32_e32 v10, 3, v10
	s_waitcnt lgkmcnt(0)
	; wave barrier
	s_waitcnt lgkmcnt(0)
	ds_read_u8 v21, v26
	ds_read_u8 v22, v26 offset:1
	ds_read_u8 v23, v26 offset:2
	;; [unrolled: 1-line block ×3, first 2 shown]
	s_waitcnt lgkmcnt(0)
	; wave barrier
	s_waitcnt lgkmcnt(0)
	ds_write_b64 v10, v[2:3]
	v_lshlrev_b32_e32 v2, 3, v11
	ds_write_b64 v2, v[4:5]
	v_lshlrev_b32_e32 v2, 3, v12
	v_lshlrev_b32_e32 v19, 3, v26
	ds_write_b64 v2, v[6:7]
	v_lshlrev_b32_e32 v2, 3, v14
	ds_write_b64 v2, v[8:9]
	s_waitcnt lgkmcnt(0)
	; wave barrier
	s_waitcnt lgkmcnt(0)
	ds_read2_b64 v[6:9], v19 offset1:1
	ds_read2_b64 v[2:5], v19 offset0:2 offset1:3
	s_waitcnt lgkmcnt(0)
	; wave barrier
	s_waitcnt lgkmcnt(0)
	s_and_saveexec_b64 s[22:23], vcc
	s_cbranch_execz .LBB278_71
; %bb.65:
	s_mov_b32 s39, 0
	s_mov_b64 s[24:25], 0
	v_pk_mov_b32 v[10:11], v[0:1], v[0:1] op_sel:[0,1]
	s_branch .LBB278_67
.LBB278_66:                             ;   in Loop: Header=BB278_67 Depth=1
	s_or_b64 exec, exec, s[36:37]
	s_add_i32 s39, s39, 2
	v_cmp_eq_u32_e64 s[26:27], 8, s39
	v_add_u32_e32 v11, 64, v11
	s_or_b64 s[24:25], s[26:27], s[24:25]
	v_add_u32_e32 v10, 64, v10
	s_andn2_b64 exec, exec, s[24:25]
	s_cbranch_execz .LBB278_71
.LBB278_67:                             ; =>This Inner Loop Header: Depth=1
	s_or_b32 s26, s39, 1
	v_cmp_le_u32_e64 s[26:27], s26, 7
	v_cmp_le_u32_e64 s[40:41], s39, 7
	s_and_saveexec_b64 s[36:37], s[40:41]
	s_cbranch_execz .LBB278_69
; %bb.68:                               ;   in Loop: Header=BB278_67 Depth=1
	v_lshlrev_b32_e32 v1, 2, v10
	ds_write_b32 v1, v13
.LBB278_69:                             ;   in Loop: Header=BB278_67 Depth=1
	s_or_b64 exec, exec, s[36:37]
	s_and_saveexec_b64 s[36:37], s[26:27]
	s_cbranch_execz .LBB278_66
; %bb.70:                               ;   in Loop: Header=BB278_67 Depth=1
	v_lshlrev_b32_e32 v1, 2, v11
	ds_write_b32 v1, v13
	s_branch .LBB278_66
.LBB278_71:
	s_or_b64 exec, exec, s[22:23]
	v_lshlrev_b32_e32 v1, 1, v0
	v_lshlrev_b32_e32 v25, 1, v1
	ds_read_u16 v1, v25
	s_waitcnt lgkmcnt(0)
	v_add_u16_e32 v10, 4, v1
	ds_write_b16 v25, v10
	s_waitcnt lgkmcnt(0)
	; wave barrier
	s_waitcnt lgkmcnt(0)
	ds_read2_b32 v[16:17], v18 offset1:1
	ds_read2_b32 v[14:15], v18 offset0:2 offset1:3
	ds_read2_b32 v[10:11], v18 offset0:4 offset1:5
	ds_read2_b32 v[12:13], v18 offset0:6 offset1:7
	s_waitcnt lgkmcnt(3)
	v_add_u32_e32 v32, v17, v16
	s_waitcnt lgkmcnt(2)
	v_add3_u32 v32, v32, v14, v15
	s_waitcnt lgkmcnt(1)
	v_add3_u32 v32, v32, v10, v11
	;; [unrolled: 2-line block ×3, first 2 shown]
	s_nop 1
	v_mov_b32_dpp v32, v13 row_shr:1 row_mask:0xf bank_mask:0xf
	v_cndmask_b32_e64 v32, v32, 0, s[12:13]
	v_add_u32_e32 v13, v32, v13
	s_nop 1
	v_mov_b32_dpp v32, v13 row_shr:2 row_mask:0xf bank_mask:0xf
	v_cndmask_b32_e64 v32, 0, v32, s[14:15]
	v_add_u32_e32 v13, v13, v32
	;; [unrolled: 4-line block ×4, first 2 shown]
	s_nop 1
	v_mov_b32_dpp v32, v13 row_bcast:15 row_mask:0xf bank_mask:0xf
	v_cndmask_b32_e64 v32, v32, 0, s[4:5]
	v_add_u32_e32 v13, v13, v32
	s_and_saveexec_b64 s[4:5], s[10:11]
	s_cbranch_execz .LBB278_73
; %bb.72:
	v_mov_b32_e32 v32, 0
	ds_write_b32 v32, v13 offset:1024
.LBB278_73:
	s_or_b64 exec, exec, s[4:5]
	ds_bpermute_b32 v13, v20, v13
	v_mov_b32_e32 v20, 0
	s_waitcnt lgkmcnt(0)
	; wave barrier
	s_waitcnt lgkmcnt(0)
	ds_read_b32 v20, v20 offset:1024
	v_cndmask_b32_e64 v13, v13, 0, s[20:21]
	s_waitcnt lgkmcnt(0)
	v_lshl_add_u32 v13, v20, 16, v13
	v_add_u32_e32 v16, v13, v16
	v_add_u32_e32 v17, v16, v17
	;; [unrolled: 1-line block ×7, first 2 shown]
	ds_write2_b32 v18, v13, v16 offset1:1
	ds_write2_b32 v18, v17, v14 offset0:2 offset1:3
	ds_write2_b32 v18, v15, v10 offset0:4 offset1:5
	;; [unrolled: 1-line block ×3, first 2 shown]
	s_waitcnt lgkmcnt(0)
	; wave barrier
	s_waitcnt lgkmcnt(0)
	ds_read_u16 v10, v25
	v_pk_sub_u16 v11, v1, -2 op_sel:[0,1] op_sel_hi:[0,0]
	v_add_u16_e32 v12, 3, v1
	s_waitcnt lgkmcnt(0)
	; wave barrier
	s_waitcnt lgkmcnt(0)
	v_add_u32_sdwa v1, v10, v1 dst_sel:DWORD dst_unused:UNUSED_PAD src0_sel:DWORD src1_sel:WORD_0
	v_add_u32_e32 v12, v10, v12
	v_add_u32_sdwa v13, v10, v11 dst_sel:DWORD dst_unused:UNUSED_PAD src0_sel:DWORD src1_sel:WORD_1
	v_add_u32_sdwa v11, v10, v11 dst_sel:DWORD dst_unused:UNUSED_PAD src0_sel:DWORD src1_sel:WORD_0
	ds_write_b8 v1, v21
	ds_write_b8 v11, v22
	ds_write_b8 v13, v23
	ds_write_b8 v12, v24
	v_lshlrev_b32_e32 v1, 3, v1
	s_waitcnt lgkmcnt(0)
	; wave barrier
	s_waitcnt lgkmcnt(0)
	ds_read_u8 v18, v26
	ds_read_u8 v20, v26 offset:1
	ds_read_u8 v21, v26 offset:2
	;; [unrolled: 1-line block ×3, first 2 shown]
	s_waitcnt lgkmcnt(0)
	; wave barrier
	s_waitcnt lgkmcnt(0)
	ds_write_b64 v1, v[6:7]
	v_lshlrev_b32_e32 v1, 3, v11
	ds_write_b64 v1, v[8:9]
	v_lshlrev_b32_e32 v1, 3, v13
	ds_write_b64 v1, v[2:3]
	v_lshlrev_b32_e32 v1, 3, v12
	ds_write_b64 v1, v[4:5]
	s_waitcnt lgkmcnt(0)
	; wave barrier
	s_waitcnt lgkmcnt(0)
	ds_read2_b64 v[10:13], v19 offset1:1
	ds_read2_b64 v[14:17], v19 offset0:2 offset1:3
	v_mov_b32_e32 v2, 1
	v_xor_b32_e32 v1, 1, v18
	v_xor_b32_sdwa v3, v20, v2 dst_sel:BYTE_1 dst_unused:UNUSED_PAD src0_sel:DWORD src1_sel:DWORD
	v_xor_b32_e32 v4, 1, v21
	v_xor_b32_sdwa v2, v22, v2 dst_sel:BYTE_1 dst_unused:UNUSED_PAD src0_sel:DWORD src1_sel:DWORD
	v_or_b32_e32 v1, v1, v3
	v_or_b32_sdwa v2, v4, v2 dst_sel:WORD_1 dst_unused:UNUSED_PAD src0_sel:DWORD src1_sel:DWORD
	v_or_b32_sdwa v18, v1, v2 dst_sel:DWORD dst_unused:UNUSED_PAD src0_sel:WORD_0 src1_sel:DWORD
.LBB278_74:
	s_waitcnt lgkmcnt(0)
	; wave barrier
	s_waitcnt lgkmcnt(0)
	ds_write_b32 v26, v18
	s_waitcnt lgkmcnt(0)
	; wave barrier
	s_waitcnt lgkmcnt(0)
	ds_read_u8 v5, v0 offset:32
	ds_read_u8 v4, v0 offset:64
	;; [unrolled: 1-line block ×3, first 2 shown]
	v_pk_mov_b32 v[2:3], s[34:35], s[34:35] op_sel:[0,1]
	v_mad_u64_u32 v[2:3], s[4:5], v0, s28, v[2:3]
	v_mov_b32_e32 v6, v3
	v_mad_u64_u32 v[6:7], s[4:5], v0, s29, v[6:7]
	v_mov_b32_e32 v3, v6
	s_and_saveexec_b64 s[4:5], s[0:1]
	s_cbranch_execnz .LBB278_85
; %bb.75:
	s_or_b64 exec, exec, s[4:5]
	s_and_saveexec_b64 s[4:5], s[2:3]
	s_cbranch_execnz .LBB278_86
.LBB278_76:
	s_or_b64 exec, exec, s[4:5]
	s_and_saveexec_b64 s[4:5], s[8:9]
	s_cbranch_execnz .LBB278_87
.LBB278_77:
	s_or_b64 exec, exec, s[4:5]
	s_and_saveexec_b64 s[4:5], s[6:7]
	s_cbranch_execz .LBB278_79
.LBB278_78:
	s_waitcnt lgkmcnt(1)
	v_mov_b32_e32 v4, 0x60
	v_mad_u64_u32 v[2:3], s[10:11], s28, v4, v[2:3]
	s_mul_i32 s10, s29, 0x60
	v_add_u32_e32 v3, s10, v3
	s_waitcnt lgkmcnt(0)
	global_store_byte v[2:3], v1, off
.LBB278_79:
	s_or_b64 exec, exec, s[4:5]
	v_mad_u64_u32 v[8:9], s[4:5], v0, s30, 0
	s_waitcnt lgkmcnt(0)
	; wave barrier
	s_waitcnt lgkmcnt(0)
	ds_write2_b64 v31, v[10:11], v[12:13] offset1:1
	ds_write2_b64 v31, v[14:15], v[16:17] offset0:2 offset1:3
	s_waitcnt lgkmcnt(0)
	; wave barrier
	s_waitcnt lgkmcnt(0)
	ds_read_b64 v[6:7], v28 offset:256
	ds_read_b64 v[4:5], v29 offset:512
	;; [unrolled: 1-line block ×3, first 2 shown]
	v_mov_b32_e32 v10, v9
	v_mad_u64_u32 v[0:1], s[4:5], v0, s31, v[10:11]
	v_mov_b32_e32 v9, v0
	v_lshlrev_b64 v[0:1], 3, v[8:9]
	v_mov_b32_e32 v8, s38
	v_add_co_u32_e32 v0, vcc, s33, v0
	v_addc_co_u32_e32 v1, vcc, v8, v1, vcc
	s_and_saveexec_b64 s[4:5], s[0:1]
	s_cbranch_execnz .LBB278_88
; %bb.80:
	s_or_b64 exec, exec, s[4:5]
	s_and_saveexec_b64 s[0:1], s[2:3]
	s_cbranch_execnz .LBB278_89
.LBB278_81:
	s_or_b64 exec, exec, s[0:1]
	s_and_saveexec_b64 s[0:1], s[8:9]
	s_cbranch_execnz .LBB278_90
.LBB278_82:
	s_or_b64 exec, exec, s[0:1]
	s_and_saveexec_b64 s[0:1], s[6:7]
	s_cbranch_execz .LBB278_84
.LBB278_83:
	s_waitcnt lgkmcnt(1)
	v_mov_b32_e32 v4, 0x300
	v_mad_u64_u32 v[0:1], s[0:1], s30, v4, v[0:1]
	s_mul_i32 s0, s31, 0x300
	v_add_u32_e32 v1, s0, v1
	s_waitcnt lgkmcnt(0)
	global_store_dwordx2 v[0:1], v[2:3], off
.LBB278_84:
	s_endpgm
.LBB278_85:
	ds_read_u8 v6, v0
	s_waitcnt lgkmcnt(0)
	global_store_byte v[2:3], v6, off
	s_or_b64 exec, exec, s[4:5]
	s_and_saveexec_b64 s[4:5], s[2:3]
	s_cbranch_execz .LBB278_76
.LBB278_86:
	s_lshl_b64 s[10:11], s[28:29], 5
	v_mov_b32_e32 v7, s11
	v_add_co_u32_e32 v6, vcc, s10, v2
	v_addc_co_u32_e32 v7, vcc, v3, v7, vcc
	s_waitcnt lgkmcnt(2)
	global_store_byte v[6:7], v5, off
	s_or_b64 exec, exec, s[4:5]
	s_and_saveexec_b64 s[4:5], s[8:9]
	s_cbranch_execz .LBB278_77
.LBB278_87:
	s_lshl_b64 s[10:11], s[28:29], 6
	s_waitcnt lgkmcnt(2)
	v_mov_b32_e32 v5, s11
	v_add_co_u32_e32 v6, vcc, s10, v2
	v_addc_co_u32_e32 v7, vcc, v3, v5, vcc
	s_waitcnt lgkmcnt(1)
	global_store_byte v[6:7], v4, off
	s_or_b64 exec, exec, s[4:5]
	s_and_saveexec_b64 s[4:5], s[6:7]
	s_cbranch_execnz .LBB278_78
	s_branch .LBB278_79
.LBB278_88:
	ds_read_b64 v[8:9], v27
	s_waitcnt lgkmcnt(0)
	global_store_dwordx2 v[0:1], v[8:9], off
	s_or_b64 exec, exec, s[4:5]
	s_and_saveexec_b64 s[0:1], s[2:3]
	s_cbranch_execz .LBB278_81
.LBB278_89:
	s_lshl_b64 s[2:3], s[30:31], 8
	v_mov_b32_e32 v9, s3
	v_add_co_u32_e32 v8, vcc, s2, v0
	v_addc_co_u32_e32 v9, vcc, v1, v9, vcc
	s_waitcnt lgkmcnt(2)
	global_store_dwordx2 v[8:9], v[6:7], off
	s_or_b64 exec, exec, s[0:1]
	s_and_saveexec_b64 s[0:1], s[8:9]
	s_cbranch_execz .LBB278_82
.LBB278_90:
	s_lshl_b64 s[2:3], s[30:31], 9
	s_waitcnt lgkmcnt(2)
	v_mov_b32_e32 v7, s3
	v_add_co_u32_e32 v6, vcc, s2, v0
	v_addc_co_u32_e32 v7, vcc, v1, v7, vcc
	s_waitcnt lgkmcnt(1)
	global_store_dwordx2 v[6:7], v[4:5], off
	s_or_b64 exec, exec, s[0:1]
	s_and_saveexec_b64 s[0:1], s[6:7]
	s_cbranch_execnz .LBB278_83
	s_branch .LBB278_84
	.section	.rodata,"a",@progbits
	.p2align	6, 0x0
	.amdhsa_kernel _ZN2at6native18radixSortKVInPlaceILin1ELin1ELi32ELi4EblmEEvNS_4cuda6detail10TensorInfoIT3_T5_EES6_S6_S6_NS4_IT4_S6_EES6_b
		.amdhsa_group_segment_fixed_size 1056
		.amdhsa_private_segment_fixed_size 0
		.amdhsa_kernarg_size 1128
		.amdhsa_user_sgpr_count 6
		.amdhsa_user_sgpr_private_segment_buffer 1
		.amdhsa_user_sgpr_dispatch_ptr 0
		.amdhsa_user_sgpr_queue_ptr 0
		.amdhsa_user_sgpr_kernarg_segment_ptr 1
		.amdhsa_user_sgpr_dispatch_id 0
		.amdhsa_user_sgpr_flat_scratch_init 0
		.amdhsa_user_sgpr_kernarg_preload_length 0
		.amdhsa_user_sgpr_kernarg_preload_offset 0
		.amdhsa_user_sgpr_private_segment_size 0
		.amdhsa_uses_dynamic_stack 0
		.amdhsa_system_sgpr_private_segment_wavefront_offset 0
		.amdhsa_system_sgpr_workgroup_id_x 1
		.amdhsa_system_sgpr_workgroup_id_y 1
		.amdhsa_system_sgpr_workgroup_id_z 1
		.amdhsa_system_sgpr_workgroup_info 0
		.amdhsa_system_vgpr_workitem_id 0
		.amdhsa_next_free_vgpr 46
		.amdhsa_next_free_sgpr 42
		.amdhsa_accum_offset 48
		.amdhsa_reserve_vcc 1
		.amdhsa_reserve_flat_scratch 0
		.amdhsa_float_round_mode_32 0
		.amdhsa_float_round_mode_16_64 0
		.amdhsa_float_denorm_mode_32 3
		.amdhsa_float_denorm_mode_16_64 3
		.amdhsa_dx10_clamp 1
		.amdhsa_ieee_mode 1
		.amdhsa_fp16_overflow 0
		.amdhsa_tg_split 0
		.amdhsa_exception_fp_ieee_invalid_op 0
		.amdhsa_exception_fp_denorm_src 0
		.amdhsa_exception_fp_ieee_div_zero 0
		.amdhsa_exception_fp_ieee_overflow 0
		.amdhsa_exception_fp_ieee_underflow 0
		.amdhsa_exception_fp_ieee_inexact 0
		.amdhsa_exception_int_div_zero 0
	.end_amdhsa_kernel
	.section	.text._ZN2at6native18radixSortKVInPlaceILin1ELin1ELi32ELi4EblmEEvNS_4cuda6detail10TensorInfoIT3_T5_EES6_S6_S6_NS4_IT4_S6_EES6_b,"axG",@progbits,_ZN2at6native18radixSortKVInPlaceILin1ELin1ELi32ELi4EblmEEvNS_4cuda6detail10TensorInfoIT3_T5_EES6_S6_S6_NS4_IT4_S6_EES6_b,comdat
.Lfunc_end278:
	.size	_ZN2at6native18radixSortKVInPlaceILin1ELin1ELi32ELi4EblmEEvNS_4cuda6detail10TensorInfoIT3_T5_EES6_S6_S6_NS4_IT4_S6_EES6_b, .Lfunc_end278-_ZN2at6native18radixSortKVInPlaceILin1ELin1ELi32ELi4EblmEEvNS_4cuda6detail10TensorInfoIT3_T5_EES6_S6_S6_NS4_IT4_S6_EES6_b
                                        ; -- End function
	.section	.AMDGPU.csdata,"",@progbits
; Kernel info:
; codeLenInByte = 7092
; NumSgprs: 46
; NumVgprs: 46
; NumAgprs: 0
; TotalNumVgprs: 46
; ScratchSize: 0
; MemoryBound: 0
; FloatMode: 240
; IeeeMode: 1
; LDSByteSize: 1056 bytes/workgroup (compile time only)
; SGPRBlocks: 5
; VGPRBlocks: 5
; NumSGPRsForWavesPerEU: 46
; NumVGPRsForWavesPerEU: 46
; AccumOffset: 48
; Occupancy: 8
; WaveLimiterHint : 1
; COMPUTE_PGM_RSRC2:SCRATCH_EN: 0
; COMPUTE_PGM_RSRC2:USER_SGPR: 6
; COMPUTE_PGM_RSRC2:TRAP_HANDLER: 0
; COMPUTE_PGM_RSRC2:TGID_X_EN: 1
; COMPUTE_PGM_RSRC2:TGID_Y_EN: 1
; COMPUTE_PGM_RSRC2:TGID_Z_EN: 1
; COMPUTE_PGM_RSRC2:TIDIG_COMP_CNT: 0
; COMPUTE_PGM_RSRC3_GFX90A:ACCUM_OFFSET: 11
; COMPUTE_PGM_RSRC3_GFX90A:TG_SPLIT: 0
	.section	.text._ZN2at6native18radixSortKVInPlaceILin1ELin1ELi16ELi2EblmEEvNS_4cuda6detail10TensorInfoIT3_T5_EES6_S6_S6_NS4_IT4_S6_EES6_b,"axG",@progbits,_ZN2at6native18radixSortKVInPlaceILin1ELin1ELi16ELi2EblmEEvNS_4cuda6detail10TensorInfoIT3_T5_EES6_S6_S6_NS4_IT4_S6_EES6_b,comdat
	.protected	_ZN2at6native18radixSortKVInPlaceILin1ELin1ELi16ELi2EblmEEvNS_4cuda6detail10TensorInfoIT3_T5_EES6_S6_S6_NS4_IT4_S6_EES6_b ; -- Begin function _ZN2at6native18radixSortKVInPlaceILin1ELin1ELi16ELi2EblmEEvNS_4cuda6detail10TensorInfoIT3_T5_EES6_S6_S6_NS4_IT4_S6_EES6_b
	.globl	_ZN2at6native18radixSortKVInPlaceILin1ELin1ELi16ELi2EblmEEvNS_4cuda6detail10TensorInfoIT3_T5_EES6_S6_S6_NS4_IT4_S6_EES6_b
	.p2align	8
	.type	_ZN2at6native18radixSortKVInPlaceILin1ELin1ELi16ELi2EblmEEvNS_4cuda6detail10TensorInfoIT3_T5_EES6_S6_S6_NS4_IT4_S6_EES6_b,@function
_ZN2at6native18radixSortKVInPlaceILin1ELin1ELi16ELi2EblmEEvNS_4cuda6detail10TensorInfoIT3_T5_EES6_S6_S6_NS4_IT4_S6_EES6_b: ; @_ZN2at6native18radixSortKVInPlaceILin1ELin1ELi16ELi2EblmEEvNS_4cuda6detail10TensorInfoIT3_T5_EES6_S6_S6_NS4_IT4_S6_EES6_b
; %bb.0:
	s_load_dwordx4 s[0:3], s[4:5], 0x1a0
	s_load_dwordx2 s[10:11], s[4:5], 0x368
	s_mov_b32 s9, 0
	s_waitcnt lgkmcnt(0)
	v_mov_b32_e32 v2, s0
	s_mul_i32 s0, s11, s8
	s_add_i32 s0, s0, s7
	s_mul_i32 s0, s0, s10
	v_mov_b32_e32 v3, s1
	s_add_i32 s8, s0, s6
	v_cmp_ge_u64_e32 vcc, s[8:9], v[2:3]
	s_cbranch_vccnz .LBB279_74
; %bb.1:
	s_load_dword s0, s[4:5], 0x198
	s_load_dwordx2 s[20:21], s[4:5], 0x1b0
	s_mov_b64 s[6:7], 0
	s_mov_b64 s[10:11], s[8:9]
	s_waitcnt lgkmcnt(0)
	s_cmp_lt_i32 s0, 2
	s_cbranch_scc1 .LBB279_9
; %bb.2:
	s_mov_b32 s12, 0
	s_add_i32 s3, s0, 1
	s_add_i32 s0, s0, -1
	s_mov_b32 s1, s12
	s_lshl_b64 s[0:1], s[0:1], 3
	s_add_u32 s0, s0, s4
	s_addc_u32 s1, s1, s5
	s_add_u32 s14, s0, 8
	s_addc_u32 s15, s1, 0
	s_mov_b64 s[16:17], s[8:9]
.LBB279_3:                              ; =>This Inner Loop Header: Depth=1
	s_load_dwordx2 s[18:19], s[14:15], 0x0
	s_waitcnt lgkmcnt(0)
	s_or_b64 s[0:1], s[16:17], s[18:19]
	s_mov_b32 s13, s1
	s_cmp_lg_u64 s[12:13], 0
	s_cbranch_scc0 .LBB279_8
; %bb.4:                                ;   in Loop: Header=BB279_3 Depth=1
	v_cvt_f32_u32_e32 v1, s18
	v_cvt_f32_u32_e32 v2, s19
	s_sub_u32 s0, 0, s18
	s_subb_u32 s1, 0, s19
	v_mac_f32_e32 v1, 0x4f800000, v2
	v_rcp_f32_e32 v1, v1
	v_mul_f32_e32 v1, 0x5f7ffffc, v1
	v_mul_f32_e32 v2, 0x2f800000, v1
	v_trunc_f32_e32 v2, v2
	v_mac_f32_e32 v1, 0xcf800000, v2
	v_cvt_u32_f32_e32 v2, v2
	v_cvt_u32_f32_e32 v1, v1
	v_readfirstlane_b32 s10, v2
	v_readfirstlane_b32 s11, v1
	s_mul_i32 s13, s0, s10
	s_mul_hi_u32 s23, s0, s11
	s_mul_i32 s22, s1, s11
	s_add_i32 s13, s23, s13
	s_mul_i32 s24, s0, s11
	s_add_i32 s13, s13, s22
	s_mul_hi_u32 s22, s11, s13
	s_mul_i32 s23, s11, s13
	s_mul_hi_u32 s11, s11, s24
	s_add_u32 s11, s11, s23
	s_addc_u32 s22, 0, s22
	s_mul_hi_u32 s25, s10, s24
	s_mul_i32 s24, s10, s24
	s_add_u32 s11, s11, s24
	s_mul_hi_u32 s23, s10, s13
	s_addc_u32 s11, s22, s25
	s_addc_u32 s22, s23, 0
	s_mul_i32 s13, s10, s13
	s_add_u32 s11, s11, s13
	s_addc_u32 s13, 0, s22
	v_add_co_u32_e32 v1, vcc, s11, v1
	s_cmp_lg_u64 vcc, 0
	s_addc_u32 s10, s10, s13
	v_readfirstlane_b32 s13, v1
	s_mul_i32 s11, s0, s10
	s_mul_hi_u32 s22, s0, s13
	s_add_i32 s11, s22, s11
	s_mul_i32 s1, s1, s13
	s_add_i32 s11, s11, s1
	s_mul_i32 s0, s0, s13
	s_mul_hi_u32 s22, s10, s0
	s_mul_i32 s23, s10, s0
	s_mul_i32 s25, s13, s11
	s_mul_hi_u32 s0, s13, s0
	s_mul_hi_u32 s24, s13, s11
	s_add_u32 s0, s0, s25
	s_addc_u32 s13, 0, s24
	s_add_u32 s0, s0, s23
	s_mul_hi_u32 s1, s10, s11
	s_addc_u32 s0, s13, s22
	s_addc_u32 s1, s1, 0
	s_mul_i32 s11, s10, s11
	s_add_u32 s0, s0, s11
	s_addc_u32 s1, 0, s1
	v_add_co_u32_e32 v1, vcc, s0, v1
	s_cmp_lg_u64 vcc, 0
	s_addc_u32 s0, s10, s1
	v_readfirstlane_b32 s11, v1
	s_mul_i32 s10, s16, s0
	s_mul_hi_u32 s13, s16, s11
	s_mul_hi_u32 s1, s16, s0
	s_add_u32 s10, s13, s10
	s_addc_u32 s1, 0, s1
	s_mul_hi_u32 s22, s17, s11
	s_mul_i32 s11, s17, s11
	s_add_u32 s10, s10, s11
	s_mul_hi_u32 s13, s17, s0
	s_addc_u32 s1, s1, s22
	s_addc_u32 s10, s13, 0
	s_mul_i32 s0, s17, s0
	s_add_u32 s13, s1, s0
	s_addc_u32 s10, 0, s10
	s_mul_i32 s0, s18, s10
	s_mul_hi_u32 s1, s18, s13
	s_add_i32 s0, s1, s0
	s_mul_i32 s1, s19, s13
	s_add_i32 s11, s0, s1
	s_mul_i32 s1, s18, s13
	v_mov_b32_e32 v1, s1
	s_sub_i32 s0, s17, s11
	v_sub_co_u32_e32 v1, vcc, s16, v1
	s_cmp_lg_u64 vcc, 0
	s_subb_u32 s22, s0, s19
	v_subrev_co_u32_e64 v2, s[0:1], s18, v1
	s_cmp_lg_u64 s[0:1], 0
	s_subb_u32 s0, s22, 0
	s_cmp_ge_u32 s0, s19
	v_readfirstlane_b32 s22, v2
	s_cselect_b32 s1, -1, 0
	s_cmp_ge_u32 s22, s18
	s_cselect_b32 s22, -1, 0
	s_cmp_eq_u32 s0, s19
	s_cselect_b32 s0, s22, s1
	s_add_u32 s1, s13, 1
	s_addc_u32 s22, s10, 0
	s_add_u32 s23, s13, 2
	s_addc_u32 s24, s10, 0
	s_cmp_lg_u32 s0, 0
	s_cselect_b32 s0, s23, s1
	s_cselect_b32 s1, s24, s22
	s_cmp_lg_u64 vcc, 0
	s_subb_u32 s11, s17, s11
	s_cmp_ge_u32 s11, s19
	v_readfirstlane_b32 s23, v1
	s_cselect_b32 s22, -1, 0
	s_cmp_ge_u32 s23, s18
	s_cselect_b32 s23, -1, 0
	s_cmp_eq_u32 s11, s19
	s_cselect_b32 s11, s23, s22
	s_cmp_lg_u32 s11, 0
	s_cselect_b32 s11, s1, s10
	s_cselect_b32 s10, s0, s13
	s_cbranch_execnz .LBB279_6
.LBB279_5:                              ;   in Loop: Header=BB279_3 Depth=1
	v_cvt_f32_u32_e32 v1, s18
	s_sub_i32 s0, 0, s18
	v_rcp_iflag_f32_e32 v1, v1
	v_mul_f32_e32 v1, 0x4f7ffffe, v1
	v_cvt_u32_f32_e32 v1, v1
	v_readfirstlane_b32 s1, v1
	s_mul_i32 s0, s0, s1
	s_mul_hi_u32 s0, s1, s0
	s_add_i32 s1, s1, s0
	s_mul_hi_u32 s0, s16, s1
	s_mul_i32 s10, s0, s18
	s_sub_i32 s10, s16, s10
	s_add_i32 s1, s0, 1
	s_sub_i32 s11, s10, s18
	s_cmp_ge_u32 s10, s18
	s_cselect_b32 s0, s1, s0
	s_cselect_b32 s10, s11, s10
	s_add_i32 s1, s0, 1
	s_cmp_ge_u32 s10, s18
	s_cselect_b32 s10, s1, s0
	s_mov_b32 s11, s12
.LBB279_6:                              ;   in Loop: Header=BB279_3 Depth=1
	s_mul_i32 s0, s10, s19
	s_mul_hi_u32 s1, s10, s18
	s_add_i32 s13, s1, s0
	s_load_dwordx2 s[0:1], s[14:15], 0xc8
	s_mul_i32 s19, s11, s18
	s_add_i32 s13, s13, s19
	s_mul_i32 s18, s10, s18
	s_sub_u32 s16, s16, s18
	s_subb_u32 s13, s17, s13
	s_waitcnt lgkmcnt(0)
	s_mul_i32 s13, s0, s13
	s_mul_hi_u32 s17, s0, s16
	s_add_i32 s13, s17, s13
	s_mul_i32 s1, s1, s16
	s_add_i32 s13, s13, s1
	s_mul_i32 s0, s0, s16
	s_add_u32 s6, s0, s6
	s_addc_u32 s7, s13, s7
	s_add_i32 s3, s3, -1
	s_add_u32 s14, s14, -8
	s_addc_u32 s15, s15, -1
	s_cmp_gt_u32 s3, 2
	s_cbranch_scc0 .LBB279_9
; %bb.7:                                ;   in Loop: Header=BB279_3 Depth=1
	s_mov_b64 s[16:17], s[10:11]
	s_branch .LBB279_3
.LBB279_8:                              ;   in Loop: Header=BB279_3 Depth=1
                                        ; implicit-def: $sgpr10_sgpr11
	s_branch .LBB279_5
.LBB279_9:
	s_load_dword s0, s[4:5], 0x350
	s_load_dwordx2 s[14:15], s[4:5], 0xd0
	s_mov_b64 s[12:13], 0
	s_waitcnt lgkmcnt(0)
	s_cmp_lt_i32 s0, 2
	s_cbranch_scc1 .LBB279_17
; %bb.10:
	s_mov_b32 s16, 0
	s_add_i32 s3, s0, 1
	s_add_i32 s0, s0, -1
	s_mov_b32 s1, s16
	s_lshl_b64 s[0:1], s[0:1], 3
	s_add_u32 s0, s0, s4
	s_addc_u32 s1, s1, s5
	s_add_u32 s18, s0, 0x1c0
	s_addc_u32 s19, s1, 0
.LBB279_11:                             ; =>This Inner Loop Header: Depth=1
	s_load_dwordx2 s[22:23], s[18:19], 0x0
	s_waitcnt lgkmcnt(0)
	s_or_b64 s[0:1], s[8:9], s[22:23]
	s_mov_b32 s17, s1
	s_cmp_lg_u64 s[16:17], 0
	s_cbranch_scc0 .LBB279_16
; %bb.12:                               ;   in Loop: Header=BB279_11 Depth=1
	v_cvt_f32_u32_e32 v1, s22
	v_cvt_f32_u32_e32 v2, s23
	s_sub_u32 s0, 0, s22
	s_subb_u32 s1, 0, s23
	v_mac_f32_e32 v1, 0x4f800000, v2
	v_rcp_f32_e32 v1, v1
	v_mul_f32_e32 v1, 0x5f7ffffc, v1
	v_mul_f32_e32 v2, 0x2f800000, v1
	v_trunc_f32_e32 v2, v2
	v_mac_f32_e32 v1, 0xcf800000, v2
	v_cvt_u32_f32_e32 v2, v2
	v_cvt_u32_f32_e32 v1, v1
	v_readfirstlane_b32 s17, v2
	v_readfirstlane_b32 s24, v1
	s_mul_i32 s25, s0, s17
	s_mul_hi_u32 s27, s0, s24
	s_mul_i32 s26, s1, s24
	s_add_i32 s25, s27, s25
	s_mul_i32 s28, s0, s24
	s_add_i32 s25, s25, s26
	s_mul_hi_u32 s26, s24, s25
	s_mul_i32 s27, s24, s25
	s_mul_hi_u32 s24, s24, s28
	s_add_u32 s24, s24, s27
	s_addc_u32 s26, 0, s26
	s_mul_hi_u32 s29, s17, s28
	s_mul_i32 s28, s17, s28
	s_add_u32 s24, s24, s28
	s_mul_hi_u32 s27, s17, s25
	s_addc_u32 s24, s26, s29
	s_addc_u32 s26, s27, 0
	s_mul_i32 s25, s17, s25
	s_add_u32 s24, s24, s25
	s_addc_u32 s25, 0, s26
	v_add_co_u32_e32 v1, vcc, s24, v1
	s_cmp_lg_u64 vcc, 0
	s_addc_u32 s17, s17, s25
	v_readfirstlane_b32 s25, v1
	s_mul_i32 s24, s0, s17
	s_mul_hi_u32 s26, s0, s25
	s_add_i32 s24, s26, s24
	s_mul_i32 s1, s1, s25
	s_add_i32 s24, s24, s1
	s_mul_i32 s0, s0, s25
	s_mul_hi_u32 s26, s17, s0
	s_mul_i32 s27, s17, s0
	s_mul_i32 s29, s25, s24
	s_mul_hi_u32 s0, s25, s0
	s_mul_hi_u32 s28, s25, s24
	s_add_u32 s0, s0, s29
	s_addc_u32 s25, 0, s28
	s_add_u32 s0, s0, s27
	s_mul_hi_u32 s1, s17, s24
	s_addc_u32 s0, s25, s26
	s_addc_u32 s1, s1, 0
	s_mul_i32 s24, s17, s24
	s_add_u32 s0, s0, s24
	s_addc_u32 s1, 0, s1
	v_add_co_u32_e32 v1, vcc, s0, v1
	s_cmp_lg_u64 vcc, 0
	s_addc_u32 s0, s17, s1
	v_readfirstlane_b32 s24, v1
	s_mul_i32 s17, s8, s0
	s_mul_hi_u32 s25, s8, s24
	s_mul_hi_u32 s1, s8, s0
	s_add_u32 s17, s25, s17
	s_addc_u32 s1, 0, s1
	s_mul_hi_u32 s26, s9, s24
	s_mul_i32 s24, s9, s24
	s_add_u32 s17, s17, s24
	s_mul_hi_u32 s25, s9, s0
	s_addc_u32 s1, s1, s26
	s_addc_u32 s17, s25, 0
	s_mul_i32 s0, s9, s0
	s_add_u32 s24, s1, s0
	s_addc_u32 s17, 0, s17
	s_mul_i32 s0, s22, s17
	s_mul_hi_u32 s1, s22, s24
	s_add_i32 s0, s1, s0
	s_mul_i32 s1, s23, s24
	s_add_i32 s25, s0, s1
	s_mul_i32 s1, s22, s24
	v_mov_b32_e32 v1, s1
	s_sub_i32 s0, s9, s25
	v_sub_co_u32_e32 v1, vcc, s8, v1
	s_cmp_lg_u64 vcc, 0
	s_subb_u32 s26, s0, s23
	v_subrev_co_u32_e64 v2, s[0:1], s22, v1
	s_cmp_lg_u64 s[0:1], 0
	s_subb_u32 s0, s26, 0
	s_cmp_ge_u32 s0, s23
	v_readfirstlane_b32 s26, v2
	s_cselect_b32 s1, -1, 0
	s_cmp_ge_u32 s26, s22
	s_cselect_b32 s26, -1, 0
	s_cmp_eq_u32 s0, s23
	s_cselect_b32 s0, s26, s1
	s_add_u32 s1, s24, 1
	s_addc_u32 s26, s17, 0
	s_add_u32 s27, s24, 2
	s_addc_u32 s28, s17, 0
	s_cmp_lg_u32 s0, 0
	s_cselect_b32 s0, s27, s1
	s_cselect_b32 s1, s28, s26
	s_cmp_lg_u64 vcc, 0
	s_subb_u32 s25, s9, s25
	s_cmp_ge_u32 s25, s23
	v_readfirstlane_b32 s27, v1
	s_cselect_b32 s26, -1, 0
	s_cmp_ge_u32 s27, s22
	s_cselect_b32 s27, -1, 0
	s_cmp_eq_u32 s25, s23
	s_cselect_b32 s25, s27, s26
	s_cmp_lg_u32 s25, 0
	s_cselect_b32 s27, s1, s17
	s_cselect_b32 s26, s0, s24
	s_cbranch_execnz .LBB279_14
.LBB279_13:                             ;   in Loop: Header=BB279_11 Depth=1
	v_cvt_f32_u32_e32 v1, s22
	s_sub_i32 s0, 0, s22
	s_mov_b32 s27, s16
	v_rcp_iflag_f32_e32 v1, v1
	v_mul_f32_e32 v1, 0x4f7ffffe, v1
	v_cvt_u32_f32_e32 v1, v1
	v_readfirstlane_b32 s1, v1
	s_mul_i32 s0, s0, s1
	s_mul_hi_u32 s0, s1, s0
	s_add_i32 s1, s1, s0
	s_mul_hi_u32 s0, s8, s1
	s_mul_i32 s17, s0, s22
	s_sub_i32 s17, s8, s17
	s_add_i32 s1, s0, 1
	s_sub_i32 s24, s17, s22
	s_cmp_ge_u32 s17, s22
	s_cselect_b32 s0, s1, s0
	s_cselect_b32 s17, s24, s17
	s_add_i32 s1, s0, 1
	s_cmp_ge_u32 s17, s22
	s_cselect_b32 s26, s1, s0
.LBB279_14:                             ;   in Loop: Header=BB279_11 Depth=1
	s_mul_i32 s0, s26, s23
	s_mul_hi_u32 s1, s26, s22
	s_add_i32 s17, s1, s0
	s_load_dwordx2 s[0:1], s[18:19], 0xc8
	s_mul_i32 s23, s27, s22
	s_add_i32 s17, s17, s23
	s_mul_i32 s22, s26, s22
	s_sub_u32 s8, s8, s22
	s_subb_u32 s9, s9, s17
	s_waitcnt lgkmcnt(0)
	s_mul_i32 s9, s0, s9
	s_mul_hi_u32 s17, s0, s8
	s_add_i32 s9, s17, s9
	s_mul_i32 s1, s1, s8
	s_add_i32 s9, s9, s1
	s_mul_i32 s0, s0, s8
	s_add_u32 s12, s0, s12
	s_addc_u32 s13, s9, s13
	s_add_i32 s3, s3, -1
	s_add_u32 s18, s18, -8
	s_addc_u32 s19, s19, -1
	s_cmp_gt_u32 s3, 2
	s_cbranch_scc0 .LBB279_18
; %bb.15:                               ;   in Loop: Header=BB279_11 Depth=1
	s_mov_b64 s[8:9], s[26:27]
	s_branch .LBB279_11
.LBB279_16:                             ;   in Loop: Header=BB279_11 Depth=1
                                        ; implicit-def: $sgpr26_sgpr27
	s_branch .LBB279_13
.LBB279_17:
	s_mov_b64 s[26:27], s[8:9]
.LBB279_18:
	s_mul_i32 s0, s14, s11
	s_mul_hi_u32 s1, s14, s10
	s_load_dword s3, s[4:5], 0x360
	s_add_i32 s0, s1, s0
	s_mul_i32 s1, s15, s10
	s_add_i32 s16, s0, s1
	s_load_dwordx2 s[0:1], s[4:5], 0x0
	s_load_dwordx2 s[8:9], s[4:5], 0x288
	s_mul_i32 s17, s14, s10
	s_load_dwordx2 s[10:11], s[4:5], 0x1b8
	s_waitcnt lgkmcnt(0)
	s_bitcmp1_b32 s3, 0
	s_cselect_b64 s[14:15], -1, 0
	s_add_u32 s0, s0, s17
	s_addc_u32 s1, s1, s16
	s_add_u32 s24, s0, s6
	s_addc_u32 s25, s1, s7
	s_xor_b64 s[6:7], s[14:15], -1
	v_cndmask_b32_e64 v3, 0, 1, s[6:7]
	v_lshlrev_b16_e32 v1, 8, v3
	v_or_b32_e32 v1, v3, v1
	v_and_b32_e32 v2, 0xffff, v1
	v_cmp_gt_u32_e64 s[0:1], s2, v0
	s_and_saveexec_b64 s[14:15], s[0:1]
	s_cbranch_execz .LBB279_20
; %bb.19:
	v_pk_mov_b32 v[4:5], s[24:25], s[24:25] op_sel:[0,1]
	v_mad_u64_u32 v[4:5], s[16:17], v0, s20, v[4:5]
	v_mov_b32_e32 v6, v5
	v_mad_u64_u32 v[6:7], s[16:17], v0, s21, v[6:7]
	v_mov_b32_e32 v5, v6
	global_load_ubyte v3, v[4:5], off
	v_and_b32_e32 v1, 0x100, v2
	s_waitcnt vmcnt(0)
	v_or_b32_e32 v1, v3, v1
	v_and_b32_e32 v2, 0xffff, v1
.LBB279_20:
	s_or_b64 exec, exec, s[14:15]
	v_or_b32_e32 v1, 16, v0
	v_cmp_gt_u32_e64 s[2:3], s2, v1
	s_and_saveexec_b64 s[14:15], s[2:3]
	s_cbranch_execz .LBB279_22
; %bb.21:
	v_pk_mov_b32 v[4:5], s[24:25], s[24:25] op_sel:[0,1]
	v_mad_u64_u32 v[4:5], s[16:17], v1, s20, v[4:5]
	v_mov_b32_e32 v6, v5
	v_mad_u64_u32 v[6:7], s[16:17], v1, s21, v[6:7]
	v_mov_b32_e32 v5, v6
	global_load_ubyte v4, v[4:5], off
	s_waitcnt vmcnt(0)
	v_lshlrev_b16_e32 v4, 8, v4
	v_or_b32_sdwa v2, v2, v4 dst_sel:DWORD dst_unused:UNUSED_PAD src0_sel:BYTE_0 src1_sel:DWORD
	v_and_b32_e32 v2, 0xffff, v2
.LBB279_22:
	s_or_b64 exec, exec, s[14:15]
	s_mul_i32 s14, s8, s27
	s_mul_hi_u32 s15, s8, s26
	s_add_i32 s14, s15, s14
	s_mul_i32 s9, s9, s26
	s_add_i32 s9, s14, s9
	s_mul_i32 s8, s8, s26
	s_lshl_b64 s[8:9], s[8:9], 3
	s_add_u32 s10, s10, s8
	v_lshrrev_b16_e32 v2, 8, v2
	v_lshlrev_b32_e32 v18, 1, v0
	s_addc_u32 s11, s11, s9
	s_lshl_b64 s[8:9], s[12:13], 3
	s_load_dwordx2 s[22:23], s[4:5], 0x358
	ds_write_b8 v0, v3
	ds_write_b8 v0, v2 offset:16
	s_waitcnt lgkmcnt(0)
	; wave barrier
	s_waitcnt lgkmcnt(0)
	ds_read_u8 v22, v18
	ds_read_u8 v21, v18 offset:1
	s_add_u32 s30, s10, s8
	s_mov_b32 s8, 0
	s_addc_u32 s31, s11, s9
	s_mov_b32 s9, s8
	s_mov_b32 s10, s8
	s_mov_b32 s11, s8
	v_pk_mov_b32 v[2:3], s[8:9], s[8:9] op_sel:[0,1]
	v_pk_mov_b32 v[4:5], s[10:11], s[10:11] op_sel:[0,1]
	v_pk_mov_b32 v[2:3], 0, 0
	s_waitcnt lgkmcnt(0)
	; wave barrier
	s_waitcnt lgkmcnt(0)
	s_and_saveexec_b64 s[4:5], s[0:1]
	s_cbranch_execz .LBB279_24
; %bb.23:
	v_mad_u64_u32 v[2:3], s[8:9], v0, s22, 0
	v_mov_b32_e32 v4, v3
	v_mad_u64_u32 v[4:5], s[8:9], v0, s23, v[4:5]
	v_mov_b32_e32 v3, v4
	v_lshlrev_b64 v[2:3], 3, v[2:3]
	v_mov_b32_e32 v4, s31
	v_add_co_u32_e32 v2, vcc, s30, v2
	v_addc_co_u32_e32 v3, vcc, v4, v3, vcc
	global_load_dwordx2 v[2:3], v[2:3], off
	v_mov_b32_e32 v4, 0
	v_mov_b32_e32 v5, v4
.LBB279_24:
	s_or_b64 exec, exec, s[4:5]
	s_and_saveexec_b64 s[4:5], s[2:3]
	s_cbranch_execz .LBB279_26
; %bb.25:
	v_mad_u64_u32 v[4:5], s[8:9], v1, s22, 0
	v_mov_b32_e32 v6, v5
	v_mad_u64_u32 v[6:7], s[8:9], v1, s23, v[6:7]
	v_mov_b32_e32 v5, v6
	v_lshlrev_b64 v[4:5], 3, v[4:5]
	v_mov_b32_e32 v6, s31
	v_add_co_u32_e32 v4, vcc, s30, v4
	v_addc_co_u32_e32 v5, vcc, v6, v5, vcc
	global_load_dwordx2 v[4:5], v[4:5], off
.LBB279_26:
	s_or_b64 exec, exec, s[4:5]
	v_lshlrev_b32_e32 v19, 3, v0
	v_lshlrev_b32_e32 v20, 3, v18
	s_waitcnt vmcnt(0)
	ds_write2_b64 v19, v[2:3], v[4:5] offset1:16
	s_waitcnt lgkmcnt(0)
	; wave barrier
	s_waitcnt lgkmcnt(0)
	ds_read2_b64 v[2:5], v20 offset1:1
	s_and_b64 vcc, exec, s[6:7]
	s_waitcnt lgkmcnt(0)
	; wave barrier
	s_waitcnt lgkmcnt(0)
	s_cbranch_vccz .LBB279_34
; %bb.27:
	s_movk_i32 s6, 0x80
	v_cmp_gt_u32_e32 vcc, s6, v0
	s_getpc_b64 s[4:5]
	s_add_u32 s4, s4, _ZN7rocprim17ROCPRIM_400000_NS16block_radix_sortIbLj16ELj2ElLj1ELj1ELj0ELNS0_26block_radix_rank_algorithmE1ELNS0_18block_padding_hintE2ELNS0_4arch9wavefront6targetE1EE19radix_bits_per_passE@rel32@lo+4
	s_addc_u32 s5, s5, _ZN7rocprim17ROCPRIM_400000_NS16block_radix_sortIbLj16ELj2ElLj1ELj1ELj0ELNS0_26block_radix_rank_algorithmE1ELNS0_18block_padding_hintE2ELNS0_4arch9wavefront6targetE1EE19radix_bits_per_passE@rel32@hi+12
	s_and_saveexec_b64 s[6:7], vcc
	s_cbranch_execz .LBB279_35
; %bb.28:
	s_mov_b32 s14, 0
	s_mov_b64 s[8:9], 0
	v_mov_b32_e32 v8, 0
	v_pk_mov_b32 v[6:7], v[0:1], v[0:1] op_sel:[0,1]
	s_branch .LBB279_30
.LBB279_29:                             ;   in Loop: Header=BB279_30 Depth=1
	s_or_b64 exec, exec, s[12:13]
	s_add_i32 s14, s14, 2
	v_cmp_eq_u32_e64 s[10:11], 8, s14
	v_add_u32_e32 v7, 32, v7
	s_or_b64 s[8:9], s[10:11], s[8:9]
	v_add_u32_e32 v6, 32, v6
	s_andn2_b64 exec, exec, s[8:9]
	s_cbranch_execz .LBB279_35
.LBB279_30:                             ; =>This Inner Loop Header: Depth=1
	s_or_b32 s10, s14, 1
	v_cmp_le_u32_e64 s[10:11], s10, 7
	v_cmp_le_u32_e64 s[16:17], s14, 7
	s_and_saveexec_b64 s[12:13], s[16:17]
	s_cbranch_execz .LBB279_32
; %bb.31:                               ;   in Loop: Header=BB279_30 Depth=1
	v_lshlrev_b32_e32 v9, 2, v6
	ds_write_b32 v9, v8
.LBB279_32:                             ;   in Loop: Header=BB279_30 Depth=1
	s_or_b64 exec, exec, s[12:13]
	s_and_saveexec_b64 s[12:13], s[10:11]
	s_cbranch_execz .LBB279_29
; %bb.33:                               ;   in Loop: Header=BB279_30 Depth=1
	v_lshlrev_b32_e32 v9, 2, v7
	ds_write_b32 v9, v8
	s_branch .LBB279_29
.LBB279_34:
                                        ; implicit-def: $vgpr8_vgpr9
                                        ; implicit-def: $vgpr10
	s_cbranch_execnz .LBB279_47
	s_branch .LBB279_66
.LBB279_35:
	s_or_b64 exec, exec, s[6:7]
	s_load_dword s4, s[4:5], 0x0
	v_lshlrev_b32_e32 v23, 1, v18
	v_lshlrev_b32_e32 v24, 5, v0
	s_waitcnt lgkmcnt(0)
	s_min_u32 s4, s4, 8
	s_lshl_b32 s4, -1, s4
	s_not_b32 s4, s4
	v_and_b32_e32 v6, s4, v22
	v_and_b32_e32 v6, 0xff, v6
	v_lshl_or_b32 v16, v6, 6, v23
	ds_read_u16 v15, v16
	v_and_b32_e32 v6, s4, v21
	v_and_b32_e32 v6, 0xff, v6
	v_lshl_or_b32 v17, v6, 6, v23
	v_cmp_eq_u32_e64 s[4:5], 15, v0
	s_waitcnt lgkmcnt(0)
	v_add_u16_e32 v6, 1, v15
	ds_write_b16 v16, v6
	ds_read_u16 v26, v17
	v_mbcnt_lo_u32_b32 v6, -1, 0
	v_mbcnt_hi_u32_b32 v27, -1, v6
	v_and_b32_e32 v14, 15, v27
	v_cmp_eq_u32_e64 s[6:7], 0, v14
	s_waitcnt lgkmcnt(0)
	v_add_u16_e32 v6, 1, v26
	ds_write_b16 v17, v6
	s_waitcnt lgkmcnt(0)
	; wave barrier
	s_waitcnt lgkmcnt(0)
	ds_read2_b32 v[12:13], v24 offset1:1
	ds_read2_b32 v[10:11], v24 offset0:2 offset1:3
	ds_read2_b32 v[6:7], v24 offset0:4 offset1:5
	;; [unrolled: 1-line block ×3, first 2 shown]
	v_cmp_lt_u32_e64 s[8:9], 1, v14
	s_waitcnt lgkmcnt(3)
	v_add_u32_e32 v25, v13, v12
	s_waitcnt lgkmcnt(2)
	v_add3_u32 v25, v25, v10, v11
	s_waitcnt lgkmcnt(1)
	v_add3_u32 v25, v25, v6, v7
	;; [unrolled: 2-line block ×3, first 2 shown]
	v_cmp_lt_u32_e64 s[10:11], 3, v14
	v_cmp_lt_u32_e64 s[14:15], 7, v14
	v_mov_b32_dpp v25, v9 row_shr:1 row_mask:0xf bank_mask:0xf
	v_cndmask_b32_e64 v25, v25, 0, s[6:7]
	v_add_u32_e32 v9, v25, v9
	s_nop 1
	v_mov_b32_dpp v25, v9 row_shr:2 row_mask:0xf bank_mask:0xf
	v_cndmask_b32_e64 v25, 0, v25, s[8:9]
	v_add_u32_e32 v9, v9, v25
	s_nop 1
	v_mov_b32_dpp v25, v9 row_shr:4 row_mask:0xf bank_mask:0xf
	v_cndmask_b32_e64 v25, 0, v25, s[10:11]
	v_add_u32_e32 v9, v9, v25
	s_nop 1
	v_mov_b32_dpp v25, v9 row_shr:8 row_mask:0xf bank_mask:0xf
	v_cndmask_b32_e64 v14, 0, v25, s[14:15]
	v_add_u32_e32 v9, v9, v14
	s_and_saveexec_b64 s[12:13], s[4:5]
	s_cbranch_execz .LBB279_37
; %bb.36:
	v_mov_b32_e32 v14, 0
	ds_write_b32 v14, v9 offset:512
.LBB279_37:
	s_or_b64 exec, exec, s[12:13]
	v_add_u32_e32 v14, -1, v27
	v_and_b32_e32 v25, 0x70, v27
	v_cmp_lt_i32_e64 s[12:13], v14, v25
	v_cndmask_b32_e64 v14, v14, v27, s[12:13]
	v_lshlrev_b32_e32 v25, 2, v14
	ds_bpermute_b32 v9, v25, v9
	v_mov_b32_e32 v14, 0
	s_waitcnt lgkmcnt(0)
	; wave barrier
	s_waitcnt lgkmcnt(0)
	ds_read_b32 v28, v14 offset:512
	v_cmp_eq_u32_e64 s[12:13], 0, v27
	v_cndmask_b32_e64 v9, v9, 0, s[12:13]
	s_waitcnt lgkmcnt(0)
	v_lshl_add_u32 v9, v28, 16, v9
	v_add_u32_e32 v12, v9, v12
	v_add_u32_e32 v13, v12, v13
	;; [unrolled: 1-line block ×7, first 2 shown]
	ds_write2_b32 v24, v9, v12 offset1:1
	ds_write2_b32 v24, v13, v10 offset0:2 offset1:3
	ds_write2_b32 v24, v11, v6 offset0:4 offset1:5
	;; [unrolled: 1-line block ×3, first 2 shown]
	s_waitcnt lgkmcnt(0)
	; wave barrier
	s_waitcnt lgkmcnt(0)
	ds_read_u16 v6, v16
	ds_read_u16 v7, v17
	s_waitcnt lgkmcnt(0)
	; wave barrier
	s_waitcnt lgkmcnt(0)
	v_add_u32_sdwa v6, v6, v15 dst_sel:DWORD dst_unused:UNUSED_PAD src0_sel:DWORD src1_sel:WORD_0
	v_add_u32_sdwa v7, v7, v26 dst_sel:DWORD dst_unused:UNUSED_PAD src0_sel:DWORD src1_sel:WORD_0
	ds_write_b8 v6, v22
	ds_write_b8 v7, v21
	v_lshlrev_b32_e32 v6, 3, v6
	s_waitcnt lgkmcnt(0)
	; wave barrier
	s_waitcnt lgkmcnt(0)
	ds_read_u8 v26, v18
	ds_read_u8 v27, v18 offset:1
	s_waitcnt lgkmcnt(0)
	; wave barrier
	s_waitcnt lgkmcnt(0)
	ds_write_b64 v6, v[2:3]
	v_lshlrev_b32_e32 v6, 3, v7
	ds_write_b64 v6, v[4:5]
	s_waitcnt lgkmcnt(0)
	; wave barrier
	s_waitcnt lgkmcnt(0)
	ds_read2_b64 v[6:9], v20 offset1:1
	s_waitcnt lgkmcnt(0)
	; wave barrier
	s_waitcnt lgkmcnt(0)
	s_and_saveexec_b64 s[16:17], vcc
	s_cbranch_execz .LBB279_44
; %bb.38:
	s_mov_b32 s33, 0
	s_mov_b64 s[18:19], 0
	v_pk_mov_b32 v[10:11], v[0:1], v[0:1] op_sel:[0,1]
	s_branch .LBB279_40
.LBB279_39:                             ;   in Loop: Header=BB279_40 Depth=1
	s_or_b64 exec, exec, s[28:29]
	s_add_i32 s33, s33, 2
	v_cmp_eq_u32_e64 s[26:27], 8, s33
	v_add_u32_e32 v11, 32, v11
	s_or_b64 s[18:19], s[26:27], s[18:19]
	v_add_u32_e32 v10, 32, v10
	s_andn2_b64 exec, exec, s[18:19]
	s_cbranch_execz .LBB279_44
.LBB279_40:                             ; =>This Inner Loop Header: Depth=1
	s_or_b32 s26, s33, 1
	v_cmp_le_u32_e64 s[26:27], s26, 7
	v_cmp_le_u32_e64 s[34:35], s33, 7
	s_and_saveexec_b64 s[28:29], s[34:35]
	s_cbranch_execz .LBB279_42
; %bb.41:                               ;   in Loop: Header=BB279_40 Depth=1
	v_lshlrev_b32_e32 v12, 2, v10
	ds_write_b32 v12, v14
.LBB279_42:                             ;   in Loop: Header=BB279_40 Depth=1
	s_or_b64 exec, exec, s[28:29]
	s_and_saveexec_b64 s[28:29], s[26:27]
	s_cbranch_execz .LBB279_39
; %bb.43:                               ;   in Loop: Header=BB279_40 Depth=1
	v_lshlrev_b32_e32 v12, 2, v11
	ds_write_b32 v12, v14
	s_branch .LBB279_39
.LBB279_44:
	s_or_b64 exec, exec, s[16:17]
	ds_read_u16 v28, v23
	s_waitcnt lgkmcnt(0)
	v_add_u16_e32 v10, 2, v28
	ds_write_b16 v23, v10
	s_waitcnt lgkmcnt(0)
	; wave barrier
	s_waitcnt lgkmcnt(0)
	ds_read2_b32 v[16:17], v24 offset1:1
	ds_read2_b32 v[14:15], v24 offset0:2 offset1:3
	ds_read2_b32 v[10:11], v24 offset0:4 offset1:5
	;; [unrolled: 1-line block ×3, first 2 shown]
	s_waitcnt lgkmcnt(3)
	v_add_u32_e32 v29, v17, v16
	s_waitcnt lgkmcnt(2)
	v_add3_u32 v29, v29, v14, v15
	s_waitcnt lgkmcnt(1)
	v_add3_u32 v29, v29, v10, v11
	;; [unrolled: 2-line block ×3, first 2 shown]
	s_nop 1
	v_mov_b32_dpp v29, v13 row_shr:1 row_mask:0xf bank_mask:0xf
	v_cndmask_b32_e64 v29, v29, 0, s[6:7]
	v_add_u32_e32 v13, v29, v13
	s_nop 1
	v_mov_b32_dpp v29, v13 row_shr:2 row_mask:0xf bank_mask:0xf
	v_cndmask_b32_e64 v29, 0, v29, s[8:9]
	v_add_u32_e32 v13, v13, v29
	;; [unrolled: 4-line block ×4, first 2 shown]
	s_and_saveexec_b64 s[6:7], s[4:5]
	s_cbranch_execz .LBB279_46
; %bb.45:
	v_mov_b32_e32 v29, 0
	ds_write_b32 v29, v13 offset:512
.LBB279_46:
	s_or_b64 exec, exec, s[6:7]
	ds_bpermute_b32 v13, v25, v13
	v_mov_b32_e32 v25, 0
	s_waitcnt lgkmcnt(0)
	; wave barrier
	s_waitcnt lgkmcnt(0)
	ds_read_b32 v25, v25 offset:512
	v_cndmask_b32_e64 v13, v13, 0, s[12:13]
	s_waitcnt lgkmcnt(0)
	v_lshl_add_u32 v13, v25, 16, v13
	v_add_u32_e32 v16, v13, v16
	v_add_u32_e32 v17, v16, v17
	;; [unrolled: 1-line block ×7, first 2 shown]
	ds_write2_b32 v24, v13, v16 offset1:1
	ds_write2_b32 v24, v17, v14 offset0:2 offset1:3
	ds_write2_b32 v24, v15, v10 offset0:4 offset1:5
	;; [unrolled: 1-line block ×3, first 2 shown]
	s_waitcnt lgkmcnt(0)
	; wave barrier
	s_waitcnt lgkmcnt(0)
	ds_read_u16 v10, v23
	v_add_u16_e32 v11, 1, v28
	s_waitcnt lgkmcnt(0)
	; wave barrier
	s_waitcnt lgkmcnt(0)
	v_add_u32_e32 v11, v10, v11
	v_add_u32_sdwa v10, v10, v28 dst_sel:DWORD dst_unused:UNUSED_PAD src0_sel:DWORD src1_sel:WORD_0
	ds_write_b8 v10, v26
	ds_write_b8 v11, v27
	s_waitcnt lgkmcnt(0)
	; wave barrier
	s_waitcnt lgkmcnt(0)
	ds_read_u8 v12, v18
	ds_read_u8 v13, v18 offset:1
	v_lshlrev_b32_e32 v10, 3, v10
	s_waitcnt lgkmcnt(0)
	; wave barrier
	s_waitcnt lgkmcnt(0)
	ds_write_b64 v10, v[6:7]
	v_lshlrev_b32_e32 v6, 3, v11
	ds_write_b64 v6, v[8:9]
	s_waitcnt lgkmcnt(0)
	; wave barrier
	s_waitcnt lgkmcnt(0)
	ds_read2_b64 v[6:9], v20 offset1:1
	v_lshlrev_b16_e32 v10, 8, v13
	v_or_b32_e32 v10, v12, v10
	v_and_b32_e32 v10, 0xffff, v10
	s_branch .LBB279_66
.LBB279_47:
	s_movk_i32 s6, 0x80
	v_cmp_gt_u32_e32 vcc, s6, v0
	s_getpc_b64 s[4:5]
	s_add_u32 s4, s4, _ZN7rocprim17ROCPRIM_400000_NS16block_radix_sortIbLj16ELj2ElLj1ELj1ELj0ELNS0_26block_radix_rank_algorithmE1ELNS0_18block_padding_hintE2ELNS0_4arch9wavefront6targetE1EE19radix_bits_per_passE@rel32@lo+4
	s_addc_u32 s5, s5, _ZN7rocprim17ROCPRIM_400000_NS16block_radix_sortIbLj16ELj2ElLj1ELj1ELj0ELNS0_26block_radix_rank_algorithmE1ELNS0_18block_padding_hintE2ELNS0_4arch9wavefront6targetE1EE19radix_bits_per_passE@rel32@hi+12
	s_and_saveexec_b64 s[6:7], vcc
	s_cbranch_execz .LBB279_54
; %bb.48:
	s_mov_b32 s14, 0
	s_mov_b64 s[8:9], 0
	s_waitcnt lgkmcnt(0)
	v_mov_b32_e32 v8, 0
	v_pk_mov_b32 v[6:7], v[0:1], v[0:1] op_sel:[0,1]
	s_branch .LBB279_50
.LBB279_49:                             ;   in Loop: Header=BB279_50 Depth=1
	s_or_b64 exec, exec, s[12:13]
	s_add_i32 s14, s14, 2
	v_cmp_eq_u32_e64 s[10:11], 8, s14
	v_add_u32_e32 v7, 32, v7
	s_or_b64 s[8:9], s[10:11], s[8:9]
	v_add_u32_e32 v6, 32, v6
	s_andn2_b64 exec, exec, s[8:9]
	s_cbranch_execz .LBB279_54
.LBB279_50:                             ; =>This Inner Loop Header: Depth=1
	s_or_b32 s10, s14, 1
	v_cmp_le_u32_e64 s[10:11], s10, 7
	v_cmp_le_u32_e64 s[16:17], s14, 7
	s_and_saveexec_b64 s[12:13], s[16:17]
	s_cbranch_execz .LBB279_52
; %bb.51:                               ;   in Loop: Header=BB279_50 Depth=1
	v_lshlrev_b32_e32 v9, 2, v6
	ds_write_b32 v9, v8
.LBB279_52:                             ;   in Loop: Header=BB279_50 Depth=1
	s_or_b64 exec, exec, s[12:13]
	s_and_saveexec_b64 s[12:13], s[10:11]
	s_cbranch_execz .LBB279_49
; %bb.53:                               ;   in Loop: Header=BB279_50 Depth=1
	v_lshlrev_b32_e32 v9, 2, v7
	ds_write_b32 v9, v8
	s_branch .LBB279_49
.LBB279_54:
	s_or_b64 exec, exec, s[6:7]
	s_load_dword s4, s[4:5], 0x0
	s_waitcnt lgkmcnt(0)
	v_and_b32_e32 v6, 1, v22
	v_cmp_eq_u32_e64 s[16:17], 1, v6
	v_lshlrev_b32_e32 v14, 5, v0
	s_min_u32 s4, s4, 8
	s_lshl_b32 s4, -1, s4
	s_not_b32 s4, s4
	s_lshl_b32 s4, s4, 5
	s_and_b32 s4, s4, 32
	v_mov_b32_e32 v7, s4
	v_cndmask_b32_e64 v6, v7, 0, s[16:17]
	v_or_b32_e32 v6, v6, v18
	v_lshlrev_b32_e32 v17, 1, v6
	ds_read_u16 v16, v17
	v_and_b32_e32 v6, 1, v21
	v_cmp_eq_u32_e64 s[18:19], 1, v6
	v_cndmask_b32_e64 v6, v7, 0, s[18:19]
	v_or_b32_e32 v6, v6, v18
	s_waitcnt lgkmcnt(0)
	v_add_u16_e32 v8, 1, v16
	ds_write_b16 v17, v8
	v_lshlrev_b32_e32 v22, 1, v6
	ds_read_u16 v21, v22
	v_mbcnt_lo_u32_b32 v6, -1, 0
	v_mbcnt_hi_u32_b32 v23, -1, v6
	v_and_b32_e32 v15, 15, v23
	v_cmp_eq_u32_e64 s[6:7], 0, v15
	s_waitcnt lgkmcnt(0)
	v_add_u16_e32 v6, 1, v21
	ds_write_b16 v22, v6
	s_waitcnt lgkmcnt(0)
	; wave barrier
	s_waitcnt lgkmcnt(0)
	ds_read2_b32 v[12:13], v14 offset1:1
	ds_read2_b32 v[10:11], v14 offset0:2 offset1:3
	ds_read2_b32 v[6:7], v14 offset0:4 offset1:5
	;; [unrolled: 1-line block ×3, first 2 shown]
	v_cmp_lt_u32_e64 s[8:9], 1, v15
	s_waitcnt lgkmcnt(3)
	v_add_u32_e32 v24, v13, v12
	s_waitcnt lgkmcnt(2)
	v_add3_u32 v24, v24, v10, v11
	s_waitcnt lgkmcnt(1)
	v_add3_u32 v24, v24, v6, v7
	;; [unrolled: 2-line block ×3, first 2 shown]
	v_cmp_lt_u32_e64 s[10:11], 3, v15
	v_cmp_lt_u32_e64 s[12:13], 7, v15
	v_mov_b32_dpp v24, v9 row_shr:1 row_mask:0xf bank_mask:0xf
	v_cndmask_b32_e64 v24, v24, 0, s[6:7]
	v_add_u32_e32 v9, v24, v9
	v_cmp_eq_u32_e64 s[4:5], 15, v0
	s_nop 0
	v_mov_b32_dpp v24, v9 row_shr:2 row_mask:0xf bank_mask:0xf
	v_cndmask_b32_e64 v24, 0, v24, s[8:9]
	v_add_u32_e32 v9, v9, v24
	s_nop 1
	v_mov_b32_dpp v24, v9 row_shr:4 row_mask:0xf bank_mask:0xf
	v_cndmask_b32_e64 v24, 0, v24, s[10:11]
	v_add_u32_e32 v9, v9, v24
	;; [unrolled: 4-line block ×3, first 2 shown]
	s_and_saveexec_b64 s[14:15], s[4:5]
	s_cbranch_execz .LBB279_56
; %bb.55:
	v_mov_b32_e32 v15, 0
	ds_write_b32 v15, v9 offset:512
.LBB279_56:
	s_or_b64 exec, exec, s[14:15]
	v_add_u32_e32 v15, -1, v23
	v_and_b32_e32 v24, 0x70, v23
	v_cmp_lt_i32_e64 s[14:15], v15, v24
	v_cndmask_b32_e64 v15, v15, v23, s[14:15]
	v_lshlrev_b32_e32 v15, 2, v15
	ds_bpermute_b32 v24, v15, v9
	v_mov_b32_e32 v9, 0
	s_waitcnt lgkmcnt(0)
	; wave barrier
	s_waitcnt lgkmcnt(0)
	ds_read_b32 v25, v9 offset:512
	v_cmp_eq_u32_e64 s[14:15], 0, v23
	v_cndmask_b32_e64 v23, v24, 0, s[14:15]
	s_xor_b64 s[16:17], s[16:17], -1
	s_waitcnt lgkmcnt(0)
	v_lshl_add_u32 v23, v25, 16, v23
	v_add_u32_e32 v12, v23, v12
	v_add_u32_e32 v13, v12, v13
	;; [unrolled: 1-line block ×7, first 2 shown]
	ds_write2_b32 v14, v23, v12 offset1:1
	ds_write2_b32 v14, v13, v10 offset0:2 offset1:3
	ds_write2_b32 v14, v11, v6 offset0:4 offset1:5
	;; [unrolled: 1-line block ×3, first 2 shown]
	s_waitcnt lgkmcnt(0)
	; wave barrier
	s_waitcnt lgkmcnt(0)
	ds_read_u16 v6, v17
	ds_read_u16 v7, v22
	v_cndmask_b32_e64 v8, 0, 1, s[16:17]
	s_xor_b64 s[16:17], s[18:19], -1
	v_cndmask_b32_e64 v10, 0, 1, s[16:17]
	s_waitcnt lgkmcnt(1)
	v_add_u32_sdwa v6, v6, v16 dst_sel:DWORD dst_unused:UNUSED_PAD src0_sel:DWORD src1_sel:WORD_0
	s_waitcnt lgkmcnt(0)
	v_add_u32_sdwa v7, v7, v21 dst_sel:DWORD dst_unused:UNUSED_PAD src0_sel:DWORD src1_sel:WORD_0
	s_waitcnt lgkmcnt(0)
	; wave barrier
	ds_write_b8 v6, v8
	ds_write_b8 v7, v10
	v_lshlrev_b32_e32 v6, 3, v6
	s_waitcnt lgkmcnt(0)
	; wave barrier
	s_waitcnt lgkmcnt(0)
	ds_read_u8 v16, v18
	ds_read_u8 v17, v18 offset:1
	s_waitcnt lgkmcnt(0)
	; wave barrier
	s_waitcnt lgkmcnt(0)
	ds_write_b64 v6, v[2:3]
	v_lshlrev_b32_e32 v2, 3, v7
	ds_write_b64 v2, v[4:5]
	s_waitcnt lgkmcnt(0)
	; wave barrier
	s_waitcnt lgkmcnt(0)
	ds_read2_b64 v[2:5], v20 offset1:1
	s_waitcnt lgkmcnt(0)
	; wave barrier
	s_waitcnt lgkmcnt(0)
	s_and_saveexec_b64 s[16:17], vcc
	s_cbranch_execz .LBB279_63
; %bb.57:
	s_mov_b32 s33, 0
	s_mov_b64 s[18:19], 0
	v_pk_mov_b32 v[6:7], v[0:1], v[0:1] op_sel:[0,1]
	s_branch .LBB279_59
.LBB279_58:                             ;   in Loop: Header=BB279_59 Depth=1
	s_or_b64 exec, exec, s[28:29]
	s_add_i32 s33, s33, 2
	v_cmp_eq_u32_e64 s[26:27], 8, s33
	v_add_u32_e32 v7, 32, v7
	s_or_b64 s[18:19], s[26:27], s[18:19]
	v_add_u32_e32 v6, 32, v6
	s_andn2_b64 exec, exec, s[18:19]
	s_cbranch_execz .LBB279_63
.LBB279_59:                             ; =>This Inner Loop Header: Depth=1
	s_or_b32 s26, s33, 1
	v_cmp_le_u32_e64 s[26:27], s26, 7
	v_cmp_le_u32_e64 s[34:35], s33, 7
	s_and_saveexec_b64 s[28:29], s[34:35]
	s_cbranch_execz .LBB279_61
; %bb.60:                               ;   in Loop: Header=BB279_59 Depth=1
	v_lshlrev_b32_e32 v1, 2, v6
	ds_write_b32 v1, v9
.LBB279_61:                             ;   in Loop: Header=BB279_59 Depth=1
	s_or_b64 exec, exec, s[28:29]
	s_and_saveexec_b64 s[28:29], s[26:27]
	s_cbranch_execz .LBB279_58
; %bb.62:                               ;   in Loop: Header=BB279_59 Depth=1
	v_lshlrev_b32_e32 v1, 2, v7
	ds_write_b32 v1, v9
	s_branch .LBB279_58
.LBB279_63:
	s_or_b64 exec, exec, s[16:17]
	v_lshlrev_b32_e32 v21, 1, v18
	ds_read_u16 v1, v21
	s_waitcnt lgkmcnt(0)
	v_add_u16_e32 v6, 2, v1
	ds_write_b16 v21, v6
	s_waitcnt lgkmcnt(0)
	; wave barrier
	s_waitcnt lgkmcnt(0)
	ds_read2_b32 v[12:13], v14 offset1:1
	ds_read2_b32 v[10:11], v14 offset0:2 offset1:3
	ds_read2_b32 v[6:7], v14 offset0:4 offset1:5
	;; [unrolled: 1-line block ×3, first 2 shown]
	s_waitcnt lgkmcnt(3)
	v_add_u32_e32 v22, v13, v12
	s_waitcnt lgkmcnt(2)
	v_add3_u32 v22, v22, v10, v11
	s_waitcnt lgkmcnt(1)
	v_add3_u32 v22, v22, v6, v7
	;; [unrolled: 2-line block ×3, first 2 shown]
	s_nop 1
	v_mov_b32_dpp v22, v9 row_shr:1 row_mask:0xf bank_mask:0xf
	v_cndmask_b32_e64 v22, v22, 0, s[6:7]
	v_add_u32_e32 v9, v22, v9
	s_nop 1
	v_mov_b32_dpp v22, v9 row_shr:2 row_mask:0xf bank_mask:0xf
	v_cndmask_b32_e64 v22, 0, v22, s[8:9]
	v_add_u32_e32 v9, v9, v22
	;; [unrolled: 4-line block ×4, first 2 shown]
	s_and_saveexec_b64 s[6:7], s[4:5]
	s_cbranch_execz .LBB279_65
; %bb.64:
	v_mov_b32_e32 v22, 0
	ds_write_b32 v22, v9 offset:512
.LBB279_65:
	s_or_b64 exec, exec, s[6:7]
	ds_bpermute_b32 v9, v15, v9
	v_mov_b32_e32 v15, 0
	s_waitcnt lgkmcnt(0)
	; wave barrier
	s_waitcnt lgkmcnt(0)
	ds_read_b32 v15, v15 offset:512
	v_cndmask_b32_e64 v9, v9, 0, s[14:15]
	s_waitcnt lgkmcnt(0)
	v_lshl_add_u32 v9, v15, 16, v9
	v_add_u32_e32 v12, v9, v12
	v_add_u32_e32 v13, v12, v13
	;; [unrolled: 1-line block ×7, first 2 shown]
	ds_write2_b32 v14, v9, v12 offset1:1
	ds_write2_b32 v14, v13, v10 offset0:2 offset1:3
	ds_write2_b32 v14, v11, v6 offset0:4 offset1:5
	;; [unrolled: 1-line block ×3, first 2 shown]
	s_waitcnt lgkmcnt(0)
	; wave barrier
	s_waitcnt lgkmcnt(0)
	ds_read_u16 v6, v21
	v_add_u16_e32 v7, 1, v1
	s_waitcnt lgkmcnt(0)
	; wave barrier
	s_waitcnt lgkmcnt(0)
	v_add_u32_sdwa v1, v6, v1 dst_sel:DWORD dst_unused:UNUSED_PAD src0_sel:DWORD src1_sel:WORD_0
	v_add_u32_e32 v7, v6, v7
	ds_write_b8 v1, v16
	ds_write_b8 v7, v17
	s_waitcnt lgkmcnt(0)
	; wave barrier
	s_waitcnt lgkmcnt(0)
	ds_read_u8 v10, v18
	ds_read_u8 v11, v18 offset:1
	v_lshlrev_b32_e32 v1, 3, v1
	s_waitcnt lgkmcnt(0)
	; wave barrier
	s_waitcnt lgkmcnt(0)
	ds_write_b64 v1, v[2:3]
	v_lshlrev_b32_e32 v1, 3, v7
	ds_write_b64 v1, v[4:5]
	s_waitcnt lgkmcnt(0)
	; wave barrier
	s_waitcnt lgkmcnt(0)
	ds_read2_b64 v[6:9], v20 offset1:1
	v_mov_b32_e32 v2, 1
	v_xor_b32_e32 v1, 1, v10
	v_xor_b32_sdwa v2, v11, v2 dst_sel:BYTE_1 dst_unused:UNUSED_PAD src0_sel:DWORD src1_sel:DWORD
	v_or_b32_e32 v1, v1, v2
	v_and_b32_e32 v10, 0xffff, v1
.LBB279_66:
	v_lshrrev_b16_e32 v1, 8, v10
	s_waitcnt lgkmcnt(0)
	; wave barrier
	s_waitcnt lgkmcnt(0)
	ds_write_b8 v18, v10
	ds_write_b8 v18, v1 offset:1
	s_waitcnt lgkmcnt(0)
	; wave barrier
	s_waitcnt lgkmcnt(0)
	ds_read_u8 v1, v0 offset:16
	v_pk_mov_b32 v[2:3], s[24:25], s[24:25] op_sel:[0,1]
	v_mad_u64_u32 v[2:3], s[4:5], v0, s20, v[2:3]
	v_mov_b32_e32 v4, v3
	v_mad_u64_u32 v[4:5], s[4:5], v0, s21, v[4:5]
	v_mov_b32_e32 v3, v4
	s_and_saveexec_b64 s[4:5], s[0:1]
	s_cbranch_execz .LBB279_68
; %bb.67:
	ds_read_u8 v4, v0
	s_waitcnt lgkmcnt(0)
	global_store_byte v[2:3], v4, off
.LBB279_68:
	s_or_b64 exec, exec, s[4:5]
	s_and_saveexec_b64 s[4:5], s[2:3]
	s_cbranch_execz .LBB279_70
; %bb.69:
	s_lshl_b64 s[6:7], s[20:21], 4
	v_mov_b32_e32 v4, s7
	v_add_co_u32_e32 v2, vcc, s6, v2
	v_addc_co_u32_e32 v3, vcc, v3, v4, vcc
	s_waitcnt lgkmcnt(0)
	global_store_byte v[2:3], v1, off
.LBB279_70:
	s_or_b64 exec, exec, s[4:5]
	v_mad_u64_u32 v[4:5], s[4:5], v0, s22, 0
	s_waitcnt lgkmcnt(0)
	; wave barrier
	s_waitcnt lgkmcnt(0)
	ds_write2_b64 v20, v[6:7], v[8:9] offset1:1
	v_mov_b32_e32 v6, v5
	s_waitcnt lgkmcnt(0)
	; wave barrier
	s_waitcnt lgkmcnt(0)
	ds_read_b64 v[2:3], v19 offset:128
	v_mad_u64_u32 v[0:1], s[4:5], v0, s23, v[6:7]
	v_mov_b32_e32 v5, v0
	v_lshlrev_b64 v[0:1], 3, v[4:5]
	v_mov_b32_e32 v4, s31
	v_add_co_u32_e32 v0, vcc, s30, v0
	v_addc_co_u32_e32 v1, vcc, v4, v1, vcc
	s_and_saveexec_b64 s[4:5], s[0:1]
	s_cbranch_execz .LBB279_72
; %bb.71:
	ds_read_b64 v[4:5], v19
	s_waitcnt lgkmcnt(0)
	global_store_dwordx2 v[0:1], v[4:5], off
.LBB279_72:
	s_or_b64 exec, exec, s[4:5]
	s_and_saveexec_b64 s[0:1], s[2:3]
	s_cbranch_execz .LBB279_74
; %bb.73:
	s_lshl_b64 s[0:1], s[22:23], 7
	v_mov_b32_e32 v4, s1
	v_add_co_u32_e32 v0, vcc, s0, v0
	v_addc_co_u32_e32 v1, vcc, v1, v4, vcc
	s_waitcnt lgkmcnt(0)
	global_store_dwordx2 v[0:1], v[2:3], off
.LBB279_74:
	s_endpgm
	.section	.rodata,"a",@progbits
	.p2align	6, 0x0
	.amdhsa_kernel _ZN2at6native18radixSortKVInPlaceILin1ELin1ELi16ELi2EblmEEvNS_4cuda6detail10TensorInfoIT3_T5_EES6_S6_S6_NS4_IT4_S6_EES6_b
		.amdhsa_group_segment_fixed_size 528
		.amdhsa_private_segment_fixed_size 0
		.amdhsa_kernarg_size 1128
		.amdhsa_user_sgpr_count 6
		.amdhsa_user_sgpr_private_segment_buffer 1
		.amdhsa_user_sgpr_dispatch_ptr 0
		.amdhsa_user_sgpr_queue_ptr 0
		.amdhsa_user_sgpr_kernarg_segment_ptr 1
		.amdhsa_user_sgpr_dispatch_id 0
		.amdhsa_user_sgpr_flat_scratch_init 0
		.amdhsa_user_sgpr_kernarg_preload_length 0
		.amdhsa_user_sgpr_kernarg_preload_offset 0
		.amdhsa_user_sgpr_private_segment_size 0
		.amdhsa_uses_dynamic_stack 0
		.amdhsa_system_sgpr_private_segment_wavefront_offset 0
		.amdhsa_system_sgpr_workgroup_id_x 1
		.amdhsa_system_sgpr_workgroup_id_y 1
		.amdhsa_system_sgpr_workgroup_id_z 1
		.amdhsa_system_sgpr_workgroup_info 0
		.amdhsa_system_vgpr_workitem_id 0
		.amdhsa_next_free_vgpr 30
		.amdhsa_next_free_sgpr 36
		.amdhsa_accum_offset 32
		.amdhsa_reserve_vcc 1
		.amdhsa_reserve_flat_scratch 0
		.amdhsa_float_round_mode_32 0
		.amdhsa_float_round_mode_16_64 0
		.amdhsa_float_denorm_mode_32 3
		.amdhsa_float_denorm_mode_16_64 3
		.amdhsa_dx10_clamp 1
		.amdhsa_ieee_mode 1
		.amdhsa_fp16_overflow 0
		.amdhsa_tg_split 0
		.amdhsa_exception_fp_ieee_invalid_op 0
		.amdhsa_exception_fp_denorm_src 0
		.amdhsa_exception_fp_ieee_div_zero 0
		.amdhsa_exception_fp_ieee_overflow 0
		.amdhsa_exception_fp_ieee_underflow 0
		.amdhsa_exception_fp_ieee_inexact 0
		.amdhsa_exception_int_div_zero 0
	.end_amdhsa_kernel
	.section	.text._ZN2at6native18radixSortKVInPlaceILin1ELin1ELi16ELi2EblmEEvNS_4cuda6detail10TensorInfoIT3_T5_EES6_S6_S6_NS4_IT4_S6_EES6_b,"axG",@progbits,_ZN2at6native18radixSortKVInPlaceILin1ELin1ELi16ELi2EblmEEvNS_4cuda6detail10TensorInfoIT3_T5_EES6_S6_S6_NS4_IT4_S6_EES6_b,comdat
.Lfunc_end279:
	.size	_ZN2at6native18radixSortKVInPlaceILin1ELin1ELi16ELi2EblmEEvNS_4cuda6detail10TensorInfoIT3_T5_EES6_S6_S6_NS4_IT4_S6_EES6_b, .Lfunc_end279-_ZN2at6native18radixSortKVInPlaceILin1ELin1ELi16ELi2EblmEEvNS_4cuda6detail10TensorInfoIT3_T5_EES6_S6_S6_NS4_IT4_S6_EES6_b
                                        ; -- End function
	.section	.AMDGPU.csdata,"",@progbits
; Kernel info:
; codeLenInByte = 5548
; NumSgprs: 40
; NumVgprs: 30
; NumAgprs: 0
; TotalNumVgprs: 30
; ScratchSize: 0
; MemoryBound: 0
; FloatMode: 240
; IeeeMode: 1
; LDSByteSize: 528 bytes/workgroup (compile time only)
; SGPRBlocks: 4
; VGPRBlocks: 3
; NumSGPRsForWavesPerEU: 40
; NumVGPRsForWavesPerEU: 30
; AccumOffset: 32
; Occupancy: 8
; WaveLimiterHint : 1
; COMPUTE_PGM_RSRC2:SCRATCH_EN: 0
; COMPUTE_PGM_RSRC2:USER_SGPR: 6
; COMPUTE_PGM_RSRC2:TRAP_HANDLER: 0
; COMPUTE_PGM_RSRC2:TGID_X_EN: 1
; COMPUTE_PGM_RSRC2:TGID_Y_EN: 1
; COMPUTE_PGM_RSRC2:TGID_Z_EN: 1
; COMPUTE_PGM_RSRC2:TIDIG_COMP_CNT: 0
; COMPUTE_PGM_RSRC3_GFX90A:ACCUM_OFFSET: 7
; COMPUTE_PGM_RSRC3_GFX90A:TG_SPLIT: 0
	.text
	.p2alignl 6, 3212836864
	.fill 256, 4, 3212836864
	.protected	_ZN7rocprim17ROCPRIM_400000_NS16block_radix_sortIhLj512ELj8ElLj1ELj1ELj0ELNS0_26block_radix_rank_algorithmE1ELNS0_18block_padding_hintE2ELNS0_4arch9wavefront6targetE1EE19radix_bits_per_passE ; @_ZN7rocprim17ROCPRIM_400000_NS16block_radix_sortIhLj512ELj8ElLj1ELj1ELj0ELNS0_26block_radix_rank_algorithmE1ELNS0_18block_padding_hintE2ELNS0_4arch9wavefront6targetE1EE19radix_bits_per_passE
	.type	_ZN7rocprim17ROCPRIM_400000_NS16block_radix_sortIhLj512ELj8ElLj1ELj1ELj0ELNS0_26block_radix_rank_algorithmE1ELNS0_18block_padding_hintE2ELNS0_4arch9wavefront6targetE1EE19radix_bits_per_passE,@object
	.section	.rodata._ZN7rocprim17ROCPRIM_400000_NS16block_radix_sortIhLj512ELj8ElLj1ELj1ELj0ELNS0_26block_radix_rank_algorithmE1ELNS0_18block_padding_hintE2ELNS0_4arch9wavefront6targetE1EE19radix_bits_per_passE,"aG",@progbits,_ZN7rocprim17ROCPRIM_400000_NS16block_radix_sortIhLj512ELj8ElLj1ELj1ELj0ELNS0_26block_radix_rank_algorithmE1ELNS0_18block_padding_hintE2ELNS0_4arch9wavefront6targetE1EE19radix_bits_per_passE,comdat
	.weak	_ZN7rocprim17ROCPRIM_400000_NS16block_radix_sortIhLj512ELj8ElLj1ELj1ELj0ELNS0_26block_radix_rank_algorithmE1ELNS0_18block_padding_hintE2ELNS0_4arch9wavefront6targetE1EE19radix_bits_per_passE
	.p2align	2, 0x0
_ZN7rocprim17ROCPRIM_400000_NS16block_radix_sortIhLj512ELj8ElLj1ELj1ELj0ELNS0_26block_radix_rank_algorithmE1ELNS0_18block_padding_hintE2ELNS0_4arch9wavefront6targetE1EE19radix_bits_per_passE:
	.long	8                               ; 0x8
	.size	_ZN7rocprim17ROCPRIM_400000_NS16block_radix_sortIhLj512ELj8ElLj1ELj1ELj0ELNS0_26block_radix_rank_algorithmE1ELNS0_18block_padding_hintE2ELNS0_4arch9wavefront6targetE1EE19radix_bits_per_passE, 4

	.protected	_ZN7rocprim17ROCPRIM_400000_NS16block_radix_sortIhLj256ELj8ElLj1ELj1ELj0ELNS0_26block_radix_rank_algorithmE1ELNS0_18block_padding_hintE2ELNS0_4arch9wavefront6targetE1EE19radix_bits_per_passE ; @_ZN7rocprim17ROCPRIM_400000_NS16block_radix_sortIhLj256ELj8ElLj1ELj1ELj0ELNS0_26block_radix_rank_algorithmE1ELNS0_18block_padding_hintE2ELNS0_4arch9wavefront6targetE1EE19radix_bits_per_passE
	.type	_ZN7rocprim17ROCPRIM_400000_NS16block_radix_sortIhLj256ELj8ElLj1ELj1ELj0ELNS0_26block_radix_rank_algorithmE1ELNS0_18block_padding_hintE2ELNS0_4arch9wavefront6targetE1EE19radix_bits_per_passE,@object
	.section	.rodata._ZN7rocprim17ROCPRIM_400000_NS16block_radix_sortIhLj256ELj8ElLj1ELj1ELj0ELNS0_26block_radix_rank_algorithmE1ELNS0_18block_padding_hintE2ELNS0_4arch9wavefront6targetE1EE19radix_bits_per_passE,"aG",@progbits,_ZN7rocprim17ROCPRIM_400000_NS16block_radix_sortIhLj256ELj8ElLj1ELj1ELj0ELNS0_26block_radix_rank_algorithmE1ELNS0_18block_padding_hintE2ELNS0_4arch9wavefront6targetE1EE19radix_bits_per_passE,comdat
	.weak	_ZN7rocprim17ROCPRIM_400000_NS16block_radix_sortIhLj256ELj8ElLj1ELj1ELj0ELNS0_26block_radix_rank_algorithmE1ELNS0_18block_padding_hintE2ELNS0_4arch9wavefront6targetE1EE19radix_bits_per_passE
	.p2align	2, 0x0
_ZN7rocprim17ROCPRIM_400000_NS16block_radix_sortIhLj256ELj8ElLj1ELj1ELj0ELNS0_26block_radix_rank_algorithmE1ELNS0_18block_padding_hintE2ELNS0_4arch9wavefront6targetE1EE19radix_bits_per_passE:
	.long	8                               ; 0x8
	.size	_ZN7rocprim17ROCPRIM_400000_NS16block_radix_sortIhLj256ELj8ElLj1ELj1ELj0ELNS0_26block_radix_rank_algorithmE1ELNS0_18block_padding_hintE2ELNS0_4arch9wavefront6targetE1EE19radix_bits_per_passE, 4

	.protected	_ZN7rocprim17ROCPRIM_400000_NS16block_radix_sortIhLj128ELj8ElLj1ELj1ELj0ELNS0_26block_radix_rank_algorithmE1ELNS0_18block_padding_hintE2ELNS0_4arch9wavefront6targetE1EE19radix_bits_per_passE ; @_ZN7rocprim17ROCPRIM_400000_NS16block_radix_sortIhLj128ELj8ElLj1ELj1ELj0ELNS0_26block_radix_rank_algorithmE1ELNS0_18block_padding_hintE2ELNS0_4arch9wavefront6targetE1EE19radix_bits_per_passE
	.type	_ZN7rocprim17ROCPRIM_400000_NS16block_radix_sortIhLj128ELj8ElLj1ELj1ELj0ELNS0_26block_radix_rank_algorithmE1ELNS0_18block_padding_hintE2ELNS0_4arch9wavefront6targetE1EE19radix_bits_per_passE,@object
	.section	.rodata._ZN7rocprim17ROCPRIM_400000_NS16block_radix_sortIhLj128ELj8ElLj1ELj1ELj0ELNS0_26block_radix_rank_algorithmE1ELNS0_18block_padding_hintE2ELNS0_4arch9wavefront6targetE1EE19radix_bits_per_passE,"aG",@progbits,_ZN7rocprim17ROCPRIM_400000_NS16block_radix_sortIhLj128ELj8ElLj1ELj1ELj0ELNS0_26block_radix_rank_algorithmE1ELNS0_18block_padding_hintE2ELNS0_4arch9wavefront6targetE1EE19radix_bits_per_passE,comdat
	.weak	_ZN7rocprim17ROCPRIM_400000_NS16block_radix_sortIhLj128ELj8ElLj1ELj1ELj0ELNS0_26block_radix_rank_algorithmE1ELNS0_18block_padding_hintE2ELNS0_4arch9wavefront6targetE1EE19radix_bits_per_passE
	.p2align	2, 0x0
_ZN7rocprim17ROCPRIM_400000_NS16block_radix_sortIhLj128ELj8ElLj1ELj1ELj0ELNS0_26block_radix_rank_algorithmE1ELNS0_18block_padding_hintE2ELNS0_4arch9wavefront6targetE1EE19radix_bits_per_passE:
	.long	8                               ; 0x8
	.size	_ZN7rocprim17ROCPRIM_400000_NS16block_radix_sortIhLj128ELj8ElLj1ELj1ELj0ELNS0_26block_radix_rank_algorithmE1ELNS0_18block_padding_hintE2ELNS0_4arch9wavefront6targetE1EE19radix_bits_per_passE, 4

	.protected	_ZN7rocprim17ROCPRIM_400000_NS16block_radix_sortIhLj32ELj4ElLj1ELj1ELj0ELNS0_26block_radix_rank_algorithmE1ELNS0_18block_padding_hintE2ELNS0_4arch9wavefront6targetE1EE19radix_bits_per_passE ; @_ZN7rocprim17ROCPRIM_400000_NS16block_radix_sortIhLj32ELj4ElLj1ELj1ELj0ELNS0_26block_radix_rank_algorithmE1ELNS0_18block_padding_hintE2ELNS0_4arch9wavefront6targetE1EE19radix_bits_per_passE
	.type	_ZN7rocprim17ROCPRIM_400000_NS16block_radix_sortIhLj32ELj4ElLj1ELj1ELj0ELNS0_26block_radix_rank_algorithmE1ELNS0_18block_padding_hintE2ELNS0_4arch9wavefront6targetE1EE19radix_bits_per_passE,@object
	.section	.rodata._ZN7rocprim17ROCPRIM_400000_NS16block_radix_sortIhLj32ELj4ElLj1ELj1ELj0ELNS0_26block_radix_rank_algorithmE1ELNS0_18block_padding_hintE2ELNS0_4arch9wavefront6targetE1EE19radix_bits_per_passE,"aG",@progbits,_ZN7rocprim17ROCPRIM_400000_NS16block_radix_sortIhLj32ELj4ElLj1ELj1ELj0ELNS0_26block_radix_rank_algorithmE1ELNS0_18block_padding_hintE2ELNS0_4arch9wavefront6targetE1EE19radix_bits_per_passE,comdat
	.weak	_ZN7rocprim17ROCPRIM_400000_NS16block_radix_sortIhLj32ELj4ElLj1ELj1ELj0ELNS0_26block_radix_rank_algorithmE1ELNS0_18block_padding_hintE2ELNS0_4arch9wavefront6targetE1EE19radix_bits_per_passE
	.p2align	2, 0x0
_ZN7rocprim17ROCPRIM_400000_NS16block_radix_sortIhLj32ELj4ElLj1ELj1ELj0ELNS0_26block_radix_rank_algorithmE1ELNS0_18block_padding_hintE2ELNS0_4arch9wavefront6targetE1EE19radix_bits_per_passE:
	.long	4                               ; 0x4
	.size	_ZN7rocprim17ROCPRIM_400000_NS16block_radix_sortIhLj32ELj4ElLj1ELj1ELj0ELNS0_26block_radix_rank_algorithmE1ELNS0_18block_padding_hintE2ELNS0_4arch9wavefront6targetE1EE19radix_bits_per_passE, 4

	.protected	_ZN7rocprim17ROCPRIM_400000_NS16block_radix_sortIhLj16ELj2ElLj1ELj1ELj0ELNS0_26block_radix_rank_algorithmE1ELNS0_18block_padding_hintE2ELNS0_4arch9wavefront6targetE1EE19radix_bits_per_passE ; @_ZN7rocprim17ROCPRIM_400000_NS16block_radix_sortIhLj16ELj2ElLj1ELj1ELj0ELNS0_26block_radix_rank_algorithmE1ELNS0_18block_padding_hintE2ELNS0_4arch9wavefront6targetE1EE19radix_bits_per_passE
	.type	_ZN7rocprim17ROCPRIM_400000_NS16block_radix_sortIhLj16ELj2ElLj1ELj1ELj0ELNS0_26block_radix_rank_algorithmE1ELNS0_18block_padding_hintE2ELNS0_4arch9wavefront6targetE1EE19radix_bits_per_passE,@object
	.section	.rodata._ZN7rocprim17ROCPRIM_400000_NS16block_radix_sortIhLj16ELj2ElLj1ELj1ELj0ELNS0_26block_radix_rank_algorithmE1ELNS0_18block_padding_hintE2ELNS0_4arch9wavefront6targetE1EE19radix_bits_per_passE,"aG",@progbits,_ZN7rocprim17ROCPRIM_400000_NS16block_radix_sortIhLj16ELj2ElLj1ELj1ELj0ELNS0_26block_radix_rank_algorithmE1ELNS0_18block_padding_hintE2ELNS0_4arch9wavefront6targetE1EE19radix_bits_per_passE,comdat
	.weak	_ZN7rocprim17ROCPRIM_400000_NS16block_radix_sortIhLj16ELj2ElLj1ELj1ELj0ELNS0_26block_radix_rank_algorithmE1ELNS0_18block_padding_hintE2ELNS0_4arch9wavefront6targetE1EE19radix_bits_per_passE
	.p2align	2, 0x0
_ZN7rocprim17ROCPRIM_400000_NS16block_radix_sortIhLj16ELj2ElLj1ELj1ELj0ELNS0_26block_radix_rank_algorithmE1ELNS0_18block_padding_hintE2ELNS0_4arch9wavefront6targetE1EE19radix_bits_per_passE:
	.long	4                               ; 0x4
	.size	_ZN7rocprim17ROCPRIM_400000_NS16block_radix_sortIhLj16ELj2ElLj1ELj1ELj0ELNS0_26block_radix_rank_algorithmE1ELNS0_18block_padding_hintE2ELNS0_4arch9wavefront6targetE1EE19radix_bits_per_passE, 4

	.protected	_ZN7rocprim17ROCPRIM_400000_NS16block_radix_sortIaLj512ELj8ElLj1ELj1ELj0ELNS0_26block_radix_rank_algorithmE1ELNS0_18block_padding_hintE2ELNS0_4arch9wavefront6targetE1EE19radix_bits_per_passE ; @_ZN7rocprim17ROCPRIM_400000_NS16block_radix_sortIaLj512ELj8ElLj1ELj1ELj0ELNS0_26block_radix_rank_algorithmE1ELNS0_18block_padding_hintE2ELNS0_4arch9wavefront6targetE1EE19radix_bits_per_passE
	.type	_ZN7rocprim17ROCPRIM_400000_NS16block_radix_sortIaLj512ELj8ElLj1ELj1ELj0ELNS0_26block_radix_rank_algorithmE1ELNS0_18block_padding_hintE2ELNS0_4arch9wavefront6targetE1EE19radix_bits_per_passE,@object
	.section	.rodata._ZN7rocprim17ROCPRIM_400000_NS16block_radix_sortIaLj512ELj8ElLj1ELj1ELj0ELNS0_26block_radix_rank_algorithmE1ELNS0_18block_padding_hintE2ELNS0_4arch9wavefront6targetE1EE19radix_bits_per_passE,"aG",@progbits,_ZN7rocprim17ROCPRIM_400000_NS16block_radix_sortIaLj512ELj8ElLj1ELj1ELj0ELNS0_26block_radix_rank_algorithmE1ELNS0_18block_padding_hintE2ELNS0_4arch9wavefront6targetE1EE19radix_bits_per_passE,comdat
	.weak	_ZN7rocprim17ROCPRIM_400000_NS16block_radix_sortIaLj512ELj8ElLj1ELj1ELj0ELNS0_26block_radix_rank_algorithmE1ELNS0_18block_padding_hintE2ELNS0_4arch9wavefront6targetE1EE19radix_bits_per_passE
	.p2align	2, 0x0
_ZN7rocprim17ROCPRIM_400000_NS16block_radix_sortIaLj512ELj8ElLj1ELj1ELj0ELNS0_26block_radix_rank_algorithmE1ELNS0_18block_padding_hintE2ELNS0_4arch9wavefront6targetE1EE19radix_bits_per_passE:
	.long	8                               ; 0x8
	.size	_ZN7rocprim17ROCPRIM_400000_NS16block_radix_sortIaLj512ELj8ElLj1ELj1ELj0ELNS0_26block_radix_rank_algorithmE1ELNS0_18block_padding_hintE2ELNS0_4arch9wavefront6targetE1EE19radix_bits_per_passE, 4

	.protected	_ZN7rocprim17ROCPRIM_400000_NS16block_radix_sortIaLj256ELj8ElLj1ELj1ELj0ELNS0_26block_radix_rank_algorithmE1ELNS0_18block_padding_hintE2ELNS0_4arch9wavefront6targetE1EE19radix_bits_per_passE ; @_ZN7rocprim17ROCPRIM_400000_NS16block_radix_sortIaLj256ELj8ElLj1ELj1ELj0ELNS0_26block_radix_rank_algorithmE1ELNS0_18block_padding_hintE2ELNS0_4arch9wavefront6targetE1EE19radix_bits_per_passE
	.type	_ZN7rocprim17ROCPRIM_400000_NS16block_radix_sortIaLj256ELj8ElLj1ELj1ELj0ELNS0_26block_radix_rank_algorithmE1ELNS0_18block_padding_hintE2ELNS0_4arch9wavefront6targetE1EE19radix_bits_per_passE,@object
	.section	.rodata._ZN7rocprim17ROCPRIM_400000_NS16block_radix_sortIaLj256ELj8ElLj1ELj1ELj0ELNS0_26block_radix_rank_algorithmE1ELNS0_18block_padding_hintE2ELNS0_4arch9wavefront6targetE1EE19radix_bits_per_passE,"aG",@progbits,_ZN7rocprim17ROCPRIM_400000_NS16block_radix_sortIaLj256ELj8ElLj1ELj1ELj0ELNS0_26block_radix_rank_algorithmE1ELNS0_18block_padding_hintE2ELNS0_4arch9wavefront6targetE1EE19radix_bits_per_passE,comdat
	.weak	_ZN7rocprim17ROCPRIM_400000_NS16block_radix_sortIaLj256ELj8ElLj1ELj1ELj0ELNS0_26block_radix_rank_algorithmE1ELNS0_18block_padding_hintE2ELNS0_4arch9wavefront6targetE1EE19radix_bits_per_passE
	.p2align	2, 0x0
_ZN7rocprim17ROCPRIM_400000_NS16block_radix_sortIaLj256ELj8ElLj1ELj1ELj0ELNS0_26block_radix_rank_algorithmE1ELNS0_18block_padding_hintE2ELNS0_4arch9wavefront6targetE1EE19radix_bits_per_passE:
	.long	8                               ; 0x8
	.size	_ZN7rocprim17ROCPRIM_400000_NS16block_radix_sortIaLj256ELj8ElLj1ELj1ELj0ELNS0_26block_radix_rank_algorithmE1ELNS0_18block_padding_hintE2ELNS0_4arch9wavefront6targetE1EE19radix_bits_per_passE, 4

	.protected	_ZN7rocprim17ROCPRIM_400000_NS16block_radix_sortIaLj128ELj8ElLj1ELj1ELj0ELNS0_26block_radix_rank_algorithmE1ELNS0_18block_padding_hintE2ELNS0_4arch9wavefront6targetE1EE19radix_bits_per_passE ; @_ZN7rocprim17ROCPRIM_400000_NS16block_radix_sortIaLj128ELj8ElLj1ELj1ELj0ELNS0_26block_radix_rank_algorithmE1ELNS0_18block_padding_hintE2ELNS0_4arch9wavefront6targetE1EE19radix_bits_per_passE
	.type	_ZN7rocprim17ROCPRIM_400000_NS16block_radix_sortIaLj128ELj8ElLj1ELj1ELj0ELNS0_26block_radix_rank_algorithmE1ELNS0_18block_padding_hintE2ELNS0_4arch9wavefront6targetE1EE19radix_bits_per_passE,@object
	.section	.rodata._ZN7rocprim17ROCPRIM_400000_NS16block_radix_sortIaLj128ELj8ElLj1ELj1ELj0ELNS0_26block_radix_rank_algorithmE1ELNS0_18block_padding_hintE2ELNS0_4arch9wavefront6targetE1EE19radix_bits_per_passE,"aG",@progbits,_ZN7rocprim17ROCPRIM_400000_NS16block_radix_sortIaLj128ELj8ElLj1ELj1ELj0ELNS0_26block_radix_rank_algorithmE1ELNS0_18block_padding_hintE2ELNS0_4arch9wavefront6targetE1EE19radix_bits_per_passE,comdat
	.weak	_ZN7rocprim17ROCPRIM_400000_NS16block_radix_sortIaLj128ELj8ElLj1ELj1ELj0ELNS0_26block_radix_rank_algorithmE1ELNS0_18block_padding_hintE2ELNS0_4arch9wavefront6targetE1EE19radix_bits_per_passE
	.p2align	2, 0x0
_ZN7rocprim17ROCPRIM_400000_NS16block_radix_sortIaLj128ELj8ElLj1ELj1ELj0ELNS0_26block_radix_rank_algorithmE1ELNS0_18block_padding_hintE2ELNS0_4arch9wavefront6targetE1EE19radix_bits_per_passE:
	.long	8                               ; 0x8
	.size	_ZN7rocprim17ROCPRIM_400000_NS16block_radix_sortIaLj128ELj8ElLj1ELj1ELj0ELNS0_26block_radix_rank_algorithmE1ELNS0_18block_padding_hintE2ELNS0_4arch9wavefront6targetE1EE19radix_bits_per_passE, 4

	.protected	_ZN7rocprim17ROCPRIM_400000_NS16block_radix_sortIaLj32ELj4ElLj1ELj1ELj0ELNS0_26block_radix_rank_algorithmE1ELNS0_18block_padding_hintE2ELNS0_4arch9wavefront6targetE1EE19radix_bits_per_passE ; @_ZN7rocprim17ROCPRIM_400000_NS16block_radix_sortIaLj32ELj4ElLj1ELj1ELj0ELNS0_26block_radix_rank_algorithmE1ELNS0_18block_padding_hintE2ELNS0_4arch9wavefront6targetE1EE19radix_bits_per_passE
	.type	_ZN7rocprim17ROCPRIM_400000_NS16block_radix_sortIaLj32ELj4ElLj1ELj1ELj0ELNS0_26block_radix_rank_algorithmE1ELNS0_18block_padding_hintE2ELNS0_4arch9wavefront6targetE1EE19radix_bits_per_passE,@object
	.section	.rodata._ZN7rocprim17ROCPRIM_400000_NS16block_radix_sortIaLj32ELj4ElLj1ELj1ELj0ELNS0_26block_radix_rank_algorithmE1ELNS0_18block_padding_hintE2ELNS0_4arch9wavefront6targetE1EE19radix_bits_per_passE,"aG",@progbits,_ZN7rocprim17ROCPRIM_400000_NS16block_radix_sortIaLj32ELj4ElLj1ELj1ELj0ELNS0_26block_radix_rank_algorithmE1ELNS0_18block_padding_hintE2ELNS0_4arch9wavefront6targetE1EE19radix_bits_per_passE,comdat
	.weak	_ZN7rocprim17ROCPRIM_400000_NS16block_radix_sortIaLj32ELj4ElLj1ELj1ELj0ELNS0_26block_radix_rank_algorithmE1ELNS0_18block_padding_hintE2ELNS0_4arch9wavefront6targetE1EE19radix_bits_per_passE
	.p2align	2, 0x0
_ZN7rocprim17ROCPRIM_400000_NS16block_radix_sortIaLj32ELj4ElLj1ELj1ELj0ELNS0_26block_radix_rank_algorithmE1ELNS0_18block_padding_hintE2ELNS0_4arch9wavefront6targetE1EE19radix_bits_per_passE:
	.long	4                               ; 0x4
	.size	_ZN7rocprim17ROCPRIM_400000_NS16block_radix_sortIaLj32ELj4ElLj1ELj1ELj0ELNS0_26block_radix_rank_algorithmE1ELNS0_18block_padding_hintE2ELNS0_4arch9wavefront6targetE1EE19radix_bits_per_passE, 4

	.protected	_ZN7rocprim17ROCPRIM_400000_NS16block_radix_sortIaLj16ELj2ElLj1ELj1ELj0ELNS0_26block_radix_rank_algorithmE1ELNS0_18block_padding_hintE2ELNS0_4arch9wavefront6targetE1EE19radix_bits_per_passE ; @_ZN7rocprim17ROCPRIM_400000_NS16block_radix_sortIaLj16ELj2ElLj1ELj1ELj0ELNS0_26block_radix_rank_algorithmE1ELNS0_18block_padding_hintE2ELNS0_4arch9wavefront6targetE1EE19radix_bits_per_passE
	.type	_ZN7rocprim17ROCPRIM_400000_NS16block_radix_sortIaLj16ELj2ElLj1ELj1ELj0ELNS0_26block_radix_rank_algorithmE1ELNS0_18block_padding_hintE2ELNS0_4arch9wavefront6targetE1EE19radix_bits_per_passE,@object
	.section	.rodata._ZN7rocprim17ROCPRIM_400000_NS16block_radix_sortIaLj16ELj2ElLj1ELj1ELj0ELNS0_26block_radix_rank_algorithmE1ELNS0_18block_padding_hintE2ELNS0_4arch9wavefront6targetE1EE19radix_bits_per_passE,"aG",@progbits,_ZN7rocprim17ROCPRIM_400000_NS16block_radix_sortIaLj16ELj2ElLj1ELj1ELj0ELNS0_26block_radix_rank_algorithmE1ELNS0_18block_padding_hintE2ELNS0_4arch9wavefront6targetE1EE19radix_bits_per_passE,comdat
	.weak	_ZN7rocprim17ROCPRIM_400000_NS16block_radix_sortIaLj16ELj2ElLj1ELj1ELj0ELNS0_26block_radix_rank_algorithmE1ELNS0_18block_padding_hintE2ELNS0_4arch9wavefront6targetE1EE19radix_bits_per_passE
	.p2align	2, 0x0
_ZN7rocprim17ROCPRIM_400000_NS16block_radix_sortIaLj16ELj2ElLj1ELj1ELj0ELNS0_26block_radix_rank_algorithmE1ELNS0_18block_padding_hintE2ELNS0_4arch9wavefront6targetE1EE19radix_bits_per_passE:
	.long	4                               ; 0x4
	.size	_ZN7rocprim17ROCPRIM_400000_NS16block_radix_sortIaLj16ELj2ElLj1ELj1ELj0ELNS0_26block_radix_rank_algorithmE1ELNS0_18block_padding_hintE2ELNS0_4arch9wavefront6targetE1EE19radix_bits_per_passE, 4

	.protected	_ZN7rocprim17ROCPRIM_400000_NS16block_radix_sortIiLj512ELj8ElLj1ELj1ELj0ELNS0_26block_radix_rank_algorithmE1ELNS0_18block_padding_hintE2ELNS0_4arch9wavefront6targetE1EE19radix_bits_per_passE ; @_ZN7rocprim17ROCPRIM_400000_NS16block_radix_sortIiLj512ELj8ElLj1ELj1ELj0ELNS0_26block_radix_rank_algorithmE1ELNS0_18block_padding_hintE2ELNS0_4arch9wavefront6targetE1EE19radix_bits_per_passE
	.type	_ZN7rocprim17ROCPRIM_400000_NS16block_radix_sortIiLj512ELj8ElLj1ELj1ELj0ELNS0_26block_radix_rank_algorithmE1ELNS0_18block_padding_hintE2ELNS0_4arch9wavefront6targetE1EE19radix_bits_per_passE,@object
	.section	.rodata._ZN7rocprim17ROCPRIM_400000_NS16block_radix_sortIiLj512ELj8ElLj1ELj1ELj0ELNS0_26block_radix_rank_algorithmE1ELNS0_18block_padding_hintE2ELNS0_4arch9wavefront6targetE1EE19radix_bits_per_passE,"aG",@progbits,_ZN7rocprim17ROCPRIM_400000_NS16block_radix_sortIiLj512ELj8ElLj1ELj1ELj0ELNS0_26block_radix_rank_algorithmE1ELNS0_18block_padding_hintE2ELNS0_4arch9wavefront6targetE1EE19radix_bits_per_passE,comdat
	.weak	_ZN7rocprim17ROCPRIM_400000_NS16block_radix_sortIiLj512ELj8ElLj1ELj1ELj0ELNS0_26block_radix_rank_algorithmE1ELNS0_18block_padding_hintE2ELNS0_4arch9wavefront6targetE1EE19radix_bits_per_passE
	.p2align	2, 0x0
_ZN7rocprim17ROCPRIM_400000_NS16block_radix_sortIiLj512ELj8ElLj1ELj1ELj0ELNS0_26block_radix_rank_algorithmE1ELNS0_18block_padding_hintE2ELNS0_4arch9wavefront6targetE1EE19radix_bits_per_passE:
	.long	8                               ; 0x8
	.size	_ZN7rocprim17ROCPRIM_400000_NS16block_radix_sortIiLj512ELj8ElLj1ELj1ELj0ELNS0_26block_radix_rank_algorithmE1ELNS0_18block_padding_hintE2ELNS0_4arch9wavefront6targetE1EE19radix_bits_per_passE, 4

	.protected	_ZN7rocprim17ROCPRIM_400000_NS16block_radix_sortIiLj256ELj8ElLj1ELj1ELj0ELNS0_26block_radix_rank_algorithmE1ELNS0_18block_padding_hintE2ELNS0_4arch9wavefront6targetE1EE19radix_bits_per_passE ; @_ZN7rocprim17ROCPRIM_400000_NS16block_radix_sortIiLj256ELj8ElLj1ELj1ELj0ELNS0_26block_radix_rank_algorithmE1ELNS0_18block_padding_hintE2ELNS0_4arch9wavefront6targetE1EE19radix_bits_per_passE
	.type	_ZN7rocprim17ROCPRIM_400000_NS16block_radix_sortIiLj256ELj8ElLj1ELj1ELj0ELNS0_26block_radix_rank_algorithmE1ELNS0_18block_padding_hintE2ELNS0_4arch9wavefront6targetE1EE19radix_bits_per_passE,@object
	.section	.rodata._ZN7rocprim17ROCPRIM_400000_NS16block_radix_sortIiLj256ELj8ElLj1ELj1ELj0ELNS0_26block_radix_rank_algorithmE1ELNS0_18block_padding_hintE2ELNS0_4arch9wavefront6targetE1EE19radix_bits_per_passE,"aG",@progbits,_ZN7rocprim17ROCPRIM_400000_NS16block_radix_sortIiLj256ELj8ElLj1ELj1ELj0ELNS0_26block_radix_rank_algorithmE1ELNS0_18block_padding_hintE2ELNS0_4arch9wavefront6targetE1EE19radix_bits_per_passE,comdat
	.weak	_ZN7rocprim17ROCPRIM_400000_NS16block_radix_sortIiLj256ELj8ElLj1ELj1ELj0ELNS0_26block_radix_rank_algorithmE1ELNS0_18block_padding_hintE2ELNS0_4arch9wavefront6targetE1EE19radix_bits_per_passE
	.p2align	2, 0x0
_ZN7rocprim17ROCPRIM_400000_NS16block_radix_sortIiLj256ELj8ElLj1ELj1ELj0ELNS0_26block_radix_rank_algorithmE1ELNS0_18block_padding_hintE2ELNS0_4arch9wavefront6targetE1EE19radix_bits_per_passE:
	.long	8                               ; 0x8
	.size	_ZN7rocprim17ROCPRIM_400000_NS16block_radix_sortIiLj256ELj8ElLj1ELj1ELj0ELNS0_26block_radix_rank_algorithmE1ELNS0_18block_padding_hintE2ELNS0_4arch9wavefront6targetE1EE19radix_bits_per_passE, 4

	.protected	_ZN7rocprim17ROCPRIM_400000_NS16block_radix_sortIiLj128ELj8ElLj1ELj1ELj0ELNS0_26block_radix_rank_algorithmE1ELNS0_18block_padding_hintE2ELNS0_4arch9wavefront6targetE1EE19radix_bits_per_passE ; @_ZN7rocprim17ROCPRIM_400000_NS16block_radix_sortIiLj128ELj8ElLj1ELj1ELj0ELNS0_26block_radix_rank_algorithmE1ELNS0_18block_padding_hintE2ELNS0_4arch9wavefront6targetE1EE19radix_bits_per_passE
	.type	_ZN7rocprim17ROCPRIM_400000_NS16block_radix_sortIiLj128ELj8ElLj1ELj1ELj0ELNS0_26block_radix_rank_algorithmE1ELNS0_18block_padding_hintE2ELNS0_4arch9wavefront6targetE1EE19radix_bits_per_passE,@object
	.section	.rodata._ZN7rocprim17ROCPRIM_400000_NS16block_radix_sortIiLj128ELj8ElLj1ELj1ELj0ELNS0_26block_radix_rank_algorithmE1ELNS0_18block_padding_hintE2ELNS0_4arch9wavefront6targetE1EE19radix_bits_per_passE,"aG",@progbits,_ZN7rocprim17ROCPRIM_400000_NS16block_radix_sortIiLj128ELj8ElLj1ELj1ELj0ELNS0_26block_radix_rank_algorithmE1ELNS0_18block_padding_hintE2ELNS0_4arch9wavefront6targetE1EE19radix_bits_per_passE,comdat
	.weak	_ZN7rocprim17ROCPRIM_400000_NS16block_radix_sortIiLj128ELj8ElLj1ELj1ELj0ELNS0_26block_radix_rank_algorithmE1ELNS0_18block_padding_hintE2ELNS0_4arch9wavefront6targetE1EE19radix_bits_per_passE
	.p2align	2, 0x0
_ZN7rocprim17ROCPRIM_400000_NS16block_radix_sortIiLj128ELj8ElLj1ELj1ELj0ELNS0_26block_radix_rank_algorithmE1ELNS0_18block_padding_hintE2ELNS0_4arch9wavefront6targetE1EE19radix_bits_per_passE:
	.long	8                               ; 0x8
	.size	_ZN7rocprim17ROCPRIM_400000_NS16block_radix_sortIiLj128ELj8ElLj1ELj1ELj0ELNS0_26block_radix_rank_algorithmE1ELNS0_18block_padding_hintE2ELNS0_4arch9wavefront6targetE1EE19radix_bits_per_passE, 4

	.protected	_ZN7rocprim17ROCPRIM_400000_NS16block_radix_sortIiLj32ELj4ElLj1ELj1ELj0ELNS0_26block_radix_rank_algorithmE1ELNS0_18block_padding_hintE2ELNS0_4arch9wavefront6targetE1EE19radix_bits_per_passE ; @_ZN7rocprim17ROCPRIM_400000_NS16block_radix_sortIiLj32ELj4ElLj1ELj1ELj0ELNS0_26block_radix_rank_algorithmE1ELNS0_18block_padding_hintE2ELNS0_4arch9wavefront6targetE1EE19radix_bits_per_passE
	.type	_ZN7rocprim17ROCPRIM_400000_NS16block_radix_sortIiLj32ELj4ElLj1ELj1ELj0ELNS0_26block_radix_rank_algorithmE1ELNS0_18block_padding_hintE2ELNS0_4arch9wavefront6targetE1EE19radix_bits_per_passE,@object
	.section	.rodata._ZN7rocprim17ROCPRIM_400000_NS16block_radix_sortIiLj32ELj4ElLj1ELj1ELj0ELNS0_26block_radix_rank_algorithmE1ELNS0_18block_padding_hintE2ELNS0_4arch9wavefront6targetE1EE19radix_bits_per_passE,"aG",@progbits,_ZN7rocprim17ROCPRIM_400000_NS16block_radix_sortIiLj32ELj4ElLj1ELj1ELj0ELNS0_26block_radix_rank_algorithmE1ELNS0_18block_padding_hintE2ELNS0_4arch9wavefront6targetE1EE19radix_bits_per_passE,comdat
	.weak	_ZN7rocprim17ROCPRIM_400000_NS16block_radix_sortIiLj32ELj4ElLj1ELj1ELj0ELNS0_26block_radix_rank_algorithmE1ELNS0_18block_padding_hintE2ELNS0_4arch9wavefront6targetE1EE19radix_bits_per_passE
	.p2align	2, 0x0
_ZN7rocprim17ROCPRIM_400000_NS16block_radix_sortIiLj32ELj4ElLj1ELj1ELj0ELNS0_26block_radix_rank_algorithmE1ELNS0_18block_padding_hintE2ELNS0_4arch9wavefront6targetE1EE19radix_bits_per_passE:
	.long	4                               ; 0x4
	.size	_ZN7rocprim17ROCPRIM_400000_NS16block_radix_sortIiLj32ELj4ElLj1ELj1ELj0ELNS0_26block_radix_rank_algorithmE1ELNS0_18block_padding_hintE2ELNS0_4arch9wavefront6targetE1EE19radix_bits_per_passE, 4

	.protected	_ZN7rocprim17ROCPRIM_400000_NS16block_radix_sortIiLj16ELj2ElLj1ELj1ELj0ELNS0_26block_radix_rank_algorithmE1ELNS0_18block_padding_hintE2ELNS0_4arch9wavefront6targetE1EE19radix_bits_per_passE ; @_ZN7rocprim17ROCPRIM_400000_NS16block_radix_sortIiLj16ELj2ElLj1ELj1ELj0ELNS0_26block_radix_rank_algorithmE1ELNS0_18block_padding_hintE2ELNS0_4arch9wavefront6targetE1EE19radix_bits_per_passE
	.type	_ZN7rocprim17ROCPRIM_400000_NS16block_radix_sortIiLj16ELj2ElLj1ELj1ELj0ELNS0_26block_radix_rank_algorithmE1ELNS0_18block_padding_hintE2ELNS0_4arch9wavefront6targetE1EE19radix_bits_per_passE,@object
	.section	.rodata._ZN7rocprim17ROCPRIM_400000_NS16block_radix_sortIiLj16ELj2ElLj1ELj1ELj0ELNS0_26block_radix_rank_algorithmE1ELNS0_18block_padding_hintE2ELNS0_4arch9wavefront6targetE1EE19radix_bits_per_passE,"aG",@progbits,_ZN7rocprim17ROCPRIM_400000_NS16block_radix_sortIiLj16ELj2ElLj1ELj1ELj0ELNS0_26block_radix_rank_algorithmE1ELNS0_18block_padding_hintE2ELNS0_4arch9wavefront6targetE1EE19radix_bits_per_passE,comdat
	.weak	_ZN7rocprim17ROCPRIM_400000_NS16block_radix_sortIiLj16ELj2ElLj1ELj1ELj0ELNS0_26block_radix_rank_algorithmE1ELNS0_18block_padding_hintE2ELNS0_4arch9wavefront6targetE1EE19radix_bits_per_passE
	.p2align	2, 0x0
_ZN7rocprim17ROCPRIM_400000_NS16block_radix_sortIiLj16ELj2ElLj1ELj1ELj0ELNS0_26block_radix_rank_algorithmE1ELNS0_18block_padding_hintE2ELNS0_4arch9wavefront6targetE1EE19radix_bits_per_passE:
	.long	4                               ; 0x4
	.size	_ZN7rocprim17ROCPRIM_400000_NS16block_radix_sortIiLj16ELj2ElLj1ELj1ELj0ELNS0_26block_radix_rank_algorithmE1ELNS0_18block_padding_hintE2ELNS0_4arch9wavefront6targetE1EE19radix_bits_per_passE, 4

	.protected	_ZN7rocprim17ROCPRIM_400000_NS16block_radix_sortIlLj512ELj8ElLj1ELj1ELj0ELNS0_26block_radix_rank_algorithmE1ELNS0_18block_padding_hintE2ELNS0_4arch9wavefront6targetE1EE19radix_bits_per_passE ; @_ZN7rocprim17ROCPRIM_400000_NS16block_radix_sortIlLj512ELj8ElLj1ELj1ELj0ELNS0_26block_radix_rank_algorithmE1ELNS0_18block_padding_hintE2ELNS0_4arch9wavefront6targetE1EE19radix_bits_per_passE
	.type	_ZN7rocprim17ROCPRIM_400000_NS16block_radix_sortIlLj512ELj8ElLj1ELj1ELj0ELNS0_26block_radix_rank_algorithmE1ELNS0_18block_padding_hintE2ELNS0_4arch9wavefront6targetE1EE19radix_bits_per_passE,@object
	.section	.rodata._ZN7rocprim17ROCPRIM_400000_NS16block_radix_sortIlLj512ELj8ElLj1ELj1ELj0ELNS0_26block_radix_rank_algorithmE1ELNS0_18block_padding_hintE2ELNS0_4arch9wavefront6targetE1EE19radix_bits_per_passE,"aG",@progbits,_ZN7rocprim17ROCPRIM_400000_NS16block_radix_sortIlLj512ELj8ElLj1ELj1ELj0ELNS0_26block_radix_rank_algorithmE1ELNS0_18block_padding_hintE2ELNS0_4arch9wavefront6targetE1EE19radix_bits_per_passE,comdat
	.weak	_ZN7rocprim17ROCPRIM_400000_NS16block_radix_sortIlLj512ELj8ElLj1ELj1ELj0ELNS0_26block_radix_rank_algorithmE1ELNS0_18block_padding_hintE2ELNS0_4arch9wavefront6targetE1EE19radix_bits_per_passE
	.p2align	2, 0x0
_ZN7rocprim17ROCPRIM_400000_NS16block_radix_sortIlLj512ELj8ElLj1ELj1ELj0ELNS0_26block_radix_rank_algorithmE1ELNS0_18block_padding_hintE2ELNS0_4arch9wavefront6targetE1EE19radix_bits_per_passE:
	.long	8                               ; 0x8
	.size	_ZN7rocprim17ROCPRIM_400000_NS16block_radix_sortIlLj512ELj8ElLj1ELj1ELj0ELNS0_26block_radix_rank_algorithmE1ELNS0_18block_padding_hintE2ELNS0_4arch9wavefront6targetE1EE19radix_bits_per_passE, 4

	.protected	_ZN7rocprim17ROCPRIM_400000_NS16block_radix_sortIlLj256ELj8ElLj1ELj1ELj0ELNS0_26block_radix_rank_algorithmE1ELNS0_18block_padding_hintE2ELNS0_4arch9wavefront6targetE1EE19radix_bits_per_passE ; @_ZN7rocprim17ROCPRIM_400000_NS16block_radix_sortIlLj256ELj8ElLj1ELj1ELj0ELNS0_26block_radix_rank_algorithmE1ELNS0_18block_padding_hintE2ELNS0_4arch9wavefront6targetE1EE19radix_bits_per_passE
	.type	_ZN7rocprim17ROCPRIM_400000_NS16block_radix_sortIlLj256ELj8ElLj1ELj1ELj0ELNS0_26block_radix_rank_algorithmE1ELNS0_18block_padding_hintE2ELNS0_4arch9wavefront6targetE1EE19radix_bits_per_passE,@object
	.section	.rodata._ZN7rocprim17ROCPRIM_400000_NS16block_radix_sortIlLj256ELj8ElLj1ELj1ELj0ELNS0_26block_radix_rank_algorithmE1ELNS0_18block_padding_hintE2ELNS0_4arch9wavefront6targetE1EE19radix_bits_per_passE,"aG",@progbits,_ZN7rocprim17ROCPRIM_400000_NS16block_radix_sortIlLj256ELj8ElLj1ELj1ELj0ELNS0_26block_radix_rank_algorithmE1ELNS0_18block_padding_hintE2ELNS0_4arch9wavefront6targetE1EE19radix_bits_per_passE,comdat
	.weak	_ZN7rocprim17ROCPRIM_400000_NS16block_radix_sortIlLj256ELj8ElLj1ELj1ELj0ELNS0_26block_radix_rank_algorithmE1ELNS0_18block_padding_hintE2ELNS0_4arch9wavefront6targetE1EE19radix_bits_per_passE
	.p2align	2, 0x0
_ZN7rocprim17ROCPRIM_400000_NS16block_radix_sortIlLj256ELj8ElLj1ELj1ELj0ELNS0_26block_radix_rank_algorithmE1ELNS0_18block_padding_hintE2ELNS0_4arch9wavefront6targetE1EE19radix_bits_per_passE:
	.long	8                               ; 0x8
	.size	_ZN7rocprim17ROCPRIM_400000_NS16block_radix_sortIlLj256ELj8ElLj1ELj1ELj0ELNS0_26block_radix_rank_algorithmE1ELNS0_18block_padding_hintE2ELNS0_4arch9wavefront6targetE1EE19radix_bits_per_passE, 4

	.protected	_ZN7rocprim17ROCPRIM_400000_NS16block_radix_sortIlLj128ELj8ElLj1ELj1ELj0ELNS0_26block_radix_rank_algorithmE1ELNS0_18block_padding_hintE2ELNS0_4arch9wavefront6targetE1EE19radix_bits_per_passE ; @_ZN7rocprim17ROCPRIM_400000_NS16block_radix_sortIlLj128ELj8ElLj1ELj1ELj0ELNS0_26block_radix_rank_algorithmE1ELNS0_18block_padding_hintE2ELNS0_4arch9wavefront6targetE1EE19radix_bits_per_passE
	.type	_ZN7rocprim17ROCPRIM_400000_NS16block_radix_sortIlLj128ELj8ElLj1ELj1ELj0ELNS0_26block_radix_rank_algorithmE1ELNS0_18block_padding_hintE2ELNS0_4arch9wavefront6targetE1EE19radix_bits_per_passE,@object
	.section	.rodata._ZN7rocprim17ROCPRIM_400000_NS16block_radix_sortIlLj128ELj8ElLj1ELj1ELj0ELNS0_26block_radix_rank_algorithmE1ELNS0_18block_padding_hintE2ELNS0_4arch9wavefront6targetE1EE19radix_bits_per_passE,"aG",@progbits,_ZN7rocprim17ROCPRIM_400000_NS16block_radix_sortIlLj128ELj8ElLj1ELj1ELj0ELNS0_26block_radix_rank_algorithmE1ELNS0_18block_padding_hintE2ELNS0_4arch9wavefront6targetE1EE19radix_bits_per_passE,comdat
	.weak	_ZN7rocprim17ROCPRIM_400000_NS16block_radix_sortIlLj128ELj8ElLj1ELj1ELj0ELNS0_26block_radix_rank_algorithmE1ELNS0_18block_padding_hintE2ELNS0_4arch9wavefront6targetE1EE19radix_bits_per_passE
	.p2align	2, 0x0
_ZN7rocprim17ROCPRIM_400000_NS16block_radix_sortIlLj128ELj8ElLj1ELj1ELj0ELNS0_26block_radix_rank_algorithmE1ELNS0_18block_padding_hintE2ELNS0_4arch9wavefront6targetE1EE19radix_bits_per_passE:
	.long	8                               ; 0x8
	.size	_ZN7rocprim17ROCPRIM_400000_NS16block_radix_sortIlLj128ELj8ElLj1ELj1ELj0ELNS0_26block_radix_rank_algorithmE1ELNS0_18block_padding_hintE2ELNS0_4arch9wavefront6targetE1EE19radix_bits_per_passE, 4

	.protected	_ZN7rocprim17ROCPRIM_400000_NS16block_radix_sortIlLj32ELj4ElLj1ELj1ELj0ELNS0_26block_radix_rank_algorithmE1ELNS0_18block_padding_hintE2ELNS0_4arch9wavefront6targetE1EE19radix_bits_per_passE ; @_ZN7rocprim17ROCPRIM_400000_NS16block_radix_sortIlLj32ELj4ElLj1ELj1ELj0ELNS0_26block_radix_rank_algorithmE1ELNS0_18block_padding_hintE2ELNS0_4arch9wavefront6targetE1EE19radix_bits_per_passE
	.type	_ZN7rocprim17ROCPRIM_400000_NS16block_radix_sortIlLj32ELj4ElLj1ELj1ELj0ELNS0_26block_radix_rank_algorithmE1ELNS0_18block_padding_hintE2ELNS0_4arch9wavefront6targetE1EE19radix_bits_per_passE,@object
	.section	.rodata._ZN7rocprim17ROCPRIM_400000_NS16block_radix_sortIlLj32ELj4ElLj1ELj1ELj0ELNS0_26block_radix_rank_algorithmE1ELNS0_18block_padding_hintE2ELNS0_4arch9wavefront6targetE1EE19radix_bits_per_passE,"aG",@progbits,_ZN7rocprim17ROCPRIM_400000_NS16block_radix_sortIlLj32ELj4ElLj1ELj1ELj0ELNS0_26block_radix_rank_algorithmE1ELNS0_18block_padding_hintE2ELNS0_4arch9wavefront6targetE1EE19radix_bits_per_passE,comdat
	.weak	_ZN7rocprim17ROCPRIM_400000_NS16block_radix_sortIlLj32ELj4ElLj1ELj1ELj0ELNS0_26block_radix_rank_algorithmE1ELNS0_18block_padding_hintE2ELNS0_4arch9wavefront6targetE1EE19radix_bits_per_passE
	.p2align	2, 0x0
_ZN7rocprim17ROCPRIM_400000_NS16block_radix_sortIlLj32ELj4ElLj1ELj1ELj0ELNS0_26block_radix_rank_algorithmE1ELNS0_18block_padding_hintE2ELNS0_4arch9wavefront6targetE1EE19radix_bits_per_passE:
	.long	4                               ; 0x4
	.size	_ZN7rocprim17ROCPRIM_400000_NS16block_radix_sortIlLj32ELj4ElLj1ELj1ELj0ELNS0_26block_radix_rank_algorithmE1ELNS0_18block_padding_hintE2ELNS0_4arch9wavefront6targetE1EE19radix_bits_per_passE, 4

	.protected	_ZN7rocprim17ROCPRIM_400000_NS16block_radix_sortIlLj16ELj2ElLj1ELj1ELj0ELNS0_26block_radix_rank_algorithmE1ELNS0_18block_padding_hintE2ELNS0_4arch9wavefront6targetE1EE19radix_bits_per_passE ; @_ZN7rocprim17ROCPRIM_400000_NS16block_radix_sortIlLj16ELj2ElLj1ELj1ELj0ELNS0_26block_radix_rank_algorithmE1ELNS0_18block_padding_hintE2ELNS0_4arch9wavefront6targetE1EE19radix_bits_per_passE
	.type	_ZN7rocprim17ROCPRIM_400000_NS16block_radix_sortIlLj16ELj2ElLj1ELj1ELj0ELNS0_26block_radix_rank_algorithmE1ELNS0_18block_padding_hintE2ELNS0_4arch9wavefront6targetE1EE19radix_bits_per_passE,@object
	.section	.rodata._ZN7rocprim17ROCPRIM_400000_NS16block_radix_sortIlLj16ELj2ElLj1ELj1ELj0ELNS0_26block_radix_rank_algorithmE1ELNS0_18block_padding_hintE2ELNS0_4arch9wavefront6targetE1EE19radix_bits_per_passE,"aG",@progbits,_ZN7rocprim17ROCPRIM_400000_NS16block_radix_sortIlLj16ELj2ElLj1ELj1ELj0ELNS0_26block_radix_rank_algorithmE1ELNS0_18block_padding_hintE2ELNS0_4arch9wavefront6targetE1EE19radix_bits_per_passE,comdat
	.weak	_ZN7rocprim17ROCPRIM_400000_NS16block_radix_sortIlLj16ELj2ElLj1ELj1ELj0ELNS0_26block_radix_rank_algorithmE1ELNS0_18block_padding_hintE2ELNS0_4arch9wavefront6targetE1EE19radix_bits_per_passE
	.p2align	2, 0x0
_ZN7rocprim17ROCPRIM_400000_NS16block_radix_sortIlLj16ELj2ElLj1ELj1ELj0ELNS0_26block_radix_rank_algorithmE1ELNS0_18block_padding_hintE2ELNS0_4arch9wavefront6targetE1EE19radix_bits_per_passE:
	.long	4                               ; 0x4
	.size	_ZN7rocprim17ROCPRIM_400000_NS16block_radix_sortIlLj16ELj2ElLj1ELj1ELj0ELNS0_26block_radix_rank_algorithmE1ELNS0_18block_padding_hintE2ELNS0_4arch9wavefront6targetE1EE19radix_bits_per_passE, 4

	.protected	_ZN7rocprim17ROCPRIM_400000_NS16block_radix_sortIsLj512ELj8ElLj1ELj1ELj0ELNS0_26block_radix_rank_algorithmE1ELNS0_18block_padding_hintE2ELNS0_4arch9wavefront6targetE1EE19radix_bits_per_passE ; @_ZN7rocprim17ROCPRIM_400000_NS16block_radix_sortIsLj512ELj8ElLj1ELj1ELj0ELNS0_26block_radix_rank_algorithmE1ELNS0_18block_padding_hintE2ELNS0_4arch9wavefront6targetE1EE19radix_bits_per_passE
	.type	_ZN7rocprim17ROCPRIM_400000_NS16block_radix_sortIsLj512ELj8ElLj1ELj1ELj0ELNS0_26block_radix_rank_algorithmE1ELNS0_18block_padding_hintE2ELNS0_4arch9wavefront6targetE1EE19radix_bits_per_passE,@object
	.section	.rodata._ZN7rocprim17ROCPRIM_400000_NS16block_radix_sortIsLj512ELj8ElLj1ELj1ELj0ELNS0_26block_radix_rank_algorithmE1ELNS0_18block_padding_hintE2ELNS0_4arch9wavefront6targetE1EE19radix_bits_per_passE,"aG",@progbits,_ZN7rocprim17ROCPRIM_400000_NS16block_radix_sortIsLj512ELj8ElLj1ELj1ELj0ELNS0_26block_radix_rank_algorithmE1ELNS0_18block_padding_hintE2ELNS0_4arch9wavefront6targetE1EE19radix_bits_per_passE,comdat
	.weak	_ZN7rocprim17ROCPRIM_400000_NS16block_radix_sortIsLj512ELj8ElLj1ELj1ELj0ELNS0_26block_radix_rank_algorithmE1ELNS0_18block_padding_hintE2ELNS0_4arch9wavefront6targetE1EE19radix_bits_per_passE
	.p2align	2, 0x0
_ZN7rocprim17ROCPRIM_400000_NS16block_radix_sortIsLj512ELj8ElLj1ELj1ELj0ELNS0_26block_radix_rank_algorithmE1ELNS0_18block_padding_hintE2ELNS0_4arch9wavefront6targetE1EE19radix_bits_per_passE:
	.long	8                               ; 0x8
	.size	_ZN7rocprim17ROCPRIM_400000_NS16block_radix_sortIsLj512ELj8ElLj1ELj1ELj0ELNS0_26block_radix_rank_algorithmE1ELNS0_18block_padding_hintE2ELNS0_4arch9wavefront6targetE1EE19radix_bits_per_passE, 4

	.protected	_ZN7rocprim17ROCPRIM_400000_NS16block_radix_sortIsLj256ELj8ElLj1ELj1ELj0ELNS0_26block_radix_rank_algorithmE1ELNS0_18block_padding_hintE2ELNS0_4arch9wavefront6targetE1EE19radix_bits_per_passE ; @_ZN7rocprim17ROCPRIM_400000_NS16block_radix_sortIsLj256ELj8ElLj1ELj1ELj0ELNS0_26block_radix_rank_algorithmE1ELNS0_18block_padding_hintE2ELNS0_4arch9wavefront6targetE1EE19radix_bits_per_passE
	.type	_ZN7rocprim17ROCPRIM_400000_NS16block_radix_sortIsLj256ELj8ElLj1ELj1ELj0ELNS0_26block_radix_rank_algorithmE1ELNS0_18block_padding_hintE2ELNS0_4arch9wavefront6targetE1EE19radix_bits_per_passE,@object
	.section	.rodata._ZN7rocprim17ROCPRIM_400000_NS16block_radix_sortIsLj256ELj8ElLj1ELj1ELj0ELNS0_26block_radix_rank_algorithmE1ELNS0_18block_padding_hintE2ELNS0_4arch9wavefront6targetE1EE19radix_bits_per_passE,"aG",@progbits,_ZN7rocprim17ROCPRIM_400000_NS16block_radix_sortIsLj256ELj8ElLj1ELj1ELj0ELNS0_26block_radix_rank_algorithmE1ELNS0_18block_padding_hintE2ELNS0_4arch9wavefront6targetE1EE19radix_bits_per_passE,comdat
	.weak	_ZN7rocprim17ROCPRIM_400000_NS16block_radix_sortIsLj256ELj8ElLj1ELj1ELj0ELNS0_26block_radix_rank_algorithmE1ELNS0_18block_padding_hintE2ELNS0_4arch9wavefront6targetE1EE19radix_bits_per_passE
	.p2align	2, 0x0
_ZN7rocprim17ROCPRIM_400000_NS16block_radix_sortIsLj256ELj8ElLj1ELj1ELj0ELNS0_26block_radix_rank_algorithmE1ELNS0_18block_padding_hintE2ELNS0_4arch9wavefront6targetE1EE19radix_bits_per_passE:
	.long	8                               ; 0x8
	.size	_ZN7rocprim17ROCPRIM_400000_NS16block_radix_sortIsLj256ELj8ElLj1ELj1ELj0ELNS0_26block_radix_rank_algorithmE1ELNS0_18block_padding_hintE2ELNS0_4arch9wavefront6targetE1EE19radix_bits_per_passE, 4

	.protected	_ZN7rocprim17ROCPRIM_400000_NS16block_radix_sortIsLj128ELj8ElLj1ELj1ELj0ELNS0_26block_radix_rank_algorithmE1ELNS0_18block_padding_hintE2ELNS0_4arch9wavefront6targetE1EE19radix_bits_per_passE ; @_ZN7rocprim17ROCPRIM_400000_NS16block_radix_sortIsLj128ELj8ElLj1ELj1ELj0ELNS0_26block_radix_rank_algorithmE1ELNS0_18block_padding_hintE2ELNS0_4arch9wavefront6targetE1EE19radix_bits_per_passE
	.type	_ZN7rocprim17ROCPRIM_400000_NS16block_radix_sortIsLj128ELj8ElLj1ELj1ELj0ELNS0_26block_radix_rank_algorithmE1ELNS0_18block_padding_hintE2ELNS0_4arch9wavefront6targetE1EE19radix_bits_per_passE,@object
	.section	.rodata._ZN7rocprim17ROCPRIM_400000_NS16block_radix_sortIsLj128ELj8ElLj1ELj1ELj0ELNS0_26block_radix_rank_algorithmE1ELNS0_18block_padding_hintE2ELNS0_4arch9wavefront6targetE1EE19radix_bits_per_passE,"aG",@progbits,_ZN7rocprim17ROCPRIM_400000_NS16block_radix_sortIsLj128ELj8ElLj1ELj1ELj0ELNS0_26block_radix_rank_algorithmE1ELNS0_18block_padding_hintE2ELNS0_4arch9wavefront6targetE1EE19radix_bits_per_passE,comdat
	.weak	_ZN7rocprim17ROCPRIM_400000_NS16block_radix_sortIsLj128ELj8ElLj1ELj1ELj0ELNS0_26block_radix_rank_algorithmE1ELNS0_18block_padding_hintE2ELNS0_4arch9wavefront6targetE1EE19radix_bits_per_passE
	.p2align	2, 0x0
_ZN7rocprim17ROCPRIM_400000_NS16block_radix_sortIsLj128ELj8ElLj1ELj1ELj0ELNS0_26block_radix_rank_algorithmE1ELNS0_18block_padding_hintE2ELNS0_4arch9wavefront6targetE1EE19radix_bits_per_passE:
	.long	8                               ; 0x8
	.size	_ZN7rocprim17ROCPRIM_400000_NS16block_radix_sortIsLj128ELj8ElLj1ELj1ELj0ELNS0_26block_radix_rank_algorithmE1ELNS0_18block_padding_hintE2ELNS0_4arch9wavefront6targetE1EE19radix_bits_per_passE, 4

	.protected	_ZN7rocprim17ROCPRIM_400000_NS16block_radix_sortIsLj32ELj4ElLj1ELj1ELj0ELNS0_26block_radix_rank_algorithmE1ELNS0_18block_padding_hintE2ELNS0_4arch9wavefront6targetE1EE19radix_bits_per_passE ; @_ZN7rocprim17ROCPRIM_400000_NS16block_radix_sortIsLj32ELj4ElLj1ELj1ELj0ELNS0_26block_radix_rank_algorithmE1ELNS0_18block_padding_hintE2ELNS0_4arch9wavefront6targetE1EE19radix_bits_per_passE
	.type	_ZN7rocprim17ROCPRIM_400000_NS16block_radix_sortIsLj32ELj4ElLj1ELj1ELj0ELNS0_26block_radix_rank_algorithmE1ELNS0_18block_padding_hintE2ELNS0_4arch9wavefront6targetE1EE19radix_bits_per_passE,@object
	.section	.rodata._ZN7rocprim17ROCPRIM_400000_NS16block_radix_sortIsLj32ELj4ElLj1ELj1ELj0ELNS0_26block_radix_rank_algorithmE1ELNS0_18block_padding_hintE2ELNS0_4arch9wavefront6targetE1EE19radix_bits_per_passE,"aG",@progbits,_ZN7rocprim17ROCPRIM_400000_NS16block_radix_sortIsLj32ELj4ElLj1ELj1ELj0ELNS0_26block_radix_rank_algorithmE1ELNS0_18block_padding_hintE2ELNS0_4arch9wavefront6targetE1EE19radix_bits_per_passE,comdat
	.weak	_ZN7rocprim17ROCPRIM_400000_NS16block_radix_sortIsLj32ELj4ElLj1ELj1ELj0ELNS0_26block_radix_rank_algorithmE1ELNS0_18block_padding_hintE2ELNS0_4arch9wavefront6targetE1EE19radix_bits_per_passE
	.p2align	2, 0x0
_ZN7rocprim17ROCPRIM_400000_NS16block_radix_sortIsLj32ELj4ElLj1ELj1ELj0ELNS0_26block_radix_rank_algorithmE1ELNS0_18block_padding_hintE2ELNS0_4arch9wavefront6targetE1EE19radix_bits_per_passE:
	.long	4                               ; 0x4
	.size	_ZN7rocprim17ROCPRIM_400000_NS16block_radix_sortIsLj32ELj4ElLj1ELj1ELj0ELNS0_26block_radix_rank_algorithmE1ELNS0_18block_padding_hintE2ELNS0_4arch9wavefront6targetE1EE19radix_bits_per_passE, 4

	.protected	_ZN7rocprim17ROCPRIM_400000_NS16block_radix_sortIsLj16ELj2ElLj1ELj1ELj0ELNS0_26block_radix_rank_algorithmE1ELNS0_18block_padding_hintE2ELNS0_4arch9wavefront6targetE1EE19radix_bits_per_passE ; @_ZN7rocprim17ROCPRIM_400000_NS16block_radix_sortIsLj16ELj2ElLj1ELj1ELj0ELNS0_26block_radix_rank_algorithmE1ELNS0_18block_padding_hintE2ELNS0_4arch9wavefront6targetE1EE19radix_bits_per_passE
	.type	_ZN7rocprim17ROCPRIM_400000_NS16block_radix_sortIsLj16ELj2ElLj1ELj1ELj0ELNS0_26block_radix_rank_algorithmE1ELNS0_18block_padding_hintE2ELNS0_4arch9wavefront6targetE1EE19radix_bits_per_passE,@object
	.section	.rodata._ZN7rocprim17ROCPRIM_400000_NS16block_radix_sortIsLj16ELj2ElLj1ELj1ELj0ELNS0_26block_radix_rank_algorithmE1ELNS0_18block_padding_hintE2ELNS0_4arch9wavefront6targetE1EE19radix_bits_per_passE,"aG",@progbits,_ZN7rocprim17ROCPRIM_400000_NS16block_radix_sortIsLj16ELj2ElLj1ELj1ELj0ELNS0_26block_radix_rank_algorithmE1ELNS0_18block_padding_hintE2ELNS0_4arch9wavefront6targetE1EE19radix_bits_per_passE,comdat
	.weak	_ZN7rocprim17ROCPRIM_400000_NS16block_radix_sortIsLj16ELj2ElLj1ELj1ELj0ELNS0_26block_radix_rank_algorithmE1ELNS0_18block_padding_hintE2ELNS0_4arch9wavefront6targetE1EE19radix_bits_per_passE
	.p2align	2, 0x0
_ZN7rocprim17ROCPRIM_400000_NS16block_radix_sortIsLj16ELj2ElLj1ELj1ELj0ELNS0_26block_radix_rank_algorithmE1ELNS0_18block_padding_hintE2ELNS0_4arch9wavefront6targetE1EE19radix_bits_per_passE:
	.long	4                               ; 0x4
	.size	_ZN7rocprim17ROCPRIM_400000_NS16block_radix_sortIsLj16ELj2ElLj1ELj1ELj0ELNS0_26block_radix_rank_algorithmE1ELNS0_18block_padding_hintE2ELNS0_4arch9wavefront6targetE1EE19radix_bits_per_passE, 4

	.protected	_ZN7rocprim17ROCPRIM_400000_NS16block_radix_sortIdLj512ELj8ElLj1ELj1ELj0ELNS0_26block_radix_rank_algorithmE1ELNS0_18block_padding_hintE2ELNS0_4arch9wavefront6targetE1EE19radix_bits_per_passE ; @_ZN7rocprim17ROCPRIM_400000_NS16block_radix_sortIdLj512ELj8ElLj1ELj1ELj0ELNS0_26block_radix_rank_algorithmE1ELNS0_18block_padding_hintE2ELNS0_4arch9wavefront6targetE1EE19radix_bits_per_passE
	.type	_ZN7rocprim17ROCPRIM_400000_NS16block_radix_sortIdLj512ELj8ElLj1ELj1ELj0ELNS0_26block_radix_rank_algorithmE1ELNS0_18block_padding_hintE2ELNS0_4arch9wavefront6targetE1EE19radix_bits_per_passE,@object
	.section	.rodata._ZN7rocprim17ROCPRIM_400000_NS16block_radix_sortIdLj512ELj8ElLj1ELj1ELj0ELNS0_26block_radix_rank_algorithmE1ELNS0_18block_padding_hintE2ELNS0_4arch9wavefront6targetE1EE19radix_bits_per_passE,"aG",@progbits,_ZN7rocprim17ROCPRIM_400000_NS16block_radix_sortIdLj512ELj8ElLj1ELj1ELj0ELNS0_26block_radix_rank_algorithmE1ELNS0_18block_padding_hintE2ELNS0_4arch9wavefront6targetE1EE19radix_bits_per_passE,comdat
	.weak	_ZN7rocprim17ROCPRIM_400000_NS16block_radix_sortIdLj512ELj8ElLj1ELj1ELj0ELNS0_26block_radix_rank_algorithmE1ELNS0_18block_padding_hintE2ELNS0_4arch9wavefront6targetE1EE19radix_bits_per_passE
	.p2align	2, 0x0
_ZN7rocprim17ROCPRIM_400000_NS16block_radix_sortIdLj512ELj8ElLj1ELj1ELj0ELNS0_26block_radix_rank_algorithmE1ELNS0_18block_padding_hintE2ELNS0_4arch9wavefront6targetE1EE19radix_bits_per_passE:
	.long	8                               ; 0x8
	.size	_ZN7rocprim17ROCPRIM_400000_NS16block_radix_sortIdLj512ELj8ElLj1ELj1ELj0ELNS0_26block_radix_rank_algorithmE1ELNS0_18block_padding_hintE2ELNS0_4arch9wavefront6targetE1EE19radix_bits_per_passE, 4

	.protected	_ZN7rocprim17ROCPRIM_400000_NS16block_radix_sortIdLj256ELj8ElLj1ELj1ELj0ELNS0_26block_radix_rank_algorithmE1ELNS0_18block_padding_hintE2ELNS0_4arch9wavefront6targetE1EE19radix_bits_per_passE ; @_ZN7rocprim17ROCPRIM_400000_NS16block_radix_sortIdLj256ELj8ElLj1ELj1ELj0ELNS0_26block_radix_rank_algorithmE1ELNS0_18block_padding_hintE2ELNS0_4arch9wavefront6targetE1EE19radix_bits_per_passE
	.type	_ZN7rocprim17ROCPRIM_400000_NS16block_radix_sortIdLj256ELj8ElLj1ELj1ELj0ELNS0_26block_radix_rank_algorithmE1ELNS0_18block_padding_hintE2ELNS0_4arch9wavefront6targetE1EE19radix_bits_per_passE,@object
	.section	.rodata._ZN7rocprim17ROCPRIM_400000_NS16block_radix_sortIdLj256ELj8ElLj1ELj1ELj0ELNS0_26block_radix_rank_algorithmE1ELNS0_18block_padding_hintE2ELNS0_4arch9wavefront6targetE1EE19radix_bits_per_passE,"aG",@progbits,_ZN7rocprim17ROCPRIM_400000_NS16block_radix_sortIdLj256ELj8ElLj1ELj1ELj0ELNS0_26block_radix_rank_algorithmE1ELNS0_18block_padding_hintE2ELNS0_4arch9wavefront6targetE1EE19radix_bits_per_passE,comdat
	.weak	_ZN7rocprim17ROCPRIM_400000_NS16block_radix_sortIdLj256ELj8ElLj1ELj1ELj0ELNS0_26block_radix_rank_algorithmE1ELNS0_18block_padding_hintE2ELNS0_4arch9wavefront6targetE1EE19radix_bits_per_passE
	.p2align	2, 0x0
_ZN7rocprim17ROCPRIM_400000_NS16block_radix_sortIdLj256ELj8ElLj1ELj1ELj0ELNS0_26block_radix_rank_algorithmE1ELNS0_18block_padding_hintE2ELNS0_4arch9wavefront6targetE1EE19radix_bits_per_passE:
	.long	8                               ; 0x8
	.size	_ZN7rocprim17ROCPRIM_400000_NS16block_radix_sortIdLj256ELj8ElLj1ELj1ELj0ELNS0_26block_radix_rank_algorithmE1ELNS0_18block_padding_hintE2ELNS0_4arch9wavefront6targetE1EE19radix_bits_per_passE, 4

	.protected	_ZN7rocprim17ROCPRIM_400000_NS16block_radix_sortIdLj128ELj8ElLj1ELj1ELj0ELNS0_26block_radix_rank_algorithmE1ELNS0_18block_padding_hintE2ELNS0_4arch9wavefront6targetE1EE19radix_bits_per_passE ; @_ZN7rocprim17ROCPRIM_400000_NS16block_radix_sortIdLj128ELj8ElLj1ELj1ELj0ELNS0_26block_radix_rank_algorithmE1ELNS0_18block_padding_hintE2ELNS0_4arch9wavefront6targetE1EE19radix_bits_per_passE
	.type	_ZN7rocprim17ROCPRIM_400000_NS16block_radix_sortIdLj128ELj8ElLj1ELj1ELj0ELNS0_26block_radix_rank_algorithmE1ELNS0_18block_padding_hintE2ELNS0_4arch9wavefront6targetE1EE19radix_bits_per_passE,@object
	.section	.rodata._ZN7rocprim17ROCPRIM_400000_NS16block_radix_sortIdLj128ELj8ElLj1ELj1ELj0ELNS0_26block_radix_rank_algorithmE1ELNS0_18block_padding_hintE2ELNS0_4arch9wavefront6targetE1EE19radix_bits_per_passE,"aG",@progbits,_ZN7rocprim17ROCPRIM_400000_NS16block_radix_sortIdLj128ELj8ElLj1ELj1ELj0ELNS0_26block_radix_rank_algorithmE1ELNS0_18block_padding_hintE2ELNS0_4arch9wavefront6targetE1EE19radix_bits_per_passE,comdat
	.weak	_ZN7rocprim17ROCPRIM_400000_NS16block_radix_sortIdLj128ELj8ElLj1ELj1ELj0ELNS0_26block_radix_rank_algorithmE1ELNS0_18block_padding_hintE2ELNS0_4arch9wavefront6targetE1EE19radix_bits_per_passE
	.p2align	2, 0x0
_ZN7rocprim17ROCPRIM_400000_NS16block_radix_sortIdLj128ELj8ElLj1ELj1ELj0ELNS0_26block_radix_rank_algorithmE1ELNS0_18block_padding_hintE2ELNS0_4arch9wavefront6targetE1EE19radix_bits_per_passE:
	.long	8                               ; 0x8
	.size	_ZN7rocprim17ROCPRIM_400000_NS16block_radix_sortIdLj128ELj8ElLj1ELj1ELj0ELNS0_26block_radix_rank_algorithmE1ELNS0_18block_padding_hintE2ELNS0_4arch9wavefront6targetE1EE19radix_bits_per_passE, 4

	.protected	_ZN7rocprim17ROCPRIM_400000_NS16block_radix_sortIdLj32ELj4ElLj1ELj1ELj0ELNS0_26block_radix_rank_algorithmE1ELNS0_18block_padding_hintE2ELNS0_4arch9wavefront6targetE1EE19radix_bits_per_passE ; @_ZN7rocprim17ROCPRIM_400000_NS16block_radix_sortIdLj32ELj4ElLj1ELj1ELj0ELNS0_26block_radix_rank_algorithmE1ELNS0_18block_padding_hintE2ELNS0_4arch9wavefront6targetE1EE19radix_bits_per_passE
	.type	_ZN7rocprim17ROCPRIM_400000_NS16block_radix_sortIdLj32ELj4ElLj1ELj1ELj0ELNS0_26block_radix_rank_algorithmE1ELNS0_18block_padding_hintE2ELNS0_4arch9wavefront6targetE1EE19radix_bits_per_passE,@object
	.section	.rodata._ZN7rocprim17ROCPRIM_400000_NS16block_radix_sortIdLj32ELj4ElLj1ELj1ELj0ELNS0_26block_radix_rank_algorithmE1ELNS0_18block_padding_hintE2ELNS0_4arch9wavefront6targetE1EE19radix_bits_per_passE,"aG",@progbits,_ZN7rocprim17ROCPRIM_400000_NS16block_radix_sortIdLj32ELj4ElLj1ELj1ELj0ELNS0_26block_radix_rank_algorithmE1ELNS0_18block_padding_hintE2ELNS0_4arch9wavefront6targetE1EE19radix_bits_per_passE,comdat
	.weak	_ZN7rocprim17ROCPRIM_400000_NS16block_radix_sortIdLj32ELj4ElLj1ELj1ELj0ELNS0_26block_radix_rank_algorithmE1ELNS0_18block_padding_hintE2ELNS0_4arch9wavefront6targetE1EE19radix_bits_per_passE
	.p2align	2, 0x0
_ZN7rocprim17ROCPRIM_400000_NS16block_radix_sortIdLj32ELj4ElLj1ELj1ELj0ELNS0_26block_radix_rank_algorithmE1ELNS0_18block_padding_hintE2ELNS0_4arch9wavefront6targetE1EE19radix_bits_per_passE:
	.long	4                               ; 0x4
	.size	_ZN7rocprim17ROCPRIM_400000_NS16block_radix_sortIdLj32ELj4ElLj1ELj1ELj0ELNS0_26block_radix_rank_algorithmE1ELNS0_18block_padding_hintE2ELNS0_4arch9wavefront6targetE1EE19radix_bits_per_passE, 4

	.protected	_ZN7rocprim17ROCPRIM_400000_NS16block_radix_sortIdLj16ELj2ElLj1ELj1ELj0ELNS0_26block_radix_rank_algorithmE1ELNS0_18block_padding_hintE2ELNS0_4arch9wavefront6targetE1EE19radix_bits_per_passE ; @_ZN7rocprim17ROCPRIM_400000_NS16block_radix_sortIdLj16ELj2ElLj1ELj1ELj0ELNS0_26block_radix_rank_algorithmE1ELNS0_18block_padding_hintE2ELNS0_4arch9wavefront6targetE1EE19radix_bits_per_passE
	.type	_ZN7rocprim17ROCPRIM_400000_NS16block_radix_sortIdLj16ELj2ElLj1ELj1ELj0ELNS0_26block_radix_rank_algorithmE1ELNS0_18block_padding_hintE2ELNS0_4arch9wavefront6targetE1EE19radix_bits_per_passE,@object
	.section	.rodata._ZN7rocprim17ROCPRIM_400000_NS16block_radix_sortIdLj16ELj2ElLj1ELj1ELj0ELNS0_26block_radix_rank_algorithmE1ELNS0_18block_padding_hintE2ELNS0_4arch9wavefront6targetE1EE19radix_bits_per_passE,"aG",@progbits,_ZN7rocprim17ROCPRIM_400000_NS16block_radix_sortIdLj16ELj2ElLj1ELj1ELj0ELNS0_26block_radix_rank_algorithmE1ELNS0_18block_padding_hintE2ELNS0_4arch9wavefront6targetE1EE19radix_bits_per_passE,comdat
	.weak	_ZN7rocprim17ROCPRIM_400000_NS16block_radix_sortIdLj16ELj2ElLj1ELj1ELj0ELNS0_26block_radix_rank_algorithmE1ELNS0_18block_padding_hintE2ELNS0_4arch9wavefront6targetE1EE19radix_bits_per_passE
	.p2align	2, 0x0
_ZN7rocprim17ROCPRIM_400000_NS16block_radix_sortIdLj16ELj2ElLj1ELj1ELj0ELNS0_26block_radix_rank_algorithmE1ELNS0_18block_padding_hintE2ELNS0_4arch9wavefront6targetE1EE19radix_bits_per_passE:
	.long	4                               ; 0x4
	.size	_ZN7rocprim17ROCPRIM_400000_NS16block_radix_sortIdLj16ELj2ElLj1ELj1ELj0ELNS0_26block_radix_rank_algorithmE1ELNS0_18block_padding_hintE2ELNS0_4arch9wavefront6targetE1EE19radix_bits_per_passE, 4

	.protected	_ZN7rocprim17ROCPRIM_400000_NS16block_radix_sortIfLj512ELj8ElLj1ELj1ELj0ELNS0_26block_radix_rank_algorithmE1ELNS0_18block_padding_hintE2ELNS0_4arch9wavefront6targetE1EE19radix_bits_per_passE ; @_ZN7rocprim17ROCPRIM_400000_NS16block_radix_sortIfLj512ELj8ElLj1ELj1ELj0ELNS0_26block_radix_rank_algorithmE1ELNS0_18block_padding_hintE2ELNS0_4arch9wavefront6targetE1EE19radix_bits_per_passE
	.type	_ZN7rocprim17ROCPRIM_400000_NS16block_radix_sortIfLj512ELj8ElLj1ELj1ELj0ELNS0_26block_radix_rank_algorithmE1ELNS0_18block_padding_hintE2ELNS0_4arch9wavefront6targetE1EE19radix_bits_per_passE,@object
	.section	.rodata._ZN7rocprim17ROCPRIM_400000_NS16block_radix_sortIfLj512ELj8ElLj1ELj1ELj0ELNS0_26block_radix_rank_algorithmE1ELNS0_18block_padding_hintE2ELNS0_4arch9wavefront6targetE1EE19radix_bits_per_passE,"aG",@progbits,_ZN7rocprim17ROCPRIM_400000_NS16block_radix_sortIfLj512ELj8ElLj1ELj1ELj0ELNS0_26block_radix_rank_algorithmE1ELNS0_18block_padding_hintE2ELNS0_4arch9wavefront6targetE1EE19radix_bits_per_passE,comdat
	.weak	_ZN7rocprim17ROCPRIM_400000_NS16block_radix_sortIfLj512ELj8ElLj1ELj1ELj0ELNS0_26block_radix_rank_algorithmE1ELNS0_18block_padding_hintE2ELNS0_4arch9wavefront6targetE1EE19radix_bits_per_passE
	.p2align	2, 0x0
_ZN7rocprim17ROCPRIM_400000_NS16block_radix_sortIfLj512ELj8ElLj1ELj1ELj0ELNS0_26block_radix_rank_algorithmE1ELNS0_18block_padding_hintE2ELNS0_4arch9wavefront6targetE1EE19radix_bits_per_passE:
	.long	8                               ; 0x8
	.size	_ZN7rocprim17ROCPRIM_400000_NS16block_radix_sortIfLj512ELj8ElLj1ELj1ELj0ELNS0_26block_radix_rank_algorithmE1ELNS0_18block_padding_hintE2ELNS0_4arch9wavefront6targetE1EE19radix_bits_per_passE, 4

	.protected	_ZN7rocprim17ROCPRIM_400000_NS16block_radix_sortIfLj256ELj8ElLj1ELj1ELj0ELNS0_26block_radix_rank_algorithmE1ELNS0_18block_padding_hintE2ELNS0_4arch9wavefront6targetE1EE19radix_bits_per_passE ; @_ZN7rocprim17ROCPRIM_400000_NS16block_radix_sortIfLj256ELj8ElLj1ELj1ELj0ELNS0_26block_radix_rank_algorithmE1ELNS0_18block_padding_hintE2ELNS0_4arch9wavefront6targetE1EE19radix_bits_per_passE
	.type	_ZN7rocprim17ROCPRIM_400000_NS16block_radix_sortIfLj256ELj8ElLj1ELj1ELj0ELNS0_26block_radix_rank_algorithmE1ELNS0_18block_padding_hintE2ELNS0_4arch9wavefront6targetE1EE19radix_bits_per_passE,@object
	.section	.rodata._ZN7rocprim17ROCPRIM_400000_NS16block_radix_sortIfLj256ELj8ElLj1ELj1ELj0ELNS0_26block_radix_rank_algorithmE1ELNS0_18block_padding_hintE2ELNS0_4arch9wavefront6targetE1EE19radix_bits_per_passE,"aG",@progbits,_ZN7rocprim17ROCPRIM_400000_NS16block_radix_sortIfLj256ELj8ElLj1ELj1ELj0ELNS0_26block_radix_rank_algorithmE1ELNS0_18block_padding_hintE2ELNS0_4arch9wavefront6targetE1EE19radix_bits_per_passE,comdat
	.weak	_ZN7rocprim17ROCPRIM_400000_NS16block_radix_sortIfLj256ELj8ElLj1ELj1ELj0ELNS0_26block_radix_rank_algorithmE1ELNS0_18block_padding_hintE2ELNS0_4arch9wavefront6targetE1EE19radix_bits_per_passE
	.p2align	2, 0x0
_ZN7rocprim17ROCPRIM_400000_NS16block_radix_sortIfLj256ELj8ElLj1ELj1ELj0ELNS0_26block_radix_rank_algorithmE1ELNS0_18block_padding_hintE2ELNS0_4arch9wavefront6targetE1EE19radix_bits_per_passE:
	.long	8                               ; 0x8
	.size	_ZN7rocprim17ROCPRIM_400000_NS16block_radix_sortIfLj256ELj8ElLj1ELj1ELj0ELNS0_26block_radix_rank_algorithmE1ELNS0_18block_padding_hintE2ELNS0_4arch9wavefront6targetE1EE19radix_bits_per_passE, 4

	.protected	_ZN7rocprim17ROCPRIM_400000_NS16block_radix_sortIfLj128ELj8ElLj1ELj1ELj0ELNS0_26block_radix_rank_algorithmE1ELNS0_18block_padding_hintE2ELNS0_4arch9wavefront6targetE1EE19radix_bits_per_passE ; @_ZN7rocprim17ROCPRIM_400000_NS16block_radix_sortIfLj128ELj8ElLj1ELj1ELj0ELNS0_26block_radix_rank_algorithmE1ELNS0_18block_padding_hintE2ELNS0_4arch9wavefront6targetE1EE19radix_bits_per_passE
	.type	_ZN7rocprim17ROCPRIM_400000_NS16block_radix_sortIfLj128ELj8ElLj1ELj1ELj0ELNS0_26block_radix_rank_algorithmE1ELNS0_18block_padding_hintE2ELNS0_4arch9wavefront6targetE1EE19radix_bits_per_passE,@object
	.section	.rodata._ZN7rocprim17ROCPRIM_400000_NS16block_radix_sortIfLj128ELj8ElLj1ELj1ELj0ELNS0_26block_radix_rank_algorithmE1ELNS0_18block_padding_hintE2ELNS0_4arch9wavefront6targetE1EE19radix_bits_per_passE,"aG",@progbits,_ZN7rocprim17ROCPRIM_400000_NS16block_radix_sortIfLj128ELj8ElLj1ELj1ELj0ELNS0_26block_radix_rank_algorithmE1ELNS0_18block_padding_hintE2ELNS0_4arch9wavefront6targetE1EE19radix_bits_per_passE,comdat
	.weak	_ZN7rocprim17ROCPRIM_400000_NS16block_radix_sortIfLj128ELj8ElLj1ELj1ELj0ELNS0_26block_radix_rank_algorithmE1ELNS0_18block_padding_hintE2ELNS0_4arch9wavefront6targetE1EE19radix_bits_per_passE
	.p2align	2, 0x0
_ZN7rocprim17ROCPRIM_400000_NS16block_radix_sortIfLj128ELj8ElLj1ELj1ELj0ELNS0_26block_radix_rank_algorithmE1ELNS0_18block_padding_hintE2ELNS0_4arch9wavefront6targetE1EE19radix_bits_per_passE:
	.long	8                               ; 0x8
	.size	_ZN7rocprim17ROCPRIM_400000_NS16block_radix_sortIfLj128ELj8ElLj1ELj1ELj0ELNS0_26block_radix_rank_algorithmE1ELNS0_18block_padding_hintE2ELNS0_4arch9wavefront6targetE1EE19radix_bits_per_passE, 4

	.protected	_ZN7rocprim17ROCPRIM_400000_NS16block_radix_sortIfLj32ELj4ElLj1ELj1ELj0ELNS0_26block_radix_rank_algorithmE1ELNS0_18block_padding_hintE2ELNS0_4arch9wavefront6targetE1EE19radix_bits_per_passE ; @_ZN7rocprim17ROCPRIM_400000_NS16block_radix_sortIfLj32ELj4ElLj1ELj1ELj0ELNS0_26block_radix_rank_algorithmE1ELNS0_18block_padding_hintE2ELNS0_4arch9wavefront6targetE1EE19radix_bits_per_passE
	.type	_ZN7rocprim17ROCPRIM_400000_NS16block_radix_sortIfLj32ELj4ElLj1ELj1ELj0ELNS0_26block_radix_rank_algorithmE1ELNS0_18block_padding_hintE2ELNS0_4arch9wavefront6targetE1EE19radix_bits_per_passE,@object
	.section	.rodata._ZN7rocprim17ROCPRIM_400000_NS16block_radix_sortIfLj32ELj4ElLj1ELj1ELj0ELNS0_26block_radix_rank_algorithmE1ELNS0_18block_padding_hintE2ELNS0_4arch9wavefront6targetE1EE19radix_bits_per_passE,"aG",@progbits,_ZN7rocprim17ROCPRIM_400000_NS16block_radix_sortIfLj32ELj4ElLj1ELj1ELj0ELNS0_26block_radix_rank_algorithmE1ELNS0_18block_padding_hintE2ELNS0_4arch9wavefront6targetE1EE19radix_bits_per_passE,comdat
	.weak	_ZN7rocprim17ROCPRIM_400000_NS16block_radix_sortIfLj32ELj4ElLj1ELj1ELj0ELNS0_26block_radix_rank_algorithmE1ELNS0_18block_padding_hintE2ELNS0_4arch9wavefront6targetE1EE19radix_bits_per_passE
	.p2align	2, 0x0
_ZN7rocprim17ROCPRIM_400000_NS16block_radix_sortIfLj32ELj4ElLj1ELj1ELj0ELNS0_26block_radix_rank_algorithmE1ELNS0_18block_padding_hintE2ELNS0_4arch9wavefront6targetE1EE19radix_bits_per_passE:
	.long	4                               ; 0x4
	.size	_ZN7rocprim17ROCPRIM_400000_NS16block_radix_sortIfLj32ELj4ElLj1ELj1ELj0ELNS0_26block_radix_rank_algorithmE1ELNS0_18block_padding_hintE2ELNS0_4arch9wavefront6targetE1EE19radix_bits_per_passE, 4

	.protected	_ZN7rocprim17ROCPRIM_400000_NS16block_radix_sortIfLj16ELj2ElLj1ELj1ELj0ELNS0_26block_radix_rank_algorithmE1ELNS0_18block_padding_hintE2ELNS0_4arch9wavefront6targetE1EE19radix_bits_per_passE ; @_ZN7rocprim17ROCPRIM_400000_NS16block_radix_sortIfLj16ELj2ElLj1ELj1ELj0ELNS0_26block_radix_rank_algorithmE1ELNS0_18block_padding_hintE2ELNS0_4arch9wavefront6targetE1EE19radix_bits_per_passE
	.type	_ZN7rocprim17ROCPRIM_400000_NS16block_radix_sortIfLj16ELj2ElLj1ELj1ELj0ELNS0_26block_radix_rank_algorithmE1ELNS0_18block_padding_hintE2ELNS0_4arch9wavefront6targetE1EE19radix_bits_per_passE,@object
	.section	.rodata._ZN7rocprim17ROCPRIM_400000_NS16block_radix_sortIfLj16ELj2ElLj1ELj1ELj0ELNS0_26block_radix_rank_algorithmE1ELNS0_18block_padding_hintE2ELNS0_4arch9wavefront6targetE1EE19radix_bits_per_passE,"aG",@progbits,_ZN7rocprim17ROCPRIM_400000_NS16block_radix_sortIfLj16ELj2ElLj1ELj1ELj0ELNS0_26block_radix_rank_algorithmE1ELNS0_18block_padding_hintE2ELNS0_4arch9wavefront6targetE1EE19radix_bits_per_passE,comdat
	.weak	_ZN7rocprim17ROCPRIM_400000_NS16block_radix_sortIfLj16ELj2ElLj1ELj1ELj0ELNS0_26block_radix_rank_algorithmE1ELNS0_18block_padding_hintE2ELNS0_4arch9wavefront6targetE1EE19radix_bits_per_passE
	.p2align	2, 0x0
_ZN7rocprim17ROCPRIM_400000_NS16block_radix_sortIfLj16ELj2ElLj1ELj1ELj0ELNS0_26block_radix_rank_algorithmE1ELNS0_18block_padding_hintE2ELNS0_4arch9wavefront6targetE1EE19radix_bits_per_passE:
	.long	4                               ; 0x4
	.size	_ZN7rocprim17ROCPRIM_400000_NS16block_radix_sortIfLj16ELj2ElLj1ELj1ELj0ELNS0_26block_radix_rank_algorithmE1ELNS0_18block_padding_hintE2ELNS0_4arch9wavefront6targetE1EE19radix_bits_per_passE, 4

	.protected	_ZN7rocprim17ROCPRIM_400000_NS16block_radix_sortI6__halfLj512ELj8ElLj1ELj1ELj0ELNS0_26block_radix_rank_algorithmE1ELNS0_18block_padding_hintE2ELNS0_4arch9wavefront6targetE1EE19radix_bits_per_passE ; @_ZN7rocprim17ROCPRIM_400000_NS16block_radix_sortI6__halfLj512ELj8ElLj1ELj1ELj0ELNS0_26block_radix_rank_algorithmE1ELNS0_18block_padding_hintE2ELNS0_4arch9wavefront6targetE1EE19radix_bits_per_passE
	.type	_ZN7rocprim17ROCPRIM_400000_NS16block_radix_sortI6__halfLj512ELj8ElLj1ELj1ELj0ELNS0_26block_radix_rank_algorithmE1ELNS0_18block_padding_hintE2ELNS0_4arch9wavefront6targetE1EE19radix_bits_per_passE,@object
	.section	.rodata._ZN7rocprim17ROCPRIM_400000_NS16block_radix_sortI6__halfLj512ELj8ElLj1ELj1ELj0ELNS0_26block_radix_rank_algorithmE1ELNS0_18block_padding_hintE2ELNS0_4arch9wavefront6targetE1EE19radix_bits_per_passE,"aG",@progbits,_ZN7rocprim17ROCPRIM_400000_NS16block_radix_sortI6__halfLj512ELj8ElLj1ELj1ELj0ELNS0_26block_radix_rank_algorithmE1ELNS0_18block_padding_hintE2ELNS0_4arch9wavefront6targetE1EE19radix_bits_per_passE,comdat
	.weak	_ZN7rocprim17ROCPRIM_400000_NS16block_radix_sortI6__halfLj512ELj8ElLj1ELj1ELj0ELNS0_26block_radix_rank_algorithmE1ELNS0_18block_padding_hintE2ELNS0_4arch9wavefront6targetE1EE19radix_bits_per_passE
	.p2align	2, 0x0
_ZN7rocprim17ROCPRIM_400000_NS16block_radix_sortI6__halfLj512ELj8ElLj1ELj1ELj0ELNS0_26block_radix_rank_algorithmE1ELNS0_18block_padding_hintE2ELNS0_4arch9wavefront6targetE1EE19radix_bits_per_passE:
	.long	8                               ; 0x8
	.size	_ZN7rocprim17ROCPRIM_400000_NS16block_radix_sortI6__halfLj512ELj8ElLj1ELj1ELj0ELNS0_26block_radix_rank_algorithmE1ELNS0_18block_padding_hintE2ELNS0_4arch9wavefront6targetE1EE19radix_bits_per_passE, 4

	.protected	_ZN7rocprim17ROCPRIM_400000_NS16block_radix_sortI6__halfLj256ELj8ElLj1ELj1ELj0ELNS0_26block_radix_rank_algorithmE1ELNS0_18block_padding_hintE2ELNS0_4arch9wavefront6targetE1EE19radix_bits_per_passE ; @_ZN7rocprim17ROCPRIM_400000_NS16block_radix_sortI6__halfLj256ELj8ElLj1ELj1ELj0ELNS0_26block_radix_rank_algorithmE1ELNS0_18block_padding_hintE2ELNS0_4arch9wavefront6targetE1EE19radix_bits_per_passE
	.type	_ZN7rocprim17ROCPRIM_400000_NS16block_radix_sortI6__halfLj256ELj8ElLj1ELj1ELj0ELNS0_26block_radix_rank_algorithmE1ELNS0_18block_padding_hintE2ELNS0_4arch9wavefront6targetE1EE19radix_bits_per_passE,@object
	.section	.rodata._ZN7rocprim17ROCPRIM_400000_NS16block_radix_sortI6__halfLj256ELj8ElLj1ELj1ELj0ELNS0_26block_radix_rank_algorithmE1ELNS0_18block_padding_hintE2ELNS0_4arch9wavefront6targetE1EE19radix_bits_per_passE,"aG",@progbits,_ZN7rocprim17ROCPRIM_400000_NS16block_radix_sortI6__halfLj256ELj8ElLj1ELj1ELj0ELNS0_26block_radix_rank_algorithmE1ELNS0_18block_padding_hintE2ELNS0_4arch9wavefront6targetE1EE19radix_bits_per_passE,comdat
	.weak	_ZN7rocprim17ROCPRIM_400000_NS16block_radix_sortI6__halfLj256ELj8ElLj1ELj1ELj0ELNS0_26block_radix_rank_algorithmE1ELNS0_18block_padding_hintE2ELNS0_4arch9wavefront6targetE1EE19radix_bits_per_passE
	.p2align	2, 0x0
_ZN7rocprim17ROCPRIM_400000_NS16block_radix_sortI6__halfLj256ELj8ElLj1ELj1ELj0ELNS0_26block_radix_rank_algorithmE1ELNS0_18block_padding_hintE2ELNS0_4arch9wavefront6targetE1EE19radix_bits_per_passE:
	.long	8                               ; 0x8
	.size	_ZN7rocprim17ROCPRIM_400000_NS16block_radix_sortI6__halfLj256ELj8ElLj1ELj1ELj0ELNS0_26block_radix_rank_algorithmE1ELNS0_18block_padding_hintE2ELNS0_4arch9wavefront6targetE1EE19radix_bits_per_passE, 4

	.protected	_ZN7rocprim17ROCPRIM_400000_NS16block_radix_sortI6__halfLj128ELj8ElLj1ELj1ELj0ELNS0_26block_radix_rank_algorithmE1ELNS0_18block_padding_hintE2ELNS0_4arch9wavefront6targetE1EE19radix_bits_per_passE ; @_ZN7rocprim17ROCPRIM_400000_NS16block_radix_sortI6__halfLj128ELj8ElLj1ELj1ELj0ELNS0_26block_radix_rank_algorithmE1ELNS0_18block_padding_hintE2ELNS0_4arch9wavefront6targetE1EE19radix_bits_per_passE
	.type	_ZN7rocprim17ROCPRIM_400000_NS16block_radix_sortI6__halfLj128ELj8ElLj1ELj1ELj0ELNS0_26block_radix_rank_algorithmE1ELNS0_18block_padding_hintE2ELNS0_4arch9wavefront6targetE1EE19radix_bits_per_passE,@object
	.section	.rodata._ZN7rocprim17ROCPRIM_400000_NS16block_radix_sortI6__halfLj128ELj8ElLj1ELj1ELj0ELNS0_26block_radix_rank_algorithmE1ELNS0_18block_padding_hintE2ELNS0_4arch9wavefront6targetE1EE19radix_bits_per_passE,"aG",@progbits,_ZN7rocprim17ROCPRIM_400000_NS16block_radix_sortI6__halfLj128ELj8ElLj1ELj1ELj0ELNS0_26block_radix_rank_algorithmE1ELNS0_18block_padding_hintE2ELNS0_4arch9wavefront6targetE1EE19radix_bits_per_passE,comdat
	.weak	_ZN7rocprim17ROCPRIM_400000_NS16block_radix_sortI6__halfLj128ELj8ElLj1ELj1ELj0ELNS0_26block_radix_rank_algorithmE1ELNS0_18block_padding_hintE2ELNS0_4arch9wavefront6targetE1EE19radix_bits_per_passE
	.p2align	2, 0x0
_ZN7rocprim17ROCPRIM_400000_NS16block_radix_sortI6__halfLj128ELj8ElLj1ELj1ELj0ELNS0_26block_radix_rank_algorithmE1ELNS0_18block_padding_hintE2ELNS0_4arch9wavefront6targetE1EE19radix_bits_per_passE:
	.long	8                               ; 0x8
	.size	_ZN7rocprim17ROCPRIM_400000_NS16block_radix_sortI6__halfLj128ELj8ElLj1ELj1ELj0ELNS0_26block_radix_rank_algorithmE1ELNS0_18block_padding_hintE2ELNS0_4arch9wavefront6targetE1EE19radix_bits_per_passE, 4

	.protected	_ZN7rocprim17ROCPRIM_400000_NS16block_radix_sortI6__halfLj32ELj4ElLj1ELj1ELj0ELNS0_26block_radix_rank_algorithmE1ELNS0_18block_padding_hintE2ELNS0_4arch9wavefront6targetE1EE19radix_bits_per_passE ; @_ZN7rocprim17ROCPRIM_400000_NS16block_radix_sortI6__halfLj32ELj4ElLj1ELj1ELj0ELNS0_26block_radix_rank_algorithmE1ELNS0_18block_padding_hintE2ELNS0_4arch9wavefront6targetE1EE19radix_bits_per_passE
	.type	_ZN7rocprim17ROCPRIM_400000_NS16block_radix_sortI6__halfLj32ELj4ElLj1ELj1ELj0ELNS0_26block_radix_rank_algorithmE1ELNS0_18block_padding_hintE2ELNS0_4arch9wavefront6targetE1EE19radix_bits_per_passE,@object
	.section	.rodata._ZN7rocprim17ROCPRIM_400000_NS16block_radix_sortI6__halfLj32ELj4ElLj1ELj1ELj0ELNS0_26block_radix_rank_algorithmE1ELNS0_18block_padding_hintE2ELNS0_4arch9wavefront6targetE1EE19radix_bits_per_passE,"aG",@progbits,_ZN7rocprim17ROCPRIM_400000_NS16block_radix_sortI6__halfLj32ELj4ElLj1ELj1ELj0ELNS0_26block_radix_rank_algorithmE1ELNS0_18block_padding_hintE2ELNS0_4arch9wavefront6targetE1EE19radix_bits_per_passE,comdat
	.weak	_ZN7rocprim17ROCPRIM_400000_NS16block_radix_sortI6__halfLj32ELj4ElLj1ELj1ELj0ELNS0_26block_radix_rank_algorithmE1ELNS0_18block_padding_hintE2ELNS0_4arch9wavefront6targetE1EE19radix_bits_per_passE
	.p2align	2, 0x0
_ZN7rocprim17ROCPRIM_400000_NS16block_radix_sortI6__halfLj32ELj4ElLj1ELj1ELj0ELNS0_26block_radix_rank_algorithmE1ELNS0_18block_padding_hintE2ELNS0_4arch9wavefront6targetE1EE19radix_bits_per_passE:
	.long	4                               ; 0x4
	.size	_ZN7rocprim17ROCPRIM_400000_NS16block_radix_sortI6__halfLj32ELj4ElLj1ELj1ELj0ELNS0_26block_radix_rank_algorithmE1ELNS0_18block_padding_hintE2ELNS0_4arch9wavefront6targetE1EE19radix_bits_per_passE, 4

	.protected	_ZN7rocprim17ROCPRIM_400000_NS16block_radix_sortI6__halfLj16ELj2ElLj1ELj1ELj0ELNS0_26block_radix_rank_algorithmE1ELNS0_18block_padding_hintE2ELNS0_4arch9wavefront6targetE1EE19radix_bits_per_passE ; @_ZN7rocprim17ROCPRIM_400000_NS16block_radix_sortI6__halfLj16ELj2ElLj1ELj1ELj0ELNS0_26block_radix_rank_algorithmE1ELNS0_18block_padding_hintE2ELNS0_4arch9wavefront6targetE1EE19radix_bits_per_passE
	.type	_ZN7rocprim17ROCPRIM_400000_NS16block_radix_sortI6__halfLj16ELj2ElLj1ELj1ELj0ELNS0_26block_radix_rank_algorithmE1ELNS0_18block_padding_hintE2ELNS0_4arch9wavefront6targetE1EE19radix_bits_per_passE,@object
	.section	.rodata._ZN7rocprim17ROCPRIM_400000_NS16block_radix_sortI6__halfLj16ELj2ElLj1ELj1ELj0ELNS0_26block_radix_rank_algorithmE1ELNS0_18block_padding_hintE2ELNS0_4arch9wavefront6targetE1EE19radix_bits_per_passE,"aG",@progbits,_ZN7rocprim17ROCPRIM_400000_NS16block_radix_sortI6__halfLj16ELj2ElLj1ELj1ELj0ELNS0_26block_radix_rank_algorithmE1ELNS0_18block_padding_hintE2ELNS0_4arch9wavefront6targetE1EE19radix_bits_per_passE,comdat
	.weak	_ZN7rocprim17ROCPRIM_400000_NS16block_radix_sortI6__halfLj16ELj2ElLj1ELj1ELj0ELNS0_26block_radix_rank_algorithmE1ELNS0_18block_padding_hintE2ELNS0_4arch9wavefront6targetE1EE19radix_bits_per_passE
	.p2align	2, 0x0
_ZN7rocprim17ROCPRIM_400000_NS16block_radix_sortI6__halfLj16ELj2ElLj1ELj1ELj0ELNS0_26block_radix_rank_algorithmE1ELNS0_18block_padding_hintE2ELNS0_4arch9wavefront6targetE1EE19radix_bits_per_passE:
	.long	4                               ; 0x4
	.size	_ZN7rocprim17ROCPRIM_400000_NS16block_radix_sortI6__halfLj16ELj2ElLj1ELj1ELj0ELNS0_26block_radix_rank_algorithmE1ELNS0_18block_padding_hintE2ELNS0_4arch9wavefront6targetE1EE19radix_bits_per_passE, 4

	.protected	_ZN7rocprim17ROCPRIM_400000_NS16block_radix_sortI12hip_bfloat16Lj512ELj8ElLj1ELj1ELj0ELNS0_26block_radix_rank_algorithmE1ELNS0_18block_padding_hintE2ELNS0_4arch9wavefront6targetE1EE19radix_bits_per_passE ; @_ZN7rocprim17ROCPRIM_400000_NS16block_radix_sortI12hip_bfloat16Lj512ELj8ElLj1ELj1ELj0ELNS0_26block_radix_rank_algorithmE1ELNS0_18block_padding_hintE2ELNS0_4arch9wavefront6targetE1EE19radix_bits_per_passE
	.type	_ZN7rocprim17ROCPRIM_400000_NS16block_radix_sortI12hip_bfloat16Lj512ELj8ElLj1ELj1ELj0ELNS0_26block_radix_rank_algorithmE1ELNS0_18block_padding_hintE2ELNS0_4arch9wavefront6targetE1EE19radix_bits_per_passE,@object
	.section	.rodata._ZN7rocprim17ROCPRIM_400000_NS16block_radix_sortI12hip_bfloat16Lj512ELj8ElLj1ELj1ELj0ELNS0_26block_radix_rank_algorithmE1ELNS0_18block_padding_hintE2ELNS0_4arch9wavefront6targetE1EE19radix_bits_per_passE,"aG",@progbits,_ZN7rocprim17ROCPRIM_400000_NS16block_radix_sortI12hip_bfloat16Lj512ELj8ElLj1ELj1ELj0ELNS0_26block_radix_rank_algorithmE1ELNS0_18block_padding_hintE2ELNS0_4arch9wavefront6targetE1EE19radix_bits_per_passE,comdat
	.weak	_ZN7rocprim17ROCPRIM_400000_NS16block_radix_sortI12hip_bfloat16Lj512ELj8ElLj1ELj1ELj0ELNS0_26block_radix_rank_algorithmE1ELNS0_18block_padding_hintE2ELNS0_4arch9wavefront6targetE1EE19radix_bits_per_passE
	.p2align	2, 0x0
_ZN7rocprim17ROCPRIM_400000_NS16block_radix_sortI12hip_bfloat16Lj512ELj8ElLj1ELj1ELj0ELNS0_26block_radix_rank_algorithmE1ELNS0_18block_padding_hintE2ELNS0_4arch9wavefront6targetE1EE19radix_bits_per_passE:
	.long	8                               ; 0x8
	.size	_ZN7rocprim17ROCPRIM_400000_NS16block_radix_sortI12hip_bfloat16Lj512ELj8ElLj1ELj1ELj0ELNS0_26block_radix_rank_algorithmE1ELNS0_18block_padding_hintE2ELNS0_4arch9wavefront6targetE1EE19radix_bits_per_passE, 4

	.protected	_ZN7rocprim17ROCPRIM_400000_NS16block_radix_sortI12hip_bfloat16Lj256ELj8ElLj1ELj1ELj0ELNS0_26block_radix_rank_algorithmE1ELNS0_18block_padding_hintE2ELNS0_4arch9wavefront6targetE1EE19radix_bits_per_passE ; @_ZN7rocprim17ROCPRIM_400000_NS16block_radix_sortI12hip_bfloat16Lj256ELj8ElLj1ELj1ELj0ELNS0_26block_radix_rank_algorithmE1ELNS0_18block_padding_hintE2ELNS0_4arch9wavefront6targetE1EE19radix_bits_per_passE
	.type	_ZN7rocprim17ROCPRIM_400000_NS16block_radix_sortI12hip_bfloat16Lj256ELj8ElLj1ELj1ELj0ELNS0_26block_radix_rank_algorithmE1ELNS0_18block_padding_hintE2ELNS0_4arch9wavefront6targetE1EE19radix_bits_per_passE,@object
	.section	.rodata._ZN7rocprim17ROCPRIM_400000_NS16block_radix_sortI12hip_bfloat16Lj256ELj8ElLj1ELj1ELj0ELNS0_26block_radix_rank_algorithmE1ELNS0_18block_padding_hintE2ELNS0_4arch9wavefront6targetE1EE19radix_bits_per_passE,"aG",@progbits,_ZN7rocprim17ROCPRIM_400000_NS16block_radix_sortI12hip_bfloat16Lj256ELj8ElLj1ELj1ELj0ELNS0_26block_radix_rank_algorithmE1ELNS0_18block_padding_hintE2ELNS0_4arch9wavefront6targetE1EE19radix_bits_per_passE,comdat
	.weak	_ZN7rocprim17ROCPRIM_400000_NS16block_radix_sortI12hip_bfloat16Lj256ELj8ElLj1ELj1ELj0ELNS0_26block_radix_rank_algorithmE1ELNS0_18block_padding_hintE2ELNS0_4arch9wavefront6targetE1EE19radix_bits_per_passE
	.p2align	2, 0x0
_ZN7rocprim17ROCPRIM_400000_NS16block_radix_sortI12hip_bfloat16Lj256ELj8ElLj1ELj1ELj0ELNS0_26block_radix_rank_algorithmE1ELNS0_18block_padding_hintE2ELNS0_4arch9wavefront6targetE1EE19radix_bits_per_passE:
	.long	8                               ; 0x8
	.size	_ZN7rocprim17ROCPRIM_400000_NS16block_radix_sortI12hip_bfloat16Lj256ELj8ElLj1ELj1ELj0ELNS0_26block_radix_rank_algorithmE1ELNS0_18block_padding_hintE2ELNS0_4arch9wavefront6targetE1EE19radix_bits_per_passE, 4

	.protected	_ZN7rocprim17ROCPRIM_400000_NS16block_radix_sortI12hip_bfloat16Lj128ELj8ElLj1ELj1ELj0ELNS0_26block_radix_rank_algorithmE1ELNS0_18block_padding_hintE2ELNS0_4arch9wavefront6targetE1EE19radix_bits_per_passE ; @_ZN7rocprim17ROCPRIM_400000_NS16block_radix_sortI12hip_bfloat16Lj128ELj8ElLj1ELj1ELj0ELNS0_26block_radix_rank_algorithmE1ELNS0_18block_padding_hintE2ELNS0_4arch9wavefront6targetE1EE19radix_bits_per_passE
	.type	_ZN7rocprim17ROCPRIM_400000_NS16block_radix_sortI12hip_bfloat16Lj128ELj8ElLj1ELj1ELj0ELNS0_26block_radix_rank_algorithmE1ELNS0_18block_padding_hintE2ELNS0_4arch9wavefront6targetE1EE19radix_bits_per_passE,@object
	.section	.rodata._ZN7rocprim17ROCPRIM_400000_NS16block_radix_sortI12hip_bfloat16Lj128ELj8ElLj1ELj1ELj0ELNS0_26block_radix_rank_algorithmE1ELNS0_18block_padding_hintE2ELNS0_4arch9wavefront6targetE1EE19radix_bits_per_passE,"aG",@progbits,_ZN7rocprim17ROCPRIM_400000_NS16block_radix_sortI12hip_bfloat16Lj128ELj8ElLj1ELj1ELj0ELNS0_26block_radix_rank_algorithmE1ELNS0_18block_padding_hintE2ELNS0_4arch9wavefront6targetE1EE19radix_bits_per_passE,comdat
	.weak	_ZN7rocprim17ROCPRIM_400000_NS16block_radix_sortI12hip_bfloat16Lj128ELj8ElLj1ELj1ELj0ELNS0_26block_radix_rank_algorithmE1ELNS0_18block_padding_hintE2ELNS0_4arch9wavefront6targetE1EE19radix_bits_per_passE
	.p2align	2, 0x0
_ZN7rocprim17ROCPRIM_400000_NS16block_radix_sortI12hip_bfloat16Lj128ELj8ElLj1ELj1ELj0ELNS0_26block_radix_rank_algorithmE1ELNS0_18block_padding_hintE2ELNS0_4arch9wavefront6targetE1EE19radix_bits_per_passE:
	.long	8                               ; 0x8
	.size	_ZN7rocprim17ROCPRIM_400000_NS16block_radix_sortI12hip_bfloat16Lj128ELj8ElLj1ELj1ELj0ELNS0_26block_radix_rank_algorithmE1ELNS0_18block_padding_hintE2ELNS0_4arch9wavefront6targetE1EE19radix_bits_per_passE, 4

	.protected	_ZN7rocprim17ROCPRIM_400000_NS16block_radix_sortI12hip_bfloat16Lj32ELj4ElLj1ELj1ELj0ELNS0_26block_radix_rank_algorithmE1ELNS0_18block_padding_hintE2ELNS0_4arch9wavefront6targetE1EE19radix_bits_per_passE ; @_ZN7rocprim17ROCPRIM_400000_NS16block_radix_sortI12hip_bfloat16Lj32ELj4ElLj1ELj1ELj0ELNS0_26block_radix_rank_algorithmE1ELNS0_18block_padding_hintE2ELNS0_4arch9wavefront6targetE1EE19radix_bits_per_passE
	.type	_ZN7rocprim17ROCPRIM_400000_NS16block_radix_sortI12hip_bfloat16Lj32ELj4ElLj1ELj1ELj0ELNS0_26block_radix_rank_algorithmE1ELNS0_18block_padding_hintE2ELNS0_4arch9wavefront6targetE1EE19radix_bits_per_passE,@object
	.section	.rodata._ZN7rocprim17ROCPRIM_400000_NS16block_radix_sortI12hip_bfloat16Lj32ELj4ElLj1ELj1ELj0ELNS0_26block_radix_rank_algorithmE1ELNS0_18block_padding_hintE2ELNS0_4arch9wavefront6targetE1EE19radix_bits_per_passE,"aG",@progbits,_ZN7rocprim17ROCPRIM_400000_NS16block_radix_sortI12hip_bfloat16Lj32ELj4ElLj1ELj1ELj0ELNS0_26block_radix_rank_algorithmE1ELNS0_18block_padding_hintE2ELNS0_4arch9wavefront6targetE1EE19radix_bits_per_passE,comdat
	.weak	_ZN7rocprim17ROCPRIM_400000_NS16block_radix_sortI12hip_bfloat16Lj32ELj4ElLj1ELj1ELj0ELNS0_26block_radix_rank_algorithmE1ELNS0_18block_padding_hintE2ELNS0_4arch9wavefront6targetE1EE19radix_bits_per_passE
	.p2align	2, 0x0
_ZN7rocprim17ROCPRIM_400000_NS16block_radix_sortI12hip_bfloat16Lj32ELj4ElLj1ELj1ELj0ELNS0_26block_radix_rank_algorithmE1ELNS0_18block_padding_hintE2ELNS0_4arch9wavefront6targetE1EE19radix_bits_per_passE:
	.long	4                               ; 0x4
	.size	_ZN7rocprim17ROCPRIM_400000_NS16block_radix_sortI12hip_bfloat16Lj32ELj4ElLj1ELj1ELj0ELNS0_26block_radix_rank_algorithmE1ELNS0_18block_padding_hintE2ELNS0_4arch9wavefront6targetE1EE19radix_bits_per_passE, 4

	.protected	_ZN7rocprim17ROCPRIM_400000_NS16block_radix_sortI12hip_bfloat16Lj16ELj2ElLj1ELj1ELj0ELNS0_26block_radix_rank_algorithmE1ELNS0_18block_padding_hintE2ELNS0_4arch9wavefront6targetE1EE19radix_bits_per_passE ; @_ZN7rocprim17ROCPRIM_400000_NS16block_radix_sortI12hip_bfloat16Lj16ELj2ElLj1ELj1ELj0ELNS0_26block_radix_rank_algorithmE1ELNS0_18block_padding_hintE2ELNS0_4arch9wavefront6targetE1EE19radix_bits_per_passE
	.type	_ZN7rocprim17ROCPRIM_400000_NS16block_radix_sortI12hip_bfloat16Lj16ELj2ElLj1ELj1ELj0ELNS0_26block_radix_rank_algorithmE1ELNS0_18block_padding_hintE2ELNS0_4arch9wavefront6targetE1EE19radix_bits_per_passE,@object
	.section	.rodata._ZN7rocprim17ROCPRIM_400000_NS16block_radix_sortI12hip_bfloat16Lj16ELj2ElLj1ELj1ELj0ELNS0_26block_radix_rank_algorithmE1ELNS0_18block_padding_hintE2ELNS0_4arch9wavefront6targetE1EE19radix_bits_per_passE,"aG",@progbits,_ZN7rocprim17ROCPRIM_400000_NS16block_radix_sortI12hip_bfloat16Lj16ELj2ElLj1ELj1ELj0ELNS0_26block_radix_rank_algorithmE1ELNS0_18block_padding_hintE2ELNS0_4arch9wavefront6targetE1EE19radix_bits_per_passE,comdat
	.weak	_ZN7rocprim17ROCPRIM_400000_NS16block_radix_sortI12hip_bfloat16Lj16ELj2ElLj1ELj1ELj0ELNS0_26block_radix_rank_algorithmE1ELNS0_18block_padding_hintE2ELNS0_4arch9wavefront6targetE1EE19radix_bits_per_passE
	.p2align	2, 0x0
_ZN7rocprim17ROCPRIM_400000_NS16block_radix_sortI12hip_bfloat16Lj16ELj2ElLj1ELj1ELj0ELNS0_26block_radix_rank_algorithmE1ELNS0_18block_padding_hintE2ELNS0_4arch9wavefront6targetE1EE19radix_bits_per_passE:
	.long	4                               ; 0x4
	.size	_ZN7rocprim17ROCPRIM_400000_NS16block_radix_sortI12hip_bfloat16Lj16ELj2ElLj1ELj1ELj0ELNS0_26block_radix_rank_algorithmE1ELNS0_18block_padding_hintE2ELNS0_4arch9wavefront6targetE1EE19radix_bits_per_passE, 4

	.protected	_ZN7rocprim17ROCPRIM_400000_NS16block_radix_sortIbLj512ELj8ElLj1ELj1ELj0ELNS0_26block_radix_rank_algorithmE1ELNS0_18block_padding_hintE2ELNS0_4arch9wavefront6targetE1EE19radix_bits_per_passE ; @_ZN7rocprim17ROCPRIM_400000_NS16block_radix_sortIbLj512ELj8ElLj1ELj1ELj0ELNS0_26block_radix_rank_algorithmE1ELNS0_18block_padding_hintE2ELNS0_4arch9wavefront6targetE1EE19radix_bits_per_passE
	.type	_ZN7rocprim17ROCPRIM_400000_NS16block_radix_sortIbLj512ELj8ElLj1ELj1ELj0ELNS0_26block_radix_rank_algorithmE1ELNS0_18block_padding_hintE2ELNS0_4arch9wavefront6targetE1EE19radix_bits_per_passE,@object
	.section	.rodata._ZN7rocprim17ROCPRIM_400000_NS16block_radix_sortIbLj512ELj8ElLj1ELj1ELj0ELNS0_26block_radix_rank_algorithmE1ELNS0_18block_padding_hintE2ELNS0_4arch9wavefront6targetE1EE19radix_bits_per_passE,"aG",@progbits,_ZN7rocprim17ROCPRIM_400000_NS16block_radix_sortIbLj512ELj8ElLj1ELj1ELj0ELNS0_26block_radix_rank_algorithmE1ELNS0_18block_padding_hintE2ELNS0_4arch9wavefront6targetE1EE19radix_bits_per_passE,comdat
	.weak	_ZN7rocprim17ROCPRIM_400000_NS16block_radix_sortIbLj512ELj8ElLj1ELj1ELj0ELNS0_26block_radix_rank_algorithmE1ELNS0_18block_padding_hintE2ELNS0_4arch9wavefront6targetE1EE19radix_bits_per_passE
	.p2align	2, 0x0
_ZN7rocprim17ROCPRIM_400000_NS16block_radix_sortIbLj512ELj8ElLj1ELj1ELj0ELNS0_26block_radix_rank_algorithmE1ELNS0_18block_padding_hintE2ELNS0_4arch9wavefront6targetE1EE19radix_bits_per_passE:
	.long	8                               ; 0x8
	.size	_ZN7rocprim17ROCPRIM_400000_NS16block_radix_sortIbLj512ELj8ElLj1ELj1ELj0ELNS0_26block_radix_rank_algorithmE1ELNS0_18block_padding_hintE2ELNS0_4arch9wavefront6targetE1EE19radix_bits_per_passE, 4

	.protected	_ZN7rocprim17ROCPRIM_400000_NS16block_radix_sortIbLj256ELj8ElLj1ELj1ELj0ELNS0_26block_radix_rank_algorithmE1ELNS0_18block_padding_hintE2ELNS0_4arch9wavefront6targetE1EE19radix_bits_per_passE ; @_ZN7rocprim17ROCPRIM_400000_NS16block_radix_sortIbLj256ELj8ElLj1ELj1ELj0ELNS0_26block_radix_rank_algorithmE1ELNS0_18block_padding_hintE2ELNS0_4arch9wavefront6targetE1EE19radix_bits_per_passE
	.type	_ZN7rocprim17ROCPRIM_400000_NS16block_radix_sortIbLj256ELj8ElLj1ELj1ELj0ELNS0_26block_radix_rank_algorithmE1ELNS0_18block_padding_hintE2ELNS0_4arch9wavefront6targetE1EE19radix_bits_per_passE,@object
	.section	.rodata._ZN7rocprim17ROCPRIM_400000_NS16block_radix_sortIbLj256ELj8ElLj1ELj1ELj0ELNS0_26block_radix_rank_algorithmE1ELNS0_18block_padding_hintE2ELNS0_4arch9wavefront6targetE1EE19radix_bits_per_passE,"aG",@progbits,_ZN7rocprim17ROCPRIM_400000_NS16block_radix_sortIbLj256ELj8ElLj1ELj1ELj0ELNS0_26block_radix_rank_algorithmE1ELNS0_18block_padding_hintE2ELNS0_4arch9wavefront6targetE1EE19radix_bits_per_passE,comdat
	.weak	_ZN7rocprim17ROCPRIM_400000_NS16block_radix_sortIbLj256ELj8ElLj1ELj1ELj0ELNS0_26block_radix_rank_algorithmE1ELNS0_18block_padding_hintE2ELNS0_4arch9wavefront6targetE1EE19radix_bits_per_passE
	.p2align	2, 0x0
_ZN7rocprim17ROCPRIM_400000_NS16block_radix_sortIbLj256ELj8ElLj1ELj1ELj0ELNS0_26block_radix_rank_algorithmE1ELNS0_18block_padding_hintE2ELNS0_4arch9wavefront6targetE1EE19radix_bits_per_passE:
	.long	8                               ; 0x8
	.size	_ZN7rocprim17ROCPRIM_400000_NS16block_radix_sortIbLj256ELj8ElLj1ELj1ELj0ELNS0_26block_radix_rank_algorithmE1ELNS0_18block_padding_hintE2ELNS0_4arch9wavefront6targetE1EE19radix_bits_per_passE, 4

	.protected	_ZN7rocprim17ROCPRIM_400000_NS16block_radix_sortIbLj128ELj8ElLj1ELj1ELj0ELNS0_26block_radix_rank_algorithmE1ELNS0_18block_padding_hintE2ELNS0_4arch9wavefront6targetE1EE19radix_bits_per_passE ; @_ZN7rocprim17ROCPRIM_400000_NS16block_radix_sortIbLj128ELj8ElLj1ELj1ELj0ELNS0_26block_radix_rank_algorithmE1ELNS0_18block_padding_hintE2ELNS0_4arch9wavefront6targetE1EE19radix_bits_per_passE
	.type	_ZN7rocprim17ROCPRIM_400000_NS16block_radix_sortIbLj128ELj8ElLj1ELj1ELj0ELNS0_26block_radix_rank_algorithmE1ELNS0_18block_padding_hintE2ELNS0_4arch9wavefront6targetE1EE19radix_bits_per_passE,@object
	.section	.rodata._ZN7rocprim17ROCPRIM_400000_NS16block_radix_sortIbLj128ELj8ElLj1ELj1ELj0ELNS0_26block_radix_rank_algorithmE1ELNS0_18block_padding_hintE2ELNS0_4arch9wavefront6targetE1EE19radix_bits_per_passE,"aG",@progbits,_ZN7rocprim17ROCPRIM_400000_NS16block_radix_sortIbLj128ELj8ElLj1ELj1ELj0ELNS0_26block_radix_rank_algorithmE1ELNS0_18block_padding_hintE2ELNS0_4arch9wavefront6targetE1EE19radix_bits_per_passE,comdat
	.weak	_ZN7rocprim17ROCPRIM_400000_NS16block_radix_sortIbLj128ELj8ElLj1ELj1ELj0ELNS0_26block_radix_rank_algorithmE1ELNS0_18block_padding_hintE2ELNS0_4arch9wavefront6targetE1EE19radix_bits_per_passE
	.p2align	2, 0x0
_ZN7rocprim17ROCPRIM_400000_NS16block_radix_sortIbLj128ELj8ElLj1ELj1ELj0ELNS0_26block_radix_rank_algorithmE1ELNS0_18block_padding_hintE2ELNS0_4arch9wavefront6targetE1EE19radix_bits_per_passE:
	.long	8                               ; 0x8
	.size	_ZN7rocprim17ROCPRIM_400000_NS16block_radix_sortIbLj128ELj8ElLj1ELj1ELj0ELNS0_26block_radix_rank_algorithmE1ELNS0_18block_padding_hintE2ELNS0_4arch9wavefront6targetE1EE19radix_bits_per_passE, 4

	.protected	_ZN7rocprim17ROCPRIM_400000_NS16block_radix_sortIbLj32ELj4ElLj1ELj1ELj0ELNS0_26block_radix_rank_algorithmE1ELNS0_18block_padding_hintE2ELNS0_4arch9wavefront6targetE1EE19radix_bits_per_passE ; @_ZN7rocprim17ROCPRIM_400000_NS16block_radix_sortIbLj32ELj4ElLj1ELj1ELj0ELNS0_26block_radix_rank_algorithmE1ELNS0_18block_padding_hintE2ELNS0_4arch9wavefront6targetE1EE19radix_bits_per_passE
	.type	_ZN7rocprim17ROCPRIM_400000_NS16block_radix_sortIbLj32ELj4ElLj1ELj1ELj0ELNS0_26block_radix_rank_algorithmE1ELNS0_18block_padding_hintE2ELNS0_4arch9wavefront6targetE1EE19radix_bits_per_passE,@object
	.section	.rodata._ZN7rocprim17ROCPRIM_400000_NS16block_radix_sortIbLj32ELj4ElLj1ELj1ELj0ELNS0_26block_radix_rank_algorithmE1ELNS0_18block_padding_hintE2ELNS0_4arch9wavefront6targetE1EE19radix_bits_per_passE,"aG",@progbits,_ZN7rocprim17ROCPRIM_400000_NS16block_radix_sortIbLj32ELj4ElLj1ELj1ELj0ELNS0_26block_radix_rank_algorithmE1ELNS0_18block_padding_hintE2ELNS0_4arch9wavefront6targetE1EE19radix_bits_per_passE,comdat
	.weak	_ZN7rocprim17ROCPRIM_400000_NS16block_radix_sortIbLj32ELj4ElLj1ELj1ELj0ELNS0_26block_radix_rank_algorithmE1ELNS0_18block_padding_hintE2ELNS0_4arch9wavefront6targetE1EE19radix_bits_per_passE
	.p2align	2, 0x0
_ZN7rocprim17ROCPRIM_400000_NS16block_radix_sortIbLj32ELj4ElLj1ELj1ELj0ELNS0_26block_radix_rank_algorithmE1ELNS0_18block_padding_hintE2ELNS0_4arch9wavefront6targetE1EE19radix_bits_per_passE:
	.long	4                               ; 0x4
	.size	_ZN7rocprim17ROCPRIM_400000_NS16block_radix_sortIbLj32ELj4ElLj1ELj1ELj0ELNS0_26block_radix_rank_algorithmE1ELNS0_18block_padding_hintE2ELNS0_4arch9wavefront6targetE1EE19radix_bits_per_passE, 4

	.protected	_ZN7rocprim17ROCPRIM_400000_NS16block_radix_sortIbLj16ELj2ElLj1ELj1ELj0ELNS0_26block_radix_rank_algorithmE1ELNS0_18block_padding_hintE2ELNS0_4arch9wavefront6targetE1EE19radix_bits_per_passE ; @_ZN7rocprim17ROCPRIM_400000_NS16block_radix_sortIbLj16ELj2ElLj1ELj1ELj0ELNS0_26block_radix_rank_algorithmE1ELNS0_18block_padding_hintE2ELNS0_4arch9wavefront6targetE1EE19radix_bits_per_passE
	.type	_ZN7rocprim17ROCPRIM_400000_NS16block_radix_sortIbLj16ELj2ElLj1ELj1ELj0ELNS0_26block_radix_rank_algorithmE1ELNS0_18block_padding_hintE2ELNS0_4arch9wavefront6targetE1EE19radix_bits_per_passE,@object
	.section	.rodata._ZN7rocprim17ROCPRIM_400000_NS16block_radix_sortIbLj16ELj2ElLj1ELj1ELj0ELNS0_26block_radix_rank_algorithmE1ELNS0_18block_padding_hintE2ELNS0_4arch9wavefront6targetE1EE19radix_bits_per_passE,"aG",@progbits,_ZN7rocprim17ROCPRIM_400000_NS16block_radix_sortIbLj16ELj2ElLj1ELj1ELj0ELNS0_26block_radix_rank_algorithmE1ELNS0_18block_padding_hintE2ELNS0_4arch9wavefront6targetE1EE19radix_bits_per_passE,comdat
	.weak	_ZN7rocprim17ROCPRIM_400000_NS16block_radix_sortIbLj16ELj2ElLj1ELj1ELj0ELNS0_26block_radix_rank_algorithmE1ELNS0_18block_padding_hintE2ELNS0_4arch9wavefront6targetE1EE19radix_bits_per_passE
	.p2align	2, 0x0
_ZN7rocprim17ROCPRIM_400000_NS16block_radix_sortIbLj16ELj2ElLj1ELj1ELj0ELNS0_26block_radix_rank_algorithmE1ELNS0_18block_padding_hintE2ELNS0_4arch9wavefront6targetE1EE19radix_bits_per_passE:
	.long	4                               ; 0x4
	.size	_ZN7rocprim17ROCPRIM_400000_NS16block_radix_sortIbLj16ELj2ElLj1ELj1ELj0ELNS0_26block_radix_rank_algorithmE1ELNS0_18block_padding_hintE2ELNS0_4arch9wavefront6targetE1EE19radix_bits_per_passE, 4

	.type	__hip_cuid_d6cfaf30b4a9652,@object ; @__hip_cuid_d6cfaf30b4a9652
	.section	.bss,"aw",@nobits
	.globl	__hip_cuid_d6cfaf30b4a9652
__hip_cuid_d6cfaf30b4a9652:
	.byte	0                               ; 0x0
	.size	__hip_cuid_d6cfaf30b4a9652, 1

	.ident	"AMD clang version 19.0.0git (https://github.com/RadeonOpenCompute/llvm-project roc-6.4.0 25133 c7fe45cf4b819c5991fe208aaa96edf142730f1d)"
	.section	".note.GNU-stack","",@progbits
	.addrsig
	.addrsig_sym __hip_cuid_d6cfaf30b4a9652
	.amdgpu_metadata
---
amdhsa.kernels:
  - .agpr_count:     0
    .args:
      - .offset:         0
        .size:           216
        .value_kind:     by_value
      - .offset:         216
        .size:           4
        .value_kind:     by_value
      - .offset:         220
        .size:           4
        .value_kind:     by_value
      - .offset:         224
        .size:           4
        .value_kind:     by_value
      - .offset:         232
        .size:           216
        .value_kind:     by_value
      - .offset:         448
        .size:           4
        .value_kind:     by_value
      - .offset:         452
        .size:           1
        .value_kind:     by_value
      - .offset:         456
        .size:           4
        .value_kind:     hidden_block_count_x
      - .offset:         460
        .size:           4
        .value_kind:     hidden_block_count_y
      - .offset:         464
        .size:           4
        .value_kind:     hidden_block_count_z
      - .offset:         468
        .size:           2
        .value_kind:     hidden_group_size_x
      - .offset:         470
        .size:           2
        .value_kind:     hidden_group_size_y
      - .offset:         472
        .size:           2
        .value_kind:     hidden_group_size_z
      - .offset:         474
        .size:           2
        .value_kind:     hidden_remainder_x
      - .offset:         476
        .size:           2
        .value_kind:     hidden_remainder_y
      - .offset:         478
        .size:           2
        .value_kind:     hidden_remainder_z
      - .offset:         496
        .size:           8
        .value_kind:     hidden_global_offset_x
      - .offset:         504
        .size:           8
        .value_kind:     hidden_global_offset_y
      - .offset:         512
        .size:           8
        .value_kind:     hidden_global_offset_z
      - .offset:         520
        .size:           2
        .value_kind:     hidden_grid_dims
    .group_segment_fixed_size: 5120
    .kernarg_segment_align: 8
    .kernarg_segment_size: 712
    .language:       OpenCL C
    .language_version:
      - 2
      - 0
    .max_flat_workgroup_size: 256
    .name:           _ZN2at6native20bitonicSortKVInPlaceILin2ELin1ELi16ELi16EhlNS0_4LTOpIhLb1EEEjEEvNS_4cuda6detail10TensorInfoIT3_T6_EES8_S8_S8_NS6_IT4_S8_EES8_T5_
    .private_segment_fixed_size: 0
    .sgpr_count:     22
    .sgpr_spill_count: 0
    .symbol:         _ZN2at6native20bitonicSortKVInPlaceILin2ELin1ELi16ELi16EhlNS0_4LTOpIhLb1EEEjEEvNS_4cuda6detail10TensorInfoIT3_T6_EES8_S8_S8_NS6_IT4_S8_EES8_T5_.kd
    .uniform_work_group_size: 1
    .uses_dynamic_stack: false
    .vgpr_count:     33
    .vgpr_spill_count: 0
    .wavefront_size: 64
  - .agpr_count:     0
    .args:
      - .offset:         0
        .size:           216
        .value_kind:     by_value
      - .offset:         216
        .size:           4
        .value_kind:     by_value
      - .offset:         220
        .size:           4
        .value_kind:     by_value
      - .offset:         224
        .size:           4
        .value_kind:     by_value
      - .offset:         232
        .size:           216
        .value_kind:     by_value
      - .offset:         448
        .size:           4
        .value_kind:     by_value
      - .offset:         452
        .size:           1
        .value_kind:     by_value
      - .offset:         456
        .size:           4
        .value_kind:     hidden_block_count_x
      - .offset:         460
        .size:           4
        .value_kind:     hidden_block_count_y
      - .offset:         464
        .size:           4
        .value_kind:     hidden_block_count_z
      - .offset:         468
        .size:           2
        .value_kind:     hidden_group_size_x
      - .offset:         470
        .size:           2
        .value_kind:     hidden_group_size_y
      - .offset:         472
        .size:           2
        .value_kind:     hidden_group_size_z
      - .offset:         474
        .size:           2
        .value_kind:     hidden_remainder_x
      - .offset:         476
        .size:           2
        .value_kind:     hidden_remainder_y
      - .offset:         478
        .size:           2
        .value_kind:     hidden_remainder_z
      - .offset:         496
        .size:           8
        .value_kind:     hidden_global_offset_x
      - .offset:         504
        .size:           8
        .value_kind:     hidden_global_offset_y
      - .offset:         512
        .size:           8
        .value_kind:     hidden_global_offset_z
      - .offset:         520
        .size:           2
        .value_kind:     hidden_grid_dims
    .group_segment_fixed_size: 5120
    .kernarg_segment_align: 8
    .kernarg_segment_size: 712
    .language:       OpenCL C
    .language_version:
      - 2
      - 0
    .max_flat_workgroup_size: 256
    .name:           _ZN2at6native20bitonicSortKVInPlaceILin2ELin1ELi16ELi16EhlNS0_4GTOpIhLb1EEEjEEvNS_4cuda6detail10TensorInfoIT3_T6_EES8_S8_S8_NS6_IT4_S8_EES8_T5_
    .private_segment_fixed_size: 0
    .sgpr_count:     22
    .sgpr_spill_count: 0
    .symbol:         _ZN2at6native20bitonicSortKVInPlaceILin2ELin1ELi16ELi16EhlNS0_4GTOpIhLb1EEEjEEvNS_4cuda6detail10TensorInfoIT3_T6_EES8_S8_S8_NS6_IT4_S8_EES8_T5_.kd
    .uniform_work_group_size: 1
    .uses_dynamic_stack: false
    .vgpr_count:     33
    .vgpr_spill_count: 0
    .wavefront_size: 64
  - .agpr_count:     0
    .args:
      - .offset:         0
        .size:           216
        .value_kind:     by_value
      - .offset:         216
        .size:           4
        .value_kind:     by_value
      - .offset:         220
        .size:           4
        .value_kind:     by_value
      - .offset:         224
        .size:           4
        .value_kind:     by_value
      - .offset:         232
        .size:           216
        .value_kind:     by_value
      - .offset:         448
        .size:           4
        .value_kind:     by_value
      - .offset:         452
        .size:           1
        .value_kind:     by_value
      - .offset:         456
        .size:           4
        .value_kind:     hidden_block_count_x
      - .offset:         460
        .size:           4
        .value_kind:     hidden_block_count_y
      - .offset:         464
        .size:           4
        .value_kind:     hidden_block_count_z
      - .offset:         468
        .size:           2
        .value_kind:     hidden_group_size_x
      - .offset:         470
        .size:           2
        .value_kind:     hidden_group_size_y
      - .offset:         472
        .size:           2
        .value_kind:     hidden_group_size_z
      - .offset:         474
        .size:           2
        .value_kind:     hidden_remainder_x
      - .offset:         476
        .size:           2
        .value_kind:     hidden_remainder_y
      - .offset:         478
        .size:           2
        .value_kind:     hidden_remainder_z
      - .offset:         496
        .size:           8
        .value_kind:     hidden_global_offset_x
      - .offset:         504
        .size:           8
        .value_kind:     hidden_global_offset_y
      - .offset:         512
        .size:           8
        .value_kind:     hidden_global_offset_z
      - .offset:         520
        .size:           2
        .value_kind:     hidden_grid_dims
    .group_segment_fixed_size: 5120
    .kernarg_segment_align: 8
    .kernarg_segment_size: 712
    .language:       OpenCL C
    .language_version:
      - 2
      - 0
    .max_flat_workgroup_size: 256
    .name:           _ZN2at6native20bitonicSortKVInPlaceILi2ELin1ELi16ELi16EhlNS0_4LTOpIhLb1EEEjEEvNS_4cuda6detail10TensorInfoIT3_T6_EES8_S8_S8_NS6_IT4_S8_EES8_T5_
    .private_segment_fixed_size: 0
    .sgpr_count:     24
    .sgpr_spill_count: 0
    .symbol:         _ZN2at6native20bitonicSortKVInPlaceILi2ELin1ELi16ELi16EhlNS0_4LTOpIhLb1EEEjEEvNS_4cuda6detail10TensorInfoIT3_T6_EES8_S8_S8_NS6_IT4_S8_EES8_T5_.kd
    .uniform_work_group_size: 1
    .uses_dynamic_stack: false
    .vgpr_count:     33
    .vgpr_spill_count: 0
    .wavefront_size: 64
  - .agpr_count:     0
    .args:
      - .offset:         0
        .size:           216
        .value_kind:     by_value
      - .offset:         216
        .size:           4
        .value_kind:     by_value
      - .offset:         220
        .size:           4
        .value_kind:     by_value
      - .offset:         224
        .size:           4
        .value_kind:     by_value
      - .offset:         232
        .size:           216
        .value_kind:     by_value
      - .offset:         448
        .size:           4
        .value_kind:     by_value
      - .offset:         452
        .size:           1
        .value_kind:     by_value
      - .offset:         456
        .size:           4
        .value_kind:     hidden_block_count_x
      - .offset:         460
        .size:           4
        .value_kind:     hidden_block_count_y
      - .offset:         464
        .size:           4
        .value_kind:     hidden_block_count_z
      - .offset:         468
        .size:           2
        .value_kind:     hidden_group_size_x
      - .offset:         470
        .size:           2
        .value_kind:     hidden_group_size_y
      - .offset:         472
        .size:           2
        .value_kind:     hidden_group_size_z
      - .offset:         474
        .size:           2
        .value_kind:     hidden_remainder_x
      - .offset:         476
        .size:           2
        .value_kind:     hidden_remainder_y
      - .offset:         478
        .size:           2
        .value_kind:     hidden_remainder_z
      - .offset:         496
        .size:           8
        .value_kind:     hidden_global_offset_x
      - .offset:         504
        .size:           8
        .value_kind:     hidden_global_offset_y
      - .offset:         512
        .size:           8
        .value_kind:     hidden_global_offset_z
      - .offset:         520
        .size:           2
        .value_kind:     hidden_grid_dims
    .group_segment_fixed_size: 5120
    .kernarg_segment_align: 8
    .kernarg_segment_size: 712
    .language:       OpenCL C
    .language_version:
      - 2
      - 0
    .max_flat_workgroup_size: 256
    .name:           _ZN2at6native20bitonicSortKVInPlaceILi2ELin1ELi16ELi16EhlNS0_4GTOpIhLb1EEEjEEvNS_4cuda6detail10TensorInfoIT3_T6_EES8_S8_S8_NS6_IT4_S8_EES8_T5_
    .private_segment_fixed_size: 0
    .sgpr_count:     24
    .sgpr_spill_count: 0
    .symbol:         _ZN2at6native20bitonicSortKVInPlaceILi2ELin1ELi16ELi16EhlNS0_4GTOpIhLb1EEEjEEvNS_4cuda6detail10TensorInfoIT3_T6_EES8_S8_S8_NS6_IT4_S8_EES8_T5_.kd
    .uniform_work_group_size: 1
    .uses_dynamic_stack: false
    .vgpr_count:     33
    .vgpr_spill_count: 0
    .wavefront_size: 64
  - .agpr_count:     0
    .args:
      - .offset:         0
        .size:           216
        .value_kind:     by_value
      - .offset:         216
        .size:           4
        .value_kind:     by_value
      - .offset:         220
        .size:           4
        .value_kind:     by_value
      - .offset:         224
        .size:           4
        .value_kind:     by_value
      - .offset:         232
        .size:           216
        .value_kind:     by_value
      - .offset:         448
        .size:           4
        .value_kind:     by_value
      - .offset:         452
        .size:           1
        .value_kind:     by_value
      - .offset:         456
        .size:           4
        .value_kind:     hidden_block_count_x
      - .offset:         460
        .size:           4
        .value_kind:     hidden_block_count_y
      - .offset:         464
        .size:           4
        .value_kind:     hidden_block_count_z
      - .offset:         468
        .size:           2
        .value_kind:     hidden_group_size_x
      - .offset:         470
        .size:           2
        .value_kind:     hidden_group_size_y
      - .offset:         472
        .size:           2
        .value_kind:     hidden_group_size_z
      - .offset:         474
        .size:           2
        .value_kind:     hidden_remainder_x
      - .offset:         476
        .size:           2
        .value_kind:     hidden_remainder_y
      - .offset:         478
        .size:           2
        .value_kind:     hidden_remainder_z
      - .offset:         496
        .size:           8
        .value_kind:     hidden_global_offset_x
      - .offset:         504
        .size:           8
        .value_kind:     hidden_global_offset_y
      - .offset:         512
        .size:           8
        .value_kind:     hidden_global_offset_z
      - .offset:         520
        .size:           2
        .value_kind:     hidden_grid_dims
    .group_segment_fixed_size: 5120
    .kernarg_segment_align: 8
    .kernarg_segment_size: 712
    .language:       OpenCL C
    .language_version:
      - 2
      - 0
    .max_flat_workgroup_size: 256
    .name:           _ZN2at6native20bitonicSortKVInPlaceILin1ELin1ELi16ELi16EhlNS0_4LTOpIhLb1EEEjEEvNS_4cuda6detail10TensorInfoIT3_T6_EES8_S8_S8_NS6_IT4_S8_EES8_T5_
    .private_segment_fixed_size: 0
    .sgpr_count:     21
    .sgpr_spill_count: 0
    .symbol:         _ZN2at6native20bitonicSortKVInPlaceILin1ELin1ELi16ELi16EhlNS0_4LTOpIhLb1EEEjEEvNS_4cuda6detail10TensorInfoIT3_T6_EES8_S8_S8_NS6_IT4_S8_EES8_T5_.kd
    .uniform_work_group_size: 1
    .uses_dynamic_stack: false
    .vgpr_count:     33
    .vgpr_spill_count: 0
    .wavefront_size: 64
  - .agpr_count:     0
    .args:
      - .offset:         0
        .size:           216
        .value_kind:     by_value
      - .offset:         216
        .size:           4
        .value_kind:     by_value
      - .offset:         220
        .size:           4
        .value_kind:     by_value
      - .offset:         224
        .size:           4
        .value_kind:     by_value
      - .offset:         232
        .size:           216
        .value_kind:     by_value
      - .offset:         448
        .size:           4
        .value_kind:     by_value
      - .offset:         452
        .size:           1
        .value_kind:     by_value
      - .offset:         456
        .size:           4
        .value_kind:     hidden_block_count_x
      - .offset:         460
        .size:           4
        .value_kind:     hidden_block_count_y
      - .offset:         464
        .size:           4
        .value_kind:     hidden_block_count_z
      - .offset:         468
        .size:           2
        .value_kind:     hidden_group_size_x
      - .offset:         470
        .size:           2
        .value_kind:     hidden_group_size_y
      - .offset:         472
        .size:           2
        .value_kind:     hidden_group_size_z
      - .offset:         474
        .size:           2
        .value_kind:     hidden_remainder_x
      - .offset:         476
        .size:           2
        .value_kind:     hidden_remainder_y
      - .offset:         478
        .size:           2
        .value_kind:     hidden_remainder_z
      - .offset:         496
        .size:           8
        .value_kind:     hidden_global_offset_x
      - .offset:         504
        .size:           8
        .value_kind:     hidden_global_offset_y
      - .offset:         512
        .size:           8
        .value_kind:     hidden_global_offset_z
      - .offset:         520
        .size:           2
        .value_kind:     hidden_grid_dims
    .group_segment_fixed_size: 5120
    .kernarg_segment_align: 8
    .kernarg_segment_size: 712
    .language:       OpenCL C
    .language_version:
      - 2
      - 0
    .max_flat_workgroup_size: 256
    .name:           _ZN2at6native20bitonicSortKVInPlaceILin1ELin1ELi16ELi16EhlNS0_4GTOpIhLb1EEEjEEvNS_4cuda6detail10TensorInfoIT3_T6_EES8_S8_S8_NS6_IT4_S8_EES8_T5_
    .private_segment_fixed_size: 0
    .sgpr_count:     21
    .sgpr_spill_count: 0
    .symbol:         _ZN2at6native20bitonicSortKVInPlaceILin1ELin1ELi16ELi16EhlNS0_4GTOpIhLb1EEEjEEvNS_4cuda6detail10TensorInfoIT3_T6_EES8_S8_S8_NS6_IT4_S8_EES8_T5_.kd
    .uniform_work_group_size: 1
    .uses_dynamic_stack: false
    .vgpr_count:     33
    .vgpr_spill_count: 0
    .wavefront_size: 64
  - .agpr_count:     0
    .args:
      - .offset:         0
        .size:           416
        .value_kind:     by_value
      - .offset:         416
        .size:           8
        .value_kind:     by_value
      - .offset:         424
        .size:           8
        .value_kind:     by_value
      - .offset:         432
        .size:           8
        .value_kind:     by_value
      - .offset:         440
        .size:           416
        .value_kind:     by_value
      - .offset:         856
        .size:           8
        .value_kind:     by_value
      - .offset:         864
        .size:           1
        .value_kind:     by_value
      - .offset:         872
        .size:           4
        .value_kind:     hidden_block_count_x
      - .offset:         876
        .size:           4
        .value_kind:     hidden_block_count_y
      - .offset:         880
        .size:           4
        .value_kind:     hidden_block_count_z
      - .offset:         884
        .size:           2
        .value_kind:     hidden_group_size_x
      - .offset:         886
        .size:           2
        .value_kind:     hidden_group_size_y
      - .offset:         888
        .size:           2
        .value_kind:     hidden_group_size_z
      - .offset:         890
        .size:           2
        .value_kind:     hidden_remainder_x
      - .offset:         892
        .size:           2
        .value_kind:     hidden_remainder_y
      - .offset:         894
        .size:           2
        .value_kind:     hidden_remainder_z
      - .offset:         912
        .size:           8
        .value_kind:     hidden_global_offset_x
      - .offset:         920
        .size:           8
        .value_kind:     hidden_global_offset_y
      - .offset:         928
        .size:           8
        .value_kind:     hidden_global_offset_z
      - .offset:         936
        .size:           2
        .value_kind:     hidden_grid_dims
    .group_segment_fixed_size: 5120
    .kernarg_segment_align: 8
    .kernarg_segment_size: 1128
    .language:       OpenCL C
    .language_version:
      - 2
      - 0
    .max_flat_workgroup_size: 256
    .name:           _ZN2at6native20bitonicSortKVInPlaceILin1ELin1ELi16ELi16EhlNS0_4LTOpIhLb1EEEmEEvNS_4cuda6detail10TensorInfoIT3_T6_EES8_S8_S8_NS6_IT4_S8_EES8_T5_
    .private_segment_fixed_size: 0
    .sgpr_count:     25
    .sgpr_spill_count: 0
    .symbol:         _ZN2at6native20bitonicSortKVInPlaceILin1ELin1ELi16ELi16EhlNS0_4LTOpIhLb1EEEmEEvNS_4cuda6detail10TensorInfoIT3_T6_EES8_S8_S8_NS6_IT4_S8_EES8_T5_.kd
    .uniform_work_group_size: 1
    .uses_dynamic_stack: false
    .vgpr_count:     35
    .vgpr_spill_count: 0
    .wavefront_size: 64
  - .agpr_count:     0
    .args:
      - .offset:         0
        .size:           416
        .value_kind:     by_value
      - .offset:         416
        .size:           8
        .value_kind:     by_value
      - .offset:         424
        .size:           8
        .value_kind:     by_value
      - .offset:         432
        .size:           8
        .value_kind:     by_value
      - .offset:         440
        .size:           416
        .value_kind:     by_value
      - .offset:         856
        .size:           8
        .value_kind:     by_value
      - .offset:         864
        .size:           1
        .value_kind:     by_value
      - .offset:         872
        .size:           4
        .value_kind:     hidden_block_count_x
      - .offset:         876
        .size:           4
        .value_kind:     hidden_block_count_y
      - .offset:         880
        .size:           4
        .value_kind:     hidden_block_count_z
      - .offset:         884
        .size:           2
        .value_kind:     hidden_group_size_x
      - .offset:         886
        .size:           2
        .value_kind:     hidden_group_size_y
      - .offset:         888
        .size:           2
        .value_kind:     hidden_group_size_z
      - .offset:         890
        .size:           2
        .value_kind:     hidden_remainder_x
      - .offset:         892
        .size:           2
        .value_kind:     hidden_remainder_y
      - .offset:         894
        .size:           2
        .value_kind:     hidden_remainder_z
      - .offset:         912
        .size:           8
        .value_kind:     hidden_global_offset_x
      - .offset:         920
        .size:           8
        .value_kind:     hidden_global_offset_y
      - .offset:         928
        .size:           8
        .value_kind:     hidden_global_offset_z
      - .offset:         936
        .size:           2
        .value_kind:     hidden_grid_dims
    .group_segment_fixed_size: 5120
    .kernarg_segment_align: 8
    .kernarg_segment_size: 1128
    .language:       OpenCL C
    .language_version:
      - 2
      - 0
    .max_flat_workgroup_size: 256
    .name:           _ZN2at6native20bitonicSortKVInPlaceILin1ELin1ELi16ELi16EhlNS0_4GTOpIhLb1EEEmEEvNS_4cuda6detail10TensorInfoIT3_T6_EES8_S8_S8_NS6_IT4_S8_EES8_T5_
    .private_segment_fixed_size: 0
    .sgpr_count:     25
    .sgpr_spill_count: 0
    .symbol:         _ZN2at6native20bitonicSortKVInPlaceILin1ELin1ELi16ELi16EhlNS0_4GTOpIhLb1EEEmEEvNS_4cuda6detail10TensorInfoIT3_T6_EES8_S8_S8_NS6_IT4_S8_EES8_T5_.kd
    .uniform_work_group_size: 1
    .uses_dynamic_stack: false
    .vgpr_count:     35
    .vgpr_spill_count: 0
    .wavefront_size: 64
  - .agpr_count:     0
    .args:
      - .offset:         0
        .size:           216
        .value_kind:     by_value
      - .offset:         216
        .size:           4
        .value_kind:     by_value
      - .offset:         220
        .size:           4
        .value_kind:     by_value
      - .offset:         224
        .size:           4
        .value_kind:     by_value
      - .offset:         232
        .size:           216
        .value_kind:     by_value
      - .offset:         448
        .size:           4
        .value_kind:     by_value
      - .offset:         452
        .size:           1
        .value_kind:     by_value
      - .offset:         456
        .size:           4
        .value_kind:     hidden_block_count_x
      - .offset:         460
        .size:           4
        .value_kind:     hidden_block_count_y
      - .offset:         464
        .size:           4
        .value_kind:     hidden_block_count_z
      - .offset:         468
        .size:           2
        .value_kind:     hidden_group_size_x
      - .offset:         470
        .size:           2
        .value_kind:     hidden_group_size_y
      - .offset:         472
        .size:           2
        .value_kind:     hidden_group_size_z
      - .offset:         474
        .size:           2
        .value_kind:     hidden_remainder_x
      - .offset:         476
        .size:           2
        .value_kind:     hidden_remainder_y
      - .offset:         478
        .size:           2
        .value_kind:     hidden_remainder_z
      - .offset:         496
        .size:           8
        .value_kind:     hidden_global_offset_x
      - .offset:         504
        .size:           8
        .value_kind:     hidden_global_offset_y
      - .offset:         512
        .size:           8
        .value_kind:     hidden_global_offset_z
      - .offset:         520
        .size:           2
        .value_kind:     hidden_grid_dims
    .group_segment_fixed_size: 5120
    .kernarg_segment_align: 8
    .kernarg_segment_size: 712
    .language:       OpenCL C
    .language_version:
      - 2
      - 0
    .max_flat_workgroup_size: 256
    .name:           _ZN2at6native20bitonicSortKVInPlaceILin2ELin1ELi16ELi16EalNS0_4LTOpIaLb1EEEjEEvNS_4cuda6detail10TensorInfoIT3_T6_EES8_S8_S8_NS6_IT4_S8_EES8_T5_
    .private_segment_fixed_size: 0
    .sgpr_count:     22
    .sgpr_spill_count: 0
    .symbol:         _ZN2at6native20bitonicSortKVInPlaceILin2ELin1ELi16ELi16EalNS0_4LTOpIaLb1EEEjEEvNS_4cuda6detail10TensorInfoIT3_T6_EES8_S8_S8_NS6_IT4_S8_EES8_T5_.kd
    .uniform_work_group_size: 1
    .uses_dynamic_stack: false
    .vgpr_count:     33
    .vgpr_spill_count: 0
    .wavefront_size: 64
  - .agpr_count:     0
    .args:
      - .offset:         0
        .size:           216
        .value_kind:     by_value
      - .offset:         216
        .size:           4
        .value_kind:     by_value
      - .offset:         220
        .size:           4
        .value_kind:     by_value
      - .offset:         224
        .size:           4
        .value_kind:     by_value
      - .offset:         232
        .size:           216
        .value_kind:     by_value
      - .offset:         448
        .size:           4
        .value_kind:     by_value
      - .offset:         452
        .size:           1
        .value_kind:     by_value
      - .offset:         456
        .size:           4
        .value_kind:     hidden_block_count_x
      - .offset:         460
        .size:           4
        .value_kind:     hidden_block_count_y
      - .offset:         464
        .size:           4
        .value_kind:     hidden_block_count_z
      - .offset:         468
        .size:           2
        .value_kind:     hidden_group_size_x
      - .offset:         470
        .size:           2
        .value_kind:     hidden_group_size_y
      - .offset:         472
        .size:           2
        .value_kind:     hidden_group_size_z
      - .offset:         474
        .size:           2
        .value_kind:     hidden_remainder_x
      - .offset:         476
        .size:           2
        .value_kind:     hidden_remainder_y
      - .offset:         478
        .size:           2
        .value_kind:     hidden_remainder_z
      - .offset:         496
        .size:           8
        .value_kind:     hidden_global_offset_x
      - .offset:         504
        .size:           8
        .value_kind:     hidden_global_offset_y
      - .offset:         512
        .size:           8
        .value_kind:     hidden_global_offset_z
      - .offset:         520
        .size:           2
        .value_kind:     hidden_grid_dims
    .group_segment_fixed_size: 5120
    .kernarg_segment_align: 8
    .kernarg_segment_size: 712
    .language:       OpenCL C
    .language_version:
      - 2
      - 0
    .max_flat_workgroup_size: 256
    .name:           _ZN2at6native20bitonicSortKVInPlaceILin2ELin1ELi16ELi16EalNS0_4GTOpIaLb1EEEjEEvNS_4cuda6detail10TensorInfoIT3_T6_EES8_S8_S8_NS6_IT4_S8_EES8_T5_
    .private_segment_fixed_size: 0
    .sgpr_count:     22
    .sgpr_spill_count: 0
    .symbol:         _ZN2at6native20bitonicSortKVInPlaceILin2ELin1ELi16ELi16EalNS0_4GTOpIaLb1EEEjEEvNS_4cuda6detail10TensorInfoIT3_T6_EES8_S8_S8_NS6_IT4_S8_EES8_T5_.kd
    .uniform_work_group_size: 1
    .uses_dynamic_stack: false
    .vgpr_count:     33
    .vgpr_spill_count: 0
    .wavefront_size: 64
  - .agpr_count:     0
    .args:
      - .offset:         0
        .size:           216
        .value_kind:     by_value
      - .offset:         216
        .size:           4
        .value_kind:     by_value
      - .offset:         220
        .size:           4
        .value_kind:     by_value
      - .offset:         224
        .size:           4
        .value_kind:     by_value
      - .offset:         232
        .size:           216
        .value_kind:     by_value
      - .offset:         448
        .size:           4
        .value_kind:     by_value
      - .offset:         452
        .size:           1
        .value_kind:     by_value
      - .offset:         456
        .size:           4
        .value_kind:     hidden_block_count_x
      - .offset:         460
        .size:           4
        .value_kind:     hidden_block_count_y
      - .offset:         464
        .size:           4
        .value_kind:     hidden_block_count_z
      - .offset:         468
        .size:           2
        .value_kind:     hidden_group_size_x
      - .offset:         470
        .size:           2
        .value_kind:     hidden_group_size_y
      - .offset:         472
        .size:           2
        .value_kind:     hidden_group_size_z
      - .offset:         474
        .size:           2
        .value_kind:     hidden_remainder_x
      - .offset:         476
        .size:           2
        .value_kind:     hidden_remainder_y
      - .offset:         478
        .size:           2
        .value_kind:     hidden_remainder_z
      - .offset:         496
        .size:           8
        .value_kind:     hidden_global_offset_x
      - .offset:         504
        .size:           8
        .value_kind:     hidden_global_offset_y
      - .offset:         512
        .size:           8
        .value_kind:     hidden_global_offset_z
      - .offset:         520
        .size:           2
        .value_kind:     hidden_grid_dims
    .group_segment_fixed_size: 5120
    .kernarg_segment_align: 8
    .kernarg_segment_size: 712
    .language:       OpenCL C
    .language_version:
      - 2
      - 0
    .max_flat_workgroup_size: 256
    .name:           _ZN2at6native20bitonicSortKVInPlaceILi2ELin1ELi16ELi16EalNS0_4LTOpIaLb1EEEjEEvNS_4cuda6detail10TensorInfoIT3_T6_EES8_S8_S8_NS6_IT4_S8_EES8_T5_
    .private_segment_fixed_size: 0
    .sgpr_count:     24
    .sgpr_spill_count: 0
    .symbol:         _ZN2at6native20bitonicSortKVInPlaceILi2ELin1ELi16ELi16EalNS0_4LTOpIaLb1EEEjEEvNS_4cuda6detail10TensorInfoIT3_T6_EES8_S8_S8_NS6_IT4_S8_EES8_T5_.kd
    .uniform_work_group_size: 1
    .uses_dynamic_stack: false
    .vgpr_count:     33
    .vgpr_spill_count: 0
    .wavefront_size: 64
  - .agpr_count:     0
    .args:
      - .offset:         0
        .size:           216
        .value_kind:     by_value
      - .offset:         216
        .size:           4
        .value_kind:     by_value
      - .offset:         220
        .size:           4
        .value_kind:     by_value
      - .offset:         224
        .size:           4
        .value_kind:     by_value
      - .offset:         232
        .size:           216
        .value_kind:     by_value
      - .offset:         448
        .size:           4
        .value_kind:     by_value
      - .offset:         452
        .size:           1
        .value_kind:     by_value
      - .offset:         456
        .size:           4
        .value_kind:     hidden_block_count_x
      - .offset:         460
        .size:           4
        .value_kind:     hidden_block_count_y
      - .offset:         464
        .size:           4
        .value_kind:     hidden_block_count_z
      - .offset:         468
        .size:           2
        .value_kind:     hidden_group_size_x
      - .offset:         470
        .size:           2
        .value_kind:     hidden_group_size_y
      - .offset:         472
        .size:           2
        .value_kind:     hidden_group_size_z
      - .offset:         474
        .size:           2
        .value_kind:     hidden_remainder_x
      - .offset:         476
        .size:           2
        .value_kind:     hidden_remainder_y
      - .offset:         478
        .size:           2
        .value_kind:     hidden_remainder_z
      - .offset:         496
        .size:           8
        .value_kind:     hidden_global_offset_x
      - .offset:         504
        .size:           8
        .value_kind:     hidden_global_offset_y
      - .offset:         512
        .size:           8
        .value_kind:     hidden_global_offset_z
      - .offset:         520
        .size:           2
        .value_kind:     hidden_grid_dims
    .group_segment_fixed_size: 5120
    .kernarg_segment_align: 8
    .kernarg_segment_size: 712
    .language:       OpenCL C
    .language_version:
      - 2
      - 0
    .max_flat_workgroup_size: 256
    .name:           _ZN2at6native20bitonicSortKVInPlaceILi2ELin1ELi16ELi16EalNS0_4GTOpIaLb1EEEjEEvNS_4cuda6detail10TensorInfoIT3_T6_EES8_S8_S8_NS6_IT4_S8_EES8_T5_
    .private_segment_fixed_size: 0
    .sgpr_count:     24
    .sgpr_spill_count: 0
    .symbol:         _ZN2at6native20bitonicSortKVInPlaceILi2ELin1ELi16ELi16EalNS0_4GTOpIaLb1EEEjEEvNS_4cuda6detail10TensorInfoIT3_T6_EES8_S8_S8_NS6_IT4_S8_EES8_T5_.kd
    .uniform_work_group_size: 1
    .uses_dynamic_stack: false
    .vgpr_count:     33
    .vgpr_spill_count: 0
    .wavefront_size: 64
  - .agpr_count:     0
    .args:
      - .offset:         0
        .size:           216
        .value_kind:     by_value
      - .offset:         216
        .size:           4
        .value_kind:     by_value
      - .offset:         220
        .size:           4
        .value_kind:     by_value
      - .offset:         224
        .size:           4
        .value_kind:     by_value
      - .offset:         232
        .size:           216
        .value_kind:     by_value
      - .offset:         448
        .size:           4
        .value_kind:     by_value
      - .offset:         452
        .size:           1
        .value_kind:     by_value
      - .offset:         456
        .size:           4
        .value_kind:     hidden_block_count_x
      - .offset:         460
        .size:           4
        .value_kind:     hidden_block_count_y
      - .offset:         464
        .size:           4
        .value_kind:     hidden_block_count_z
      - .offset:         468
        .size:           2
        .value_kind:     hidden_group_size_x
      - .offset:         470
        .size:           2
        .value_kind:     hidden_group_size_y
      - .offset:         472
        .size:           2
        .value_kind:     hidden_group_size_z
      - .offset:         474
        .size:           2
        .value_kind:     hidden_remainder_x
      - .offset:         476
        .size:           2
        .value_kind:     hidden_remainder_y
      - .offset:         478
        .size:           2
        .value_kind:     hidden_remainder_z
      - .offset:         496
        .size:           8
        .value_kind:     hidden_global_offset_x
      - .offset:         504
        .size:           8
        .value_kind:     hidden_global_offset_y
      - .offset:         512
        .size:           8
        .value_kind:     hidden_global_offset_z
      - .offset:         520
        .size:           2
        .value_kind:     hidden_grid_dims
    .group_segment_fixed_size: 5120
    .kernarg_segment_align: 8
    .kernarg_segment_size: 712
    .language:       OpenCL C
    .language_version:
      - 2
      - 0
    .max_flat_workgroup_size: 256
    .name:           _ZN2at6native20bitonicSortKVInPlaceILin1ELin1ELi16ELi16EalNS0_4LTOpIaLb1EEEjEEvNS_4cuda6detail10TensorInfoIT3_T6_EES8_S8_S8_NS6_IT4_S8_EES8_T5_
    .private_segment_fixed_size: 0
    .sgpr_count:     21
    .sgpr_spill_count: 0
    .symbol:         _ZN2at6native20bitonicSortKVInPlaceILin1ELin1ELi16ELi16EalNS0_4LTOpIaLb1EEEjEEvNS_4cuda6detail10TensorInfoIT3_T6_EES8_S8_S8_NS6_IT4_S8_EES8_T5_.kd
    .uniform_work_group_size: 1
    .uses_dynamic_stack: false
    .vgpr_count:     33
    .vgpr_spill_count: 0
    .wavefront_size: 64
  - .agpr_count:     0
    .args:
      - .offset:         0
        .size:           216
        .value_kind:     by_value
      - .offset:         216
        .size:           4
        .value_kind:     by_value
      - .offset:         220
        .size:           4
        .value_kind:     by_value
      - .offset:         224
        .size:           4
        .value_kind:     by_value
      - .offset:         232
        .size:           216
        .value_kind:     by_value
      - .offset:         448
        .size:           4
        .value_kind:     by_value
      - .offset:         452
        .size:           1
        .value_kind:     by_value
      - .offset:         456
        .size:           4
        .value_kind:     hidden_block_count_x
      - .offset:         460
        .size:           4
        .value_kind:     hidden_block_count_y
      - .offset:         464
        .size:           4
        .value_kind:     hidden_block_count_z
      - .offset:         468
        .size:           2
        .value_kind:     hidden_group_size_x
      - .offset:         470
        .size:           2
        .value_kind:     hidden_group_size_y
      - .offset:         472
        .size:           2
        .value_kind:     hidden_group_size_z
      - .offset:         474
        .size:           2
        .value_kind:     hidden_remainder_x
      - .offset:         476
        .size:           2
        .value_kind:     hidden_remainder_y
      - .offset:         478
        .size:           2
        .value_kind:     hidden_remainder_z
      - .offset:         496
        .size:           8
        .value_kind:     hidden_global_offset_x
      - .offset:         504
        .size:           8
        .value_kind:     hidden_global_offset_y
      - .offset:         512
        .size:           8
        .value_kind:     hidden_global_offset_z
      - .offset:         520
        .size:           2
        .value_kind:     hidden_grid_dims
    .group_segment_fixed_size: 5120
    .kernarg_segment_align: 8
    .kernarg_segment_size: 712
    .language:       OpenCL C
    .language_version:
      - 2
      - 0
    .max_flat_workgroup_size: 256
    .name:           _ZN2at6native20bitonicSortKVInPlaceILin1ELin1ELi16ELi16EalNS0_4GTOpIaLb1EEEjEEvNS_4cuda6detail10TensorInfoIT3_T6_EES8_S8_S8_NS6_IT4_S8_EES8_T5_
    .private_segment_fixed_size: 0
    .sgpr_count:     21
    .sgpr_spill_count: 0
    .symbol:         _ZN2at6native20bitonicSortKVInPlaceILin1ELin1ELi16ELi16EalNS0_4GTOpIaLb1EEEjEEvNS_4cuda6detail10TensorInfoIT3_T6_EES8_S8_S8_NS6_IT4_S8_EES8_T5_.kd
    .uniform_work_group_size: 1
    .uses_dynamic_stack: false
    .vgpr_count:     33
    .vgpr_spill_count: 0
    .wavefront_size: 64
  - .agpr_count:     0
    .args:
      - .offset:         0
        .size:           416
        .value_kind:     by_value
      - .offset:         416
        .size:           8
        .value_kind:     by_value
      - .offset:         424
        .size:           8
        .value_kind:     by_value
      - .offset:         432
        .size:           8
        .value_kind:     by_value
      - .offset:         440
        .size:           416
        .value_kind:     by_value
      - .offset:         856
        .size:           8
        .value_kind:     by_value
      - .offset:         864
        .size:           1
        .value_kind:     by_value
      - .offset:         872
        .size:           4
        .value_kind:     hidden_block_count_x
      - .offset:         876
        .size:           4
        .value_kind:     hidden_block_count_y
      - .offset:         880
        .size:           4
        .value_kind:     hidden_block_count_z
      - .offset:         884
        .size:           2
        .value_kind:     hidden_group_size_x
      - .offset:         886
        .size:           2
        .value_kind:     hidden_group_size_y
      - .offset:         888
        .size:           2
        .value_kind:     hidden_group_size_z
      - .offset:         890
        .size:           2
        .value_kind:     hidden_remainder_x
      - .offset:         892
        .size:           2
        .value_kind:     hidden_remainder_y
      - .offset:         894
        .size:           2
        .value_kind:     hidden_remainder_z
      - .offset:         912
        .size:           8
        .value_kind:     hidden_global_offset_x
      - .offset:         920
        .size:           8
        .value_kind:     hidden_global_offset_y
      - .offset:         928
        .size:           8
        .value_kind:     hidden_global_offset_z
      - .offset:         936
        .size:           2
        .value_kind:     hidden_grid_dims
    .group_segment_fixed_size: 5120
    .kernarg_segment_align: 8
    .kernarg_segment_size: 1128
    .language:       OpenCL C
    .language_version:
      - 2
      - 0
    .max_flat_workgroup_size: 256
    .name:           _ZN2at6native20bitonicSortKVInPlaceILin1ELin1ELi16ELi16EalNS0_4LTOpIaLb1EEEmEEvNS_4cuda6detail10TensorInfoIT3_T6_EES8_S8_S8_NS6_IT4_S8_EES8_T5_
    .private_segment_fixed_size: 0
    .sgpr_count:     25
    .sgpr_spill_count: 0
    .symbol:         _ZN2at6native20bitonicSortKVInPlaceILin1ELin1ELi16ELi16EalNS0_4LTOpIaLb1EEEmEEvNS_4cuda6detail10TensorInfoIT3_T6_EES8_S8_S8_NS6_IT4_S8_EES8_T5_.kd
    .uniform_work_group_size: 1
    .uses_dynamic_stack: false
    .vgpr_count:     35
    .vgpr_spill_count: 0
    .wavefront_size: 64
  - .agpr_count:     0
    .args:
      - .offset:         0
        .size:           416
        .value_kind:     by_value
      - .offset:         416
        .size:           8
        .value_kind:     by_value
      - .offset:         424
        .size:           8
        .value_kind:     by_value
      - .offset:         432
        .size:           8
        .value_kind:     by_value
      - .offset:         440
        .size:           416
        .value_kind:     by_value
      - .offset:         856
        .size:           8
        .value_kind:     by_value
      - .offset:         864
        .size:           1
        .value_kind:     by_value
      - .offset:         872
        .size:           4
        .value_kind:     hidden_block_count_x
      - .offset:         876
        .size:           4
        .value_kind:     hidden_block_count_y
      - .offset:         880
        .size:           4
        .value_kind:     hidden_block_count_z
      - .offset:         884
        .size:           2
        .value_kind:     hidden_group_size_x
      - .offset:         886
        .size:           2
        .value_kind:     hidden_group_size_y
      - .offset:         888
        .size:           2
        .value_kind:     hidden_group_size_z
      - .offset:         890
        .size:           2
        .value_kind:     hidden_remainder_x
      - .offset:         892
        .size:           2
        .value_kind:     hidden_remainder_y
      - .offset:         894
        .size:           2
        .value_kind:     hidden_remainder_z
      - .offset:         912
        .size:           8
        .value_kind:     hidden_global_offset_x
      - .offset:         920
        .size:           8
        .value_kind:     hidden_global_offset_y
      - .offset:         928
        .size:           8
        .value_kind:     hidden_global_offset_z
      - .offset:         936
        .size:           2
        .value_kind:     hidden_grid_dims
    .group_segment_fixed_size: 5120
    .kernarg_segment_align: 8
    .kernarg_segment_size: 1128
    .language:       OpenCL C
    .language_version:
      - 2
      - 0
    .max_flat_workgroup_size: 256
    .name:           _ZN2at6native20bitonicSortKVInPlaceILin1ELin1ELi16ELi16EalNS0_4GTOpIaLb1EEEmEEvNS_4cuda6detail10TensorInfoIT3_T6_EES8_S8_S8_NS6_IT4_S8_EES8_T5_
    .private_segment_fixed_size: 0
    .sgpr_count:     25
    .sgpr_spill_count: 0
    .symbol:         _ZN2at6native20bitonicSortKVInPlaceILin1ELin1ELi16ELi16EalNS0_4GTOpIaLb1EEEmEEvNS_4cuda6detail10TensorInfoIT3_T6_EES8_S8_S8_NS6_IT4_S8_EES8_T5_.kd
    .uniform_work_group_size: 1
    .uses_dynamic_stack: false
    .vgpr_count:     35
    .vgpr_spill_count: 0
    .wavefront_size: 64
  - .agpr_count:     0
    .args:
      - .offset:         0
        .size:           216
        .value_kind:     by_value
      - .offset:         216
        .size:           4
        .value_kind:     by_value
      - .offset:         220
        .size:           4
        .value_kind:     by_value
      - .offset:         224
        .size:           4
        .value_kind:     by_value
      - .offset:         232
        .size:           216
        .value_kind:     by_value
      - .offset:         448
        .size:           4
        .value_kind:     by_value
      - .offset:         452
        .size:           1
        .value_kind:     by_value
      - .offset:         456
        .size:           4
        .value_kind:     hidden_block_count_x
      - .offset:         460
        .size:           4
        .value_kind:     hidden_block_count_y
      - .offset:         464
        .size:           4
        .value_kind:     hidden_block_count_z
      - .offset:         468
        .size:           2
        .value_kind:     hidden_group_size_x
      - .offset:         470
        .size:           2
        .value_kind:     hidden_group_size_y
      - .offset:         472
        .size:           2
        .value_kind:     hidden_group_size_z
      - .offset:         474
        .size:           2
        .value_kind:     hidden_remainder_x
      - .offset:         476
        .size:           2
        .value_kind:     hidden_remainder_y
      - .offset:         478
        .size:           2
        .value_kind:     hidden_remainder_z
      - .offset:         496
        .size:           8
        .value_kind:     hidden_global_offset_x
      - .offset:         504
        .size:           8
        .value_kind:     hidden_global_offset_y
      - .offset:         512
        .size:           8
        .value_kind:     hidden_global_offset_z
      - .offset:         520
        .size:           2
        .value_kind:     hidden_grid_dims
    .group_segment_fixed_size: 6656
    .kernarg_segment_align: 8
    .kernarg_segment_size: 712
    .language:       OpenCL C
    .language_version:
      - 2
      - 0
    .max_flat_workgroup_size: 256
    .name:           _ZN2at6native20bitonicSortKVInPlaceILin2ELin1ELi16ELi16EilNS0_4LTOpIiLb1EEEjEEvNS_4cuda6detail10TensorInfoIT3_T6_EES8_S8_S8_NS6_IT4_S8_EES8_T5_
    .private_segment_fixed_size: 0
    .sgpr_count:     22
    .sgpr_spill_count: 0
    .symbol:         _ZN2at6native20bitonicSortKVInPlaceILin2ELin1ELi16ELi16EilNS0_4LTOpIiLb1EEEjEEvNS_4cuda6detail10TensorInfoIT3_T6_EES8_S8_S8_NS6_IT4_S8_EES8_T5_.kd
    .uniform_work_group_size: 1
    .uses_dynamic_stack: false
    .vgpr_count:     33
    .vgpr_spill_count: 0
    .wavefront_size: 64
  - .agpr_count:     0
    .args:
      - .offset:         0
        .size:           216
        .value_kind:     by_value
      - .offset:         216
        .size:           4
        .value_kind:     by_value
      - .offset:         220
        .size:           4
        .value_kind:     by_value
      - .offset:         224
        .size:           4
        .value_kind:     by_value
      - .offset:         232
        .size:           216
        .value_kind:     by_value
      - .offset:         448
        .size:           4
        .value_kind:     by_value
      - .offset:         452
        .size:           1
        .value_kind:     by_value
      - .offset:         456
        .size:           4
        .value_kind:     hidden_block_count_x
      - .offset:         460
        .size:           4
        .value_kind:     hidden_block_count_y
      - .offset:         464
        .size:           4
        .value_kind:     hidden_block_count_z
      - .offset:         468
        .size:           2
        .value_kind:     hidden_group_size_x
      - .offset:         470
        .size:           2
        .value_kind:     hidden_group_size_y
      - .offset:         472
        .size:           2
        .value_kind:     hidden_group_size_z
      - .offset:         474
        .size:           2
        .value_kind:     hidden_remainder_x
      - .offset:         476
        .size:           2
        .value_kind:     hidden_remainder_y
      - .offset:         478
        .size:           2
        .value_kind:     hidden_remainder_z
      - .offset:         496
        .size:           8
        .value_kind:     hidden_global_offset_x
      - .offset:         504
        .size:           8
        .value_kind:     hidden_global_offset_y
      - .offset:         512
        .size:           8
        .value_kind:     hidden_global_offset_z
      - .offset:         520
        .size:           2
        .value_kind:     hidden_grid_dims
    .group_segment_fixed_size: 6656
    .kernarg_segment_align: 8
    .kernarg_segment_size: 712
    .language:       OpenCL C
    .language_version:
      - 2
      - 0
    .max_flat_workgroup_size: 256
    .name:           _ZN2at6native20bitonicSortKVInPlaceILin2ELin1ELi16ELi16EilNS0_4GTOpIiLb1EEEjEEvNS_4cuda6detail10TensorInfoIT3_T6_EES8_S8_S8_NS6_IT4_S8_EES8_T5_
    .private_segment_fixed_size: 0
    .sgpr_count:     22
    .sgpr_spill_count: 0
    .symbol:         _ZN2at6native20bitonicSortKVInPlaceILin2ELin1ELi16ELi16EilNS0_4GTOpIiLb1EEEjEEvNS_4cuda6detail10TensorInfoIT3_T6_EES8_S8_S8_NS6_IT4_S8_EES8_T5_.kd
    .uniform_work_group_size: 1
    .uses_dynamic_stack: false
    .vgpr_count:     33
    .vgpr_spill_count: 0
    .wavefront_size: 64
  - .agpr_count:     0
    .args:
      - .offset:         0
        .size:           216
        .value_kind:     by_value
      - .offset:         216
        .size:           4
        .value_kind:     by_value
      - .offset:         220
        .size:           4
        .value_kind:     by_value
      - .offset:         224
        .size:           4
        .value_kind:     by_value
      - .offset:         232
        .size:           216
        .value_kind:     by_value
      - .offset:         448
        .size:           4
        .value_kind:     by_value
      - .offset:         452
        .size:           1
        .value_kind:     by_value
      - .offset:         456
        .size:           4
        .value_kind:     hidden_block_count_x
      - .offset:         460
        .size:           4
        .value_kind:     hidden_block_count_y
      - .offset:         464
        .size:           4
        .value_kind:     hidden_block_count_z
      - .offset:         468
        .size:           2
        .value_kind:     hidden_group_size_x
      - .offset:         470
        .size:           2
        .value_kind:     hidden_group_size_y
      - .offset:         472
        .size:           2
        .value_kind:     hidden_group_size_z
      - .offset:         474
        .size:           2
        .value_kind:     hidden_remainder_x
      - .offset:         476
        .size:           2
        .value_kind:     hidden_remainder_y
      - .offset:         478
        .size:           2
        .value_kind:     hidden_remainder_z
      - .offset:         496
        .size:           8
        .value_kind:     hidden_global_offset_x
      - .offset:         504
        .size:           8
        .value_kind:     hidden_global_offset_y
      - .offset:         512
        .size:           8
        .value_kind:     hidden_global_offset_z
      - .offset:         520
        .size:           2
        .value_kind:     hidden_grid_dims
    .group_segment_fixed_size: 6656
    .kernarg_segment_align: 8
    .kernarg_segment_size: 712
    .language:       OpenCL C
    .language_version:
      - 2
      - 0
    .max_flat_workgroup_size: 256
    .name:           _ZN2at6native20bitonicSortKVInPlaceILi2ELin1ELi16ELi16EilNS0_4LTOpIiLb1EEEjEEvNS_4cuda6detail10TensorInfoIT3_T6_EES8_S8_S8_NS6_IT4_S8_EES8_T5_
    .private_segment_fixed_size: 0
    .sgpr_count:     24
    .sgpr_spill_count: 0
    .symbol:         _ZN2at6native20bitonicSortKVInPlaceILi2ELin1ELi16ELi16EilNS0_4LTOpIiLb1EEEjEEvNS_4cuda6detail10TensorInfoIT3_T6_EES8_S8_S8_NS6_IT4_S8_EES8_T5_.kd
    .uniform_work_group_size: 1
    .uses_dynamic_stack: false
    .vgpr_count:     33
    .vgpr_spill_count: 0
    .wavefront_size: 64
  - .agpr_count:     0
    .args:
      - .offset:         0
        .size:           216
        .value_kind:     by_value
      - .offset:         216
        .size:           4
        .value_kind:     by_value
      - .offset:         220
        .size:           4
        .value_kind:     by_value
      - .offset:         224
        .size:           4
        .value_kind:     by_value
      - .offset:         232
        .size:           216
        .value_kind:     by_value
      - .offset:         448
        .size:           4
        .value_kind:     by_value
      - .offset:         452
        .size:           1
        .value_kind:     by_value
      - .offset:         456
        .size:           4
        .value_kind:     hidden_block_count_x
      - .offset:         460
        .size:           4
        .value_kind:     hidden_block_count_y
      - .offset:         464
        .size:           4
        .value_kind:     hidden_block_count_z
      - .offset:         468
        .size:           2
        .value_kind:     hidden_group_size_x
      - .offset:         470
        .size:           2
        .value_kind:     hidden_group_size_y
      - .offset:         472
        .size:           2
        .value_kind:     hidden_group_size_z
      - .offset:         474
        .size:           2
        .value_kind:     hidden_remainder_x
      - .offset:         476
        .size:           2
        .value_kind:     hidden_remainder_y
      - .offset:         478
        .size:           2
        .value_kind:     hidden_remainder_z
      - .offset:         496
        .size:           8
        .value_kind:     hidden_global_offset_x
      - .offset:         504
        .size:           8
        .value_kind:     hidden_global_offset_y
      - .offset:         512
        .size:           8
        .value_kind:     hidden_global_offset_z
      - .offset:         520
        .size:           2
        .value_kind:     hidden_grid_dims
    .group_segment_fixed_size: 6656
    .kernarg_segment_align: 8
    .kernarg_segment_size: 712
    .language:       OpenCL C
    .language_version:
      - 2
      - 0
    .max_flat_workgroup_size: 256
    .name:           _ZN2at6native20bitonicSortKVInPlaceILi2ELin1ELi16ELi16EilNS0_4GTOpIiLb1EEEjEEvNS_4cuda6detail10TensorInfoIT3_T6_EES8_S8_S8_NS6_IT4_S8_EES8_T5_
    .private_segment_fixed_size: 0
    .sgpr_count:     24
    .sgpr_spill_count: 0
    .symbol:         _ZN2at6native20bitonicSortKVInPlaceILi2ELin1ELi16ELi16EilNS0_4GTOpIiLb1EEEjEEvNS_4cuda6detail10TensorInfoIT3_T6_EES8_S8_S8_NS6_IT4_S8_EES8_T5_.kd
    .uniform_work_group_size: 1
    .uses_dynamic_stack: false
    .vgpr_count:     33
    .vgpr_spill_count: 0
    .wavefront_size: 64
  - .agpr_count:     0
    .args:
      - .offset:         0
        .size:           216
        .value_kind:     by_value
      - .offset:         216
        .size:           4
        .value_kind:     by_value
      - .offset:         220
        .size:           4
        .value_kind:     by_value
      - .offset:         224
        .size:           4
        .value_kind:     by_value
      - .offset:         232
        .size:           216
        .value_kind:     by_value
      - .offset:         448
        .size:           4
        .value_kind:     by_value
      - .offset:         452
        .size:           1
        .value_kind:     by_value
      - .offset:         456
        .size:           4
        .value_kind:     hidden_block_count_x
      - .offset:         460
        .size:           4
        .value_kind:     hidden_block_count_y
      - .offset:         464
        .size:           4
        .value_kind:     hidden_block_count_z
      - .offset:         468
        .size:           2
        .value_kind:     hidden_group_size_x
      - .offset:         470
        .size:           2
        .value_kind:     hidden_group_size_y
      - .offset:         472
        .size:           2
        .value_kind:     hidden_group_size_z
      - .offset:         474
        .size:           2
        .value_kind:     hidden_remainder_x
      - .offset:         476
        .size:           2
        .value_kind:     hidden_remainder_y
      - .offset:         478
        .size:           2
        .value_kind:     hidden_remainder_z
      - .offset:         496
        .size:           8
        .value_kind:     hidden_global_offset_x
      - .offset:         504
        .size:           8
        .value_kind:     hidden_global_offset_y
      - .offset:         512
        .size:           8
        .value_kind:     hidden_global_offset_z
      - .offset:         520
        .size:           2
        .value_kind:     hidden_grid_dims
    .group_segment_fixed_size: 6656
    .kernarg_segment_align: 8
    .kernarg_segment_size: 712
    .language:       OpenCL C
    .language_version:
      - 2
      - 0
    .max_flat_workgroup_size: 256
    .name:           _ZN2at6native20bitonicSortKVInPlaceILin1ELin1ELi16ELi16EilNS0_4LTOpIiLb1EEEjEEvNS_4cuda6detail10TensorInfoIT3_T6_EES8_S8_S8_NS6_IT4_S8_EES8_T5_
    .private_segment_fixed_size: 0
    .sgpr_count:     21
    .sgpr_spill_count: 0
    .symbol:         _ZN2at6native20bitonicSortKVInPlaceILin1ELin1ELi16ELi16EilNS0_4LTOpIiLb1EEEjEEvNS_4cuda6detail10TensorInfoIT3_T6_EES8_S8_S8_NS6_IT4_S8_EES8_T5_.kd
    .uniform_work_group_size: 1
    .uses_dynamic_stack: false
    .vgpr_count:     33
    .vgpr_spill_count: 0
    .wavefront_size: 64
  - .agpr_count:     0
    .args:
      - .offset:         0
        .size:           216
        .value_kind:     by_value
      - .offset:         216
        .size:           4
        .value_kind:     by_value
      - .offset:         220
        .size:           4
        .value_kind:     by_value
      - .offset:         224
        .size:           4
        .value_kind:     by_value
      - .offset:         232
        .size:           216
        .value_kind:     by_value
      - .offset:         448
        .size:           4
        .value_kind:     by_value
      - .offset:         452
        .size:           1
        .value_kind:     by_value
      - .offset:         456
        .size:           4
        .value_kind:     hidden_block_count_x
      - .offset:         460
        .size:           4
        .value_kind:     hidden_block_count_y
      - .offset:         464
        .size:           4
        .value_kind:     hidden_block_count_z
      - .offset:         468
        .size:           2
        .value_kind:     hidden_group_size_x
      - .offset:         470
        .size:           2
        .value_kind:     hidden_group_size_y
      - .offset:         472
        .size:           2
        .value_kind:     hidden_group_size_z
      - .offset:         474
        .size:           2
        .value_kind:     hidden_remainder_x
      - .offset:         476
        .size:           2
        .value_kind:     hidden_remainder_y
      - .offset:         478
        .size:           2
        .value_kind:     hidden_remainder_z
      - .offset:         496
        .size:           8
        .value_kind:     hidden_global_offset_x
      - .offset:         504
        .size:           8
        .value_kind:     hidden_global_offset_y
      - .offset:         512
        .size:           8
        .value_kind:     hidden_global_offset_z
      - .offset:         520
        .size:           2
        .value_kind:     hidden_grid_dims
    .group_segment_fixed_size: 6656
    .kernarg_segment_align: 8
    .kernarg_segment_size: 712
    .language:       OpenCL C
    .language_version:
      - 2
      - 0
    .max_flat_workgroup_size: 256
    .name:           _ZN2at6native20bitonicSortKVInPlaceILin1ELin1ELi16ELi16EilNS0_4GTOpIiLb1EEEjEEvNS_4cuda6detail10TensorInfoIT3_T6_EES8_S8_S8_NS6_IT4_S8_EES8_T5_
    .private_segment_fixed_size: 0
    .sgpr_count:     21
    .sgpr_spill_count: 0
    .symbol:         _ZN2at6native20bitonicSortKVInPlaceILin1ELin1ELi16ELi16EilNS0_4GTOpIiLb1EEEjEEvNS_4cuda6detail10TensorInfoIT3_T6_EES8_S8_S8_NS6_IT4_S8_EES8_T5_.kd
    .uniform_work_group_size: 1
    .uses_dynamic_stack: false
    .vgpr_count:     33
    .vgpr_spill_count: 0
    .wavefront_size: 64
  - .agpr_count:     0
    .args:
      - .offset:         0
        .size:           416
        .value_kind:     by_value
      - .offset:         416
        .size:           8
        .value_kind:     by_value
      - .offset:         424
        .size:           8
        .value_kind:     by_value
      - .offset:         432
        .size:           8
        .value_kind:     by_value
      - .offset:         440
        .size:           416
        .value_kind:     by_value
      - .offset:         856
        .size:           8
        .value_kind:     by_value
      - .offset:         864
        .size:           1
        .value_kind:     by_value
      - .offset:         872
        .size:           4
        .value_kind:     hidden_block_count_x
      - .offset:         876
        .size:           4
        .value_kind:     hidden_block_count_y
      - .offset:         880
        .size:           4
        .value_kind:     hidden_block_count_z
      - .offset:         884
        .size:           2
        .value_kind:     hidden_group_size_x
      - .offset:         886
        .size:           2
        .value_kind:     hidden_group_size_y
      - .offset:         888
        .size:           2
        .value_kind:     hidden_group_size_z
      - .offset:         890
        .size:           2
        .value_kind:     hidden_remainder_x
      - .offset:         892
        .size:           2
        .value_kind:     hidden_remainder_y
      - .offset:         894
        .size:           2
        .value_kind:     hidden_remainder_z
      - .offset:         912
        .size:           8
        .value_kind:     hidden_global_offset_x
      - .offset:         920
        .size:           8
        .value_kind:     hidden_global_offset_y
      - .offset:         928
        .size:           8
        .value_kind:     hidden_global_offset_z
      - .offset:         936
        .size:           2
        .value_kind:     hidden_grid_dims
    .group_segment_fixed_size: 6656
    .kernarg_segment_align: 8
    .kernarg_segment_size: 1128
    .language:       OpenCL C
    .language_version:
      - 2
      - 0
    .max_flat_workgroup_size: 256
    .name:           _ZN2at6native20bitonicSortKVInPlaceILin1ELin1ELi16ELi16EilNS0_4LTOpIiLb1EEEmEEvNS_4cuda6detail10TensorInfoIT3_T6_EES8_S8_S8_NS6_IT4_S8_EES8_T5_
    .private_segment_fixed_size: 0
    .sgpr_count:     25
    .sgpr_spill_count: 0
    .symbol:         _ZN2at6native20bitonicSortKVInPlaceILin1ELin1ELi16ELi16EilNS0_4LTOpIiLb1EEEmEEvNS_4cuda6detail10TensorInfoIT3_T6_EES8_S8_S8_NS6_IT4_S8_EES8_T5_.kd
    .uniform_work_group_size: 1
    .uses_dynamic_stack: false
    .vgpr_count:     35
    .vgpr_spill_count: 0
    .wavefront_size: 64
  - .agpr_count:     0
    .args:
      - .offset:         0
        .size:           416
        .value_kind:     by_value
      - .offset:         416
        .size:           8
        .value_kind:     by_value
      - .offset:         424
        .size:           8
        .value_kind:     by_value
      - .offset:         432
        .size:           8
        .value_kind:     by_value
      - .offset:         440
        .size:           416
        .value_kind:     by_value
      - .offset:         856
        .size:           8
        .value_kind:     by_value
      - .offset:         864
        .size:           1
        .value_kind:     by_value
      - .offset:         872
        .size:           4
        .value_kind:     hidden_block_count_x
      - .offset:         876
        .size:           4
        .value_kind:     hidden_block_count_y
      - .offset:         880
        .size:           4
        .value_kind:     hidden_block_count_z
      - .offset:         884
        .size:           2
        .value_kind:     hidden_group_size_x
      - .offset:         886
        .size:           2
        .value_kind:     hidden_group_size_y
      - .offset:         888
        .size:           2
        .value_kind:     hidden_group_size_z
      - .offset:         890
        .size:           2
        .value_kind:     hidden_remainder_x
      - .offset:         892
        .size:           2
        .value_kind:     hidden_remainder_y
      - .offset:         894
        .size:           2
        .value_kind:     hidden_remainder_z
      - .offset:         912
        .size:           8
        .value_kind:     hidden_global_offset_x
      - .offset:         920
        .size:           8
        .value_kind:     hidden_global_offset_y
      - .offset:         928
        .size:           8
        .value_kind:     hidden_global_offset_z
      - .offset:         936
        .size:           2
        .value_kind:     hidden_grid_dims
    .group_segment_fixed_size: 6656
    .kernarg_segment_align: 8
    .kernarg_segment_size: 1128
    .language:       OpenCL C
    .language_version:
      - 2
      - 0
    .max_flat_workgroup_size: 256
    .name:           _ZN2at6native20bitonicSortKVInPlaceILin1ELin1ELi16ELi16EilNS0_4GTOpIiLb1EEEmEEvNS_4cuda6detail10TensorInfoIT3_T6_EES8_S8_S8_NS6_IT4_S8_EES8_T5_
    .private_segment_fixed_size: 0
    .sgpr_count:     25
    .sgpr_spill_count: 0
    .symbol:         _ZN2at6native20bitonicSortKVInPlaceILin1ELin1ELi16ELi16EilNS0_4GTOpIiLb1EEEmEEvNS_4cuda6detail10TensorInfoIT3_T6_EES8_S8_S8_NS6_IT4_S8_EES8_T5_.kd
    .uniform_work_group_size: 1
    .uses_dynamic_stack: false
    .vgpr_count:     35
    .vgpr_spill_count: 0
    .wavefront_size: 64
  - .agpr_count:     0
    .args:
      - .offset:         0
        .size:           216
        .value_kind:     by_value
      - .offset:         216
        .size:           4
        .value_kind:     by_value
      - .offset:         220
        .size:           4
        .value_kind:     by_value
      - .offset:         224
        .size:           4
        .value_kind:     by_value
      - .offset:         232
        .size:           216
        .value_kind:     by_value
      - .offset:         448
        .size:           4
        .value_kind:     by_value
      - .offset:         452
        .size:           1
        .value_kind:     by_value
      - .offset:         456
        .size:           4
        .value_kind:     hidden_block_count_x
      - .offset:         460
        .size:           4
        .value_kind:     hidden_block_count_y
      - .offset:         464
        .size:           4
        .value_kind:     hidden_block_count_z
      - .offset:         468
        .size:           2
        .value_kind:     hidden_group_size_x
      - .offset:         470
        .size:           2
        .value_kind:     hidden_group_size_y
      - .offset:         472
        .size:           2
        .value_kind:     hidden_group_size_z
      - .offset:         474
        .size:           2
        .value_kind:     hidden_remainder_x
      - .offset:         476
        .size:           2
        .value_kind:     hidden_remainder_y
      - .offset:         478
        .size:           2
        .value_kind:     hidden_remainder_z
      - .offset:         496
        .size:           8
        .value_kind:     hidden_global_offset_x
      - .offset:         504
        .size:           8
        .value_kind:     hidden_global_offset_y
      - .offset:         512
        .size:           8
        .value_kind:     hidden_global_offset_z
      - .offset:         520
        .size:           2
        .value_kind:     hidden_grid_dims
    .group_segment_fixed_size: 8704
    .kernarg_segment_align: 8
    .kernarg_segment_size: 712
    .language:       OpenCL C
    .language_version:
      - 2
      - 0
    .max_flat_workgroup_size: 256
    .name:           _ZN2at6native20bitonicSortKVInPlaceILin2ELin1ELi16ELi16EllNS0_4LTOpIlLb1EEEjEEvNS_4cuda6detail10TensorInfoIT3_T6_EES8_S8_S8_NS6_IT4_S8_EES8_T5_
    .private_segment_fixed_size: 0
    .sgpr_count:     22
    .sgpr_spill_count: 0
    .symbol:         _ZN2at6native20bitonicSortKVInPlaceILin2ELin1ELi16ELi16EllNS0_4LTOpIlLb1EEEjEEvNS_4cuda6detail10TensorInfoIT3_T6_EES8_S8_S8_NS6_IT4_S8_EES8_T5_.kd
    .uniform_work_group_size: 1
    .uses_dynamic_stack: false
    .vgpr_count:     37
    .vgpr_spill_count: 0
    .wavefront_size: 64
  - .agpr_count:     0
    .args:
      - .offset:         0
        .size:           216
        .value_kind:     by_value
      - .offset:         216
        .size:           4
        .value_kind:     by_value
      - .offset:         220
        .size:           4
        .value_kind:     by_value
      - .offset:         224
        .size:           4
        .value_kind:     by_value
      - .offset:         232
        .size:           216
        .value_kind:     by_value
      - .offset:         448
        .size:           4
        .value_kind:     by_value
      - .offset:         452
        .size:           1
        .value_kind:     by_value
      - .offset:         456
        .size:           4
        .value_kind:     hidden_block_count_x
      - .offset:         460
        .size:           4
        .value_kind:     hidden_block_count_y
      - .offset:         464
        .size:           4
        .value_kind:     hidden_block_count_z
      - .offset:         468
        .size:           2
        .value_kind:     hidden_group_size_x
      - .offset:         470
        .size:           2
        .value_kind:     hidden_group_size_y
      - .offset:         472
        .size:           2
        .value_kind:     hidden_group_size_z
      - .offset:         474
        .size:           2
        .value_kind:     hidden_remainder_x
      - .offset:         476
        .size:           2
        .value_kind:     hidden_remainder_y
      - .offset:         478
        .size:           2
        .value_kind:     hidden_remainder_z
      - .offset:         496
        .size:           8
        .value_kind:     hidden_global_offset_x
      - .offset:         504
        .size:           8
        .value_kind:     hidden_global_offset_y
      - .offset:         512
        .size:           8
        .value_kind:     hidden_global_offset_z
      - .offset:         520
        .size:           2
        .value_kind:     hidden_grid_dims
    .group_segment_fixed_size: 8704
    .kernarg_segment_align: 8
    .kernarg_segment_size: 712
    .language:       OpenCL C
    .language_version:
      - 2
      - 0
    .max_flat_workgroup_size: 256
    .name:           _ZN2at6native20bitonicSortKVInPlaceILin2ELin1ELi16ELi16EllNS0_4GTOpIlLb1EEEjEEvNS_4cuda6detail10TensorInfoIT3_T6_EES8_S8_S8_NS6_IT4_S8_EES8_T5_
    .private_segment_fixed_size: 0
    .sgpr_count:     22
    .sgpr_spill_count: 0
    .symbol:         _ZN2at6native20bitonicSortKVInPlaceILin2ELin1ELi16ELi16EllNS0_4GTOpIlLb1EEEjEEvNS_4cuda6detail10TensorInfoIT3_T6_EES8_S8_S8_NS6_IT4_S8_EES8_T5_.kd
    .uniform_work_group_size: 1
    .uses_dynamic_stack: false
    .vgpr_count:     37
    .vgpr_spill_count: 0
    .wavefront_size: 64
  - .agpr_count:     0
    .args:
      - .offset:         0
        .size:           216
        .value_kind:     by_value
      - .offset:         216
        .size:           4
        .value_kind:     by_value
      - .offset:         220
        .size:           4
        .value_kind:     by_value
      - .offset:         224
        .size:           4
        .value_kind:     by_value
      - .offset:         232
        .size:           216
        .value_kind:     by_value
      - .offset:         448
        .size:           4
        .value_kind:     by_value
      - .offset:         452
        .size:           1
        .value_kind:     by_value
      - .offset:         456
        .size:           4
        .value_kind:     hidden_block_count_x
      - .offset:         460
        .size:           4
        .value_kind:     hidden_block_count_y
      - .offset:         464
        .size:           4
        .value_kind:     hidden_block_count_z
      - .offset:         468
        .size:           2
        .value_kind:     hidden_group_size_x
      - .offset:         470
        .size:           2
        .value_kind:     hidden_group_size_y
      - .offset:         472
        .size:           2
        .value_kind:     hidden_group_size_z
      - .offset:         474
        .size:           2
        .value_kind:     hidden_remainder_x
      - .offset:         476
        .size:           2
        .value_kind:     hidden_remainder_y
      - .offset:         478
        .size:           2
        .value_kind:     hidden_remainder_z
      - .offset:         496
        .size:           8
        .value_kind:     hidden_global_offset_x
      - .offset:         504
        .size:           8
        .value_kind:     hidden_global_offset_y
      - .offset:         512
        .size:           8
        .value_kind:     hidden_global_offset_z
      - .offset:         520
        .size:           2
        .value_kind:     hidden_grid_dims
    .group_segment_fixed_size: 8704
    .kernarg_segment_align: 8
    .kernarg_segment_size: 712
    .language:       OpenCL C
    .language_version:
      - 2
      - 0
    .max_flat_workgroup_size: 256
    .name:           _ZN2at6native20bitonicSortKVInPlaceILi2ELin1ELi16ELi16EllNS0_4LTOpIlLb1EEEjEEvNS_4cuda6detail10TensorInfoIT3_T6_EES8_S8_S8_NS6_IT4_S8_EES8_T5_
    .private_segment_fixed_size: 0
    .sgpr_count:     24
    .sgpr_spill_count: 0
    .symbol:         _ZN2at6native20bitonicSortKVInPlaceILi2ELin1ELi16ELi16EllNS0_4LTOpIlLb1EEEjEEvNS_4cuda6detail10TensorInfoIT3_T6_EES8_S8_S8_NS6_IT4_S8_EES8_T5_.kd
    .uniform_work_group_size: 1
    .uses_dynamic_stack: false
    .vgpr_count:     37
    .vgpr_spill_count: 0
    .wavefront_size: 64
  - .agpr_count:     0
    .args:
      - .offset:         0
        .size:           216
        .value_kind:     by_value
      - .offset:         216
        .size:           4
        .value_kind:     by_value
      - .offset:         220
        .size:           4
        .value_kind:     by_value
      - .offset:         224
        .size:           4
        .value_kind:     by_value
      - .offset:         232
        .size:           216
        .value_kind:     by_value
      - .offset:         448
        .size:           4
        .value_kind:     by_value
      - .offset:         452
        .size:           1
        .value_kind:     by_value
      - .offset:         456
        .size:           4
        .value_kind:     hidden_block_count_x
      - .offset:         460
        .size:           4
        .value_kind:     hidden_block_count_y
      - .offset:         464
        .size:           4
        .value_kind:     hidden_block_count_z
      - .offset:         468
        .size:           2
        .value_kind:     hidden_group_size_x
      - .offset:         470
        .size:           2
        .value_kind:     hidden_group_size_y
      - .offset:         472
        .size:           2
        .value_kind:     hidden_group_size_z
      - .offset:         474
        .size:           2
        .value_kind:     hidden_remainder_x
      - .offset:         476
        .size:           2
        .value_kind:     hidden_remainder_y
      - .offset:         478
        .size:           2
        .value_kind:     hidden_remainder_z
      - .offset:         496
        .size:           8
        .value_kind:     hidden_global_offset_x
      - .offset:         504
        .size:           8
        .value_kind:     hidden_global_offset_y
      - .offset:         512
        .size:           8
        .value_kind:     hidden_global_offset_z
      - .offset:         520
        .size:           2
        .value_kind:     hidden_grid_dims
    .group_segment_fixed_size: 8704
    .kernarg_segment_align: 8
    .kernarg_segment_size: 712
    .language:       OpenCL C
    .language_version:
      - 2
      - 0
    .max_flat_workgroup_size: 256
    .name:           _ZN2at6native20bitonicSortKVInPlaceILi2ELin1ELi16ELi16EllNS0_4GTOpIlLb1EEEjEEvNS_4cuda6detail10TensorInfoIT3_T6_EES8_S8_S8_NS6_IT4_S8_EES8_T5_
    .private_segment_fixed_size: 0
    .sgpr_count:     24
    .sgpr_spill_count: 0
    .symbol:         _ZN2at6native20bitonicSortKVInPlaceILi2ELin1ELi16ELi16EllNS0_4GTOpIlLb1EEEjEEvNS_4cuda6detail10TensorInfoIT3_T6_EES8_S8_S8_NS6_IT4_S8_EES8_T5_.kd
    .uniform_work_group_size: 1
    .uses_dynamic_stack: false
    .vgpr_count:     37
    .vgpr_spill_count: 0
    .wavefront_size: 64
  - .agpr_count:     0
    .args:
      - .offset:         0
        .size:           216
        .value_kind:     by_value
      - .offset:         216
        .size:           4
        .value_kind:     by_value
      - .offset:         220
        .size:           4
        .value_kind:     by_value
      - .offset:         224
        .size:           4
        .value_kind:     by_value
      - .offset:         232
        .size:           216
        .value_kind:     by_value
      - .offset:         448
        .size:           4
        .value_kind:     by_value
      - .offset:         452
        .size:           1
        .value_kind:     by_value
      - .offset:         456
        .size:           4
        .value_kind:     hidden_block_count_x
      - .offset:         460
        .size:           4
        .value_kind:     hidden_block_count_y
      - .offset:         464
        .size:           4
        .value_kind:     hidden_block_count_z
      - .offset:         468
        .size:           2
        .value_kind:     hidden_group_size_x
      - .offset:         470
        .size:           2
        .value_kind:     hidden_group_size_y
      - .offset:         472
        .size:           2
        .value_kind:     hidden_group_size_z
      - .offset:         474
        .size:           2
        .value_kind:     hidden_remainder_x
      - .offset:         476
        .size:           2
        .value_kind:     hidden_remainder_y
      - .offset:         478
        .size:           2
        .value_kind:     hidden_remainder_z
      - .offset:         496
        .size:           8
        .value_kind:     hidden_global_offset_x
      - .offset:         504
        .size:           8
        .value_kind:     hidden_global_offset_y
      - .offset:         512
        .size:           8
        .value_kind:     hidden_global_offset_z
      - .offset:         520
        .size:           2
        .value_kind:     hidden_grid_dims
    .group_segment_fixed_size: 8704
    .kernarg_segment_align: 8
    .kernarg_segment_size: 712
    .language:       OpenCL C
    .language_version:
      - 2
      - 0
    .max_flat_workgroup_size: 256
    .name:           _ZN2at6native20bitonicSortKVInPlaceILin1ELin1ELi16ELi16EllNS0_4LTOpIlLb1EEEjEEvNS_4cuda6detail10TensorInfoIT3_T6_EES8_S8_S8_NS6_IT4_S8_EES8_T5_
    .private_segment_fixed_size: 0
    .sgpr_count:     21
    .sgpr_spill_count: 0
    .symbol:         _ZN2at6native20bitonicSortKVInPlaceILin1ELin1ELi16ELi16EllNS0_4LTOpIlLb1EEEjEEvNS_4cuda6detail10TensorInfoIT3_T6_EES8_S8_S8_NS6_IT4_S8_EES8_T5_.kd
    .uniform_work_group_size: 1
    .uses_dynamic_stack: false
    .vgpr_count:     37
    .vgpr_spill_count: 0
    .wavefront_size: 64
  - .agpr_count:     0
    .args:
      - .offset:         0
        .size:           216
        .value_kind:     by_value
      - .offset:         216
        .size:           4
        .value_kind:     by_value
      - .offset:         220
        .size:           4
        .value_kind:     by_value
      - .offset:         224
        .size:           4
        .value_kind:     by_value
      - .offset:         232
        .size:           216
        .value_kind:     by_value
      - .offset:         448
        .size:           4
        .value_kind:     by_value
      - .offset:         452
        .size:           1
        .value_kind:     by_value
      - .offset:         456
        .size:           4
        .value_kind:     hidden_block_count_x
      - .offset:         460
        .size:           4
        .value_kind:     hidden_block_count_y
      - .offset:         464
        .size:           4
        .value_kind:     hidden_block_count_z
      - .offset:         468
        .size:           2
        .value_kind:     hidden_group_size_x
      - .offset:         470
        .size:           2
        .value_kind:     hidden_group_size_y
      - .offset:         472
        .size:           2
        .value_kind:     hidden_group_size_z
      - .offset:         474
        .size:           2
        .value_kind:     hidden_remainder_x
      - .offset:         476
        .size:           2
        .value_kind:     hidden_remainder_y
      - .offset:         478
        .size:           2
        .value_kind:     hidden_remainder_z
      - .offset:         496
        .size:           8
        .value_kind:     hidden_global_offset_x
      - .offset:         504
        .size:           8
        .value_kind:     hidden_global_offset_y
      - .offset:         512
        .size:           8
        .value_kind:     hidden_global_offset_z
      - .offset:         520
        .size:           2
        .value_kind:     hidden_grid_dims
    .group_segment_fixed_size: 8704
    .kernarg_segment_align: 8
    .kernarg_segment_size: 712
    .language:       OpenCL C
    .language_version:
      - 2
      - 0
    .max_flat_workgroup_size: 256
    .name:           _ZN2at6native20bitonicSortKVInPlaceILin1ELin1ELi16ELi16EllNS0_4GTOpIlLb1EEEjEEvNS_4cuda6detail10TensorInfoIT3_T6_EES8_S8_S8_NS6_IT4_S8_EES8_T5_
    .private_segment_fixed_size: 0
    .sgpr_count:     21
    .sgpr_spill_count: 0
    .symbol:         _ZN2at6native20bitonicSortKVInPlaceILin1ELin1ELi16ELi16EllNS0_4GTOpIlLb1EEEjEEvNS_4cuda6detail10TensorInfoIT3_T6_EES8_S8_S8_NS6_IT4_S8_EES8_T5_.kd
    .uniform_work_group_size: 1
    .uses_dynamic_stack: false
    .vgpr_count:     37
    .vgpr_spill_count: 0
    .wavefront_size: 64
  - .agpr_count:     0
    .args:
      - .offset:         0
        .size:           416
        .value_kind:     by_value
      - .offset:         416
        .size:           8
        .value_kind:     by_value
      - .offset:         424
        .size:           8
        .value_kind:     by_value
      - .offset:         432
        .size:           8
        .value_kind:     by_value
      - .offset:         440
        .size:           416
        .value_kind:     by_value
      - .offset:         856
        .size:           8
        .value_kind:     by_value
      - .offset:         864
        .size:           1
        .value_kind:     by_value
      - .offset:         872
        .size:           4
        .value_kind:     hidden_block_count_x
      - .offset:         876
        .size:           4
        .value_kind:     hidden_block_count_y
      - .offset:         880
        .size:           4
        .value_kind:     hidden_block_count_z
      - .offset:         884
        .size:           2
        .value_kind:     hidden_group_size_x
      - .offset:         886
        .size:           2
        .value_kind:     hidden_group_size_y
      - .offset:         888
        .size:           2
        .value_kind:     hidden_group_size_z
      - .offset:         890
        .size:           2
        .value_kind:     hidden_remainder_x
      - .offset:         892
        .size:           2
        .value_kind:     hidden_remainder_y
      - .offset:         894
        .size:           2
        .value_kind:     hidden_remainder_z
      - .offset:         912
        .size:           8
        .value_kind:     hidden_global_offset_x
      - .offset:         920
        .size:           8
        .value_kind:     hidden_global_offset_y
      - .offset:         928
        .size:           8
        .value_kind:     hidden_global_offset_z
      - .offset:         936
        .size:           2
        .value_kind:     hidden_grid_dims
    .group_segment_fixed_size: 8704
    .kernarg_segment_align: 8
    .kernarg_segment_size: 1128
    .language:       OpenCL C
    .language_version:
      - 2
      - 0
    .max_flat_workgroup_size: 256
    .name:           _ZN2at6native20bitonicSortKVInPlaceILin1ELin1ELi16ELi16EllNS0_4LTOpIlLb1EEEmEEvNS_4cuda6detail10TensorInfoIT3_T6_EES8_S8_S8_NS6_IT4_S8_EES8_T5_
    .private_segment_fixed_size: 0
    .sgpr_count:     25
    .sgpr_spill_count: 0
    .symbol:         _ZN2at6native20bitonicSortKVInPlaceILin1ELin1ELi16ELi16EllNS0_4LTOpIlLb1EEEmEEvNS_4cuda6detail10TensorInfoIT3_T6_EES8_S8_S8_NS6_IT4_S8_EES8_T5_.kd
    .uniform_work_group_size: 1
    .uses_dynamic_stack: false
    .vgpr_count:     39
    .vgpr_spill_count: 0
    .wavefront_size: 64
  - .agpr_count:     0
    .args:
      - .offset:         0
        .size:           416
        .value_kind:     by_value
      - .offset:         416
        .size:           8
        .value_kind:     by_value
      - .offset:         424
        .size:           8
        .value_kind:     by_value
      - .offset:         432
        .size:           8
        .value_kind:     by_value
      - .offset:         440
        .size:           416
        .value_kind:     by_value
      - .offset:         856
        .size:           8
        .value_kind:     by_value
      - .offset:         864
        .size:           1
        .value_kind:     by_value
      - .offset:         872
        .size:           4
        .value_kind:     hidden_block_count_x
      - .offset:         876
        .size:           4
        .value_kind:     hidden_block_count_y
      - .offset:         880
        .size:           4
        .value_kind:     hidden_block_count_z
      - .offset:         884
        .size:           2
        .value_kind:     hidden_group_size_x
      - .offset:         886
        .size:           2
        .value_kind:     hidden_group_size_y
      - .offset:         888
        .size:           2
        .value_kind:     hidden_group_size_z
      - .offset:         890
        .size:           2
        .value_kind:     hidden_remainder_x
      - .offset:         892
        .size:           2
        .value_kind:     hidden_remainder_y
      - .offset:         894
        .size:           2
        .value_kind:     hidden_remainder_z
      - .offset:         912
        .size:           8
        .value_kind:     hidden_global_offset_x
      - .offset:         920
        .size:           8
        .value_kind:     hidden_global_offset_y
      - .offset:         928
        .size:           8
        .value_kind:     hidden_global_offset_z
      - .offset:         936
        .size:           2
        .value_kind:     hidden_grid_dims
    .group_segment_fixed_size: 8704
    .kernarg_segment_align: 8
    .kernarg_segment_size: 1128
    .language:       OpenCL C
    .language_version:
      - 2
      - 0
    .max_flat_workgroup_size: 256
    .name:           _ZN2at6native20bitonicSortKVInPlaceILin1ELin1ELi16ELi16EllNS0_4GTOpIlLb1EEEmEEvNS_4cuda6detail10TensorInfoIT3_T6_EES8_S8_S8_NS6_IT4_S8_EES8_T5_
    .private_segment_fixed_size: 0
    .sgpr_count:     25
    .sgpr_spill_count: 0
    .symbol:         _ZN2at6native20bitonicSortKVInPlaceILin1ELin1ELi16ELi16EllNS0_4GTOpIlLb1EEEmEEvNS_4cuda6detail10TensorInfoIT3_T6_EES8_S8_S8_NS6_IT4_S8_EES8_T5_.kd
    .uniform_work_group_size: 1
    .uses_dynamic_stack: false
    .vgpr_count:     39
    .vgpr_spill_count: 0
    .wavefront_size: 64
  - .agpr_count:     0
    .args:
      - .offset:         0
        .size:           216
        .value_kind:     by_value
      - .offset:         216
        .size:           4
        .value_kind:     by_value
      - .offset:         220
        .size:           4
        .value_kind:     by_value
      - .offset:         224
        .size:           4
        .value_kind:     by_value
      - .offset:         232
        .size:           216
        .value_kind:     by_value
      - .offset:         448
        .size:           4
        .value_kind:     by_value
      - .offset:         452
        .size:           1
        .value_kind:     by_value
      - .offset:         456
        .size:           4
        .value_kind:     hidden_block_count_x
      - .offset:         460
        .size:           4
        .value_kind:     hidden_block_count_y
      - .offset:         464
        .size:           4
        .value_kind:     hidden_block_count_z
      - .offset:         468
        .size:           2
        .value_kind:     hidden_group_size_x
      - .offset:         470
        .size:           2
        .value_kind:     hidden_group_size_y
      - .offset:         472
        .size:           2
        .value_kind:     hidden_group_size_z
      - .offset:         474
        .size:           2
        .value_kind:     hidden_remainder_x
      - .offset:         476
        .size:           2
        .value_kind:     hidden_remainder_y
      - .offset:         478
        .size:           2
        .value_kind:     hidden_remainder_z
      - .offset:         496
        .size:           8
        .value_kind:     hidden_global_offset_x
      - .offset:         504
        .size:           8
        .value_kind:     hidden_global_offset_y
      - .offset:         512
        .size:           8
        .value_kind:     hidden_global_offset_z
      - .offset:         520
        .size:           2
        .value_kind:     hidden_grid_dims
    .group_segment_fixed_size: 5632
    .kernarg_segment_align: 8
    .kernarg_segment_size: 712
    .language:       OpenCL C
    .language_version:
      - 2
      - 0
    .max_flat_workgroup_size: 256
    .name:           _ZN2at6native20bitonicSortKVInPlaceILin2ELin1ELi16ELi16EslNS0_4LTOpIsLb1EEEjEEvNS_4cuda6detail10TensorInfoIT3_T6_EES8_S8_S8_NS6_IT4_S8_EES8_T5_
    .private_segment_fixed_size: 0
    .sgpr_count:     22
    .sgpr_spill_count: 0
    .symbol:         _ZN2at6native20bitonicSortKVInPlaceILin2ELin1ELi16ELi16EslNS0_4LTOpIsLb1EEEjEEvNS_4cuda6detail10TensorInfoIT3_T6_EES8_S8_S8_NS6_IT4_S8_EES8_T5_.kd
    .uniform_work_group_size: 1
    .uses_dynamic_stack: false
    .vgpr_count:     33
    .vgpr_spill_count: 0
    .wavefront_size: 64
  - .agpr_count:     0
    .args:
      - .offset:         0
        .size:           216
        .value_kind:     by_value
      - .offset:         216
        .size:           4
        .value_kind:     by_value
      - .offset:         220
        .size:           4
        .value_kind:     by_value
      - .offset:         224
        .size:           4
        .value_kind:     by_value
      - .offset:         232
        .size:           216
        .value_kind:     by_value
      - .offset:         448
        .size:           4
        .value_kind:     by_value
      - .offset:         452
        .size:           1
        .value_kind:     by_value
      - .offset:         456
        .size:           4
        .value_kind:     hidden_block_count_x
      - .offset:         460
        .size:           4
        .value_kind:     hidden_block_count_y
      - .offset:         464
        .size:           4
        .value_kind:     hidden_block_count_z
      - .offset:         468
        .size:           2
        .value_kind:     hidden_group_size_x
      - .offset:         470
        .size:           2
        .value_kind:     hidden_group_size_y
      - .offset:         472
        .size:           2
        .value_kind:     hidden_group_size_z
      - .offset:         474
        .size:           2
        .value_kind:     hidden_remainder_x
      - .offset:         476
        .size:           2
        .value_kind:     hidden_remainder_y
      - .offset:         478
        .size:           2
        .value_kind:     hidden_remainder_z
      - .offset:         496
        .size:           8
        .value_kind:     hidden_global_offset_x
      - .offset:         504
        .size:           8
        .value_kind:     hidden_global_offset_y
      - .offset:         512
        .size:           8
        .value_kind:     hidden_global_offset_z
      - .offset:         520
        .size:           2
        .value_kind:     hidden_grid_dims
    .group_segment_fixed_size: 5632
    .kernarg_segment_align: 8
    .kernarg_segment_size: 712
    .language:       OpenCL C
    .language_version:
      - 2
      - 0
    .max_flat_workgroup_size: 256
    .name:           _ZN2at6native20bitonicSortKVInPlaceILin2ELin1ELi16ELi16EslNS0_4GTOpIsLb1EEEjEEvNS_4cuda6detail10TensorInfoIT3_T6_EES8_S8_S8_NS6_IT4_S8_EES8_T5_
    .private_segment_fixed_size: 0
    .sgpr_count:     22
    .sgpr_spill_count: 0
    .symbol:         _ZN2at6native20bitonicSortKVInPlaceILin2ELin1ELi16ELi16EslNS0_4GTOpIsLb1EEEjEEvNS_4cuda6detail10TensorInfoIT3_T6_EES8_S8_S8_NS6_IT4_S8_EES8_T5_.kd
    .uniform_work_group_size: 1
    .uses_dynamic_stack: false
    .vgpr_count:     33
    .vgpr_spill_count: 0
    .wavefront_size: 64
  - .agpr_count:     0
    .args:
      - .offset:         0
        .size:           216
        .value_kind:     by_value
      - .offset:         216
        .size:           4
        .value_kind:     by_value
      - .offset:         220
        .size:           4
        .value_kind:     by_value
      - .offset:         224
        .size:           4
        .value_kind:     by_value
      - .offset:         232
        .size:           216
        .value_kind:     by_value
      - .offset:         448
        .size:           4
        .value_kind:     by_value
      - .offset:         452
        .size:           1
        .value_kind:     by_value
      - .offset:         456
        .size:           4
        .value_kind:     hidden_block_count_x
      - .offset:         460
        .size:           4
        .value_kind:     hidden_block_count_y
      - .offset:         464
        .size:           4
        .value_kind:     hidden_block_count_z
      - .offset:         468
        .size:           2
        .value_kind:     hidden_group_size_x
      - .offset:         470
        .size:           2
        .value_kind:     hidden_group_size_y
      - .offset:         472
        .size:           2
        .value_kind:     hidden_group_size_z
      - .offset:         474
        .size:           2
        .value_kind:     hidden_remainder_x
      - .offset:         476
        .size:           2
        .value_kind:     hidden_remainder_y
      - .offset:         478
        .size:           2
        .value_kind:     hidden_remainder_z
      - .offset:         496
        .size:           8
        .value_kind:     hidden_global_offset_x
      - .offset:         504
        .size:           8
        .value_kind:     hidden_global_offset_y
      - .offset:         512
        .size:           8
        .value_kind:     hidden_global_offset_z
      - .offset:         520
        .size:           2
        .value_kind:     hidden_grid_dims
    .group_segment_fixed_size: 5632
    .kernarg_segment_align: 8
    .kernarg_segment_size: 712
    .language:       OpenCL C
    .language_version:
      - 2
      - 0
    .max_flat_workgroup_size: 256
    .name:           _ZN2at6native20bitonicSortKVInPlaceILi2ELin1ELi16ELi16EslNS0_4LTOpIsLb1EEEjEEvNS_4cuda6detail10TensorInfoIT3_T6_EES8_S8_S8_NS6_IT4_S8_EES8_T5_
    .private_segment_fixed_size: 0
    .sgpr_count:     24
    .sgpr_spill_count: 0
    .symbol:         _ZN2at6native20bitonicSortKVInPlaceILi2ELin1ELi16ELi16EslNS0_4LTOpIsLb1EEEjEEvNS_4cuda6detail10TensorInfoIT3_T6_EES8_S8_S8_NS6_IT4_S8_EES8_T5_.kd
    .uniform_work_group_size: 1
    .uses_dynamic_stack: false
    .vgpr_count:     33
    .vgpr_spill_count: 0
    .wavefront_size: 64
  - .agpr_count:     0
    .args:
      - .offset:         0
        .size:           216
        .value_kind:     by_value
      - .offset:         216
        .size:           4
        .value_kind:     by_value
      - .offset:         220
        .size:           4
        .value_kind:     by_value
      - .offset:         224
        .size:           4
        .value_kind:     by_value
      - .offset:         232
        .size:           216
        .value_kind:     by_value
      - .offset:         448
        .size:           4
        .value_kind:     by_value
      - .offset:         452
        .size:           1
        .value_kind:     by_value
      - .offset:         456
        .size:           4
        .value_kind:     hidden_block_count_x
      - .offset:         460
        .size:           4
        .value_kind:     hidden_block_count_y
      - .offset:         464
        .size:           4
        .value_kind:     hidden_block_count_z
      - .offset:         468
        .size:           2
        .value_kind:     hidden_group_size_x
      - .offset:         470
        .size:           2
        .value_kind:     hidden_group_size_y
      - .offset:         472
        .size:           2
        .value_kind:     hidden_group_size_z
      - .offset:         474
        .size:           2
        .value_kind:     hidden_remainder_x
      - .offset:         476
        .size:           2
        .value_kind:     hidden_remainder_y
      - .offset:         478
        .size:           2
        .value_kind:     hidden_remainder_z
      - .offset:         496
        .size:           8
        .value_kind:     hidden_global_offset_x
      - .offset:         504
        .size:           8
        .value_kind:     hidden_global_offset_y
      - .offset:         512
        .size:           8
        .value_kind:     hidden_global_offset_z
      - .offset:         520
        .size:           2
        .value_kind:     hidden_grid_dims
    .group_segment_fixed_size: 5632
    .kernarg_segment_align: 8
    .kernarg_segment_size: 712
    .language:       OpenCL C
    .language_version:
      - 2
      - 0
    .max_flat_workgroup_size: 256
    .name:           _ZN2at6native20bitonicSortKVInPlaceILi2ELin1ELi16ELi16EslNS0_4GTOpIsLb1EEEjEEvNS_4cuda6detail10TensorInfoIT3_T6_EES8_S8_S8_NS6_IT4_S8_EES8_T5_
    .private_segment_fixed_size: 0
    .sgpr_count:     24
    .sgpr_spill_count: 0
    .symbol:         _ZN2at6native20bitonicSortKVInPlaceILi2ELin1ELi16ELi16EslNS0_4GTOpIsLb1EEEjEEvNS_4cuda6detail10TensorInfoIT3_T6_EES8_S8_S8_NS6_IT4_S8_EES8_T5_.kd
    .uniform_work_group_size: 1
    .uses_dynamic_stack: false
    .vgpr_count:     33
    .vgpr_spill_count: 0
    .wavefront_size: 64
  - .agpr_count:     0
    .args:
      - .offset:         0
        .size:           216
        .value_kind:     by_value
      - .offset:         216
        .size:           4
        .value_kind:     by_value
      - .offset:         220
        .size:           4
        .value_kind:     by_value
      - .offset:         224
        .size:           4
        .value_kind:     by_value
      - .offset:         232
        .size:           216
        .value_kind:     by_value
      - .offset:         448
        .size:           4
        .value_kind:     by_value
      - .offset:         452
        .size:           1
        .value_kind:     by_value
      - .offset:         456
        .size:           4
        .value_kind:     hidden_block_count_x
      - .offset:         460
        .size:           4
        .value_kind:     hidden_block_count_y
      - .offset:         464
        .size:           4
        .value_kind:     hidden_block_count_z
      - .offset:         468
        .size:           2
        .value_kind:     hidden_group_size_x
      - .offset:         470
        .size:           2
        .value_kind:     hidden_group_size_y
      - .offset:         472
        .size:           2
        .value_kind:     hidden_group_size_z
      - .offset:         474
        .size:           2
        .value_kind:     hidden_remainder_x
      - .offset:         476
        .size:           2
        .value_kind:     hidden_remainder_y
      - .offset:         478
        .size:           2
        .value_kind:     hidden_remainder_z
      - .offset:         496
        .size:           8
        .value_kind:     hidden_global_offset_x
      - .offset:         504
        .size:           8
        .value_kind:     hidden_global_offset_y
      - .offset:         512
        .size:           8
        .value_kind:     hidden_global_offset_z
      - .offset:         520
        .size:           2
        .value_kind:     hidden_grid_dims
    .group_segment_fixed_size: 5632
    .kernarg_segment_align: 8
    .kernarg_segment_size: 712
    .language:       OpenCL C
    .language_version:
      - 2
      - 0
    .max_flat_workgroup_size: 256
    .name:           _ZN2at6native20bitonicSortKVInPlaceILin1ELin1ELi16ELi16EslNS0_4LTOpIsLb1EEEjEEvNS_4cuda6detail10TensorInfoIT3_T6_EES8_S8_S8_NS6_IT4_S8_EES8_T5_
    .private_segment_fixed_size: 0
    .sgpr_count:     21
    .sgpr_spill_count: 0
    .symbol:         _ZN2at6native20bitonicSortKVInPlaceILin1ELin1ELi16ELi16EslNS0_4LTOpIsLb1EEEjEEvNS_4cuda6detail10TensorInfoIT3_T6_EES8_S8_S8_NS6_IT4_S8_EES8_T5_.kd
    .uniform_work_group_size: 1
    .uses_dynamic_stack: false
    .vgpr_count:     33
    .vgpr_spill_count: 0
    .wavefront_size: 64
  - .agpr_count:     0
    .args:
      - .offset:         0
        .size:           216
        .value_kind:     by_value
      - .offset:         216
        .size:           4
        .value_kind:     by_value
      - .offset:         220
        .size:           4
        .value_kind:     by_value
      - .offset:         224
        .size:           4
        .value_kind:     by_value
      - .offset:         232
        .size:           216
        .value_kind:     by_value
      - .offset:         448
        .size:           4
        .value_kind:     by_value
      - .offset:         452
        .size:           1
        .value_kind:     by_value
      - .offset:         456
        .size:           4
        .value_kind:     hidden_block_count_x
      - .offset:         460
        .size:           4
        .value_kind:     hidden_block_count_y
      - .offset:         464
        .size:           4
        .value_kind:     hidden_block_count_z
      - .offset:         468
        .size:           2
        .value_kind:     hidden_group_size_x
      - .offset:         470
        .size:           2
        .value_kind:     hidden_group_size_y
      - .offset:         472
        .size:           2
        .value_kind:     hidden_group_size_z
      - .offset:         474
        .size:           2
        .value_kind:     hidden_remainder_x
      - .offset:         476
        .size:           2
        .value_kind:     hidden_remainder_y
      - .offset:         478
        .size:           2
        .value_kind:     hidden_remainder_z
      - .offset:         496
        .size:           8
        .value_kind:     hidden_global_offset_x
      - .offset:         504
        .size:           8
        .value_kind:     hidden_global_offset_y
      - .offset:         512
        .size:           8
        .value_kind:     hidden_global_offset_z
      - .offset:         520
        .size:           2
        .value_kind:     hidden_grid_dims
    .group_segment_fixed_size: 5632
    .kernarg_segment_align: 8
    .kernarg_segment_size: 712
    .language:       OpenCL C
    .language_version:
      - 2
      - 0
    .max_flat_workgroup_size: 256
    .name:           _ZN2at6native20bitonicSortKVInPlaceILin1ELin1ELi16ELi16EslNS0_4GTOpIsLb1EEEjEEvNS_4cuda6detail10TensorInfoIT3_T6_EES8_S8_S8_NS6_IT4_S8_EES8_T5_
    .private_segment_fixed_size: 0
    .sgpr_count:     21
    .sgpr_spill_count: 0
    .symbol:         _ZN2at6native20bitonicSortKVInPlaceILin1ELin1ELi16ELi16EslNS0_4GTOpIsLb1EEEjEEvNS_4cuda6detail10TensorInfoIT3_T6_EES8_S8_S8_NS6_IT4_S8_EES8_T5_.kd
    .uniform_work_group_size: 1
    .uses_dynamic_stack: false
    .vgpr_count:     33
    .vgpr_spill_count: 0
    .wavefront_size: 64
  - .agpr_count:     0
    .args:
      - .offset:         0
        .size:           416
        .value_kind:     by_value
      - .offset:         416
        .size:           8
        .value_kind:     by_value
      - .offset:         424
        .size:           8
        .value_kind:     by_value
      - .offset:         432
        .size:           8
        .value_kind:     by_value
      - .offset:         440
        .size:           416
        .value_kind:     by_value
      - .offset:         856
        .size:           8
        .value_kind:     by_value
      - .offset:         864
        .size:           1
        .value_kind:     by_value
      - .offset:         872
        .size:           4
        .value_kind:     hidden_block_count_x
      - .offset:         876
        .size:           4
        .value_kind:     hidden_block_count_y
      - .offset:         880
        .size:           4
        .value_kind:     hidden_block_count_z
      - .offset:         884
        .size:           2
        .value_kind:     hidden_group_size_x
      - .offset:         886
        .size:           2
        .value_kind:     hidden_group_size_y
      - .offset:         888
        .size:           2
        .value_kind:     hidden_group_size_z
      - .offset:         890
        .size:           2
        .value_kind:     hidden_remainder_x
      - .offset:         892
        .size:           2
        .value_kind:     hidden_remainder_y
      - .offset:         894
        .size:           2
        .value_kind:     hidden_remainder_z
      - .offset:         912
        .size:           8
        .value_kind:     hidden_global_offset_x
      - .offset:         920
        .size:           8
        .value_kind:     hidden_global_offset_y
      - .offset:         928
        .size:           8
        .value_kind:     hidden_global_offset_z
      - .offset:         936
        .size:           2
        .value_kind:     hidden_grid_dims
    .group_segment_fixed_size: 5632
    .kernarg_segment_align: 8
    .kernarg_segment_size: 1128
    .language:       OpenCL C
    .language_version:
      - 2
      - 0
    .max_flat_workgroup_size: 256
    .name:           _ZN2at6native20bitonicSortKVInPlaceILin1ELin1ELi16ELi16EslNS0_4LTOpIsLb1EEEmEEvNS_4cuda6detail10TensorInfoIT3_T6_EES8_S8_S8_NS6_IT4_S8_EES8_T5_
    .private_segment_fixed_size: 0
    .sgpr_count:     25
    .sgpr_spill_count: 0
    .symbol:         _ZN2at6native20bitonicSortKVInPlaceILin1ELin1ELi16ELi16EslNS0_4LTOpIsLb1EEEmEEvNS_4cuda6detail10TensorInfoIT3_T6_EES8_S8_S8_NS6_IT4_S8_EES8_T5_.kd
    .uniform_work_group_size: 1
    .uses_dynamic_stack: false
    .vgpr_count:     35
    .vgpr_spill_count: 0
    .wavefront_size: 64
  - .agpr_count:     0
    .args:
      - .offset:         0
        .size:           416
        .value_kind:     by_value
      - .offset:         416
        .size:           8
        .value_kind:     by_value
      - .offset:         424
        .size:           8
        .value_kind:     by_value
      - .offset:         432
        .size:           8
        .value_kind:     by_value
      - .offset:         440
        .size:           416
        .value_kind:     by_value
      - .offset:         856
        .size:           8
        .value_kind:     by_value
      - .offset:         864
        .size:           1
        .value_kind:     by_value
      - .offset:         872
        .size:           4
        .value_kind:     hidden_block_count_x
      - .offset:         876
        .size:           4
        .value_kind:     hidden_block_count_y
      - .offset:         880
        .size:           4
        .value_kind:     hidden_block_count_z
      - .offset:         884
        .size:           2
        .value_kind:     hidden_group_size_x
      - .offset:         886
        .size:           2
        .value_kind:     hidden_group_size_y
      - .offset:         888
        .size:           2
        .value_kind:     hidden_group_size_z
      - .offset:         890
        .size:           2
        .value_kind:     hidden_remainder_x
      - .offset:         892
        .size:           2
        .value_kind:     hidden_remainder_y
      - .offset:         894
        .size:           2
        .value_kind:     hidden_remainder_z
      - .offset:         912
        .size:           8
        .value_kind:     hidden_global_offset_x
      - .offset:         920
        .size:           8
        .value_kind:     hidden_global_offset_y
      - .offset:         928
        .size:           8
        .value_kind:     hidden_global_offset_z
      - .offset:         936
        .size:           2
        .value_kind:     hidden_grid_dims
    .group_segment_fixed_size: 5632
    .kernarg_segment_align: 8
    .kernarg_segment_size: 1128
    .language:       OpenCL C
    .language_version:
      - 2
      - 0
    .max_flat_workgroup_size: 256
    .name:           _ZN2at6native20bitonicSortKVInPlaceILin1ELin1ELi16ELi16EslNS0_4GTOpIsLb1EEEmEEvNS_4cuda6detail10TensorInfoIT3_T6_EES8_S8_S8_NS6_IT4_S8_EES8_T5_
    .private_segment_fixed_size: 0
    .sgpr_count:     25
    .sgpr_spill_count: 0
    .symbol:         _ZN2at6native20bitonicSortKVInPlaceILin1ELin1ELi16ELi16EslNS0_4GTOpIsLb1EEEmEEvNS_4cuda6detail10TensorInfoIT3_T6_EES8_S8_S8_NS6_IT4_S8_EES8_T5_.kd
    .uniform_work_group_size: 1
    .uses_dynamic_stack: false
    .vgpr_count:     35
    .vgpr_spill_count: 0
    .wavefront_size: 64
  - .agpr_count:     0
    .args:
      - .offset:         0
        .size:           216
        .value_kind:     by_value
      - .offset:         216
        .size:           4
        .value_kind:     by_value
      - .offset:         220
        .size:           4
        .value_kind:     by_value
      - .offset:         224
        .size:           4
        .value_kind:     by_value
      - .offset:         232
        .size:           216
        .value_kind:     by_value
      - .offset:         448
        .size:           4
        .value_kind:     by_value
      - .offset:         452
        .size:           1
        .value_kind:     by_value
      - .offset:         456
        .size:           4
        .value_kind:     hidden_block_count_x
      - .offset:         460
        .size:           4
        .value_kind:     hidden_block_count_y
      - .offset:         464
        .size:           4
        .value_kind:     hidden_block_count_z
      - .offset:         468
        .size:           2
        .value_kind:     hidden_group_size_x
      - .offset:         470
        .size:           2
        .value_kind:     hidden_group_size_y
      - .offset:         472
        .size:           2
        .value_kind:     hidden_group_size_z
      - .offset:         474
        .size:           2
        .value_kind:     hidden_remainder_x
      - .offset:         476
        .size:           2
        .value_kind:     hidden_remainder_y
      - .offset:         478
        .size:           2
        .value_kind:     hidden_remainder_z
      - .offset:         496
        .size:           8
        .value_kind:     hidden_global_offset_x
      - .offset:         504
        .size:           8
        .value_kind:     hidden_global_offset_y
      - .offset:         512
        .size:           8
        .value_kind:     hidden_global_offset_z
      - .offset:         520
        .size:           2
        .value_kind:     hidden_grid_dims
    .group_segment_fixed_size: 8704
    .kernarg_segment_align: 8
    .kernarg_segment_size: 712
    .language:       OpenCL C
    .language_version:
      - 2
      - 0
    .max_flat_workgroup_size: 256
    .name:           _ZN2at6native20bitonicSortKVInPlaceILin2ELin1ELi16ELi16EdlNS0_4LTOpIdLb1EEEjEEvNS_4cuda6detail10TensorInfoIT3_T6_EES8_S8_S8_NS6_IT4_S8_EES8_T5_
    .private_segment_fixed_size: 0
    .sgpr_count:     22
    .sgpr_spill_count: 0
    .symbol:         _ZN2at6native20bitonicSortKVInPlaceILin2ELin1ELi16ELi16EdlNS0_4LTOpIdLb1EEEjEEvNS_4cuda6detail10TensorInfoIT3_T6_EES8_S8_S8_NS6_IT4_S8_EES8_T5_.kd
    .uniform_work_group_size: 1
    .uses_dynamic_stack: false
    .vgpr_count:     37
    .vgpr_spill_count: 0
    .wavefront_size: 64
  - .agpr_count:     0
    .args:
      - .offset:         0
        .size:           216
        .value_kind:     by_value
      - .offset:         216
        .size:           4
        .value_kind:     by_value
      - .offset:         220
        .size:           4
        .value_kind:     by_value
      - .offset:         224
        .size:           4
        .value_kind:     by_value
      - .offset:         232
        .size:           216
        .value_kind:     by_value
      - .offset:         448
        .size:           4
        .value_kind:     by_value
      - .offset:         452
        .size:           1
        .value_kind:     by_value
      - .offset:         456
        .size:           4
        .value_kind:     hidden_block_count_x
      - .offset:         460
        .size:           4
        .value_kind:     hidden_block_count_y
      - .offset:         464
        .size:           4
        .value_kind:     hidden_block_count_z
      - .offset:         468
        .size:           2
        .value_kind:     hidden_group_size_x
      - .offset:         470
        .size:           2
        .value_kind:     hidden_group_size_y
      - .offset:         472
        .size:           2
        .value_kind:     hidden_group_size_z
      - .offset:         474
        .size:           2
        .value_kind:     hidden_remainder_x
      - .offset:         476
        .size:           2
        .value_kind:     hidden_remainder_y
      - .offset:         478
        .size:           2
        .value_kind:     hidden_remainder_z
      - .offset:         496
        .size:           8
        .value_kind:     hidden_global_offset_x
      - .offset:         504
        .size:           8
        .value_kind:     hidden_global_offset_y
      - .offset:         512
        .size:           8
        .value_kind:     hidden_global_offset_z
      - .offset:         520
        .size:           2
        .value_kind:     hidden_grid_dims
    .group_segment_fixed_size: 8704
    .kernarg_segment_align: 8
    .kernarg_segment_size: 712
    .language:       OpenCL C
    .language_version:
      - 2
      - 0
    .max_flat_workgroup_size: 256
    .name:           _ZN2at6native20bitonicSortKVInPlaceILin2ELin1ELi16ELi16EdlNS0_4GTOpIdLb1EEEjEEvNS_4cuda6detail10TensorInfoIT3_T6_EES8_S8_S8_NS6_IT4_S8_EES8_T5_
    .private_segment_fixed_size: 0
    .sgpr_count:     22
    .sgpr_spill_count: 0
    .symbol:         _ZN2at6native20bitonicSortKVInPlaceILin2ELin1ELi16ELi16EdlNS0_4GTOpIdLb1EEEjEEvNS_4cuda6detail10TensorInfoIT3_T6_EES8_S8_S8_NS6_IT4_S8_EES8_T5_.kd
    .uniform_work_group_size: 1
    .uses_dynamic_stack: false
    .vgpr_count:     37
    .vgpr_spill_count: 0
    .wavefront_size: 64
  - .agpr_count:     0
    .args:
      - .offset:         0
        .size:           216
        .value_kind:     by_value
      - .offset:         216
        .size:           4
        .value_kind:     by_value
      - .offset:         220
        .size:           4
        .value_kind:     by_value
      - .offset:         224
        .size:           4
        .value_kind:     by_value
      - .offset:         232
        .size:           216
        .value_kind:     by_value
      - .offset:         448
        .size:           4
        .value_kind:     by_value
      - .offset:         452
        .size:           1
        .value_kind:     by_value
      - .offset:         456
        .size:           4
        .value_kind:     hidden_block_count_x
      - .offset:         460
        .size:           4
        .value_kind:     hidden_block_count_y
      - .offset:         464
        .size:           4
        .value_kind:     hidden_block_count_z
      - .offset:         468
        .size:           2
        .value_kind:     hidden_group_size_x
      - .offset:         470
        .size:           2
        .value_kind:     hidden_group_size_y
      - .offset:         472
        .size:           2
        .value_kind:     hidden_group_size_z
      - .offset:         474
        .size:           2
        .value_kind:     hidden_remainder_x
      - .offset:         476
        .size:           2
        .value_kind:     hidden_remainder_y
      - .offset:         478
        .size:           2
        .value_kind:     hidden_remainder_z
      - .offset:         496
        .size:           8
        .value_kind:     hidden_global_offset_x
      - .offset:         504
        .size:           8
        .value_kind:     hidden_global_offset_y
      - .offset:         512
        .size:           8
        .value_kind:     hidden_global_offset_z
      - .offset:         520
        .size:           2
        .value_kind:     hidden_grid_dims
    .group_segment_fixed_size: 8704
    .kernarg_segment_align: 8
    .kernarg_segment_size: 712
    .language:       OpenCL C
    .language_version:
      - 2
      - 0
    .max_flat_workgroup_size: 256
    .name:           _ZN2at6native20bitonicSortKVInPlaceILi2ELin1ELi16ELi16EdlNS0_4LTOpIdLb1EEEjEEvNS_4cuda6detail10TensorInfoIT3_T6_EES8_S8_S8_NS6_IT4_S8_EES8_T5_
    .private_segment_fixed_size: 0
    .sgpr_count:     24
    .sgpr_spill_count: 0
    .symbol:         _ZN2at6native20bitonicSortKVInPlaceILi2ELin1ELi16ELi16EdlNS0_4LTOpIdLb1EEEjEEvNS_4cuda6detail10TensorInfoIT3_T6_EES8_S8_S8_NS6_IT4_S8_EES8_T5_.kd
    .uniform_work_group_size: 1
    .uses_dynamic_stack: false
    .vgpr_count:     37
    .vgpr_spill_count: 0
    .wavefront_size: 64
  - .agpr_count:     0
    .args:
      - .offset:         0
        .size:           216
        .value_kind:     by_value
      - .offset:         216
        .size:           4
        .value_kind:     by_value
      - .offset:         220
        .size:           4
        .value_kind:     by_value
      - .offset:         224
        .size:           4
        .value_kind:     by_value
      - .offset:         232
        .size:           216
        .value_kind:     by_value
      - .offset:         448
        .size:           4
        .value_kind:     by_value
      - .offset:         452
        .size:           1
        .value_kind:     by_value
      - .offset:         456
        .size:           4
        .value_kind:     hidden_block_count_x
      - .offset:         460
        .size:           4
        .value_kind:     hidden_block_count_y
      - .offset:         464
        .size:           4
        .value_kind:     hidden_block_count_z
      - .offset:         468
        .size:           2
        .value_kind:     hidden_group_size_x
      - .offset:         470
        .size:           2
        .value_kind:     hidden_group_size_y
      - .offset:         472
        .size:           2
        .value_kind:     hidden_group_size_z
      - .offset:         474
        .size:           2
        .value_kind:     hidden_remainder_x
      - .offset:         476
        .size:           2
        .value_kind:     hidden_remainder_y
      - .offset:         478
        .size:           2
        .value_kind:     hidden_remainder_z
      - .offset:         496
        .size:           8
        .value_kind:     hidden_global_offset_x
      - .offset:         504
        .size:           8
        .value_kind:     hidden_global_offset_y
      - .offset:         512
        .size:           8
        .value_kind:     hidden_global_offset_z
      - .offset:         520
        .size:           2
        .value_kind:     hidden_grid_dims
    .group_segment_fixed_size: 8704
    .kernarg_segment_align: 8
    .kernarg_segment_size: 712
    .language:       OpenCL C
    .language_version:
      - 2
      - 0
    .max_flat_workgroup_size: 256
    .name:           _ZN2at6native20bitonicSortKVInPlaceILi2ELin1ELi16ELi16EdlNS0_4GTOpIdLb1EEEjEEvNS_4cuda6detail10TensorInfoIT3_T6_EES8_S8_S8_NS6_IT4_S8_EES8_T5_
    .private_segment_fixed_size: 0
    .sgpr_count:     24
    .sgpr_spill_count: 0
    .symbol:         _ZN2at6native20bitonicSortKVInPlaceILi2ELin1ELi16ELi16EdlNS0_4GTOpIdLb1EEEjEEvNS_4cuda6detail10TensorInfoIT3_T6_EES8_S8_S8_NS6_IT4_S8_EES8_T5_.kd
    .uniform_work_group_size: 1
    .uses_dynamic_stack: false
    .vgpr_count:     37
    .vgpr_spill_count: 0
    .wavefront_size: 64
  - .agpr_count:     0
    .args:
      - .offset:         0
        .size:           216
        .value_kind:     by_value
      - .offset:         216
        .size:           4
        .value_kind:     by_value
      - .offset:         220
        .size:           4
        .value_kind:     by_value
      - .offset:         224
        .size:           4
        .value_kind:     by_value
      - .offset:         232
        .size:           216
        .value_kind:     by_value
      - .offset:         448
        .size:           4
        .value_kind:     by_value
      - .offset:         452
        .size:           1
        .value_kind:     by_value
      - .offset:         456
        .size:           4
        .value_kind:     hidden_block_count_x
      - .offset:         460
        .size:           4
        .value_kind:     hidden_block_count_y
      - .offset:         464
        .size:           4
        .value_kind:     hidden_block_count_z
      - .offset:         468
        .size:           2
        .value_kind:     hidden_group_size_x
      - .offset:         470
        .size:           2
        .value_kind:     hidden_group_size_y
      - .offset:         472
        .size:           2
        .value_kind:     hidden_group_size_z
      - .offset:         474
        .size:           2
        .value_kind:     hidden_remainder_x
      - .offset:         476
        .size:           2
        .value_kind:     hidden_remainder_y
      - .offset:         478
        .size:           2
        .value_kind:     hidden_remainder_z
      - .offset:         496
        .size:           8
        .value_kind:     hidden_global_offset_x
      - .offset:         504
        .size:           8
        .value_kind:     hidden_global_offset_y
      - .offset:         512
        .size:           8
        .value_kind:     hidden_global_offset_z
      - .offset:         520
        .size:           2
        .value_kind:     hidden_grid_dims
    .group_segment_fixed_size: 8704
    .kernarg_segment_align: 8
    .kernarg_segment_size: 712
    .language:       OpenCL C
    .language_version:
      - 2
      - 0
    .max_flat_workgroup_size: 256
    .name:           _ZN2at6native20bitonicSortKVInPlaceILin1ELin1ELi16ELi16EdlNS0_4LTOpIdLb1EEEjEEvNS_4cuda6detail10TensorInfoIT3_T6_EES8_S8_S8_NS6_IT4_S8_EES8_T5_
    .private_segment_fixed_size: 0
    .sgpr_count:     22
    .sgpr_spill_count: 0
    .symbol:         _ZN2at6native20bitonicSortKVInPlaceILin1ELin1ELi16ELi16EdlNS0_4LTOpIdLb1EEEjEEvNS_4cuda6detail10TensorInfoIT3_T6_EES8_S8_S8_NS6_IT4_S8_EES8_T5_.kd
    .uniform_work_group_size: 1
    .uses_dynamic_stack: false
    .vgpr_count:     37
    .vgpr_spill_count: 0
    .wavefront_size: 64
  - .agpr_count:     0
    .args:
      - .offset:         0
        .size:           216
        .value_kind:     by_value
      - .offset:         216
        .size:           4
        .value_kind:     by_value
      - .offset:         220
        .size:           4
        .value_kind:     by_value
      - .offset:         224
        .size:           4
        .value_kind:     by_value
      - .offset:         232
        .size:           216
        .value_kind:     by_value
      - .offset:         448
        .size:           4
        .value_kind:     by_value
      - .offset:         452
        .size:           1
        .value_kind:     by_value
      - .offset:         456
        .size:           4
        .value_kind:     hidden_block_count_x
      - .offset:         460
        .size:           4
        .value_kind:     hidden_block_count_y
      - .offset:         464
        .size:           4
        .value_kind:     hidden_block_count_z
      - .offset:         468
        .size:           2
        .value_kind:     hidden_group_size_x
      - .offset:         470
        .size:           2
        .value_kind:     hidden_group_size_y
      - .offset:         472
        .size:           2
        .value_kind:     hidden_group_size_z
      - .offset:         474
        .size:           2
        .value_kind:     hidden_remainder_x
      - .offset:         476
        .size:           2
        .value_kind:     hidden_remainder_y
      - .offset:         478
        .size:           2
        .value_kind:     hidden_remainder_z
      - .offset:         496
        .size:           8
        .value_kind:     hidden_global_offset_x
      - .offset:         504
        .size:           8
        .value_kind:     hidden_global_offset_y
      - .offset:         512
        .size:           8
        .value_kind:     hidden_global_offset_z
      - .offset:         520
        .size:           2
        .value_kind:     hidden_grid_dims
    .group_segment_fixed_size: 8704
    .kernarg_segment_align: 8
    .kernarg_segment_size: 712
    .language:       OpenCL C
    .language_version:
      - 2
      - 0
    .max_flat_workgroup_size: 256
    .name:           _ZN2at6native20bitonicSortKVInPlaceILin1ELin1ELi16ELi16EdlNS0_4GTOpIdLb1EEEjEEvNS_4cuda6detail10TensorInfoIT3_T6_EES8_S8_S8_NS6_IT4_S8_EES8_T5_
    .private_segment_fixed_size: 0
    .sgpr_count:     22
    .sgpr_spill_count: 0
    .symbol:         _ZN2at6native20bitonicSortKVInPlaceILin1ELin1ELi16ELi16EdlNS0_4GTOpIdLb1EEEjEEvNS_4cuda6detail10TensorInfoIT3_T6_EES8_S8_S8_NS6_IT4_S8_EES8_T5_.kd
    .uniform_work_group_size: 1
    .uses_dynamic_stack: false
    .vgpr_count:     37
    .vgpr_spill_count: 0
    .wavefront_size: 64
  - .agpr_count:     0
    .args:
      - .offset:         0
        .size:           416
        .value_kind:     by_value
      - .offset:         416
        .size:           8
        .value_kind:     by_value
      - .offset:         424
        .size:           8
        .value_kind:     by_value
      - .offset:         432
        .size:           8
        .value_kind:     by_value
      - .offset:         440
        .size:           416
        .value_kind:     by_value
      - .offset:         856
        .size:           8
        .value_kind:     by_value
      - .offset:         864
        .size:           1
        .value_kind:     by_value
      - .offset:         872
        .size:           4
        .value_kind:     hidden_block_count_x
      - .offset:         876
        .size:           4
        .value_kind:     hidden_block_count_y
      - .offset:         880
        .size:           4
        .value_kind:     hidden_block_count_z
      - .offset:         884
        .size:           2
        .value_kind:     hidden_group_size_x
      - .offset:         886
        .size:           2
        .value_kind:     hidden_group_size_y
      - .offset:         888
        .size:           2
        .value_kind:     hidden_group_size_z
      - .offset:         890
        .size:           2
        .value_kind:     hidden_remainder_x
      - .offset:         892
        .size:           2
        .value_kind:     hidden_remainder_y
      - .offset:         894
        .size:           2
        .value_kind:     hidden_remainder_z
      - .offset:         912
        .size:           8
        .value_kind:     hidden_global_offset_x
      - .offset:         920
        .size:           8
        .value_kind:     hidden_global_offset_y
      - .offset:         928
        .size:           8
        .value_kind:     hidden_global_offset_z
      - .offset:         936
        .size:           2
        .value_kind:     hidden_grid_dims
    .group_segment_fixed_size: 8704
    .kernarg_segment_align: 8
    .kernarg_segment_size: 1128
    .language:       OpenCL C
    .language_version:
      - 2
      - 0
    .max_flat_workgroup_size: 256
    .name:           _ZN2at6native20bitonicSortKVInPlaceILin1ELin1ELi16ELi16EdlNS0_4LTOpIdLb1EEEmEEvNS_4cuda6detail10TensorInfoIT3_T6_EES8_S8_S8_NS6_IT4_S8_EES8_T5_
    .private_segment_fixed_size: 0
    .sgpr_count:     25
    .sgpr_spill_count: 0
    .symbol:         _ZN2at6native20bitonicSortKVInPlaceILin1ELin1ELi16ELi16EdlNS0_4LTOpIdLb1EEEmEEvNS_4cuda6detail10TensorInfoIT3_T6_EES8_S8_S8_NS6_IT4_S8_EES8_T5_.kd
    .uniform_work_group_size: 1
    .uses_dynamic_stack: false
    .vgpr_count:     39
    .vgpr_spill_count: 0
    .wavefront_size: 64
  - .agpr_count:     0
    .args:
      - .offset:         0
        .size:           416
        .value_kind:     by_value
      - .offset:         416
        .size:           8
        .value_kind:     by_value
      - .offset:         424
        .size:           8
        .value_kind:     by_value
      - .offset:         432
        .size:           8
        .value_kind:     by_value
      - .offset:         440
        .size:           416
        .value_kind:     by_value
      - .offset:         856
        .size:           8
        .value_kind:     by_value
      - .offset:         864
        .size:           1
        .value_kind:     by_value
      - .offset:         872
        .size:           4
        .value_kind:     hidden_block_count_x
      - .offset:         876
        .size:           4
        .value_kind:     hidden_block_count_y
      - .offset:         880
        .size:           4
        .value_kind:     hidden_block_count_z
      - .offset:         884
        .size:           2
        .value_kind:     hidden_group_size_x
      - .offset:         886
        .size:           2
        .value_kind:     hidden_group_size_y
      - .offset:         888
        .size:           2
        .value_kind:     hidden_group_size_z
      - .offset:         890
        .size:           2
        .value_kind:     hidden_remainder_x
      - .offset:         892
        .size:           2
        .value_kind:     hidden_remainder_y
      - .offset:         894
        .size:           2
        .value_kind:     hidden_remainder_z
      - .offset:         912
        .size:           8
        .value_kind:     hidden_global_offset_x
      - .offset:         920
        .size:           8
        .value_kind:     hidden_global_offset_y
      - .offset:         928
        .size:           8
        .value_kind:     hidden_global_offset_z
      - .offset:         936
        .size:           2
        .value_kind:     hidden_grid_dims
    .group_segment_fixed_size: 8704
    .kernarg_segment_align: 8
    .kernarg_segment_size: 1128
    .language:       OpenCL C
    .language_version:
      - 2
      - 0
    .max_flat_workgroup_size: 256
    .name:           _ZN2at6native20bitonicSortKVInPlaceILin1ELin1ELi16ELi16EdlNS0_4GTOpIdLb1EEEmEEvNS_4cuda6detail10TensorInfoIT3_T6_EES8_S8_S8_NS6_IT4_S8_EES8_T5_
    .private_segment_fixed_size: 0
    .sgpr_count:     25
    .sgpr_spill_count: 0
    .symbol:         _ZN2at6native20bitonicSortKVInPlaceILin1ELin1ELi16ELi16EdlNS0_4GTOpIdLb1EEEmEEvNS_4cuda6detail10TensorInfoIT3_T6_EES8_S8_S8_NS6_IT4_S8_EES8_T5_.kd
    .uniform_work_group_size: 1
    .uses_dynamic_stack: false
    .vgpr_count:     39
    .vgpr_spill_count: 0
    .wavefront_size: 64
  - .agpr_count:     0
    .args:
      - .offset:         0
        .size:           216
        .value_kind:     by_value
      - .offset:         216
        .size:           4
        .value_kind:     by_value
      - .offset:         220
        .size:           4
        .value_kind:     by_value
      - .offset:         224
        .size:           4
        .value_kind:     by_value
      - .offset:         232
        .size:           216
        .value_kind:     by_value
      - .offset:         448
        .size:           4
        .value_kind:     by_value
      - .offset:         452
        .size:           1
        .value_kind:     by_value
      - .offset:         456
        .size:           4
        .value_kind:     hidden_block_count_x
      - .offset:         460
        .size:           4
        .value_kind:     hidden_block_count_y
      - .offset:         464
        .size:           4
        .value_kind:     hidden_block_count_z
      - .offset:         468
        .size:           2
        .value_kind:     hidden_group_size_x
      - .offset:         470
        .size:           2
        .value_kind:     hidden_group_size_y
      - .offset:         472
        .size:           2
        .value_kind:     hidden_group_size_z
      - .offset:         474
        .size:           2
        .value_kind:     hidden_remainder_x
      - .offset:         476
        .size:           2
        .value_kind:     hidden_remainder_y
      - .offset:         478
        .size:           2
        .value_kind:     hidden_remainder_z
      - .offset:         496
        .size:           8
        .value_kind:     hidden_global_offset_x
      - .offset:         504
        .size:           8
        .value_kind:     hidden_global_offset_y
      - .offset:         512
        .size:           8
        .value_kind:     hidden_global_offset_z
      - .offset:         520
        .size:           2
        .value_kind:     hidden_grid_dims
    .group_segment_fixed_size: 6656
    .kernarg_segment_align: 8
    .kernarg_segment_size: 712
    .language:       OpenCL C
    .language_version:
      - 2
      - 0
    .max_flat_workgroup_size: 256
    .name:           _ZN2at6native20bitonicSortKVInPlaceILin2ELin1ELi16ELi16EflNS0_4LTOpIfLb1EEEjEEvNS_4cuda6detail10TensorInfoIT3_T6_EES8_S8_S8_NS6_IT4_S8_EES8_T5_
    .private_segment_fixed_size: 0
    .sgpr_count:     22
    .sgpr_spill_count: 0
    .symbol:         _ZN2at6native20bitonicSortKVInPlaceILin2ELin1ELi16ELi16EflNS0_4LTOpIfLb1EEEjEEvNS_4cuda6detail10TensorInfoIT3_T6_EES8_S8_S8_NS6_IT4_S8_EES8_T5_.kd
    .uniform_work_group_size: 1
    .uses_dynamic_stack: false
    .vgpr_count:     33
    .vgpr_spill_count: 0
    .wavefront_size: 64
  - .agpr_count:     0
    .args:
      - .offset:         0
        .size:           216
        .value_kind:     by_value
      - .offset:         216
        .size:           4
        .value_kind:     by_value
      - .offset:         220
        .size:           4
        .value_kind:     by_value
      - .offset:         224
        .size:           4
        .value_kind:     by_value
      - .offset:         232
        .size:           216
        .value_kind:     by_value
      - .offset:         448
        .size:           4
        .value_kind:     by_value
      - .offset:         452
        .size:           1
        .value_kind:     by_value
      - .offset:         456
        .size:           4
        .value_kind:     hidden_block_count_x
      - .offset:         460
        .size:           4
        .value_kind:     hidden_block_count_y
      - .offset:         464
        .size:           4
        .value_kind:     hidden_block_count_z
      - .offset:         468
        .size:           2
        .value_kind:     hidden_group_size_x
      - .offset:         470
        .size:           2
        .value_kind:     hidden_group_size_y
      - .offset:         472
        .size:           2
        .value_kind:     hidden_group_size_z
      - .offset:         474
        .size:           2
        .value_kind:     hidden_remainder_x
      - .offset:         476
        .size:           2
        .value_kind:     hidden_remainder_y
      - .offset:         478
        .size:           2
        .value_kind:     hidden_remainder_z
      - .offset:         496
        .size:           8
        .value_kind:     hidden_global_offset_x
      - .offset:         504
        .size:           8
        .value_kind:     hidden_global_offset_y
      - .offset:         512
        .size:           8
        .value_kind:     hidden_global_offset_z
      - .offset:         520
        .size:           2
        .value_kind:     hidden_grid_dims
    .group_segment_fixed_size: 6656
    .kernarg_segment_align: 8
    .kernarg_segment_size: 712
    .language:       OpenCL C
    .language_version:
      - 2
      - 0
    .max_flat_workgroup_size: 256
    .name:           _ZN2at6native20bitonicSortKVInPlaceILin2ELin1ELi16ELi16EflNS0_4GTOpIfLb1EEEjEEvNS_4cuda6detail10TensorInfoIT3_T6_EES8_S8_S8_NS6_IT4_S8_EES8_T5_
    .private_segment_fixed_size: 0
    .sgpr_count:     22
    .sgpr_spill_count: 0
    .symbol:         _ZN2at6native20bitonicSortKVInPlaceILin2ELin1ELi16ELi16EflNS0_4GTOpIfLb1EEEjEEvNS_4cuda6detail10TensorInfoIT3_T6_EES8_S8_S8_NS6_IT4_S8_EES8_T5_.kd
    .uniform_work_group_size: 1
    .uses_dynamic_stack: false
    .vgpr_count:     33
    .vgpr_spill_count: 0
    .wavefront_size: 64
  - .agpr_count:     0
    .args:
      - .offset:         0
        .size:           216
        .value_kind:     by_value
      - .offset:         216
        .size:           4
        .value_kind:     by_value
      - .offset:         220
        .size:           4
        .value_kind:     by_value
      - .offset:         224
        .size:           4
        .value_kind:     by_value
      - .offset:         232
        .size:           216
        .value_kind:     by_value
      - .offset:         448
        .size:           4
        .value_kind:     by_value
      - .offset:         452
        .size:           1
        .value_kind:     by_value
      - .offset:         456
        .size:           4
        .value_kind:     hidden_block_count_x
      - .offset:         460
        .size:           4
        .value_kind:     hidden_block_count_y
      - .offset:         464
        .size:           4
        .value_kind:     hidden_block_count_z
      - .offset:         468
        .size:           2
        .value_kind:     hidden_group_size_x
      - .offset:         470
        .size:           2
        .value_kind:     hidden_group_size_y
      - .offset:         472
        .size:           2
        .value_kind:     hidden_group_size_z
      - .offset:         474
        .size:           2
        .value_kind:     hidden_remainder_x
      - .offset:         476
        .size:           2
        .value_kind:     hidden_remainder_y
      - .offset:         478
        .size:           2
        .value_kind:     hidden_remainder_z
      - .offset:         496
        .size:           8
        .value_kind:     hidden_global_offset_x
      - .offset:         504
        .size:           8
        .value_kind:     hidden_global_offset_y
      - .offset:         512
        .size:           8
        .value_kind:     hidden_global_offset_z
      - .offset:         520
        .size:           2
        .value_kind:     hidden_grid_dims
    .group_segment_fixed_size: 6656
    .kernarg_segment_align: 8
    .kernarg_segment_size: 712
    .language:       OpenCL C
    .language_version:
      - 2
      - 0
    .max_flat_workgroup_size: 256
    .name:           _ZN2at6native20bitonicSortKVInPlaceILi2ELin1ELi16ELi16EflNS0_4LTOpIfLb1EEEjEEvNS_4cuda6detail10TensorInfoIT3_T6_EES8_S8_S8_NS6_IT4_S8_EES8_T5_
    .private_segment_fixed_size: 0
    .sgpr_count:     24
    .sgpr_spill_count: 0
    .symbol:         _ZN2at6native20bitonicSortKVInPlaceILi2ELin1ELi16ELi16EflNS0_4LTOpIfLb1EEEjEEvNS_4cuda6detail10TensorInfoIT3_T6_EES8_S8_S8_NS6_IT4_S8_EES8_T5_.kd
    .uniform_work_group_size: 1
    .uses_dynamic_stack: false
    .vgpr_count:     33
    .vgpr_spill_count: 0
    .wavefront_size: 64
  - .agpr_count:     0
    .args:
      - .offset:         0
        .size:           216
        .value_kind:     by_value
      - .offset:         216
        .size:           4
        .value_kind:     by_value
      - .offset:         220
        .size:           4
        .value_kind:     by_value
      - .offset:         224
        .size:           4
        .value_kind:     by_value
      - .offset:         232
        .size:           216
        .value_kind:     by_value
      - .offset:         448
        .size:           4
        .value_kind:     by_value
      - .offset:         452
        .size:           1
        .value_kind:     by_value
      - .offset:         456
        .size:           4
        .value_kind:     hidden_block_count_x
      - .offset:         460
        .size:           4
        .value_kind:     hidden_block_count_y
      - .offset:         464
        .size:           4
        .value_kind:     hidden_block_count_z
      - .offset:         468
        .size:           2
        .value_kind:     hidden_group_size_x
      - .offset:         470
        .size:           2
        .value_kind:     hidden_group_size_y
      - .offset:         472
        .size:           2
        .value_kind:     hidden_group_size_z
      - .offset:         474
        .size:           2
        .value_kind:     hidden_remainder_x
      - .offset:         476
        .size:           2
        .value_kind:     hidden_remainder_y
      - .offset:         478
        .size:           2
        .value_kind:     hidden_remainder_z
      - .offset:         496
        .size:           8
        .value_kind:     hidden_global_offset_x
      - .offset:         504
        .size:           8
        .value_kind:     hidden_global_offset_y
      - .offset:         512
        .size:           8
        .value_kind:     hidden_global_offset_z
      - .offset:         520
        .size:           2
        .value_kind:     hidden_grid_dims
    .group_segment_fixed_size: 6656
    .kernarg_segment_align: 8
    .kernarg_segment_size: 712
    .language:       OpenCL C
    .language_version:
      - 2
      - 0
    .max_flat_workgroup_size: 256
    .name:           _ZN2at6native20bitonicSortKVInPlaceILi2ELin1ELi16ELi16EflNS0_4GTOpIfLb1EEEjEEvNS_4cuda6detail10TensorInfoIT3_T6_EES8_S8_S8_NS6_IT4_S8_EES8_T5_
    .private_segment_fixed_size: 0
    .sgpr_count:     24
    .sgpr_spill_count: 0
    .symbol:         _ZN2at6native20bitonicSortKVInPlaceILi2ELin1ELi16ELi16EflNS0_4GTOpIfLb1EEEjEEvNS_4cuda6detail10TensorInfoIT3_T6_EES8_S8_S8_NS6_IT4_S8_EES8_T5_.kd
    .uniform_work_group_size: 1
    .uses_dynamic_stack: false
    .vgpr_count:     33
    .vgpr_spill_count: 0
    .wavefront_size: 64
  - .agpr_count:     0
    .args:
      - .offset:         0
        .size:           216
        .value_kind:     by_value
      - .offset:         216
        .size:           4
        .value_kind:     by_value
      - .offset:         220
        .size:           4
        .value_kind:     by_value
      - .offset:         224
        .size:           4
        .value_kind:     by_value
      - .offset:         232
        .size:           216
        .value_kind:     by_value
      - .offset:         448
        .size:           4
        .value_kind:     by_value
      - .offset:         452
        .size:           1
        .value_kind:     by_value
      - .offset:         456
        .size:           4
        .value_kind:     hidden_block_count_x
      - .offset:         460
        .size:           4
        .value_kind:     hidden_block_count_y
      - .offset:         464
        .size:           4
        .value_kind:     hidden_block_count_z
      - .offset:         468
        .size:           2
        .value_kind:     hidden_group_size_x
      - .offset:         470
        .size:           2
        .value_kind:     hidden_group_size_y
      - .offset:         472
        .size:           2
        .value_kind:     hidden_group_size_z
      - .offset:         474
        .size:           2
        .value_kind:     hidden_remainder_x
      - .offset:         476
        .size:           2
        .value_kind:     hidden_remainder_y
      - .offset:         478
        .size:           2
        .value_kind:     hidden_remainder_z
      - .offset:         496
        .size:           8
        .value_kind:     hidden_global_offset_x
      - .offset:         504
        .size:           8
        .value_kind:     hidden_global_offset_y
      - .offset:         512
        .size:           8
        .value_kind:     hidden_global_offset_z
      - .offset:         520
        .size:           2
        .value_kind:     hidden_grid_dims
    .group_segment_fixed_size: 6656
    .kernarg_segment_align: 8
    .kernarg_segment_size: 712
    .language:       OpenCL C
    .language_version:
      - 2
      - 0
    .max_flat_workgroup_size: 256
    .name:           _ZN2at6native20bitonicSortKVInPlaceILin1ELin1ELi16ELi16EflNS0_4LTOpIfLb1EEEjEEvNS_4cuda6detail10TensorInfoIT3_T6_EES8_S8_S8_NS6_IT4_S8_EES8_T5_
    .private_segment_fixed_size: 0
    .sgpr_count:     22
    .sgpr_spill_count: 0
    .symbol:         _ZN2at6native20bitonicSortKVInPlaceILin1ELin1ELi16ELi16EflNS0_4LTOpIfLb1EEEjEEvNS_4cuda6detail10TensorInfoIT3_T6_EES8_S8_S8_NS6_IT4_S8_EES8_T5_.kd
    .uniform_work_group_size: 1
    .uses_dynamic_stack: false
    .vgpr_count:     33
    .vgpr_spill_count: 0
    .wavefront_size: 64
  - .agpr_count:     0
    .args:
      - .offset:         0
        .size:           216
        .value_kind:     by_value
      - .offset:         216
        .size:           4
        .value_kind:     by_value
      - .offset:         220
        .size:           4
        .value_kind:     by_value
      - .offset:         224
        .size:           4
        .value_kind:     by_value
      - .offset:         232
        .size:           216
        .value_kind:     by_value
      - .offset:         448
        .size:           4
        .value_kind:     by_value
      - .offset:         452
        .size:           1
        .value_kind:     by_value
      - .offset:         456
        .size:           4
        .value_kind:     hidden_block_count_x
      - .offset:         460
        .size:           4
        .value_kind:     hidden_block_count_y
      - .offset:         464
        .size:           4
        .value_kind:     hidden_block_count_z
      - .offset:         468
        .size:           2
        .value_kind:     hidden_group_size_x
      - .offset:         470
        .size:           2
        .value_kind:     hidden_group_size_y
      - .offset:         472
        .size:           2
        .value_kind:     hidden_group_size_z
      - .offset:         474
        .size:           2
        .value_kind:     hidden_remainder_x
      - .offset:         476
        .size:           2
        .value_kind:     hidden_remainder_y
      - .offset:         478
        .size:           2
        .value_kind:     hidden_remainder_z
      - .offset:         496
        .size:           8
        .value_kind:     hidden_global_offset_x
      - .offset:         504
        .size:           8
        .value_kind:     hidden_global_offset_y
      - .offset:         512
        .size:           8
        .value_kind:     hidden_global_offset_z
      - .offset:         520
        .size:           2
        .value_kind:     hidden_grid_dims
    .group_segment_fixed_size: 6656
    .kernarg_segment_align: 8
    .kernarg_segment_size: 712
    .language:       OpenCL C
    .language_version:
      - 2
      - 0
    .max_flat_workgroup_size: 256
    .name:           _ZN2at6native20bitonicSortKVInPlaceILin1ELin1ELi16ELi16EflNS0_4GTOpIfLb1EEEjEEvNS_4cuda6detail10TensorInfoIT3_T6_EES8_S8_S8_NS6_IT4_S8_EES8_T5_
    .private_segment_fixed_size: 0
    .sgpr_count:     22
    .sgpr_spill_count: 0
    .symbol:         _ZN2at6native20bitonicSortKVInPlaceILin1ELin1ELi16ELi16EflNS0_4GTOpIfLb1EEEjEEvNS_4cuda6detail10TensorInfoIT3_T6_EES8_S8_S8_NS6_IT4_S8_EES8_T5_.kd
    .uniform_work_group_size: 1
    .uses_dynamic_stack: false
    .vgpr_count:     33
    .vgpr_spill_count: 0
    .wavefront_size: 64
  - .agpr_count:     0
    .args:
      - .offset:         0
        .size:           416
        .value_kind:     by_value
      - .offset:         416
        .size:           8
        .value_kind:     by_value
      - .offset:         424
        .size:           8
        .value_kind:     by_value
      - .offset:         432
        .size:           8
        .value_kind:     by_value
      - .offset:         440
        .size:           416
        .value_kind:     by_value
      - .offset:         856
        .size:           8
        .value_kind:     by_value
      - .offset:         864
        .size:           1
        .value_kind:     by_value
      - .offset:         872
        .size:           4
        .value_kind:     hidden_block_count_x
      - .offset:         876
        .size:           4
        .value_kind:     hidden_block_count_y
      - .offset:         880
        .size:           4
        .value_kind:     hidden_block_count_z
      - .offset:         884
        .size:           2
        .value_kind:     hidden_group_size_x
      - .offset:         886
        .size:           2
        .value_kind:     hidden_group_size_y
      - .offset:         888
        .size:           2
        .value_kind:     hidden_group_size_z
      - .offset:         890
        .size:           2
        .value_kind:     hidden_remainder_x
      - .offset:         892
        .size:           2
        .value_kind:     hidden_remainder_y
      - .offset:         894
        .size:           2
        .value_kind:     hidden_remainder_z
      - .offset:         912
        .size:           8
        .value_kind:     hidden_global_offset_x
      - .offset:         920
        .size:           8
        .value_kind:     hidden_global_offset_y
      - .offset:         928
        .size:           8
        .value_kind:     hidden_global_offset_z
      - .offset:         936
        .size:           2
        .value_kind:     hidden_grid_dims
    .group_segment_fixed_size: 6656
    .kernarg_segment_align: 8
    .kernarg_segment_size: 1128
    .language:       OpenCL C
    .language_version:
      - 2
      - 0
    .max_flat_workgroup_size: 256
    .name:           _ZN2at6native20bitonicSortKVInPlaceILin1ELin1ELi16ELi16EflNS0_4LTOpIfLb1EEEmEEvNS_4cuda6detail10TensorInfoIT3_T6_EES8_S8_S8_NS6_IT4_S8_EES8_T5_
    .private_segment_fixed_size: 0
    .sgpr_count:     25
    .sgpr_spill_count: 0
    .symbol:         _ZN2at6native20bitonicSortKVInPlaceILin1ELin1ELi16ELi16EflNS0_4LTOpIfLb1EEEmEEvNS_4cuda6detail10TensorInfoIT3_T6_EES8_S8_S8_NS6_IT4_S8_EES8_T5_.kd
    .uniform_work_group_size: 1
    .uses_dynamic_stack: false
    .vgpr_count:     35
    .vgpr_spill_count: 0
    .wavefront_size: 64
  - .agpr_count:     0
    .args:
      - .offset:         0
        .size:           416
        .value_kind:     by_value
      - .offset:         416
        .size:           8
        .value_kind:     by_value
      - .offset:         424
        .size:           8
        .value_kind:     by_value
      - .offset:         432
        .size:           8
        .value_kind:     by_value
      - .offset:         440
        .size:           416
        .value_kind:     by_value
      - .offset:         856
        .size:           8
        .value_kind:     by_value
      - .offset:         864
        .size:           1
        .value_kind:     by_value
      - .offset:         872
        .size:           4
        .value_kind:     hidden_block_count_x
      - .offset:         876
        .size:           4
        .value_kind:     hidden_block_count_y
      - .offset:         880
        .size:           4
        .value_kind:     hidden_block_count_z
      - .offset:         884
        .size:           2
        .value_kind:     hidden_group_size_x
      - .offset:         886
        .size:           2
        .value_kind:     hidden_group_size_y
      - .offset:         888
        .size:           2
        .value_kind:     hidden_group_size_z
      - .offset:         890
        .size:           2
        .value_kind:     hidden_remainder_x
      - .offset:         892
        .size:           2
        .value_kind:     hidden_remainder_y
      - .offset:         894
        .size:           2
        .value_kind:     hidden_remainder_z
      - .offset:         912
        .size:           8
        .value_kind:     hidden_global_offset_x
      - .offset:         920
        .size:           8
        .value_kind:     hidden_global_offset_y
      - .offset:         928
        .size:           8
        .value_kind:     hidden_global_offset_z
      - .offset:         936
        .size:           2
        .value_kind:     hidden_grid_dims
    .group_segment_fixed_size: 6656
    .kernarg_segment_align: 8
    .kernarg_segment_size: 1128
    .language:       OpenCL C
    .language_version:
      - 2
      - 0
    .max_flat_workgroup_size: 256
    .name:           _ZN2at6native20bitonicSortKVInPlaceILin1ELin1ELi16ELi16EflNS0_4GTOpIfLb1EEEmEEvNS_4cuda6detail10TensorInfoIT3_T6_EES8_S8_S8_NS6_IT4_S8_EES8_T5_
    .private_segment_fixed_size: 0
    .sgpr_count:     25
    .sgpr_spill_count: 0
    .symbol:         _ZN2at6native20bitonicSortKVInPlaceILin1ELin1ELi16ELi16EflNS0_4GTOpIfLb1EEEmEEvNS_4cuda6detail10TensorInfoIT3_T6_EES8_S8_S8_NS6_IT4_S8_EES8_T5_.kd
    .uniform_work_group_size: 1
    .uses_dynamic_stack: false
    .vgpr_count:     35
    .vgpr_spill_count: 0
    .wavefront_size: 64
  - .agpr_count:     0
    .args:
      - .offset:         0
        .size:           216
        .value_kind:     by_value
      - .offset:         216
        .size:           4
        .value_kind:     by_value
      - .offset:         220
        .size:           4
        .value_kind:     by_value
      - .offset:         224
        .size:           4
        .value_kind:     by_value
      - .offset:         232
        .size:           216
        .value_kind:     by_value
      - .offset:         448
        .size:           4
        .value_kind:     by_value
      - .offset:         452
        .size:           1
        .value_kind:     by_value
      - .offset:         456
        .size:           4
        .value_kind:     hidden_block_count_x
      - .offset:         460
        .size:           4
        .value_kind:     hidden_block_count_y
      - .offset:         464
        .size:           4
        .value_kind:     hidden_block_count_z
      - .offset:         468
        .size:           2
        .value_kind:     hidden_group_size_x
      - .offset:         470
        .size:           2
        .value_kind:     hidden_group_size_y
      - .offset:         472
        .size:           2
        .value_kind:     hidden_group_size_z
      - .offset:         474
        .size:           2
        .value_kind:     hidden_remainder_x
      - .offset:         476
        .size:           2
        .value_kind:     hidden_remainder_y
      - .offset:         478
        .size:           2
        .value_kind:     hidden_remainder_z
      - .offset:         496
        .size:           8
        .value_kind:     hidden_global_offset_x
      - .offset:         504
        .size:           8
        .value_kind:     hidden_global_offset_y
      - .offset:         512
        .size:           8
        .value_kind:     hidden_global_offset_z
      - .offset:         520
        .size:           2
        .value_kind:     hidden_grid_dims
    .group_segment_fixed_size: 5632
    .kernarg_segment_align: 8
    .kernarg_segment_size: 712
    .language:       OpenCL C
    .language_version:
      - 2
      - 0
    .max_flat_workgroup_size: 256
    .name:           _ZN2at6native20bitonicSortKVInPlaceILin2ELin1ELi16ELi16EN3c104HalfElNS0_4LTOpIS3_Lb1EEEjEEvNS_4cuda6detail10TensorInfoIT3_T6_EESA_SA_SA_NS8_IT4_SA_EESA_T5_
    .private_segment_fixed_size: 0
    .sgpr_count:     22
    .sgpr_spill_count: 0
    .symbol:         _ZN2at6native20bitonicSortKVInPlaceILin2ELin1ELi16ELi16EN3c104HalfElNS0_4LTOpIS3_Lb1EEEjEEvNS_4cuda6detail10TensorInfoIT3_T6_EESA_SA_SA_NS8_IT4_SA_EESA_T5_.kd
    .uniform_work_group_size: 1
    .uses_dynamic_stack: false
    .vgpr_count:     33
    .vgpr_spill_count: 0
    .wavefront_size: 64
  - .agpr_count:     0
    .args:
      - .offset:         0
        .size:           216
        .value_kind:     by_value
      - .offset:         216
        .size:           4
        .value_kind:     by_value
      - .offset:         220
        .size:           4
        .value_kind:     by_value
      - .offset:         224
        .size:           4
        .value_kind:     by_value
      - .offset:         232
        .size:           216
        .value_kind:     by_value
      - .offset:         448
        .size:           4
        .value_kind:     by_value
      - .offset:         452
        .size:           1
        .value_kind:     by_value
      - .offset:         456
        .size:           4
        .value_kind:     hidden_block_count_x
      - .offset:         460
        .size:           4
        .value_kind:     hidden_block_count_y
      - .offset:         464
        .size:           4
        .value_kind:     hidden_block_count_z
      - .offset:         468
        .size:           2
        .value_kind:     hidden_group_size_x
      - .offset:         470
        .size:           2
        .value_kind:     hidden_group_size_y
      - .offset:         472
        .size:           2
        .value_kind:     hidden_group_size_z
      - .offset:         474
        .size:           2
        .value_kind:     hidden_remainder_x
      - .offset:         476
        .size:           2
        .value_kind:     hidden_remainder_y
      - .offset:         478
        .size:           2
        .value_kind:     hidden_remainder_z
      - .offset:         496
        .size:           8
        .value_kind:     hidden_global_offset_x
      - .offset:         504
        .size:           8
        .value_kind:     hidden_global_offset_y
      - .offset:         512
        .size:           8
        .value_kind:     hidden_global_offset_z
      - .offset:         520
        .size:           2
        .value_kind:     hidden_grid_dims
    .group_segment_fixed_size: 5632
    .kernarg_segment_align: 8
    .kernarg_segment_size: 712
    .language:       OpenCL C
    .language_version:
      - 2
      - 0
    .max_flat_workgroup_size: 256
    .name:           _ZN2at6native20bitonicSortKVInPlaceILin2ELin1ELi16ELi16EN3c104HalfElNS0_4GTOpIS3_Lb1EEEjEEvNS_4cuda6detail10TensorInfoIT3_T6_EESA_SA_SA_NS8_IT4_SA_EESA_T5_
    .private_segment_fixed_size: 0
    .sgpr_count:     22
    .sgpr_spill_count: 0
    .symbol:         _ZN2at6native20bitonicSortKVInPlaceILin2ELin1ELi16ELi16EN3c104HalfElNS0_4GTOpIS3_Lb1EEEjEEvNS_4cuda6detail10TensorInfoIT3_T6_EESA_SA_SA_NS8_IT4_SA_EESA_T5_.kd
    .uniform_work_group_size: 1
    .uses_dynamic_stack: false
    .vgpr_count:     33
    .vgpr_spill_count: 0
    .wavefront_size: 64
  - .agpr_count:     0
    .args:
      - .offset:         0
        .size:           216
        .value_kind:     by_value
      - .offset:         216
        .size:           4
        .value_kind:     by_value
      - .offset:         220
        .size:           4
        .value_kind:     by_value
      - .offset:         224
        .size:           4
        .value_kind:     by_value
      - .offset:         232
        .size:           216
        .value_kind:     by_value
      - .offset:         448
        .size:           4
        .value_kind:     by_value
      - .offset:         452
        .size:           1
        .value_kind:     by_value
      - .offset:         456
        .size:           4
        .value_kind:     hidden_block_count_x
      - .offset:         460
        .size:           4
        .value_kind:     hidden_block_count_y
      - .offset:         464
        .size:           4
        .value_kind:     hidden_block_count_z
      - .offset:         468
        .size:           2
        .value_kind:     hidden_group_size_x
      - .offset:         470
        .size:           2
        .value_kind:     hidden_group_size_y
      - .offset:         472
        .size:           2
        .value_kind:     hidden_group_size_z
      - .offset:         474
        .size:           2
        .value_kind:     hidden_remainder_x
      - .offset:         476
        .size:           2
        .value_kind:     hidden_remainder_y
      - .offset:         478
        .size:           2
        .value_kind:     hidden_remainder_z
      - .offset:         496
        .size:           8
        .value_kind:     hidden_global_offset_x
      - .offset:         504
        .size:           8
        .value_kind:     hidden_global_offset_y
      - .offset:         512
        .size:           8
        .value_kind:     hidden_global_offset_z
      - .offset:         520
        .size:           2
        .value_kind:     hidden_grid_dims
    .group_segment_fixed_size: 5632
    .kernarg_segment_align: 8
    .kernarg_segment_size: 712
    .language:       OpenCL C
    .language_version:
      - 2
      - 0
    .max_flat_workgroup_size: 256
    .name:           _ZN2at6native20bitonicSortKVInPlaceILi2ELin1ELi16ELi16EN3c104HalfElNS0_4LTOpIS3_Lb1EEEjEEvNS_4cuda6detail10TensorInfoIT3_T6_EESA_SA_SA_NS8_IT4_SA_EESA_T5_
    .private_segment_fixed_size: 0
    .sgpr_count:     24
    .sgpr_spill_count: 0
    .symbol:         _ZN2at6native20bitonicSortKVInPlaceILi2ELin1ELi16ELi16EN3c104HalfElNS0_4LTOpIS3_Lb1EEEjEEvNS_4cuda6detail10TensorInfoIT3_T6_EESA_SA_SA_NS8_IT4_SA_EESA_T5_.kd
    .uniform_work_group_size: 1
    .uses_dynamic_stack: false
    .vgpr_count:     33
    .vgpr_spill_count: 0
    .wavefront_size: 64
  - .agpr_count:     0
    .args:
      - .offset:         0
        .size:           216
        .value_kind:     by_value
      - .offset:         216
        .size:           4
        .value_kind:     by_value
      - .offset:         220
        .size:           4
        .value_kind:     by_value
      - .offset:         224
        .size:           4
        .value_kind:     by_value
      - .offset:         232
        .size:           216
        .value_kind:     by_value
      - .offset:         448
        .size:           4
        .value_kind:     by_value
      - .offset:         452
        .size:           1
        .value_kind:     by_value
      - .offset:         456
        .size:           4
        .value_kind:     hidden_block_count_x
      - .offset:         460
        .size:           4
        .value_kind:     hidden_block_count_y
      - .offset:         464
        .size:           4
        .value_kind:     hidden_block_count_z
      - .offset:         468
        .size:           2
        .value_kind:     hidden_group_size_x
      - .offset:         470
        .size:           2
        .value_kind:     hidden_group_size_y
      - .offset:         472
        .size:           2
        .value_kind:     hidden_group_size_z
      - .offset:         474
        .size:           2
        .value_kind:     hidden_remainder_x
      - .offset:         476
        .size:           2
        .value_kind:     hidden_remainder_y
      - .offset:         478
        .size:           2
        .value_kind:     hidden_remainder_z
      - .offset:         496
        .size:           8
        .value_kind:     hidden_global_offset_x
      - .offset:         504
        .size:           8
        .value_kind:     hidden_global_offset_y
      - .offset:         512
        .size:           8
        .value_kind:     hidden_global_offset_z
      - .offset:         520
        .size:           2
        .value_kind:     hidden_grid_dims
    .group_segment_fixed_size: 5632
    .kernarg_segment_align: 8
    .kernarg_segment_size: 712
    .language:       OpenCL C
    .language_version:
      - 2
      - 0
    .max_flat_workgroup_size: 256
    .name:           _ZN2at6native20bitonicSortKVInPlaceILi2ELin1ELi16ELi16EN3c104HalfElNS0_4GTOpIS3_Lb1EEEjEEvNS_4cuda6detail10TensorInfoIT3_T6_EESA_SA_SA_NS8_IT4_SA_EESA_T5_
    .private_segment_fixed_size: 0
    .sgpr_count:     24
    .sgpr_spill_count: 0
    .symbol:         _ZN2at6native20bitonicSortKVInPlaceILi2ELin1ELi16ELi16EN3c104HalfElNS0_4GTOpIS3_Lb1EEEjEEvNS_4cuda6detail10TensorInfoIT3_T6_EESA_SA_SA_NS8_IT4_SA_EESA_T5_.kd
    .uniform_work_group_size: 1
    .uses_dynamic_stack: false
    .vgpr_count:     33
    .vgpr_spill_count: 0
    .wavefront_size: 64
  - .agpr_count:     0
    .args:
      - .offset:         0
        .size:           216
        .value_kind:     by_value
      - .offset:         216
        .size:           4
        .value_kind:     by_value
      - .offset:         220
        .size:           4
        .value_kind:     by_value
      - .offset:         224
        .size:           4
        .value_kind:     by_value
      - .offset:         232
        .size:           216
        .value_kind:     by_value
      - .offset:         448
        .size:           4
        .value_kind:     by_value
      - .offset:         452
        .size:           1
        .value_kind:     by_value
      - .offset:         456
        .size:           4
        .value_kind:     hidden_block_count_x
      - .offset:         460
        .size:           4
        .value_kind:     hidden_block_count_y
      - .offset:         464
        .size:           4
        .value_kind:     hidden_block_count_z
      - .offset:         468
        .size:           2
        .value_kind:     hidden_group_size_x
      - .offset:         470
        .size:           2
        .value_kind:     hidden_group_size_y
      - .offset:         472
        .size:           2
        .value_kind:     hidden_group_size_z
      - .offset:         474
        .size:           2
        .value_kind:     hidden_remainder_x
      - .offset:         476
        .size:           2
        .value_kind:     hidden_remainder_y
      - .offset:         478
        .size:           2
        .value_kind:     hidden_remainder_z
      - .offset:         496
        .size:           8
        .value_kind:     hidden_global_offset_x
      - .offset:         504
        .size:           8
        .value_kind:     hidden_global_offset_y
      - .offset:         512
        .size:           8
        .value_kind:     hidden_global_offset_z
      - .offset:         520
        .size:           2
        .value_kind:     hidden_grid_dims
    .group_segment_fixed_size: 5632
    .kernarg_segment_align: 8
    .kernarg_segment_size: 712
    .language:       OpenCL C
    .language_version:
      - 2
      - 0
    .max_flat_workgroup_size: 256
    .name:           _ZN2at6native20bitonicSortKVInPlaceILin1ELin1ELi16ELi16EN3c104HalfElNS0_4LTOpIS3_Lb1EEEjEEvNS_4cuda6detail10TensorInfoIT3_T6_EESA_SA_SA_NS8_IT4_SA_EESA_T5_
    .private_segment_fixed_size: 0
    .sgpr_count:     22
    .sgpr_spill_count: 0
    .symbol:         _ZN2at6native20bitonicSortKVInPlaceILin1ELin1ELi16ELi16EN3c104HalfElNS0_4LTOpIS3_Lb1EEEjEEvNS_4cuda6detail10TensorInfoIT3_T6_EESA_SA_SA_NS8_IT4_SA_EESA_T5_.kd
    .uniform_work_group_size: 1
    .uses_dynamic_stack: false
    .vgpr_count:     33
    .vgpr_spill_count: 0
    .wavefront_size: 64
  - .agpr_count:     0
    .args:
      - .offset:         0
        .size:           216
        .value_kind:     by_value
      - .offset:         216
        .size:           4
        .value_kind:     by_value
      - .offset:         220
        .size:           4
        .value_kind:     by_value
      - .offset:         224
        .size:           4
        .value_kind:     by_value
      - .offset:         232
        .size:           216
        .value_kind:     by_value
      - .offset:         448
        .size:           4
        .value_kind:     by_value
      - .offset:         452
        .size:           1
        .value_kind:     by_value
      - .offset:         456
        .size:           4
        .value_kind:     hidden_block_count_x
      - .offset:         460
        .size:           4
        .value_kind:     hidden_block_count_y
      - .offset:         464
        .size:           4
        .value_kind:     hidden_block_count_z
      - .offset:         468
        .size:           2
        .value_kind:     hidden_group_size_x
      - .offset:         470
        .size:           2
        .value_kind:     hidden_group_size_y
      - .offset:         472
        .size:           2
        .value_kind:     hidden_group_size_z
      - .offset:         474
        .size:           2
        .value_kind:     hidden_remainder_x
      - .offset:         476
        .size:           2
        .value_kind:     hidden_remainder_y
      - .offset:         478
        .size:           2
        .value_kind:     hidden_remainder_z
      - .offset:         496
        .size:           8
        .value_kind:     hidden_global_offset_x
      - .offset:         504
        .size:           8
        .value_kind:     hidden_global_offset_y
      - .offset:         512
        .size:           8
        .value_kind:     hidden_global_offset_z
      - .offset:         520
        .size:           2
        .value_kind:     hidden_grid_dims
    .group_segment_fixed_size: 5632
    .kernarg_segment_align: 8
    .kernarg_segment_size: 712
    .language:       OpenCL C
    .language_version:
      - 2
      - 0
    .max_flat_workgroup_size: 256
    .name:           _ZN2at6native20bitonicSortKVInPlaceILin1ELin1ELi16ELi16EN3c104HalfElNS0_4GTOpIS3_Lb1EEEjEEvNS_4cuda6detail10TensorInfoIT3_T6_EESA_SA_SA_NS8_IT4_SA_EESA_T5_
    .private_segment_fixed_size: 0
    .sgpr_count:     22
    .sgpr_spill_count: 0
    .symbol:         _ZN2at6native20bitonicSortKVInPlaceILin1ELin1ELi16ELi16EN3c104HalfElNS0_4GTOpIS3_Lb1EEEjEEvNS_4cuda6detail10TensorInfoIT3_T6_EESA_SA_SA_NS8_IT4_SA_EESA_T5_.kd
    .uniform_work_group_size: 1
    .uses_dynamic_stack: false
    .vgpr_count:     33
    .vgpr_spill_count: 0
    .wavefront_size: 64
  - .agpr_count:     0
    .args:
      - .offset:         0
        .size:           416
        .value_kind:     by_value
      - .offset:         416
        .size:           8
        .value_kind:     by_value
      - .offset:         424
        .size:           8
        .value_kind:     by_value
      - .offset:         432
        .size:           8
        .value_kind:     by_value
      - .offset:         440
        .size:           416
        .value_kind:     by_value
      - .offset:         856
        .size:           8
        .value_kind:     by_value
      - .offset:         864
        .size:           1
        .value_kind:     by_value
      - .offset:         872
        .size:           4
        .value_kind:     hidden_block_count_x
      - .offset:         876
        .size:           4
        .value_kind:     hidden_block_count_y
      - .offset:         880
        .size:           4
        .value_kind:     hidden_block_count_z
      - .offset:         884
        .size:           2
        .value_kind:     hidden_group_size_x
      - .offset:         886
        .size:           2
        .value_kind:     hidden_group_size_y
      - .offset:         888
        .size:           2
        .value_kind:     hidden_group_size_z
      - .offset:         890
        .size:           2
        .value_kind:     hidden_remainder_x
      - .offset:         892
        .size:           2
        .value_kind:     hidden_remainder_y
      - .offset:         894
        .size:           2
        .value_kind:     hidden_remainder_z
      - .offset:         912
        .size:           8
        .value_kind:     hidden_global_offset_x
      - .offset:         920
        .size:           8
        .value_kind:     hidden_global_offset_y
      - .offset:         928
        .size:           8
        .value_kind:     hidden_global_offset_z
      - .offset:         936
        .size:           2
        .value_kind:     hidden_grid_dims
    .group_segment_fixed_size: 5632
    .kernarg_segment_align: 8
    .kernarg_segment_size: 1128
    .language:       OpenCL C
    .language_version:
      - 2
      - 0
    .max_flat_workgroup_size: 256
    .name:           _ZN2at6native20bitonicSortKVInPlaceILin1ELin1ELi16ELi16EN3c104HalfElNS0_4LTOpIS3_Lb1EEEmEEvNS_4cuda6detail10TensorInfoIT3_T6_EESA_SA_SA_NS8_IT4_SA_EESA_T5_
    .private_segment_fixed_size: 0
    .sgpr_count:     25
    .sgpr_spill_count: 0
    .symbol:         _ZN2at6native20bitonicSortKVInPlaceILin1ELin1ELi16ELi16EN3c104HalfElNS0_4LTOpIS3_Lb1EEEmEEvNS_4cuda6detail10TensorInfoIT3_T6_EESA_SA_SA_NS8_IT4_SA_EESA_T5_.kd
    .uniform_work_group_size: 1
    .uses_dynamic_stack: false
    .vgpr_count:     35
    .vgpr_spill_count: 0
    .wavefront_size: 64
  - .agpr_count:     0
    .args:
      - .offset:         0
        .size:           416
        .value_kind:     by_value
      - .offset:         416
        .size:           8
        .value_kind:     by_value
      - .offset:         424
        .size:           8
        .value_kind:     by_value
      - .offset:         432
        .size:           8
        .value_kind:     by_value
      - .offset:         440
        .size:           416
        .value_kind:     by_value
      - .offset:         856
        .size:           8
        .value_kind:     by_value
      - .offset:         864
        .size:           1
        .value_kind:     by_value
      - .offset:         872
        .size:           4
        .value_kind:     hidden_block_count_x
      - .offset:         876
        .size:           4
        .value_kind:     hidden_block_count_y
      - .offset:         880
        .size:           4
        .value_kind:     hidden_block_count_z
      - .offset:         884
        .size:           2
        .value_kind:     hidden_group_size_x
      - .offset:         886
        .size:           2
        .value_kind:     hidden_group_size_y
      - .offset:         888
        .size:           2
        .value_kind:     hidden_group_size_z
      - .offset:         890
        .size:           2
        .value_kind:     hidden_remainder_x
      - .offset:         892
        .size:           2
        .value_kind:     hidden_remainder_y
      - .offset:         894
        .size:           2
        .value_kind:     hidden_remainder_z
      - .offset:         912
        .size:           8
        .value_kind:     hidden_global_offset_x
      - .offset:         920
        .size:           8
        .value_kind:     hidden_global_offset_y
      - .offset:         928
        .size:           8
        .value_kind:     hidden_global_offset_z
      - .offset:         936
        .size:           2
        .value_kind:     hidden_grid_dims
    .group_segment_fixed_size: 5632
    .kernarg_segment_align: 8
    .kernarg_segment_size: 1128
    .language:       OpenCL C
    .language_version:
      - 2
      - 0
    .max_flat_workgroup_size: 256
    .name:           _ZN2at6native20bitonicSortKVInPlaceILin1ELin1ELi16ELi16EN3c104HalfElNS0_4GTOpIS3_Lb1EEEmEEvNS_4cuda6detail10TensorInfoIT3_T6_EESA_SA_SA_NS8_IT4_SA_EESA_T5_
    .private_segment_fixed_size: 0
    .sgpr_count:     25
    .sgpr_spill_count: 0
    .symbol:         _ZN2at6native20bitonicSortKVInPlaceILin1ELin1ELi16ELi16EN3c104HalfElNS0_4GTOpIS3_Lb1EEEmEEvNS_4cuda6detail10TensorInfoIT3_T6_EESA_SA_SA_NS8_IT4_SA_EESA_T5_.kd
    .uniform_work_group_size: 1
    .uses_dynamic_stack: false
    .vgpr_count:     35
    .vgpr_spill_count: 0
    .wavefront_size: 64
  - .agpr_count:     0
    .args:
      - .offset:         0
        .size:           216
        .value_kind:     by_value
      - .offset:         216
        .size:           4
        .value_kind:     by_value
      - .offset:         220
        .size:           4
        .value_kind:     by_value
      - .offset:         224
        .size:           4
        .value_kind:     by_value
      - .offset:         232
        .size:           216
        .value_kind:     by_value
      - .offset:         448
        .size:           4
        .value_kind:     by_value
      - .offset:         452
        .size:           1
        .value_kind:     by_value
      - .offset:         456
        .size:           4
        .value_kind:     hidden_block_count_x
      - .offset:         460
        .size:           4
        .value_kind:     hidden_block_count_y
      - .offset:         464
        .size:           4
        .value_kind:     hidden_block_count_z
      - .offset:         468
        .size:           2
        .value_kind:     hidden_group_size_x
      - .offset:         470
        .size:           2
        .value_kind:     hidden_group_size_y
      - .offset:         472
        .size:           2
        .value_kind:     hidden_group_size_z
      - .offset:         474
        .size:           2
        .value_kind:     hidden_remainder_x
      - .offset:         476
        .size:           2
        .value_kind:     hidden_remainder_y
      - .offset:         478
        .size:           2
        .value_kind:     hidden_remainder_z
      - .offset:         496
        .size:           8
        .value_kind:     hidden_global_offset_x
      - .offset:         504
        .size:           8
        .value_kind:     hidden_global_offset_y
      - .offset:         512
        .size:           8
        .value_kind:     hidden_global_offset_z
      - .offset:         520
        .size:           2
        .value_kind:     hidden_grid_dims
    .group_segment_fixed_size: 5632
    .kernarg_segment_align: 8
    .kernarg_segment_size: 712
    .language:       OpenCL C
    .language_version:
      - 2
      - 0
    .max_flat_workgroup_size: 256
    .name:           _ZN2at6native20bitonicSortKVInPlaceILin2ELin1ELi16ELi16EN3c108BFloat16ElNS0_4LTOpIS3_Lb1EEEjEEvNS_4cuda6detail10TensorInfoIT3_T6_EESA_SA_SA_NS8_IT4_SA_EESA_T5_
    .private_segment_fixed_size: 0
    .sgpr_count:     22
    .sgpr_spill_count: 0
    .symbol:         _ZN2at6native20bitonicSortKVInPlaceILin2ELin1ELi16ELi16EN3c108BFloat16ElNS0_4LTOpIS3_Lb1EEEjEEvNS_4cuda6detail10TensorInfoIT3_T6_EESA_SA_SA_NS8_IT4_SA_EESA_T5_.kd
    .uniform_work_group_size: 1
    .uses_dynamic_stack: false
    .vgpr_count:     33
    .vgpr_spill_count: 0
    .wavefront_size: 64
  - .agpr_count:     0
    .args:
      - .offset:         0
        .size:           216
        .value_kind:     by_value
      - .offset:         216
        .size:           4
        .value_kind:     by_value
      - .offset:         220
        .size:           4
        .value_kind:     by_value
      - .offset:         224
        .size:           4
        .value_kind:     by_value
      - .offset:         232
        .size:           216
        .value_kind:     by_value
      - .offset:         448
        .size:           4
        .value_kind:     by_value
      - .offset:         452
        .size:           1
        .value_kind:     by_value
      - .offset:         456
        .size:           4
        .value_kind:     hidden_block_count_x
      - .offset:         460
        .size:           4
        .value_kind:     hidden_block_count_y
      - .offset:         464
        .size:           4
        .value_kind:     hidden_block_count_z
      - .offset:         468
        .size:           2
        .value_kind:     hidden_group_size_x
      - .offset:         470
        .size:           2
        .value_kind:     hidden_group_size_y
      - .offset:         472
        .size:           2
        .value_kind:     hidden_group_size_z
      - .offset:         474
        .size:           2
        .value_kind:     hidden_remainder_x
      - .offset:         476
        .size:           2
        .value_kind:     hidden_remainder_y
      - .offset:         478
        .size:           2
        .value_kind:     hidden_remainder_z
      - .offset:         496
        .size:           8
        .value_kind:     hidden_global_offset_x
      - .offset:         504
        .size:           8
        .value_kind:     hidden_global_offset_y
      - .offset:         512
        .size:           8
        .value_kind:     hidden_global_offset_z
      - .offset:         520
        .size:           2
        .value_kind:     hidden_grid_dims
    .group_segment_fixed_size: 5632
    .kernarg_segment_align: 8
    .kernarg_segment_size: 712
    .language:       OpenCL C
    .language_version:
      - 2
      - 0
    .max_flat_workgroup_size: 256
    .name:           _ZN2at6native20bitonicSortKVInPlaceILin2ELin1ELi16ELi16EN3c108BFloat16ElNS0_4GTOpIS3_Lb1EEEjEEvNS_4cuda6detail10TensorInfoIT3_T6_EESA_SA_SA_NS8_IT4_SA_EESA_T5_
    .private_segment_fixed_size: 0
    .sgpr_count:     22
    .sgpr_spill_count: 0
    .symbol:         _ZN2at6native20bitonicSortKVInPlaceILin2ELin1ELi16ELi16EN3c108BFloat16ElNS0_4GTOpIS3_Lb1EEEjEEvNS_4cuda6detail10TensorInfoIT3_T6_EESA_SA_SA_NS8_IT4_SA_EESA_T5_.kd
    .uniform_work_group_size: 1
    .uses_dynamic_stack: false
    .vgpr_count:     33
    .vgpr_spill_count: 0
    .wavefront_size: 64
  - .agpr_count:     0
    .args:
      - .offset:         0
        .size:           216
        .value_kind:     by_value
      - .offset:         216
        .size:           4
        .value_kind:     by_value
      - .offset:         220
        .size:           4
        .value_kind:     by_value
      - .offset:         224
        .size:           4
        .value_kind:     by_value
      - .offset:         232
        .size:           216
        .value_kind:     by_value
      - .offset:         448
        .size:           4
        .value_kind:     by_value
      - .offset:         452
        .size:           1
        .value_kind:     by_value
      - .offset:         456
        .size:           4
        .value_kind:     hidden_block_count_x
      - .offset:         460
        .size:           4
        .value_kind:     hidden_block_count_y
      - .offset:         464
        .size:           4
        .value_kind:     hidden_block_count_z
      - .offset:         468
        .size:           2
        .value_kind:     hidden_group_size_x
      - .offset:         470
        .size:           2
        .value_kind:     hidden_group_size_y
      - .offset:         472
        .size:           2
        .value_kind:     hidden_group_size_z
      - .offset:         474
        .size:           2
        .value_kind:     hidden_remainder_x
      - .offset:         476
        .size:           2
        .value_kind:     hidden_remainder_y
      - .offset:         478
        .size:           2
        .value_kind:     hidden_remainder_z
      - .offset:         496
        .size:           8
        .value_kind:     hidden_global_offset_x
      - .offset:         504
        .size:           8
        .value_kind:     hidden_global_offset_y
      - .offset:         512
        .size:           8
        .value_kind:     hidden_global_offset_z
      - .offset:         520
        .size:           2
        .value_kind:     hidden_grid_dims
    .group_segment_fixed_size: 5632
    .kernarg_segment_align: 8
    .kernarg_segment_size: 712
    .language:       OpenCL C
    .language_version:
      - 2
      - 0
    .max_flat_workgroup_size: 256
    .name:           _ZN2at6native20bitonicSortKVInPlaceILi2ELin1ELi16ELi16EN3c108BFloat16ElNS0_4LTOpIS3_Lb1EEEjEEvNS_4cuda6detail10TensorInfoIT3_T6_EESA_SA_SA_NS8_IT4_SA_EESA_T5_
    .private_segment_fixed_size: 0
    .sgpr_count:     24
    .sgpr_spill_count: 0
    .symbol:         _ZN2at6native20bitonicSortKVInPlaceILi2ELin1ELi16ELi16EN3c108BFloat16ElNS0_4LTOpIS3_Lb1EEEjEEvNS_4cuda6detail10TensorInfoIT3_T6_EESA_SA_SA_NS8_IT4_SA_EESA_T5_.kd
    .uniform_work_group_size: 1
    .uses_dynamic_stack: false
    .vgpr_count:     33
    .vgpr_spill_count: 0
    .wavefront_size: 64
  - .agpr_count:     0
    .args:
      - .offset:         0
        .size:           216
        .value_kind:     by_value
      - .offset:         216
        .size:           4
        .value_kind:     by_value
      - .offset:         220
        .size:           4
        .value_kind:     by_value
      - .offset:         224
        .size:           4
        .value_kind:     by_value
      - .offset:         232
        .size:           216
        .value_kind:     by_value
      - .offset:         448
        .size:           4
        .value_kind:     by_value
      - .offset:         452
        .size:           1
        .value_kind:     by_value
      - .offset:         456
        .size:           4
        .value_kind:     hidden_block_count_x
      - .offset:         460
        .size:           4
        .value_kind:     hidden_block_count_y
      - .offset:         464
        .size:           4
        .value_kind:     hidden_block_count_z
      - .offset:         468
        .size:           2
        .value_kind:     hidden_group_size_x
      - .offset:         470
        .size:           2
        .value_kind:     hidden_group_size_y
      - .offset:         472
        .size:           2
        .value_kind:     hidden_group_size_z
      - .offset:         474
        .size:           2
        .value_kind:     hidden_remainder_x
      - .offset:         476
        .size:           2
        .value_kind:     hidden_remainder_y
      - .offset:         478
        .size:           2
        .value_kind:     hidden_remainder_z
      - .offset:         496
        .size:           8
        .value_kind:     hidden_global_offset_x
      - .offset:         504
        .size:           8
        .value_kind:     hidden_global_offset_y
      - .offset:         512
        .size:           8
        .value_kind:     hidden_global_offset_z
      - .offset:         520
        .size:           2
        .value_kind:     hidden_grid_dims
    .group_segment_fixed_size: 5632
    .kernarg_segment_align: 8
    .kernarg_segment_size: 712
    .language:       OpenCL C
    .language_version:
      - 2
      - 0
    .max_flat_workgroup_size: 256
    .name:           _ZN2at6native20bitonicSortKVInPlaceILi2ELin1ELi16ELi16EN3c108BFloat16ElNS0_4GTOpIS3_Lb1EEEjEEvNS_4cuda6detail10TensorInfoIT3_T6_EESA_SA_SA_NS8_IT4_SA_EESA_T5_
    .private_segment_fixed_size: 0
    .sgpr_count:     24
    .sgpr_spill_count: 0
    .symbol:         _ZN2at6native20bitonicSortKVInPlaceILi2ELin1ELi16ELi16EN3c108BFloat16ElNS0_4GTOpIS3_Lb1EEEjEEvNS_4cuda6detail10TensorInfoIT3_T6_EESA_SA_SA_NS8_IT4_SA_EESA_T5_.kd
    .uniform_work_group_size: 1
    .uses_dynamic_stack: false
    .vgpr_count:     33
    .vgpr_spill_count: 0
    .wavefront_size: 64
  - .agpr_count:     0
    .args:
      - .offset:         0
        .size:           216
        .value_kind:     by_value
      - .offset:         216
        .size:           4
        .value_kind:     by_value
      - .offset:         220
        .size:           4
        .value_kind:     by_value
      - .offset:         224
        .size:           4
        .value_kind:     by_value
      - .offset:         232
        .size:           216
        .value_kind:     by_value
      - .offset:         448
        .size:           4
        .value_kind:     by_value
      - .offset:         452
        .size:           1
        .value_kind:     by_value
      - .offset:         456
        .size:           4
        .value_kind:     hidden_block_count_x
      - .offset:         460
        .size:           4
        .value_kind:     hidden_block_count_y
      - .offset:         464
        .size:           4
        .value_kind:     hidden_block_count_z
      - .offset:         468
        .size:           2
        .value_kind:     hidden_group_size_x
      - .offset:         470
        .size:           2
        .value_kind:     hidden_group_size_y
      - .offset:         472
        .size:           2
        .value_kind:     hidden_group_size_z
      - .offset:         474
        .size:           2
        .value_kind:     hidden_remainder_x
      - .offset:         476
        .size:           2
        .value_kind:     hidden_remainder_y
      - .offset:         478
        .size:           2
        .value_kind:     hidden_remainder_z
      - .offset:         496
        .size:           8
        .value_kind:     hidden_global_offset_x
      - .offset:         504
        .size:           8
        .value_kind:     hidden_global_offset_y
      - .offset:         512
        .size:           8
        .value_kind:     hidden_global_offset_z
      - .offset:         520
        .size:           2
        .value_kind:     hidden_grid_dims
    .group_segment_fixed_size: 5632
    .kernarg_segment_align: 8
    .kernarg_segment_size: 712
    .language:       OpenCL C
    .language_version:
      - 2
      - 0
    .max_flat_workgroup_size: 256
    .name:           _ZN2at6native20bitonicSortKVInPlaceILin1ELin1ELi16ELi16EN3c108BFloat16ElNS0_4LTOpIS3_Lb1EEEjEEvNS_4cuda6detail10TensorInfoIT3_T6_EESA_SA_SA_NS8_IT4_SA_EESA_T5_
    .private_segment_fixed_size: 0
    .sgpr_count:     22
    .sgpr_spill_count: 0
    .symbol:         _ZN2at6native20bitonicSortKVInPlaceILin1ELin1ELi16ELi16EN3c108BFloat16ElNS0_4LTOpIS3_Lb1EEEjEEvNS_4cuda6detail10TensorInfoIT3_T6_EESA_SA_SA_NS8_IT4_SA_EESA_T5_.kd
    .uniform_work_group_size: 1
    .uses_dynamic_stack: false
    .vgpr_count:     33
    .vgpr_spill_count: 0
    .wavefront_size: 64
  - .agpr_count:     0
    .args:
      - .offset:         0
        .size:           216
        .value_kind:     by_value
      - .offset:         216
        .size:           4
        .value_kind:     by_value
      - .offset:         220
        .size:           4
        .value_kind:     by_value
      - .offset:         224
        .size:           4
        .value_kind:     by_value
      - .offset:         232
        .size:           216
        .value_kind:     by_value
      - .offset:         448
        .size:           4
        .value_kind:     by_value
      - .offset:         452
        .size:           1
        .value_kind:     by_value
      - .offset:         456
        .size:           4
        .value_kind:     hidden_block_count_x
      - .offset:         460
        .size:           4
        .value_kind:     hidden_block_count_y
      - .offset:         464
        .size:           4
        .value_kind:     hidden_block_count_z
      - .offset:         468
        .size:           2
        .value_kind:     hidden_group_size_x
      - .offset:         470
        .size:           2
        .value_kind:     hidden_group_size_y
      - .offset:         472
        .size:           2
        .value_kind:     hidden_group_size_z
      - .offset:         474
        .size:           2
        .value_kind:     hidden_remainder_x
      - .offset:         476
        .size:           2
        .value_kind:     hidden_remainder_y
      - .offset:         478
        .size:           2
        .value_kind:     hidden_remainder_z
      - .offset:         496
        .size:           8
        .value_kind:     hidden_global_offset_x
      - .offset:         504
        .size:           8
        .value_kind:     hidden_global_offset_y
      - .offset:         512
        .size:           8
        .value_kind:     hidden_global_offset_z
      - .offset:         520
        .size:           2
        .value_kind:     hidden_grid_dims
    .group_segment_fixed_size: 5632
    .kernarg_segment_align: 8
    .kernarg_segment_size: 712
    .language:       OpenCL C
    .language_version:
      - 2
      - 0
    .max_flat_workgroup_size: 256
    .name:           _ZN2at6native20bitonicSortKVInPlaceILin1ELin1ELi16ELi16EN3c108BFloat16ElNS0_4GTOpIS3_Lb1EEEjEEvNS_4cuda6detail10TensorInfoIT3_T6_EESA_SA_SA_NS8_IT4_SA_EESA_T5_
    .private_segment_fixed_size: 0
    .sgpr_count:     22
    .sgpr_spill_count: 0
    .symbol:         _ZN2at6native20bitonicSortKVInPlaceILin1ELin1ELi16ELi16EN3c108BFloat16ElNS0_4GTOpIS3_Lb1EEEjEEvNS_4cuda6detail10TensorInfoIT3_T6_EESA_SA_SA_NS8_IT4_SA_EESA_T5_.kd
    .uniform_work_group_size: 1
    .uses_dynamic_stack: false
    .vgpr_count:     33
    .vgpr_spill_count: 0
    .wavefront_size: 64
  - .agpr_count:     0
    .args:
      - .offset:         0
        .size:           416
        .value_kind:     by_value
      - .offset:         416
        .size:           8
        .value_kind:     by_value
      - .offset:         424
        .size:           8
        .value_kind:     by_value
      - .offset:         432
        .size:           8
        .value_kind:     by_value
      - .offset:         440
        .size:           416
        .value_kind:     by_value
      - .offset:         856
        .size:           8
        .value_kind:     by_value
      - .offset:         864
        .size:           1
        .value_kind:     by_value
      - .offset:         872
        .size:           4
        .value_kind:     hidden_block_count_x
      - .offset:         876
        .size:           4
        .value_kind:     hidden_block_count_y
      - .offset:         880
        .size:           4
        .value_kind:     hidden_block_count_z
      - .offset:         884
        .size:           2
        .value_kind:     hidden_group_size_x
      - .offset:         886
        .size:           2
        .value_kind:     hidden_group_size_y
      - .offset:         888
        .size:           2
        .value_kind:     hidden_group_size_z
      - .offset:         890
        .size:           2
        .value_kind:     hidden_remainder_x
      - .offset:         892
        .size:           2
        .value_kind:     hidden_remainder_y
      - .offset:         894
        .size:           2
        .value_kind:     hidden_remainder_z
      - .offset:         912
        .size:           8
        .value_kind:     hidden_global_offset_x
      - .offset:         920
        .size:           8
        .value_kind:     hidden_global_offset_y
      - .offset:         928
        .size:           8
        .value_kind:     hidden_global_offset_z
      - .offset:         936
        .size:           2
        .value_kind:     hidden_grid_dims
    .group_segment_fixed_size: 5632
    .kernarg_segment_align: 8
    .kernarg_segment_size: 1128
    .language:       OpenCL C
    .language_version:
      - 2
      - 0
    .max_flat_workgroup_size: 256
    .name:           _ZN2at6native20bitonicSortKVInPlaceILin1ELin1ELi16ELi16EN3c108BFloat16ElNS0_4LTOpIS3_Lb1EEEmEEvNS_4cuda6detail10TensorInfoIT3_T6_EESA_SA_SA_NS8_IT4_SA_EESA_T5_
    .private_segment_fixed_size: 0
    .sgpr_count:     25
    .sgpr_spill_count: 0
    .symbol:         _ZN2at6native20bitonicSortKVInPlaceILin1ELin1ELi16ELi16EN3c108BFloat16ElNS0_4LTOpIS3_Lb1EEEmEEvNS_4cuda6detail10TensorInfoIT3_T6_EESA_SA_SA_NS8_IT4_SA_EESA_T5_.kd
    .uniform_work_group_size: 1
    .uses_dynamic_stack: false
    .vgpr_count:     35
    .vgpr_spill_count: 0
    .wavefront_size: 64
  - .agpr_count:     0
    .args:
      - .offset:         0
        .size:           416
        .value_kind:     by_value
      - .offset:         416
        .size:           8
        .value_kind:     by_value
      - .offset:         424
        .size:           8
        .value_kind:     by_value
      - .offset:         432
        .size:           8
        .value_kind:     by_value
      - .offset:         440
        .size:           416
        .value_kind:     by_value
      - .offset:         856
        .size:           8
        .value_kind:     by_value
      - .offset:         864
        .size:           1
        .value_kind:     by_value
      - .offset:         872
        .size:           4
        .value_kind:     hidden_block_count_x
      - .offset:         876
        .size:           4
        .value_kind:     hidden_block_count_y
      - .offset:         880
        .size:           4
        .value_kind:     hidden_block_count_z
      - .offset:         884
        .size:           2
        .value_kind:     hidden_group_size_x
      - .offset:         886
        .size:           2
        .value_kind:     hidden_group_size_y
      - .offset:         888
        .size:           2
        .value_kind:     hidden_group_size_z
      - .offset:         890
        .size:           2
        .value_kind:     hidden_remainder_x
      - .offset:         892
        .size:           2
        .value_kind:     hidden_remainder_y
      - .offset:         894
        .size:           2
        .value_kind:     hidden_remainder_z
      - .offset:         912
        .size:           8
        .value_kind:     hidden_global_offset_x
      - .offset:         920
        .size:           8
        .value_kind:     hidden_global_offset_y
      - .offset:         928
        .size:           8
        .value_kind:     hidden_global_offset_z
      - .offset:         936
        .size:           2
        .value_kind:     hidden_grid_dims
    .group_segment_fixed_size: 5632
    .kernarg_segment_align: 8
    .kernarg_segment_size: 1128
    .language:       OpenCL C
    .language_version:
      - 2
      - 0
    .max_flat_workgroup_size: 256
    .name:           _ZN2at6native20bitonicSortKVInPlaceILin1ELin1ELi16ELi16EN3c108BFloat16ElNS0_4GTOpIS3_Lb1EEEmEEvNS_4cuda6detail10TensorInfoIT3_T6_EESA_SA_SA_NS8_IT4_SA_EESA_T5_
    .private_segment_fixed_size: 0
    .sgpr_count:     25
    .sgpr_spill_count: 0
    .symbol:         _ZN2at6native20bitonicSortKVInPlaceILin1ELin1ELi16ELi16EN3c108BFloat16ElNS0_4GTOpIS3_Lb1EEEmEEvNS_4cuda6detail10TensorInfoIT3_T6_EESA_SA_SA_NS8_IT4_SA_EESA_T5_.kd
    .uniform_work_group_size: 1
    .uses_dynamic_stack: false
    .vgpr_count:     35
    .vgpr_spill_count: 0
    .wavefront_size: 64
  - .agpr_count:     0
    .args:
      - .offset:         0
        .size:           216
        .value_kind:     by_value
      - .offset:         216
        .size:           4
        .value_kind:     by_value
      - .offset:         220
        .size:           4
        .value_kind:     by_value
      - .offset:         224
        .size:           4
        .value_kind:     by_value
      - .offset:         232
        .size:           216
        .value_kind:     by_value
      - .offset:         448
        .size:           4
        .value_kind:     by_value
      - .offset:         452
        .size:           1
        .value_kind:     by_value
      - .offset:         456
        .size:           4
        .value_kind:     hidden_block_count_x
      - .offset:         460
        .size:           4
        .value_kind:     hidden_block_count_y
      - .offset:         464
        .size:           4
        .value_kind:     hidden_block_count_z
      - .offset:         468
        .size:           2
        .value_kind:     hidden_group_size_x
      - .offset:         470
        .size:           2
        .value_kind:     hidden_group_size_y
      - .offset:         472
        .size:           2
        .value_kind:     hidden_group_size_z
      - .offset:         474
        .size:           2
        .value_kind:     hidden_remainder_x
      - .offset:         476
        .size:           2
        .value_kind:     hidden_remainder_y
      - .offset:         478
        .size:           2
        .value_kind:     hidden_remainder_z
      - .offset:         496
        .size:           8
        .value_kind:     hidden_global_offset_x
      - .offset:         504
        .size:           8
        .value_kind:     hidden_global_offset_y
      - .offset:         512
        .size:           8
        .value_kind:     hidden_global_offset_z
      - .offset:         520
        .size:           2
        .value_kind:     hidden_grid_dims
    .group_segment_fixed_size: 5120
    .kernarg_segment_align: 8
    .kernarg_segment_size: 712
    .language:       OpenCL C
    .language_version:
      - 2
      - 0
    .max_flat_workgroup_size: 256
    .name:           _ZN2at6native20bitonicSortKVInPlaceILin2ELin1ELi16ELi16EblNS0_4LTOpIbLb1EEEjEEvNS_4cuda6detail10TensorInfoIT3_T6_EES8_S8_S8_NS6_IT4_S8_EES8_T5_
    .private_segment_fixed_size: 0
    .sgpr_count:     22
    .sgpr_spill_count: 0
    .symbol:         _ZN2at6native20bitonicSortKVInPlaceILin2ELin1ELi16ELi16EblNS0_4LTOpIbLb1EEEjEEvNS_4cuda6detail10TensorInfoIT3_T6_EES8_S8_S8_NS6_IT4_S8_EES8_T5_.kd
    .uniform_work_group_size: 1
    .uses_dynamic_stack: false
    .vgpr_count:     33
    .vgpr_spill_count: 0
    .wavefront_size: 64
  - .agpr_count:     0
    .args:
      - .offset:         0
        .size:           216
        .value_kind:     by_value
      - .offset:         216
        .size:           4
        .value_kind:     by_value
      - .offset:         220
        .size:           4
        .value_kind:     by_value
      - .offset:         224
        .size:           4
        .value_kind:     by_value
      - .offset:         232
        .size:           216
        .value_kind:     by_value
      - .offset:         448
        .size:           4
        .value_kind:     by_value
      - .offset:         452
        .size:           1
        .value_kind:     by_value
      - .offset:         456
        .size:           4
        .value_kind:     hidden_block_count_x
      - .offset:         460
        .size:           4
        .value_kind:     hidden_block_count_y
      - .offset:         464
        .size:           4
        .value_kind:     hidden_block_count_z
      - .offset:         468
        .size:           2
        .value_kind:     hidden_group_size_x
      - .offset:         470
        .size:           2
        .value_kind:     hidden_group_size_y
      - .offset:         472
        .size:           2
        .value_kind:     hidden_group_size_z
      - .offset:         474
        .size:           2
        .value_kind:     hidden_remainder_x
      - .offset:         476
        .size:           2
        .value_kind:     hidden_remainder_y
      - .offset:         478
        .size:           2
        .value_kind:     hidden_remainder_z
      - .offset:         496
        .size:           8
        .value_kind:     hidden_global_offset_x
      - .offset:         504
        .size:           8
        .value_kind:     hidden_global_offset_y
      - .offset:         512
        .size:           8
        .value_kind:     hidden_global_offset_z
      - .offset:         520
        .size:           2
        .value_kind:     hidden_grid_dims
    .group_segment_fixed_size: 5120
    .kernarg_segment_align: 8
    .kernarg_segment_size: 712
    .language:       OpenCL C
    .language_version:
      - 2
      - 0
    .max_flat_workgroup_size: 256
    .name:           _ZN2at6native20bitonicSortKVInPlaceILin2ELin1ELi16ELi16EblNS0_4GTOpIbLb1EEEjEEvNS_4cuda6detail10TensorInfoIT3_T6_EES8_S8_S8_NS6_IT4_S8_EES8_T5_
    .private_segment_fixed_size: 0
    .sgpr_count:     22
    .sgpr_spill_count: 0
    .symbol:         _ZN2at6native20bitonicSortKVInPlaceILin2ELin1ELi16ELi16EblNS0_4GTOpIbLb1EEEjEEvNS_4cuda6detail10TensorInfoIT3_T6_EES8_S8_S8_NS6_IT4_S8_EES8_T5_.kd
    .uniform_work_group_size: 1
    .uses_dynamic_stack: false
    .vgpr_count:     33
    .vgpr_spill_count: 0
    .wavefront_size: 64
  - .agpr_count:     0
    .args:
      - .offset:         0
        .size:           216
        .value_kind:     by_value
      - .offset:         216
        .size:           4
        .value_kind:     by_value
      - .offset:         220
        .size:           4
        .value_kind:     by_value
      - .offset:         224
        .size:           4
        .value_kind:     by_value
      - .offset:         232
        .size:           216
        .value_kind:     by_value
      - .offset:         448
        .size:           4
        .value_kind:     by_value
      - .offset:         452
        .size:           1
        .value_kind:     by_value
      - .offset:         456
        .size:           4
        .value_kind:     hidden_block_count_x
      - .offset:         460
        .size:           4
        .value_kind:     hidden_block_count_y
      - .offset:         464
        .size:           4
        .value_kind:     hidden_block_count_z
      - .offset:         468
        .size:           2
        .value_kind:     hidden_group_size_x
      - .offset:         470
        .size:           2
        .value_kind:     hidden_group_size_y
      - .offset:         472
        .size:           2
        .value_kind:     hidden_group_size_z
      - .offset:         474
        .size:           2
        .value_kind:     hidden_remainder_x
      - .offset:         476
        .size:           2
        .value_kind:     hidden_remainder_y
      - .offset:         478
        .size:           2
        .value_kind:     hidden_remainder_z
      - .offset:         496
        .size:           8
        .value_kind:     hidden_global_offset_x
      - .offset:         504
        .size:           8
        .value_kind:     hidden_global_offset_y
      - .offset:         512
        .size:           8
        .value_kind:     hidden_global_offset_z
      - .offset:         520
        .size:           2
        .value_kind:     hidden_grid_dims
    .group_segment_fixed_size: 5120
    .kernarg_segment_align: 8
    .kernarg_segment_size: 712
    .language:       OpenCL C
    .language_version:
      - 2
      - 0
    .max_flat_workgroup_size: 256
    .name:           _ZN2at6native20bitonicSortKVInPlaceILi2ELin1ELi16ELi16EblNS0_4LTOpIbLb1EEEjEEvNS_4cuda6detail10TensorInfoIT3_T6_EES8_S8_S8_NS6_IT4_S8_EES8_T5_
    .private_segment_fixed_size: 0
    .sgpr_count:     24
    .sgpr_spill_count: 0
    .symbol:         _ZN2at6native20bitonicSortKVInPlaceILi2ELin1ELi16ELi16EblNS0_4LTOpIbLb1EEEjEEvNS_4cuda6detail10TensorInfoIT3_T6_EES8_S8_S8_NS6_IT4_S8_EES8_T5_.kd
    .uniform_work_group_size: 1
    .uses_dynamic_stack: false
    .vgpr_count:     33
    .vgpr_spill_count: 0
    .wavefront_size: 64
  - .agpr_count:     0
    .args:
      - .offset:         0
        .size:           216
        .value_kind:     by_value
      - .offset:         216
        .size:           4
        .value_kind:     by_value
      - .offset:         220
        .size:           4
        .value_kind:     by_value
      - .offset:         224
        .size:           4
        .value_kind:     by_value
      - .offset:         232
        .size:           216
        .value_kind:     by_value
      - .offset:         448
        .size:           4
        .value_kind:     by_value
      - .offset:         452
        .size:           1
        .value_kind:     by_value
      - .offset:         456
        .size:           4
        .value_kind:     hidden_block_count_x
      - .offset:         460
        .size:           4
        .value_kind:     hidden_block_count_y
      - .offset:         464
        .size:           4
        .value_kind:     hidden_block_count_z
      - .offset:         468
        .size:           2
        .value_kind:     hidden_group_size_x
      - .offset:         470
        .size:           2
        .value_kind:     hidden_group_size_y
      - .offset:         472
        .size:           2
        .value_kind:     hidden_group_size_z
      - .offset:         474
        .size:           2
        .value_kind:     hidden_remainder_x
      - .offset:         476
        .size:           2
        .value_kind:     hidden_remainder_y
      - .offset:         478
        .size:           2
        .value_kind:     hidden_remainder_z
      - .offset:         496
        .size:           8
        .value_kind:     hidden_global_offset_x
      - .offset:         504
        .size:           8
        .value_kind:     hidden_global_offset_y
      - .offset:         512
        .size:           8
        .value_kind:     hidden_global_offset_z
      - .offset:         520
        .size:           2
        .value_kind:     hidden_grid_dims
    .group_segment_fixed_size: 5120
    .kernarg_segment_align: 8
    .kernarg_segment_size: 712
    .language:       OpenCL C
    .language_version:
      - 2
      - 0
    .max_flat_workgroup_size: 256
    .name:           _ZN2at6native20bitonicSortKVInPlaceILi2ELin1ELi16ELi16EblNS0_4GTOpIbLb1EEEjEEvNS_4cuda6detail10TensorInfoIT3_T6_EES8_S8_S8_NS6_IT4_S8_EES8_T5_
    .private_segment_fixed_size: 0
    .sgpr_count:     24
    .sgpr_spill_count: 0
    .symbol:         _ZN2at6native20bitonicSortKVInPlaceILi2ELin1ELi16ELi16EblNS0_4GTOpIbLb1EEEjEEvNS_4cuda6detail10TensorInfoIT3_T6_EES8_S8_S8_NS6_IT4_S8_EES8_T5_.kd
    .uniform_work_group_size: 1
    .uses_dynamic_stack: false
    .vgpr_count:     33
    .vgpr_spill_count: 0
    .wavefront_size: 64
  - .agpr_count:     0
    .args:
      - .offset:         0
        .size:           216
        .value_kind:     by_value
      - .offset:         216
        .size:           4
        .value_kind:     by_value
      - .offset:         220
        .size:           4
        .value_kind:     by_value
      - .offset:         224
        .size:           4
        .value_kind:     by_value
      - .offset:         232
        .size:           216
        .value_kind:     by_value
      - .offset:         448
        .size:           4
        .value_kind:     by_value
      - .offset:         452
        .size:           1
        .value_kind:     by_value
      - .offset:         456
        .size:           4
        .value_kind:     hidden_block_count_x
      - .offset:         460
        .size:           4
        .value_kind:     hidden_block_count_y
      - .offset:         464
        .size:           4
        .value_kind:     hidden_block_count_z
      - .offset:         468
        .size:           2
        .value_kind:     hidden_group_size_x
      - .offset:         470
        .size:           2
        .value_kind:     hidden_group_size_y
      - .offset:         472
        .size:           2
        .value_kind:     hidden_group_size_z
      - .offset:         474
        .size:           2
        .value_kind:     hidden_remainder_x
      - .offset:         476
        .size:           2
        .value_kind:     hidden_remainder_y
      - .offset:         478
        .size:           2
        .value_kind:     hidden_remainder_z
      - .offset:         496
        .size:           8
        .value_kind:     hidden_global_offset_x
      - .offset:         504
        .size:           8
        .value_kind:     hidden_global_offset_y
      - .offset:         512
        .size:           8
        .value_kind:     hidden_global_offset_z
      - .offset:         520
        .size:           2
        .value_kind:     hidden_grid_dims
    .group_segment_fixed_size: 5120
    .kernarg_segment_align: 8
    .kernarg_segment_size: 712
    .language:       OpenCL C
    .language_version:
      - 2
      - 0
    .max_flat_workgroup_size: 256
    .name:           _ZN2at6native20bitonicSortKVInPlaceILin1ELin1ELi16ELi16EblNS0_4LTOpIbLb1EEEjEEvNS_4cuda6detail10TensorInfoIT3_T6_EES8_S8_S8_NS6_IT4_S8_EES8_T5_
    .private_segment_fixed_size: 0
    .sgpr_count:     21
    .sgpr_spill_count: 0
    .symbol:         _ZN2at6native20bitonicSortKVInPlaceILin1ELin1ELi16ELi16EblNS0_4LTOpIbLb1EEEjEEvNS_4cuda6detail10TensorInfoIT3_T6_EES8_S8_S8_NS6_IT4_S8_EES8_T5_.kd
    .uniform_work_group_size: 1
    .uses_dynamic_stack: false
    .vgpr_count:     33
    .vgpr_spill_count: 0
    .wavefront_size: 64
  - .agpr_count:     0
    .args:
      - .offset:         0
        .size:           216
        .value_kind:     by_value
      - .offset:         216
        .size:           4
        .value_kind:     by_value
      - .offset:         220
        .size:           4
        .value_kind:     by_value
      - .offset:         224
        .size:           4
        .value_kind:     by_value
      - .offset:         232
        .size:           216
        .value_kind:     by_value
      - .offset:         448
        .size:           4
        .value_kind:     by_value
      - .offset:         452
        .size:           1
        .value_kind:     by_value
      - .offset:         456
        .size:           4
        .value_kind:     hidden_block_count_x
      - .offset:         460
        .size:           4
        .value_kind:     hidden_block_count_y
      - .offset:         464
        .size:           4
        .value_kind:     hidden_block_count_z
      - .offset:         468
        .size:           2
        .value_kind:     hidden_group_size_x
      - .offset:         470
        .size:           2
        .value_kind:     hidden_group_size_y
      - .offset:         472
        .size:           2
        .value_kind:     hidden_group_size_z
      - .offset:         474
        .size:           2
        .value_kind:     hidden_remainder_x
      - .offset:         476
        .size:           2
        .value_kind:     hidden_remainder_y
      - .offset:         478
        .size:           2
        .value_kind:     hidden_remainder_z
      - .offset:         496
        .size:           8
        .value_kind:     hidden_global_offset_x
      - .offset:         504
        .size:           8
        .value_kind:     hidden_global_offset_y
      - .offset:         512
        .size:           8
        .value_kind:     hidden_global_offset_z
      - .offset:         520
        .size:           2
        .value_kind:     hidden_grid_dims
    .group_segment_fixed_size: 5120
    .kernarg_segment_align: 8
    .kernarg_segment_size: 712
    .language:       OpenCL C
    .language_version:
      - 2
      - 0
    .max_flat_workgroup_size: 256
    .name:           _ZN2at6native20bitonicSortKVInPlaceILin1ELin1ELi16ELi16EblNS0_4GTOpIbLb1EEEjEEvNS_4cuda6detail10TensorInfoIT3_T6_EES8_S8_S8_NS6_IT4_S8_EES8_T5_
    .private_segment_fixed_size: 0
    .sgpr_count:     21
    .sgpr_spill_count: 0
    .symbol:         _ZN2at6native20bitonicSortKVInPlaceILin1ELin1ELi16ELi16EblNS0_4GTOpIbLb1EEEjEEvNS_4cuda6detail10TensorInfoIT3_T6_EES8_S8_S8_NS6_IT4_S8_EES8_T5_.kd
    .uniform_work_group_size: 1
    .uses_dynamic_stack: false
    .vgpr_count:     33
    .vgpr_spill_count: 0
    .wavefront_size: 64
  - .agpr_count:     0
    .args:
      - .offset:         0
        .size:           416
        .value_kind:     by_value
      - .offset:         416
        .size:           8
        .value_kind:     by_value
      - .offset:         424
        .size:           8
        .value_kind:     by_value
      - .offset:         432
        .size:           8
        .value_kind:     by_value
      - .offset:         440
        .size:           416
        .value_kind:     by_value
      - .offset:         856
        .size:           8
        .value_kind:     by_value
      - .offset:         864
        .size:           1
        .value_kind:     by_value
      - .offset:         872
        .size:           4
        .value_kind:     hidden_block_count_x
      - .offset:         876
        .size:           4
        .value_kind:     hidden_block_count_y
      - .offset:         880
        .size:           4
        .value_kind:     hidden_block_count_z
      - .offset:         884
        .size:           2
        .value_kind:     hidden_group_size_x
      - .offset:         886
        .size:           2
        .value_kind:     hidden_group_size_y
      - .offset:         888
        .size:           2
        .value_kind:     hidden_group_size_z
      - .offset:         890
        .size:           2
        .value_kind:     hidden_remainder_x
      - .offset:         892
        .size:           2
        .value_kind:     hidden_remainder_y
      - .offset:         894
        .size:           2
        .value_kind:     hidden_remainder_z
      - .offset:         912
        .size:           8
        .value_kind:     hidden_global_offset_x
      - .offset:         920
        .size:           8
        .value_kind:     hidden_global_offset_y
      - .offset:         928
        .size:           8
        .value_kind:     hidden_global_offset_z
      - .offset:         936
        .size:           2
        .value_kind:     hidden_grid_dims
    .group_segment_fixed_size: 5120
    .kernarg_segment_align: 8
    .kernarg_segment_size: 1128
    .language:       OpenCL C
    .language_version:
      - 2
      - 0
    .max_flat_workgroup_size: 256
    .name:           _ZN2at6native20bitonicSortKVInPlaceILin1ELin1ELi16ELi16EblNS0_4LTOpIbLb1EEEmEEvNS_4cuda6detail10TensorInfoIT3_T6_EES8_S8_S8_NS6_IT4_S8_EES8_T5_
    .private_segment_fixed_size: 0
    .sgpr_count:     25
    .sgpr_spill_count: 0
    .symbol:         _ZN2at6native20bitonicSortKVInPlaceILin1ELin1ELi16ELi16EblNS0_4LTOpIbLb1EEEmEEvNS_4cuda6detail10TensorInfoIT3_T6_EES8_S8_S8_NS6_IT4_S8_EES8_T5_.kd
    .uniform_work_group_size: 1
    .uses_dynamic_stack: false
    .vgpr_count:     35
    .vgpr_spill_count: 0
    .wavefront_size: 64
  - .agpr_count:     0
    .args:
      - .offset:         0
        .size:           416
        .value_kind:     by_value
      - .offset:         416
        .size:           8
        .value_kind:     by_value
      - .offset:         424
        .size:           8
        .value_kind:     by_value
      - .offset:         432
        .size:           8
        .value_kind:     by_value
      - .offset:         440
        .size:           416
        .value_kind:     by_value
      - .offset:         856
        .size:           8
        .value_kind:     by_value
      - .offset:         864
        .size:           1
        .value_kind:     by_value
      - .offset:         872
        .size:           4
        .value_kind:     hidden_block_count_x
      - .offset:         876
        .size:           4
        .value_kind:     hidden_block_count_y
      - .offset:         880
        .size:           4
        .value_kind:     hidden_block_count_z
      - .offset:         884
        .size:           2
        .value_kind:     hidden_group_size_x
      - .offset:         886
        .size:           2
        .value_kind:     hidden_group_size_y
      - .offset:         888
        .size:           2
        .value_kind:     hidden_group_size_z
      - .offset:         890
        .size:           2
        .value_kind:     hidden_remainder_x
      - .offset:         892
        .size:           2
        .value_kind:     hidden_remainder_y
      - .offset:         894
        .size:           2
        .value_kind:     hidden_remainder_z
      - .offset:         912
        .size:           8
        .value_kind:     hidden_global_offset_x
      - .offset:         920
        .size:           8
        .value_kind:     hidden_global_offset_y
      - .offset:         928
        .size:           8
        .value_kind:     hidden_global_offset_z
      - .offset:         936
        .size:           2
        .value_kind:     hidden_grid_dims
    .group_segment_fixed_size: 5120
    .kernarg_segment_align: 8
    .kernarg_segment_size: 1128
    .language:       OpenCL C
    .language_version:
      - 2
      - 0
    .max_flat_workgroup_size: 256
    .name:           _ZN2at6native20bitonicSortKVInPlaceILin1ELin1ELi16ELi16EblNS0_4GTOpIbLb1EEEmEEvNS_4cuda6detail10TensorInfoIT3_T6_EES8_S8_S8_NS6_IT4_S8_EES8_T5_
    .private_segment_fixed_size: 0
    .sgpr_count:     25
    .sgpr_spill_count: 0
    .symbol:         _ZN2at6native20bitonicSortKVInPlaceILin1ELin1ELi16ELi16EblNS0_4GTOpIbLb1EEEmEEvNS_4cuda6detail10TensorInfoIT3_T6_EES8_S8_S8_NS6_IT4_S8_EES8_T5_.kd
    .uniform_work_group_size: 1
    .uses_dynamic_stack: false
    .vgpr_count:     35
    .vgpr_spill_count: 0
    .wavefront_size: 64
  - .agpr_count:     0
    .args:
      - .offset:         0
        .size:           216
        .value_kind:     by_value
      - .offset:         216
        .size:           4
        .value_kind:     by_value
      - .offset:         220
        .size:           4
        .value_kind:     by_value
      - .offset:         224
        .size:           4
        .value_kind:     by_value
      - .offset:         232
        .size:           216
        .value_kind:     by_value
      - .offset:         448
        .size:           4
        .value_kind:     by_value
      - .offset:         452
        .size:           1
        .value_kind:     by_value
      - .offset:         456
        .size:           4
        .value_kind:     hidden_block_count_x
      - .offset:         460
        .size:           4
        .value_kind:     hidden_block_count_y
      - .offset:         464
        .size:           4
        .value_kind:     hidden_block_count_z
      - .offset:         468
        .size:           2
        .value_kind:     hidden_group_size_x
      - .offset:         470
        .size:           2
        .value_kind:     hidden_group_size_y
      - .offset:         472
        .size:           2
        .value_kind:     hidden_group_size_z
      - .offset:         474
        .size:           2
        .value_kind:     hidden_remainder_x
      - .offset:         476
        .size:           2
        .value_kind:     hidden_remainder_y
      - .offset:         478
        .size:           2
        .value_kind:     hidden_remainder_z
      - .offset:         496
        .size:           8
        .value_kind:     hidden_global_offset_x
      - .offset:         504
        .size:           8
        .value_kind:     hidden_global_offset_y
      - .offset:         512
        .size:           8
        .value_kind:     hidden_global_offset_z
      - .offset:         520
        .size:           2
        .value_kind:     hidden_grid_dims
    .group_segment_fixed_size: 33792
    .kernarg_segment_align: 8
    .kernarg_segment_size: 712
    .language:       OpenCL C
    .language_version:
      - 2
      - 0
    .max_flat_workgroup_size: 512
    .name:           _ZN2at6native18radixSortKVInPlaceILin2ELin1ELi512ELi8EhljEEvNS_4cuda6detail10TensorInfoIT3_T5_EES6_S6_S6_NS4_IT4_S6_EES6_b
    .private_segment_fixed_size: 0
    .sgpr_count:     50
    .sgpr_spill_count: 0
    .symbol:         _ZN2at6native18radixSortKVInPlaceILin2ELin1ELi512ELi8EhljEEvNS_4cuda6detail10TensorInfoIT3_T5_EES6_S6_S6_NS4_IT4_S6_EES6_b.kd
    .uniform_work_group_size: 1
    .uses_dynamic_stack: false
    .vgpr_count:     105
    .vgpr_spill_count: 0
    .wavefront_size: 64
  - .agpr_count:     0
    .args:
      - .offset:         0
        .size:           216
        .value_kind:     by_value
      - .offset:         216
        .size:           4
        .value_kind:     by_value
      - .offset:         220
        .size:           4
        .value_kind:     by_value
      - .offset:         224
        .size:           4
        .value_kind:     by_value
      - .offset:         232
        .size:           216
        .value_kind:     by_value
      - .offset:         448
        .size:           4
        .value_kind:     by_value
      - .offset:         452
        .size:           1
        .value_kind:     by_value
      - .offset:         456
        .size:           4
        .value_kind:     hidden_block_count_x
      - .offset:         460
        .size:           4
        .value_kind:     hidden_block_count_y
      - .offset:         464
        .size:           4
        .value_kind:     hidden_block_count_z
      - .offset:         468
        .size:           2
        .value_kind:     hidden_group_size_x
      - .offset:         470
        .size:           2
        .value_kind:     hidden_group_size_y
      - .offset:         472
        .size:           2
        .value_kind:     hidden_group_size_z
      - .offset:         474
        .size:           2
        .value_kind:     hidden_remainder_x
      - .offset:         476
        .size:           2
        .value_kind:     hidden_remainder_y
      - .offset:         478
        .size:           2
        .value_kind:     hidden_remainder_z
      - .offset:         496
        .size:           8
        .value_kind:     hidden_global_offset_x
      - .offset:         504
        .size:           8
        .value_kind:     hidden_global_offset_y
      - .offset:         512
        .size:           8
        .value_kind:     hidden_global_offset_z
      - .offset:         520
        .size:           2
        .value_kind:     hidden_grid_dims
    .group_segment_fixed_size: 16896
    .kernarg_segment_align: 8
    .kernarg_segment_size: 712
    .language:       OpenCL C
    .language_version:
      - 2
      - 0
    .max_flat_workgroup_size: 256
    .name:           _ZN2at6native18radixSortKVInPlaceILin2ELin1ELi256ELi8EhljEEvNS_4cuda6detail10TensorInfoIT3_T5_EES6_S6_S6_NS4_IT4_S6_EES6_b
    .private_segment_fixed_size: 0
    .sgpr_count:     50
    .sgpr_spill_count: 0
    .symbol:         _ZN2at6native18radixSortKVInPlaceILin2ELin1ELi256ELi8EhljEEvNS_4cuda6detail10TensorInfoIT3_T5_EES6_S6_S6_NS4_IT4_S6_EES6_b.kd
    .uniform_work_group_size: 1
    .uses_dynamic_stack: false
    .vgpr_count:     105
    .vgpr_spill_count: 0
    .wavefront_size: 64
  - .agpr_count:     0
    .args:
      - .offset:         0
        .size:           216
        .value_kind:     by_value
      - .offset:         216
        .size:           4
        .value_kind:     by_value
      - .offset:         220
        .size:           4
        .value_kind:     by_value
      - .offset:         224
        .size:           4
        .value_kind:     by_value
      - .offset:         232
        .size:           216
        .value_kind:     by_value
      - .offset:         448
        .size:           4
        .value_kind:     by_value
      - .offset:         452
        .size:           1
        .value_kind:     by_value
      - .offset:         456
        .size:           4
        .value_kind:     hidden_block_count_x
      - .offset:         460
        .size:           4
        .value_kind:     hidden_block_count_y
      - .offset:         464
        .size:           4
        .value_kind:     hidden_block_count_z
      - .offset:         468
        .size:           2
        .value_kind:     hidden_group_size_x
      - .offset:         470
        .size:           2
        .value_kind:     hidden_group_size_y
      - .offset:         472
        .size:           2
        .value_kind:     hidden_group_size_z
      - .offset:         474
        .size:           2
        .value_kind:     hidden_remainder_x
      - .offset:         476
        .size:           2
        .value_kind:     hidden_remainder_y
      - .offset:         478
        .size:           2
        .value_kind:     hidden_remainder_z
      - .offset:         496
        .size:           8
        .value_kind:     hidden_global_offset_x
      - .offset:         504
        .size:           8
        .value_kind:     hidden_global_offset_y
      - .offset:         512
        .size:           8
        .value_kind:     hidden_global_offset_z
      - .offset:         520
        .size:           2
        .value_kind:     hidden_grid_dims
    .group_segment_fixed_size: 8448
    .kernarg_segment_align: 8
    .kernarg_segment_size: 712
    .language:       OpenCL C
    .language_version:
      - 2
      - 0
    .max_flat_workgroup_size: 128
    .name:           _ZN2at6native18radixSortKVInPlaceILin2ELin1ELi128ELi8EhljEEvNS_4cuda6detail10TensorInfoIT3_T5_EES6_S6_S6_NS4_IT4_S6_EES6_b
    .private_segment_fixed_size: 0
    .sgpr_count:     50
    .sgpr_spill_count: 0
    .symbol:         _ZN2at6native18radixSortKVInPlaceILin2ELin1ELi128ELi8EhljEEvNS_4cuda6detail10TensorInfoIT3_T5_EES6_S6_S6_NS4_IT4_S6_EES6_b.kd
    .uniform_work_group_size: 1
    .uses_dynamic_stack: false
    .vgpr_count:     105
    .vgpr_spill_count: 0
    .wavefront_size: 64
  - .agpr_count:     0
    .args:
      - .offset:         0
        .size:           216
        .value_kind:     by_value
      - .offset:         216
        .size:           4
        .value_kind:     by_value
      - .offset:         220
        .size:           4
        .value_kind:     by_value
      - .offset:         224
        .size:           4
        .value_kind:     by_value
      - .offset:         232
        .size:           216
        .value_kind:     by_value
      - .offset:         448
        .size:           4
        .value_kind:     by_value
      - .offset:         452
        .size:           1
        .value_kind:     by_value
      - .offset:         456
        .size:           4
        .value_kind:     hidden_block_count_x
      - .offset:         460
        .size:           4
        .value_kind:     hidden_block_count_y
      - .offset:         464
        .size:           4
        .value_kind:     hidden_block_count_z
      - .offset:         468
        .size:           2
        .value_kind:     hidden_group_size_x
      - .offset:         470
        .size:           2
        .value_kind:     hidden_group_size_y
      - .offset:         472
        .size:           2
        .value_kind:     hidden_group_size_z
      - .offset:         474
        .size:           2
        .value_kind:     hidden_remainder_x
      - .offset:         476
        .size:           2
        .value_kind:     hidden_remainder_y
      - .offset:         478
        .size:           2
        .value_kind:     hidden_remainder_z
      - .offset:         496
        .size:           8
        .value_kind:     hidden_global_offset_x
      - .offset:         504
        .size:           8
        .value_kind:     hidden_global_offset_y
      - .offset:         512
        .size:           8
        .value_kind:     hidden_global_offset_z
      - .offset:         520
        .size:           2
        .value_kind:     hidden_grid_dims
    .group_segment_fixed_size: 1056
    .kernarg_segment_align: 8
    .kernarg_segment_size: 712
    .language:       OpenCL C
    .language_version:
      - 2
      - 0
    .max_flat_workgroup_size: 32
    .name:           _ZN2at6native18radixSortKVInPlaceILin2ELin1ELi32ELi4EhljEEvNS_4cuda6detail10TensorInfoIT3_T5_EES6_S6_S6_NS4_IT4_S6_EES6_b
    .private_segment_fixed_size: 0
    .sgpr_count:     48
    .sgpr_spill_count: 0
    .symbol:         _ZN2at6native18radixSortKVInPlaceILin2ELin1ELi32ELi4EhljEEvNS_4cuda6detail10TensorInfoIT3_T5_EES6_S6_S6_NS4_IT4_S6_EES6_b.kd
    .uniform_work_group_size: 1
    .uses_dynamic_stack: false
    .vgpr_count:     54
    .vgpr_spill_count: 0
    .wavefront_size: 64
  - .agpr_count:     0
    .args:
      - .offset:         0
        .size:           216
        .value_kind:     by_value
      - .offset:         216
        .size:           4
        .value_kind:     by_value
      - .offset:         220
        .size:           4
        .value_kind:     by_value
      - .offset:         224
        .size:           4
        .value_kind:     by_value
      - .offset:         232
        .size:           216
        .value_kind:     by_value
      - .offset:         448
        .size:           4
        .value_kind:     by_value
      - .offset:         452
        .size:           1
        .value_kind:     by_value
      - .offset:         456
        .size:           4
        .value_kind:     hidden_block_count_x
      - .offset:         460
        .size:           4
        .value_kind:     hidden_block_count_y
      - .offset:         464
        .size:           4
        .value_kind:     hidden_block_count_z
      - .offset:         468
        .size:           2
        .value_kind:     hidden_group_size_x
      - .offset:         470
        .size:           2
        .value_kind:     hidden_group_size_y
      - .offset:         472
        .size:           2
        .value_kind:     hidden_group_size_z
      - .offset:         474
        .size:           2
        .value_kind:     hidden_remainder_x
      - .offset:         476
        .size:           2
        .value_kind:     hidden_remainder_y
      - .offset:         478
        .size:           2
        .value_kind:     hidden_remainder_z
      - .offset:         496
        .size:           8
        .value_kind:     hidden_global_offset_x
      - .offset:         504
        .size:           8
        .value_kind:     hidden_global_offset_y
      - .offset:         512
        .size:           8
        .value_kind:     hidden_global_offset_z
      - .offset:         520
        .size:           2
        .value_kind:     hidden_grid_dims
    .group_segment_fixed_size: 528
    .kernarg_segment_align: 8
    .kernarg_segment_size: 712
    .language:       OpenCL C
    .language_version:
      - 2
      - 0
    .max_flat_workgroup_size: 16
    .name:           _ZN2at6native18radixSortKVInPlaceILin2ELin1ELi16ELi2EhljEEvNS_4cuda6detail10TensorInfoIT3_T5_EES6_S6_S6_NS4_IT4_S6_EES6_b
    .private_segment_fixed_size: 0
    .sgpr_count:     36
    .sgpr_spill_count: 0
    .symbol:         _ZN2at6native18radixSortKVInPlaceILin2ELin1ELi16ELi2EhljEEvNS_4cuda6detail10TensorInfoIT3_T5_EES6_S6_S6_NS4_IT4_S6_EES6_b.kd
    .uniform_work_group_size: 1
    .uses_dynamic_stack: false
    .vgpr_count:     34
    .vgpr_spill_count: 0
    .wavefront_size: 64
  - .agpr_count:     0
    .args:
      - .offset:         0
        .size:           216
        .value_kind:     by_value
      - .offset:         216
        .size:           4
        .value_kind:     by_value
      - .offset:         220
        .size:           4
        .value_kind:     by_value
      - .offset:         224
        .size:           4
        .value_kind:     by_value
      - .offset:         232
        .size:           216
        .value_kind:     by_value
      - .offset:         448
        .size:           4
        .value_kind:     by_value
      - .offset:         452
        .size:           1
        .value_kind:     by_value
      - .offset:         456
        .size:           4
        .value_kind:     hidden_block_count_x
      - .offset:         460
        .size:           4
        .value_kind:     hidden_block_count_y
      - .offset:         464
        .size:           4
        .value_kind:     hidden_block_count_z
      - .offset:         468
        .size:           2
        .value_kind:     hidden_group_size_x
      - .offset:         470
        .size:           2
        .value_kind:     hidden_group_size_y
      - .offset:         472
        .size:           2
        .value_kind:     hidden_group_size_z
      - .offset:         474
        .size:           2
        .value_kind:     hidden_remainder_x
      - .offset:         476
        .size:           2
        .value_kind:     hidden_remainder_y
      - .offset:         478
        .size:           2
        .value_kind:     hidden_remainder_z
      - .offset:         496
        .size:           8
        .value_kind:     hidden_global_offset_x
      - .offset:         504
        .size:           8
        .value_kind:     hidden_global_offset_y
      - .offset:         512
        .size:           8
        .value_kind:     hidden_global_offset_z
      - .offset:         520
        .size:           2
        .value_kind:     hidden_grid_dims
    .group_segment_fixed_size: 33792
    .kernarg_segment_align: 8
    .kernarg_segment_size: 712
    .language:       OpenCL C
    .language_version:
      - 2
      - 0
    .max_flat_workgroup_size: 512
    .name:           _ZN2at6native18radixSortKVInPlaceILi2ELin1ELi512ELi8EhljEEvNS_4cuda6detail10TensorInfoIT3_T5_EES6_S6_S6_NS4_IT4_S6_EES6_b
    .private_segment_fixed_size: 0
    .sgpr_count:     50
    .sgpr_spill_count: 0
    .symbol:         _ZN2at6native18radixSortKVInPlaceILi2ELin1ELi512ELi8EhljEEvNS_4cuda6detail10TensorInfoIT3_T5_EES6_S6_S6_NS4_IT4_S6_EES6_b.kd
    .uniform_work_group_size: 1
    .uses_dynamic_stack: false
    .vgpr_count:     105
    .vgpr_spill_count: 0
    .wavefront_size: 64
  - .agpr_count:     0
    .args:
      - .offset:         0
        .size:           216
        .value_kind:     by_value
      - .offset:         216
        .size:           4
        .value_kind:     by_value
      - .offset:         220
        .size:           4
        .value_kind:     by_value
      - .offset:         224
        .size:           4
        .value_kind:     by_value
      - .offset:         232
        .size:           216
        .value_kind:     by_value
      - .offset:         448
        .size:           4
        .value_kind:     by_value
      - .offset:         452
        .size:           1
        .value_kind:     by_value
      - .offset:         456
        .size:           4
        .value_kind:     hidden_block_count_x
      - .offset:         460
        .size:           4
        .value_kind:     hidden_block_count_y
      - .offset:         464
        .size:           4
        .value_kind:     hidden_block_count_z
      - .offset:         468
        .size:           2
        .value_kind:     hidden_group_size_x
      - .offset:         470
        .size:           2
        .value_kind:     hidden_group_size_y
      - .offset:         472
        .size:           2
        .value_kind:     hidden_group_size_z
      - .offset:         474
        .size:           2
        .value_kind:     hidden_remainder_x
      - .offset:         476
        .size:           2
        .value_kind:     hidden_remainder_y
      - .offset:         478
        .size:           2
        .value_kind:     hidden_remainder_z
      - .offset:         496
        .size:           8
        .value_kind:     hidden_global_offset_x
      - .offset:         504
        .size:           8
        .value_kind:     hidden_global_offset_y
      - .offset:         512
        .size:           8
        .value_kind:     hidden_global_offset_z
      - .offset:         520
        .size:           2
        .value_kind:     hidden_grid_dims
    .group_segment_fixed_size: 16896
    .kernarg_segment_align: 8
    .kernarg_segment_size: 712
    .language:       OpenCL C
    .language_version:
      - 2
      - 0
    .max_flat_workgroup_size: 256
    .name:           _ZN2at6native18radixSortKVInPlaceILi2ELin1ELi256ELi8EhljEEvNS_4cuda6detail10TensorInfoIT3_T5_EES6_S6_S6_NS4_IT4_S6_EES6_b
    .private_segment_fixed_size: 0
    .sgpr_count:     50
    .sgpr_spill_count: 0
    .symbol:         _ZN2at6native18radixSortKVInPlaceILi2ELin1ELi256ELi8EhljEEvNS_4cuda6detail10TensorInfoIT3_T5_EES6_S6_S6_NS4_IT4_S6_EES6_b.kd
    .uniform_work_group_size: 1
    .uses_dynamic_stack: false
    .vgpr_count:     105
    .vgpr_spill_count: 0
    .wavefront_size: 64
  - .agpr_count:     0
    .args:
      - .offset:         0
        .size:           216
        .value_kind:     by_value
      - .offset:         216
        .size:           4
        .value_kind:     by_value
      - .offset:         220
        .size:           4
        .value_kind:     by_value
      - .offset:         224
        .size:           4
        .value_kind:     by_value
      - .offset:         232
        .size:           216
        .value_kind:     by_value
      - .offset:         448
        .size:           4
        .value_kind:     by_value
      - .offset:         452
        .size:           1
        .value_kind:     by_value
      - .offset:         456
        .size:           4
        .value_kind:     hidden_block_count_x
      - .offset:         460
        .size:           4
        .value_kind:     hidden_block_count_y
      - .offset:         464
        .size:           4
        .value_kind:     hidden_block_count_z
      - .offset:         468
        .size:           2
        .value_kind:     hidden_group_size_x
      - .offset:         470
        .size:           2
        .value_kind:     hidden_group_size_y
      - .offset:         472
        .size:           2
        .value_kind:     hidden_group_size_z
      - .offset:         474
        .size:           2
        .value_kind:     hidden_remainder_x
      - .offset:         476
        .size:           2
        .value_kind:     hidden_remainder_y
      - .offset:         478
        .size:           2
        .value_kind:     hidden_remainder_z
      - .offset:         496
        .size:           8
        .value_kind:     hidden_global_offset_x
      - .offset:         504
        .size:           8
        .value_kind:     hidden_global_offset_y
      - .offset:         512
        .size:           8
        .value_kind:     hidden_global_offset_z
      - .offset:         520
        .size:           2
        .value_kind:     hidden_grid_dims
    .group_segment_fixed_size: 8448
    .kernarg_segment_align: 8
    .kernarg_segment_size: 712
    .language:       OpenCL C
    .language_version:
      - 2
      - 0
    .max_flat_workgroup_size: 128
    .name:           _ZN2at6native18radixSortKVInPlaceILi2ELin1ELi128ELi8EhljEEvNS_4cuda6detail10TensorInfoIT3_T5_EES6_S6_S6_NS4_IT4_S6_EES6_b
    .private_segment_fixed_size: 0
    .sgpr_count:     50
    .sgpr_spill_count: 0
    .symbol:         _ZN2at6native18radixSortKVInPlaceILi2ELin1ELi128ELi8EhljEEvNS_4cuda6detail10TensorInfoIT3_T5_EES6_S6_S6_NS4_IT4_S6_EES6_b.kd
    .uniform_work_group_size: 1
    .uses_dynamic_stack: false
    .vgpr_count:     105
    .vgpr_spill_count: 0
    .wavefront_size: 64
  - .agpr_count:     0
    .args:
      - .offset:         0
        .size:           216
        .value_kind:     by_value
      - .offset:         216
        .size:           4
        .value_kind:     by_value
      - .offset:         220
        .size:           4
        .value_kind:     by_value
      - .offset:         224
        .size:           4
        .value_kind:     by_value
      - .offset:         232
        .size:           216
        .value_kind:     by_value
      - .offset:         448
        .size:           4
        .value_kind:     by_value
      - .offset:         452
        .size:           1
        .value_kind:     by_value
      - .offset:         456
        .size:           4
        .value_kind:     hidden_block_count_x
      - .offset:         460
        .size:           4
        .value_kind:     hidden_block_count_y
      - .offset:         464
        .size:           4
        .value_kind:     hidden_block_count_z
      - .offset:         468
        .size:           2
        .value_kind:     hidden_group_size_x
      - .offset:         470
        .size:           2
        .value_kind:     hidden_group_size_y
      - .offset:         472
        .size:           2
        .value_kind:     hidden_group_size_z
      - .offset:         474
        .size:           2
        .value_kind:     hidden_remainder_x
      - .offset:         476
        .size:           2
        .value_kind:     hidden_remainder_y
      - .offset:         478
        .size:           2
        .value_kind:     hidden_remainder_z
      - .offset:         496
        .size:           8
        .value_kind:     hidden_global_offset_x
      - .offset:         504
        .size:           8
        .value_kind:     hidden_global_offset_y
      - .offset:         512
        .size:           8
        .value_kind:     hidden_global_offset_z
      - .offset:         520
        .size:           2
        .value_kind:     hidden_grid_dims
    .group_segment_fixed_size: 1056
    .kernarg_segment_align: 8
    .kernarg_segment_size: 712
    .language:       OpenCL C
    .language_version:
      - 2
      - 0
    .max_flat_workgroup_size: 32
    .name:           _ZN2at6native18radixSortKVInPlaceILi2ELin1ELi32ELi4EhljEEvNS_4cuda6detail10TensorInfoIT3_T5_EES6_S6_S6_NS4_IT4_S6_EES6_b
    .private_segment_fixed_size: 0
    .sgpr_count:     48
    .sgpr_spill_count: 0
    .symbol:         _ZN2at6native18radixSortKVInPlaceILi2ELin1ELi32ELi4EhljEEvNS_4cuda6detail10TensorInfoIT3_T5_EES6_S6_S6_NS4_IT4_S6_EES6_b.kd
    .uniform_work_group_size: 1
    .uses_dynamic_stack: false
    .vgpr_count:     54
    .vgpr_spill_count: 0
    .wavefront_size: 64
  - .agpr_count:     0
    .args:
      - .offset:         0
        .size:           216
        .value_kind:     by_value
      - .offset:         216
        .size:           4
        .value_kind:     by_value
      - .offset:         220
        .size:           4
        .value_kind:     by_value
      - .offset:         224
        .size:           4
        .value_kind:     by_value
      - .offset:         232
        .size:           216
        .value_kind:     by_value
      - .offset:         448
        .size:           4
        .value_kind:     by_value
      - .offset:         452
        .size:           1
        .value_kind:     by_value
      - .offset:         456
        .size:           4
        .value_kind:     hidden_block_count_x
      - .offset:         460
        .size:           4
        .value_kind:     hidden_block_count_y
      - .offset:         464
        .size:           4
        .value_kind:     hidden_block_count_z
      - .offset:         468
        .size:           2
        .value_kind:     hidden_group_size_x
      - .offset:         470
        .size:           2
        .value_kind:     hidden_group_size_y
      - .offset:         472
        .size:           2
        .value_kind:     hidden_group_size_z
      - .offset:         474
        .size:           2
        .value_kind:     hidden_remainder_x
      - .offset:         476
        .size:           2
        .value_kind:     hidden_remainder_y
      - .offset:         478
        .size:           2
        .value_kind:     hidden_remainder_z
      - .offset:         496
        .size:           8
        .value_kind:     hidden_global_offset_x
      - .offset:         504
        .size:           8
        .value_kind:     hidden_global_offset_y
      - .offset:         512
        .size:           8
        .value_kind:     hidden_global_offset_z
      - .offset:         520
        .size:           2
        .value_kind:     hidden_grid_dims
    .group_segment_fixed_size: 528
    .kernarg_segment_align: 8
    .kernarg_segment_size: 712
    .language:       OpenCL C
    .language_version:
      - 2
      - 0
    .max_flat_workgroup_size: 16
    .name:           _ZN2at6native18radixSortKVInPlaceILi2ELin1ELi16ELi2EhljEEvNS_4cuda6detail10TensorInfoIT3_T5_EES6_S6_S6_NS4_IT4_S6_EES6_b
    .private_segment_fixed_size: 0
    .sgpr_count:     36
    .sgpr_spill_count: 0
    .symbol:         _ZN2at6native18radixSortKVInPlaceILi2ELin1ELi16ELi2EhljEEvNS_4cuda6detail10TensorInfoIT3_T5_EES6_S6_S6_NS4_IT4_S6_EES6_b.kd
    .uniform_work_group_size: 1
    .uses_dynamic_stack: false
    .vgpr_count:     34
    .vgpr_spill_count: 0
    .wavefront_size: 64
  - .agpr_count:     0
    .args:
      - .offset:         0
        .size:           216
        .value_kind:     by_value
      - .offset:         216
        .size:           4
        .value_kind:     by_value
      - .offset:         220
        .size:           4
        .value_kind:     by_value
      - .offset:         224
        .size:           4
        .value_kind:     by_value
      - .offset:         232
        .size:           216
        .value_kind:     by_value
      - .offset:         448
        .size:           4
        .value_kind:     by_value
      - .offset:         452
        .size:           1
        .value_kind:     by_value
      - .offset:         456
        .size:           4
        .value_kind:     hidden_block_count_x
      - .offset:         460
        .size:           4
        .value_kind:     hidden_block_count_y
      - .offset:         464
        .size:           4
        .value_kind:     hidden_block_count_z
      - .offset:         468
        .size:           2
        .value_kind:     hidden_group_size_x
      - .offset:         470
        .size:           2
        .value_kind:     hidden_group_size_y
      - .offset:         472
        .size:           2
        .value_kind:     hidden_group_size_z
      - .offset:         474
        .size:           2
        .value_kind:     hidden_remainder_x
      - .offset:         476
        .size:           2
        .value_kind:     hidden_remainder_y
      - .offset:         478
        .size:           2
        .value_kind:     hidden_remainder_z
      - .offset:         496
        .size:           8
        .value_kind:     hidden_global_offset_x
      - .offset:         504
        .size:           8
        .value_kind:     hidden_global_offset_y
      - .offset:         512
        .size:           8
        .value_kind:     hidden_global_offset_z
      - .offset:         520
        .size:           2
        .value_kind:     hidden_grid_dims
    .group_segment_fixed_size: 33792
    .kernarg_segment_align: 8
    .kernarg_segment_size: 712
    .language:       OpenCL C
    .language_version:
      - 2
      - 0
    .max_flat_workgroup_size: 512
    .name:           _ZN2at6native18radixSortKVInPlaceILin1ELin1ELi512ELi8EhljEEvNS_4cuda6detail10TensorInfoIT3_T5_EES6_S6_S6_NS4_IT4_S6_EES6_b
    .private_segment_fixed_size: 0
    .sgpr_count:     56
    .sgpr_spill_count: 0
    .symbol:         _ZN2at6native18radixSortKVInPlaceILin1ELin1ELi512ELi8EhljEEvNS_4cuda6detail10TensorInfoIT3_T5_EES6_S6_S6_NS4_IT4_S6_EES6_b.kd
    .uniform_work_group_size: 1
    .uses_dynamic_stack: false
    .vgpr_count:     105
    .vgpr_spill_count: 0
    .wavefront_size: 64
  - .agpr_count:     0
    .args:
      - .offset:         0
        .size:           216
        .value_kind:     by_value
      - .offset:         216
        .size:           4
        .value_kind:     by_value
      - .offset:         220
        .size:           4
        .value_kind:     by_value
      - .offset:         224
        .size:           4
        .value_kind:     by_value
      - .offset:         232
        .size:           216
        .value_kind:     by_value
      - .offset:         448
        .size:           4
        .value_kind:     by_value
      - .offset:         452
        .size:           1
        .value_kind:     by_value
      - .offset:         456
        .size:           4
        .value_kind:     hidden_block_count_x
      - .offset:         460
        .size:           4
        .value_kind:     hidden_block_count_y
      - .offset:         464
        .size:           4
        .value_kind:     hidden_block_count_z
      - .offset:         468
        .size:           2
        .value_kind:     hidden_group_size_x
      - .offset:         470
        .size:           2
        .value_kind:     hidden_group_size_y
      - .offset:         472
        .size:           2
        .value_kind:     hidden_group_size_z
      - .offset:         474
        .size:           2
        .value_kind:     hidden_remainder_x
      - .offset:         476
        .size:           2
        .value_kind:     hidden_remainder_y
      - .offset:         478
        .size:           2
        .value_kind:     hidden_remainder_z
      - .offset:         496
        .size:           8
        .value_kind:     hidden_global_offset_x
      - .offset:         504
        .size:           8
        .value_kind:     hidden_global_offset_y
      - .offset:         512
        .size:           8
        .value_kind:     hidden_global_offset_z
      - .offset:         520
        .size:           2
        .value_kind:     hidden_grid_dims
    .group_segment_fixed_size: 16896
    .kernarg_segment_align: 8
    .kernarg_segment_size: 712
    .language:       OpenCL C
    .language_version:
      - 2
      - 0
    .max_flat_workgroup_size: 256
    .name:           _ZN2at6native18radixSortKVInPlaceILin1ELin1ELi256ELi8EhljEEvNS_4cuda6detail10TensorInfoIT3_T5_EES6_S6_S6_NS4_IT4_S6_EES6_b
    .private_segment_fixed_size: 0
    .sgpr_count:     56
    .sgpr_spill_count: 0
    .symbol:         _ZN2at6native18radixSortKVInPlaceILin1ELin1ELi256ELi8EhljEEvNS_4cuda6detail10TensorInfoIT3_T5_EES6_S6_S6_NS4_IT4_S6_EES6_b.kd
    .uniform_work_group_size: 1
    .uses_dynamic_stack: false
    .vgpr_count:     105
    .vgpr_spill_count: 0
    .wavefront_size: 64
  - .agpr_count:     0
    .args:
      - .offset:         0
        .size:           216
        .value_kind:     by_value
      - .offset:         216
        .size:           4
        .value_kind:     by_value
      - .offset:         220
        .size:           4
        .value_kind:     by_value
      - .offset:         224
        .size:           4
        .value_kind:     by_value
      - .offset:         232
        .size:           216
        .value_kind:     by_value
      - .offset:         448
        .size:           4
        .value_kind:     by_value
      - .offset:         452
        .size:           1
        .value_kind:     by_value
      - .offset:         456
        .size:           4
        .value_kind:     hidden_block_count_x
      - .offset:         460
        .size:           4
        .value_kind:     hidden_block_count_y
      - .offset:         464
        .size:           4
        .value_kind:     hidden_block_count_z
      - .offset:         468
        .size:           2
        .value_kind:     hidden_group_size_x
      - .offset:         470
        .size:           2
        .value_kind:     hidden_group_size_y
      - .offset:         472
        .size:           2
        .value_kind:     hidden_group_size_z
      - .offset:         474
        .size:           2
        .value_kind:     hidden_remainder_x
      - .offset:         476
        .size:           2
        .value_kind:     hidden_remainder_y
      - .offset:         478
        .size:           2
        .value_kind:     hidden_remainder_z
      - .offset:         496
        .size:           8
        .value_kind:     hidden_global_offset_x
      - .offset:         504
        .size:           8
        .value_kind:     hidden_global_offset_y
      - .offset:         512
        .size:           8
        .value_kind:     hidden_global_offset_z
      - .offset:         520
        .size:           2
        .value_kind:     hidden_grid_dims
    .group_segment_fixed_size: 8448
    .kernarg_segment_align: 8
    .kernarg_segment_size: 712
    .language:       OpenCL C
    .language_version:
      - 2
      - 0
    .max_flat_workgroup_size: 128
    .name:           _ZN2at6native18radixSortKVInPlaceILin1ELin1ELi128ELi8EhljEEvNS_4cuda6detail10TensorInfoIT3_T5_EES6_S6_S6_NS4_IT4_S6_EES6_b
    .private_segment_fixed_size: 0
    .sgpr_count:     56
    .sgpr_spill_count: 0
    .symbol:         _ZN2at6native18radixSortKVInPlaceILin1ELin1ELi128ELi8EhljEEvNS_4cuda6detail10TensorInfoIT3_T5_EES6_S6_S6_NS4_IT4_S6_EES6_b.kd
    .uniform_work_group_size: 1
    .uses_dynamic_stack: false
    .vgpr_count:     105
    .vgpr_spill_count: 0
    .wavefront_size: 64
  - .agpr_count:     0
    .args:
      - .offset:         0
        .size:           216
        .value_kind:     by_value
      - .offset:         216
        .size:           4
        .value_kind:     by_value
      - .offset:         220
        .size:           4
        .value_kind:     by_value
      - .offset:         224
        .size:           4
        .value_kind:     by_value
      - .offset:         232
        .size:           216
        .value_kind:     by_value
      - .offset:         448
        .size:           4
        .value_kind:     by_value
      - .offset:         452
        .size:           1
        .value_kind:     by_value
      - .offset:         456
        .size:           4
        .value_kind:     hidden_block_count_x
      - .offset:         460
        .size:           4
        .value_kind:     hidden_block_count_y
      - .offset:         464
        .size:           4
        .value_kind:     hidden_block_count_z
      - .offset:         468
        .size:           2
        .value_kind:     hidden_group_size_x
      - .offset:         470
        .size:           2
        .value_kind:     hidden_group_size_y
      - .offset:         472
        .size:           2
        .value_kind:     hidden_group_size_z
      - .offset:         474
        .size:           2
        .value_kind:     hidden_remainder_x
      - .offset:         476
        .size:           2
        .value_kind:     hidden_remainder_y
      - .offset:         478
        .size:           2
        .value_kind:     hidden_remainder_z
      - .offset:         496
        .size:           8
        .value_kind:     hidden_global_offset_x
      - .offset:         504
        .size:           8
        .value_kind:     hidden_global_offset_y
      - .offset:         512
        .size:           8
        .value_kind:     hidden_global_offset_z
      - .offset:         520
        .size:           2
        .value_kind:     hidden_grid_dims
    .group_segment_fixed_size: 1056
    .kernarg_segment_align: 8
    .kernarg_segment_size: 712
    .language:       OpenCL C
    .language_version:
      - 2
      - 0
    .max_flat_workgroup_size: 32
    .name:           _ZN2at6native18radixSortKVInPlaceILin1ELin1ELi32ELi4EhljEEvNS_4cuda6detail10TensorInfoIT3_T5_EES6_S6_S6_NS4_IT4_S6_EES6_b
    .private_segment_fixed_size: 0
    .sgpr_count:     44
    .sgpr_spill_count: 0
    .symbol:         _ZN2at6native18radixSortKVInPlaceILin1ELin1ELi32ELi4EhljEEvNS_4cuda6detail10TensorInfoIT3_T5_EES6_S6_S6_NS4_IT4_S6_EES6_b.kd
    .uniform_work_group_size: 1
    .uses_dynamic_stack: false
    .vgpr_count:     54
    .vgpr_spill_count: 0
    .wavefront_size: 64
  - .agpr_count:     0
    .args:
      - .offset:         0
        .size:           216
        .value_kind:     by_value
      - .offset:         216
        .size:           4
        .value_kind:     by_value
      - .offset:         220
        .size:           4
        .value_kind:     by_value
      - .offset:         224
        .size:           4
        .value_kind:     by_value
      - .offset:         232
        .size:           216
        .value_kind:     by_value
      - .offset:         448
        .size:           4
        .value_kind:     by_value
      - .offset:         452
        .size:           1
        .value_kind:     by_value
      - .offset:         456
        .size:           4
        .value_kind:     hidden_block_count_x
      - .offset:         460
        .size:           4
        .value_kind:     hidden_block_count_y
      - .offset:         464
        .size:           4
        .value_kind:     hidden_block_count_z
      - .offset:         468
        .size:           2
        .value_kind:     hidden_group_size_x
      - .offset:         470
        .size:           2
        .value_kind:     hidden_group_size_y
      - .offset:         472
        .size:           2
        .value_kind:     hidden_group_size_z
      - .offset:         474
        .size:           2
        .value_kind:     hidden_remainder_x
      - .offset:         476
        .size:           2
        .value_kind:     hidden_remainder_y
      - .offset:         478
        .size:           2
        .value_kind:     hidden_remainder_z
      - .offset:         496
        .size:           8
        .value_kind:     hidden_global_offset_x
      - .offset:         504
        .size:           8
        .value_kind:     hidden_global_offset_y
      - .offset:         512
        .size:           8
        .value_kind:     hidden_global_offset_z
      - .offset:         520
        .size:           2
        .value_kind:     hidden_grid_dims
    .group_segment_fixed_size: 528
    .kernarg_segment_align: 8
    .kernarg_segment_size: 712
    .language:       OpenCL C
    .language_version:
      - 2
      - 0
    .max_flat_workgroup_size: 16
    .name:           _ZN2at6native18radixSortKVInPlaceILin1ELin1ELi16ELi2EhljEEvNS_4cuda6detail10TensorInfoIT3_T5_EES6_S6_S6_NS4_IT4_S6_EES6_b
    .private_segment_fixed_size: 0
    .sgpr_count:     36
    .sgpr_spill_count: 0
    .symbol:         _ZN2at6native18radixSortKVInPlaceILin1ELin1ELi16ELi2EhljEEvNS_4cuda6detail10TensorInfoIT3_T5_EES6_S6_S6_NS4_IT4_S6_EES6_b.kd
    .uniform_work_group_size: 1
    .uses_dynamic_stack: false
    .vgpr_count:     34
    .vgpr_spill_count: 0
    .wavefront_size: 64
  - .agpr_count:     0
    .args:
      - .offset:         0
        .size:           416
        .value_kind:     by_value
      - .offset:         416
        .size:           8
        .value_kind:     by_value
      - .offset:         424
        .size:           8
        .value_kind:     by_value
      - .offset:         432
        .size:           8
        .value_kind:     by_value
      - .offset:         440
        .size:           416
        .value_kind:     by_value
      - .offset:         856
        .size:           8
        .value_kind:     by_value
      - .offset:         864
        .size:           1
        .value_kind:     by_value
      - .offset:         872
        .size:           4
        .value_kind:     hidden_block_count_x
      - .offset:         876
        .size:           4
        .value_kind:     hidden_block_count_y
      - .offset:         880
        .size:           4
        .value_kind:     hidden_block_count_z
      - .offset:         884
        .size:           2
        .value_kind:     hidden_group_size_x
      - .offset:         886
        .size:           2
        .value_kind:     hidden_group_size_y
      - .offset:         888
        .size:           2
        .value_kind:     hidden_group_size_z
      - .offset:         890
        .size:           2
        .value_kind:     hidden_remainder_x
      - .offset:         892
        .size:           2
        .value_kind:     hidden_remainder_y
      - .offset:         894
        .size:           2
        .value_kind:     hidden_remainder_z
      - .offset:         912
        .size:           8
        .value_kind:     hidden_global_offset_x
      - .offset:         920
        .size:           8
        .value_kind:     hidden_global_offset_y
      - .offset:         928
        .size:           8
        .value_kind:     hidden_global_offset_z
      - .offset:         936
        .size:           2
        .value_kind:     hidden_grid_dims
    .group_segment_fixed_size: 33792
    .kernarg_segment_align: 8
    .kernarg_segment_size: 1128
    .language:       OpenCL C
    .language_version:
      - 2
      - 0
    .max_flat_workgroup_size: 512
    .name:           _ZN2at6native18radixSortKVInPlaceILin1ELin1ELi512ELi8EhlmEEvNS_4cuda6detail10TensorInfoIT3_T5_EES6_S6_S6_NS4_IT4_S6_EES6_b
    .private_segment_fixed_size: 0
    .sgpr_count:     56
    .sgpr_spill_count: 0
    .symbol:         _ZN2at6native18radixSortKVInPlaceILin1ELin1ELi512ELi8EhlmEEvNS_4cuda6detail10TensorInfoIT3_T5_EES6_S6_S6_NS4_IT4_S6_EES6_b.kd
    .uniform_work_group_size: 1
    .uses_dynamic_stack: false
    .vgpr_count:     103
    .vgpr_spill_count: 0
    .wavefront_size: 64
  - .agpr_count:     0
    .args:
      - .offset:         0
        .size:           416
        .value_kind:     by_value
      - .offset:         416
        .size:           8
        .value_kind:     by_value
      - .offset:         424
        .size:           8
        .value_kind:     by_value
      - .offset:         432
        .size:           8
        .value_kind:     by_value
      - .offset:         440
        .size:           416
        .value_kind:     by_value
      - .offset:         856
        .size:           8
        .value_kind:     by_value
      - .offset:         864
        .size:           1
        .value_kind:     by_value
      - .offset:         872
        .size:           4
        .value_kind:     hidden_block_count_x
      - .offset:         876
        .size:           4
        .value_kind:     hidden_block_count_y
      - .offset:         880
        .size:           4
        .value_kind:     hidden_block_count_z
      - .offset:         884
        .size:           2
        .value_kind:     hidden_group_size_x
      - .offset:         886
        .size:           2
        .value_kind:     hidden_group_size_y
      - .offset:         888
        .size:           2
        .value_kind:     hidden_group_size_z
      - .offset:         890
        .size:           2
        .value_kind:     hidden_remainder_x
      - .offset:         892
        .size:           2
        .value_kind:     hidden_remainder_y
      - .offset:         894
        .size:           2
        .value_kind:     hidden_remainder_z
      - .offset:         912
        .size:           8
        .value_kind:     hidden_global_offset_x
      - .offset:         920
        .size:           8
        .value_kind:     hidden_global_offset_y
      - .offset:         928
        .size:           8
        .value_kind:     hidden_global_offset_z
      - .offset:         936
        .size:           2
        .value_kind:     hidden_grid_dims
    .group_segment_fixed_size: 16896
    .kernarg_segment_align: 8
    .kernarg_segment_size: 1128
    .language:       OpenCL C
    .language_version:
      - 2
      - 0
    .max_flat_workgroup_size: 256
    .name:           _ZN2at6native18radixSortKVInPlaceILin1ELin1ELi256ELi8EhlmEEvNS_4cuda6detail10TensorInfoIT3_T5_EES6_S6_S6_NS4_IT4_S6_EES6_b
    .private_segment_fixed_size: 0
    .sgpr_count:     56
    .sgpr_spill_count: 0
    .symbol:         _ZN2at6native18radixSortKVInPlaceILin1ELin1ELi256ELi8EhlmEEvNS_4cuda6detail10TensorInfoIT3_T5_EES6_S6_S6_NS4_IT4_S6_EES6_b.kd
    .uniform_work_group_size: 1
    .uses_dynamic_stack: false
    .vgpr_count:     103
    .vgpr_spill_count: 0
    .wavefront_size: 64
  - .agpr_count:     0
    .args:
      - .offset:         0
        .size:           416
        .value_kind:     by_value
      - .offset:         416
        .size:           8
        .value_kind:     by_value
      - .offset:         424
        .size:           8
        .value_kind:     by_value
      - .offset:         432
        .size:           8
        .value_kind:     by_value
      - .offset:         440
        .size:           416
        .value_kind:     by_value
      - .offset:         856
        .size:           8
        .value_kind:     by_value
      - .offset:         864
        .size:           1
        .value_kind:     by_value
      - .offset:         872
        .size:           4
        .value_kind:     hidden_block_count_x
      - .offset:         876
        .size:           4
        .value_kind:     hidden_block_count_y
      - .offset:         880
        .size:           4
        .value_kind:     hidden_block_count_z
      - .offset:         884
        .size:           2
        .value_kind:     hidden_group_size_x
      - .offset:         886
        .size:           2
        .value_kind:     hidden_group_size_y
      - .offset:         888
        .size:           2
        .value_kind:     hidden_group_size_z
      - .offset:         890
        .size:           2
        .value_kind:     hidden_remainder_x
      - .offset:         892
        .size:           2
        .value_kind:     hidden_remainder_y
      - .offset:         894
        .size:           2
        .value_kind:     hidden_remainder_z
      - .offset:         912
        .size:           8
        .value_kind:     hidden_global_offset_x
      - .offset:         920
        .size:           8
        .value_kind:     hidden_global_offset_y
      - .offset:         928
        .size:           8
        .value_kind:     hidden_global_offset_z
      - .offset:         936
        .size:           2
        .value_kind:     hidden_grid_dims
    .group_segment_fixed_size: 8448
    .kernarg_segment_align: 8
    .kernarg_segment_size: 1128
    .language:       OpenCL C
    .language_version:
      - 2
      - 0
    .max_flat_workgroup_size: 128
    .name:           _ZN2at6native18radixSortKVInPlaceILin1ELin1ELi128ELi8EhlmEEvNS_4cuda6detail10TensorInfoIT3_T5_EES6_S6_S6_NS4_IT4_S6_EES6_b
    .private_segment_fixed_size: 0
    .sgpr_count:     56
    .sgpr_spill_count: 0
    .symbol:         _ZN2at6native18radixSortKVInPlaceILin1ELin1ELi128ELi8EhlmEEvNS_4cuda6detail10TensorInfoIT3_T5_EES6_S6_S6_NS4_IT4_S6_EES6_b.kd
    .uniform_work_group_size: 1
    .uses_dynamic_stack: false
    .vgpr_count:     103
    .vgpr_spill_count: 0
    .wavefront_size: 64
  - .agpr_count:     0
    .args:
      - .offset:         0
        .size:           416
        .value_kind:     by_value
      - .offset:         416
        .size:           8
        .value_kind:     by_value
      - .offset:         424
        .size:           8
        .value_kind:     by_value
      - .offset:         432
        .size:           8
        .value_kind:     by_value
      - .offset:         440
        .size:           416
        .value_kind:     by_value
      - .offset:         856
        .size:           8
        .value_kind:     by_value
      - .offset:         864
        .size:           1
        .value_kind:     by_value
      - .offset:         872
        .size:           4
        .value_kind:     hidden_block_count_x
      - .offset:         876
        .size:           4
        .value_kind:     hidden_block_count_y
      - .offset:         880
        .size:           4
        .value_kind:     hidden_block_count_z
      - .offset:         884
        .size:           2
        .value_kind:     hidden_group_size_x
      - .offset:         886
        .size:           2
        .value_kind:     hidden_group_size_y
      - .offset:         888
        .size:           2
        .value_kind:     hidden_group_size_z
      - .offset:         890
        .size:           2
        .value_kind:     hidden_remainder_x
      - .offset:         892
        .size:           2
        .value_kind:     hidden_remainder_y
      - .offset:         894
        .size:           2
        .value_kind:     hidden_remainder_z
      - .offset:         912
        .size:           8
        .value_kind:     hidden_global_offset_x
      - .offset:         920
        .size:           8
        .value_kind:     hidden_global_offset_y
      - .offset:         928
        .size:           8
        .value_kind:     hidden_global_offset_z
      - .offset:         936
        .size:           2
        .value_kind:     hidden_grid_dims
    .group_segment_fixed_size: 1056
    .kernarg_segment_align: 8
    .kernarg_segment_size: 1128
    .language:       OpenCL C
    .language_version:
      - 2
      - 0
    .max_flat_workgroup_size: 32
    .name:           _ZN2at6native18radixSortKVInPlaceILin1ELin1ELi32ELi4EhlmEEvNS_4cuda6detail10TensorInfoIT3_T5_EES6_S6_S6_NS4_IT4_S6_EES6_b
    .private_segment_fixed_size: 0
    .sgpr_count:     52
    .sgpr_spill_count: 0
    .symbol:         _ZN2at6native18radixSortKVInPlaceILin1ELin1ELi32ELi4EhlmEEvNS_4cuda6detail10TensorInfoIT3_T5_EES6_S6_S6_NS4_IT4_S6_EES6_b.kd
    .uniform_work_group_size: 1
    .uses_dynamic_stack: false
    .vgpr_count:     52
    .vgpr_spill_count: 0
    .wavefront_size: 64
  - .agpr_count:     0
    .args:
      - .offset:         0
        .size:           416
        .value_kind:     by_value
      - .offset:         416
        .size:           8
        .value_kind:     by_value
      - .offset:         424
        .size:           8
        .value_kind:     by_value
      - .offset:         432
        .size:           8
        .value_kind:     by_value
      - .offset:         440
        .size:           416
        .value_kind:     by_value
      - .offset:         856
        .size:           8
        .value_kind:     by_value
      - .offset:         864
        .size:           1
        .value_kind:     by_value
      - .offset:         872
        .size:           4
        .value_kind:     hidden_block_count_x
      - .offset:         876
        .size:           4
        .value_kind:     hidden_block_count_y
      - .offset:         880
        .size:           4
        .value_kind:     hidden_block_count_z
      - .offset:         884
        .size:           2
        .value_kind:     hidden_group_size_x
      - .offset:         886
        .size:           2
        .value_kind:     hidden_group_size_y
      - .offset:         888
        .size:           2
        .value_kind:     hidden_group_size_z
      - .offset:         890
        .size:           2
        .value_kind:     hidden_remainder_x
      - .offset:         892
        .size:           2
        .value_kind:     hidden_remainder_y
      - .offset:         894
        .size:           2
        .value_kind:     hidden_remainder_z
      - .offset:         912
        .size:           8
        .value_kind:     hidden_global_offset_x
      - .offset:         920
        .size:           8
        .value_kind:     hidden_global_offset_y
      - .offset:         928
        .size:           8
        .value_kind:     hidden_global_offset_z
      - .offset:         936
        .size:           2
        .value_kind:     hidden_grid_dims
    .group_segment_fixed_size: 528
    .kernarg_segment_align: 8
    .kernarg_segment_size: 1128
    .language:       OpenCL C
    .language_version:
      - 2
      - 0
    .max_flat_workgroup_size: 16
    .name:           _ZN2at6native18radixSortKVInPlaceILin1ELin1ELi16ELi2EhlmEEvNS_4cuda6detail10TensorInfoIT3_T5_EES6_S6_S6_NS4_IT4_S6_EES6_b
    .private_segment_fixed_size: 0
    .sgpr_count:     40
    .sgpr_spill_count: 0
    .symbol:         _ZN2at6native18radixSortKVInPlaceILin1ELin1ELi16ELi2EhlmEEvNS_4cuda6detail10TensorInfoIT3_T5_EES6_S6_S6_NS4_IT4_S6_EES6_b.kd
    .uniform_work_group_size: 1
    .uses_dynamic_stack: false
    .vgpr_count:     32
    .vgpr_spill_count: 0
    .wavefront_size: 64
  - .agpr_count:     0
    .args:
      - .offset:         0
        .size:           216
        .value_kind:     by_value
      - .offset:         216
        .size:           4
        .value_kind:     by_value
      - .offset:         220
        .size:           4
        .value_kind:     by_value
      - .offset:         224
        .size:           4
        .value_kind:     by_value
      - .offset:         232
        .size:           216
        .value_kind:     by_value
      - .offset:         448
        .size:           4
        .value_kind:     by_value
      - .offset:         452
        .size:           1
        .value_kind:     by_value
      - .offset:         456
        .size:           4
        .value_kind:     hidden_block_count_x
      - .offset:         460
        .size:           4
        .value_kind:     hidden_block_count_y
      - .offset:         464
        .size:           4
        .value_kind:     hidden_block_count_z
      - .offset:         468
        .size:           2
        .value_kind:     hidden_group_size_x
      - .offset:         470
        .size:           2
        .value_kind:     hidden_group_size_y
      - .offset:         472
        .size:           2
        .value_kind:     hidden_group_size_z
      - .offset:         474
        .size:           2
        .value_kind:     hidden_remainder_x
      - .offset:         476
        .size:           2
        .value_kind:     hidden_remainder_y
      - .offset:         478
        .size:           2
        .value_kind:     hidden_remainder_z
      - .offset:         496
        .size:           8
        .value_kind:     hidden_global_offset_x
      - .offset:         504
        .size:           8
        .value_kind:     hidden_global_offset_y
      - .offset:         512
        .size:           8
        .value_kind:     hidden_global_offset_z
      - .offset:         520
        .size:           2
        .value_kind:     hidden_grid_dims
    .group_segment_fixed_size: 33792
    .kernarg_segment_align: 8
    .kernarg_segment_size: 712
    .language:       OpenCL C
    .language_version:
      - 2
      - 0
    .max_flat_workgroup_size: 512
    .name:           _ZN2at6native18radixSortKVInPlaceILin2ELin1ELi512ELi8EaljEEvNS_4cuda6detail10TensorInfoIT3_T5_EES6_S6_S6_NS4_IT4_S6_EES6_b
    .private_segment_fixed_size: 0
    .sgpr_count:     50
    .sgpr_spill_count: 0
    .symbol:         _ZN2at6native18radixSortKVInPlaceILin2ELin1ELi512ELi8EaljEEvNS_4cuda6detail10TensorInfoIT3_T5_EES6_S6_S6_NS4_IT4_S6_EES6_b.kd
    .uniform_work_group_size: 1
    .uses_dynamic_stack: false
    .vgpr_count:     109
    .vgpr_spill_count: 0
    .wavefront_size: 64
  - .agpr_count:     0
    .args:
      - .offset:         0
        .size:           216
        .value_kind:     by_value
      - .offset:         216
        .size:           4
        .value_kind:     by_value
      - .offset:         220
        .size:           4
        .value_kind:     by_value
      - .offset:         224
        .size:           4
        .value_kind:     by_value
      - .offset:         232
        .size:           216
        .value_kind:     by_value
      - .offset:         448
        .size:           4
        .value_kind:     by_value
      - .offset:         452
        .size:           1
        .value_kind:     by_value
      - .offset:         456
        .size:           4
        .value_kind:     hidden_block_count_x
      - .offset:         460
        .size:           4
        .value_kind:     hidden_block_count_y
      - .offset:         464
        .size:           4
        .value_kind:     hidden_block_count_z
      - .offset:         468
        .size:           2
        .value_kind:     hidden_group_size_x
      - .offset:         470
        .size:           2
        .value_kind:     hidden_group_size_y
      - .offset:         472
        .size:           2
        .value_kind:     hidden_group_size_z
      - .offset:         474
        .size:           2
        .value_kind:     hidden_remainder_x
      - .offset:         476
        .size:           2
        .value_kind:     hidden_remainder_y
      - .offset:         478
        .size:           2
        .value_kind:     hidden_remainder_z
      - .offset:         496
        .size:           8
        .value_kind:     hidden_global_offset_x
      - .offset:         504
        .size:           8
        .value_kind:     hidden_global_offset_y
      - .offset:         512
        .size:           8
        .value_kind:     hidden_global_offset_z
      - .offset:         520
        .size:           2
        .value_kind:     hidden_grid_dims
    .group_segment_fixed_size: 16896
    .kernarg_segment_align: 8
    .kernarg_segment_size: 712
    .language:       OpenCL C
    .language_version:
      - 2
      - 0
    .max_flat_workgroup_size: 256
    .name:           _ZN2at6native18radixSortKVInPlaceILin2ELin1ELi256ELi8EaljEEvNS_4cuda6detail10TensorInfoIT3_T5_EES6_S6_S6_NS4_IT4_S6_EES6_b
    .private_segment_fixed_size: 0
    .sgpr_count:     50
    .sgpr_spill_count: 0
    .symbol:         _ZN2at6native18radixSortKVInPlaceILin2ELin1ELi256ELi8EaljEEvNS_4cuda6detail10TensorInfoIT3_T5_EES6_S6_S6_NS4_IT4_S6_EES6_b.kd
    .uniform_work_group_size: 1
    .uses_dynamic_stack: false
    .vgpr_count:     109
    .vgpr_spill_count: 0
    .wavefront_size: 64
  - .agpr_count:     0
    .args:
      - .offset:         0
        .size:           216
        .value_kind:     by_value
      - .offset:         216
        .size:           4
        .value_kind:     by_value
      - .offset:         220
        .size:           4
        .value_kind:     by_value
      - .offset:         224
        .size:           4
        .value_kind:     by_value
      - .offset:         232
        .size:           216
        .value_kind:     by_value
      - .offset:         448
        .size:           4
        .value_kind:     by_value
      - .offset:         452
        .size:           1
        .value_kind:     by_value
      - .offset:         456
        .size:           4
        .value_kind:     hidden_block_count_x
      - .offset:         460
        .size:           4
        .value_kind:     hidden_block_count_y
      - .offset:         464
        .size:           4
        .value_kind:     hidden_block_count_z
      - .offset:         468
        .size:           2
        .value_kind:     hidden_group_size_x
      - .offset:         470
        .size:           2
        .value_kind:     hidden_group_size_y
      - .offset:         472
        .size:           2
        .value_kind:     hidden_group_size_z
      - .offset:         474
        .size:           2
        .value_kind:     hidden_remainder_x
      - .offset:         476
        .size:           2
        .value_kind:     hidden_remainder_y
      - .offset:         478
        .size:           2
        .value_kind:     hidden_remainder_z
      - .offset:         496
        .size:           8
        .value_kind:     hidden_global_offset_x
      - .offset:         504
        .size:           8
        .value_kind:     hidden_global_offset_y
      - .offset:         512
        .size:           8
        .value_kind:     hidden_global_offset_z
      - .offset:         520
        .size:           2
        .value_kind:     hidden_grid_dims
    .group_segment_fixed_size: 8448
    .kernarg_segment_align: 8
    .kernarg_segment_size: 712
    .language:       OpenCL C
    .language_version:
      - 2
      - 0
    .max_flat_workgroup_size: 128
    .name:           _ZN2at6native18radixSortKVInPlaceILin2ELin1ELi128ELi8EaljEEvNS_4cuda6detail10TensorInfoIT3_T5_EES6_S6_S6_NS4_IT4_S6_EES6_b
    .private_segment_fixed_size: 0
    .sgpr_count:     50
    .sgpr_spill_count: 0
    .symbol:         _ZN2at6native18radixSortKVInPlaceILin2ELin1ELi128ELi8EaljEEvNS_4cuda6detail10TensorInfoIT3_T5_EES6_S6_S6_NS4_IT4_S6_EES6_b.kd
    .uniform_work_group_size: 1
    .uses_dynamic_stack: false
    .vgpr_count:     109
    .vgpr_spill_count: 0
    .wavefront_size: 64
  - .agpr_count:     0
    .args:
      - .offset:         0
        .size:           216
        .value_kind:     by_value
      - .offset:         216
        .size:           4
        .value_kind:     by_value
      - .offset:         220
        .size:           4
        .value_kind:     by_value
      - .offset:         224
        .size:           4
        .value_kind:     by_value
      - .offset:         232
        .size:           216
        .value_kind:     by_value
      - .offset:         448
        .size:           4
        .value_kind:     by_value
      - .offset:         452
        .size:           1
        .value_kind:     by_value
      - .offset:         456
        .size:           4
        .value_kind:     hidden_block_count_x
      - .offset:         460
        .size:           4
        .value_kind:     hidden_block_count_y
      - .offset:         464
        .size:           4
        .value_kind:     hidden_block_count_z
      - .offset:         468
        .size:           2
        .value_kind:     hidden_group_size_x
      - .offset:         470
        .size:           2
        .value_kind:     hidden_group_size_y
      - .offset:         472
        .size:           2
        .value_kind:     hidden_group_size_z
      - .offset:         474
        .size:           2
        .value_kind:     hidden_remainder_x
      - .offset:         476
        .size:           2
        .value_kind:     hidden_remainder_y
      - .offset:         478
        .size:           2
        .value_kind:     hidden_remainder_z
      - .offset:         496
        .size:           8
        .value_kind:     hidden_global_offset_x
      - .offset:         504
        .size:           8
        .value_kind:     hidden_global_offset_y
      - .offset:         512
        .size:           8
        .value_kind:     hidden_global_offset_z
      - .offset:         520
        .size:           2
        .value_kind:     hidden_grid_dims
    .group_segment_fixed_size: 1056
    .kernarg_segment_align: 8
    .kernarg_segment_size: 712
    .language:       OpenCL C
    .language_version:
      - 2
      - 0
    .max_flat_workgroup_size: 32
    .name:           _ZN2at6native18radixSortKVInPlaceILin2ELin1ELi32ELi4EaljEEvNS_4cuda6detail10TensorInfoIT3_T5_EES6_S6_S6_NS4_IT4_S6_EES6_b
    .private_segment_fixed_size: 0
    .sgpr_count:     48
    .sgpr_spill_count: 0
    .symbol:         _ZN2at6native18radixSortKVInPlaceILin2ELin1ELi32ELi4EaljEEvNS_4cuda6detail10TensorInfoIT3_T5_EES6_S6_S6_NS4_IT4_S6_EES6_b.kd
    .uniform_work_group_size: 1
    .uses_dynamic_stack: false
    .vgpr_count:     54
    .vgpr_spill_count: 0
    .wavefront_size: 64
  - .agpr_count:     0
    .args:
      - .offset:         0
        .size:           216
        .value_kind:     by_value
      - .offset:         216
        .size:           4
        .value_kind:     by_value
      - .offset:         220
        .size:           4
        .value_kind:     by_value
      - .offset:         224
        .size:           4
        .value_kind:     by_value
      - .offset:         232
        .size:           216
        .value_kind:     by_value
      - .offset:         448
        .size:           4
        .value_kind:     by_value
      - .offset:         452
        .size:           1
        .value_kind:     by_value
      - .offset:         456
        .size:           4
        .value_kind:     hidden_block_count_x
      - .offset:         460
        .size:           4
        .value_kind:     hidden_block_count_y
      - .offset:         464
        .size:           4
        .value_kind:     hidden_block_count_z
      - .offset:         468
        .size:           2
        .value_kind:     hidden_group_size_x
      - .offset:         470
        .size:           2
        .value_kind:     hidden_group_size_y
      - .offset:         472
        .size:           2
        .value_kind:     hidden_group_size_z
      - .offset:         474
        .size:           2
        .value_kind:     hidden_remainder_x
      - .offset:         476
        .size:           2
        .value_kind:     hidden_remainder_y
      - .offset:         478
        .size:           2
        .value_kind:     hidden_remainder_z
      - .offset:         496
        .size:           8
        .value_kind:     hidden_global_offset_x
      - .offset:         504
        .size:           8
        .value_kind:     hidden_global_offset_y
      - .offset:         512
        .size:           8
        .value_kind:     hidden_global_offset_z
      - .offset:         520
        .size:           2
        .value_kind:     hidden_grid_dims
    .group_segment_fixed_size: 528
    .kernarg_segment_align: 8
    .kernarg_segment_size: 712
    .language:       OpenCL C
    .language_version:
      - 2
      - 0
    .max_flat_workgroup_size: 16
    .name:           _ZN2at6native18radixSortKVInPlaceILin2ELin1ELi16ELi2EaljEEvNS_4cuda6detail10TensorInfoIT3_T5_EES6_S6_S6_NS4_IT4_S6_EES6_b
    .private_segment_fixed_size: 0
    .sgpr_count:     42
    .sgpr_spill_count: 0
    .symbol:         _ZN2at6native18radixSortKVInPlaceILin2ELin1ELi16ELi2EaljEEvNS_4cuda6detail10TensorInfoIT3_T5_EES6_S6_S6_NS4_IT4_S6_EES6_b.kd
    .uniform_work_group_size: 1
    .uses_dynamic_stack: false
    .vgpr_count:     34
    .vgpr_spill_count: 0
    .wavefront_size: 64
  - .agpr_count:     0
    .args:
      - .offset:         0
        .size:           216
        .value_kind:     by_value
      - .offset:         216
        .size:           4
        .value_kind:     by_value
      - .offset:         220
        .size:           4
        .value_kind:     by_value
      - .offset:         224
        .size:           4
        .value_kind:     by_value
      - .offset:         232
        .size:           216
        .value_kind:     by_value
      - .offset:         448
        .size:           4
        .value_kind:     by_value
      - .offset:         452
        .size:           1
        .value_kind:     by_value
      - .offset:         456
        .size:           4
        .value_kind:     hidden_block_count_x
      - .offset:         460
        .size:           4
        .value_kind:     hidden_block_count_y
      - .offset:         464
        .size:           4
        .value_kind:     hidden_block_count_z
      - .offset:         468
        .size:           2
        .value_kind:     hidden_group_size_x
      - .offset:         470
        .size:           2
        .value_kind:     hidden_group_size_y
      - .offset:         472
        .size:           2
        .value_kind:     hidden_group_size_z
      - .offset:         474
        .size:           2
        .value_kind:     hidden_remainder_x
      - .offset:         476
        .size:           2
        .value_kind:     hidden_remainder_y
      - .offset:         478
        .size:           2
        .value_kind:     hidden_remainder_z
      - .offset:         496
        .size:           8
        .value_kind:     hidden_global_offset_x
      - .offset:         504
        .size:           8
        .value_kind:     hidden_global_offset_y
      - .offset:         512
        .size:           8
        .value_kind:     hidden_global_offset_z
      - .offset:         520
        .size:           2
        .value_kind:     hidden_grid_dims
    .group_segment_fixed_size: 33792
    .kernarg_segment_align: 8
    .kernarg_segment_size: 712
    .language:       OpenCL C
    .language_version:
      - 2
      - 0
    .max_flat_workgroup_size: 512
    .name:           _ZN2at6native18radixSortKVInPlaceILi2ELin1ELi512ELi8EaljEEvNS_4cuda6detail10TensorInfoIT3_T5_EES6_S6_S6_NS4_IT4_S6_EES6_b
    .private_segment_fixed_size: 0
    .sgpr_count:     50
    .sgpr_spill_count: 0
    .symbol:         _ZN2at6native18radixSortKVInPlaceILi2ELin1ELi512ELi8EaljEEvNS_4cuda6detail10TensorInfoIT3_T5_EES6_S6_S6_NS4_IT4_S6_EES6_b.kd
    .uniform_work_group_size: 1
    .uses_dynamic_stack: false
    .vgpr_count:     109
    .vgpr_spill_count: 0
    .wavefront_size: 64
  - .agpr_count:     0
    .args:
      - .offset:         0
        .size:           216
        .value_kind:     by_value
      - .offset:         216
        .size:           4
        .value_kind:     by_value
      - .offset:         220
        .size:           4
        .value_kind:     by_value
      - .offset:         224
        .size:           4
        .value_kind:     by_value
      - .offset:         232
        .size:           216
        .value_kind:     by_value
      - .offset:         448
        .size:           4
        .value_kind:     by_value
      - .offset:         452
        .size:           1
        .value_kind:     by_value
      - .offset:         456
        .size:           4
        .value_kind:     hidden_block_count_x
      - .offset:         460
        .size:           4
        .value_kind:     hidden_block_count_y
      - .offset:         464
        .size:           4
        .value_kind:     hidden_block_count_z
      - .offset:         468
        .size:           2
        .value_kind:     hidden_group_size_x
      - .offset:         470
        .size:           2
        .value_kind:     hidden_group_size_y
      - .offset:         472
        .size:           2
        .value_kind:     hidden_group_size_z
      - .offset:         474
        .size:           2
        .value_kind:     hidden_remainder_x
      - .offset:         476
        .size:           2
        .value_kind:     hidden_remainder_y
      - .offset:         478
        .size:           2
        .value_kind:     hidden_remainder_z
      - .offset:         496
        .size:           8
        .value_kind:     hidden_global_offset_x
      - .offset:         504
        .size:           8
        .value_kind:     hidden_global_offset_y
      - .offset:         512
        .size:           8
        .value_kind:     hidden_global_offset_z
      - .offset:         520
        .size:           2
        .value_kind:     hidden_grid_dims
    .group_segment_fixed_size: 16896
    .kernarg_segment_align: 8
    .kernarg_segment_size: 712
    .language:       OpenCL C
    .language_version:
      - 2
      - 0
    .max_flat_workgroup_size: 256
    .name:           _ZN2at6native18radixSortKVInPlaceILi2ELin1ELi256ELi8EaljEEvNS_4cuda6detail10TensorInfoIT3_T5_EES6_S6_S6_NS4_IT4_S6_EES6_b
    .private_segment_fixed_size: 0
    .sgpr_count:     50
    .sgpr_spill_count: 0
    .symbol:         _ZN2at6native18radixSortKVInPlaceILi2ELin1ELi256ELi8EaljEEvNS_4cuda6detail10TensorInfoIT3_T5_EES6_S6_S6_NS4_IT4_S6_EES6_b.kd
    .uniform_work_group_size: 1
    .uses_dynamic_stack: false
    .vgpr_count:     109
    .vgpr_spill_count: 0
    .wavefront_size: 64
  - .agpr_count:     0
    .args:
      - .offset:         0
        .size:           216
        .value_kind:     by_value
      - .offset:         216
        .size:           4
        .value_kind:     by_value
      - .offset:         220
        .size:           4
        .value_kind:     by_value
      - .offset:         224
        .size:           4
        .value_kind:     by_value
      - .offset:         232
        .size:           216
        .value_kind:     by_value
      - .offset:         448
        .size:           4
        .value_kind:     by_value
      - .offset:         452
        .size:           1
        .value_kind:     by_value
      - .offset:         456
        .size:           4
        .value_kind:     hidden_block_count_x
      - .offset:         460
        .size:           4
        .value_kind:     hidden_block_count_y
      - .offset:         464
        .size:           4
        .value_kind:     hidden_block_count_z
      - .offset:         468
        .size:           2
        .value_kind:     hidden_group_size_x
      - .offset:         470
        .size:           2
        .value_kind:     hidden_group_size_y
      - .offset:         472
        .size:           2
        .value_kind:     hidden_group_size_z
      - .offset:         474
        .size:           2
        .value_kind:     hidden_remainder_x
      - .offset:         476
        .size:           2
        .value_kind:     hidden_remainder_y
      - .offset:         478
        .size:           2
        .value_kind:     hidden_remainder_z
      - .offset:         496
        .size:           8
        .value_kind:     hidden_global_offset_x
      - .offset:         504
        .size:           8
        .value_kind:     hidden_global_offset_y
      - .offset:         512
        .size:           8
        .value_kind:     hidden_global_offset_z
      - .offset:         520
        .size:           2
        .value_kind:     hidden_grid_dims
    .group_segment_fixed_size: 8448
    .kernarg_segment_align: 8
    .kernarg_segment_size: 712
    .language:       OpenCL C
    .language_version:
      - 2
      - 0
    .max_flat_workgroup_size: 128
    .name:           _ZN2at6native18radixSortKVInPlaceILi2ELin1ELi128ELi8EaljEEvNS_4cuda6detail10TensorInfoIT3_T5_EES6_S6_S6_NS4_IT4_S6_EES6_b
    .private_segment_fixed_size: 0
    .sgpr_count:     50
    .sgpr_spill_count: 0
    .symbol:         _ZN2at6native18radixSortKVInPlaceILi2ELin1ELi128ELi8EaljEEvNS_4cuda6detail10TensorInfoIT3_T5_EES6_S6_S6_NS4_IT4_S6_EES6_b.kd
    .uniform_work_group_size: 1
    .uses_dynamic_stack: false
    .vgpr_count:     109
    .vgpr_spill_count: 0
    .wavefront_size: 64
  - .agpr_count:     0
    .args:
      - .offset:         0
        .size:           216
        .value_kind:     by_value
      - .offset:         216
        .size:           4
        .value_kind:     by_value
      - .offset:         220
        .size:           4
        .value_kind:     by_value
      - .offset:         224
        .size:           4
        .value_kind:     by_value
      - .offset:         232
        .size:           216
        .value_kind:     by_value
      - .offset:         448
        .size:           4
        .value_kind:     by_value
      - .offset:         452
        .size:           1
        .value_kind:     by_value
      - .offset:         456
        .size:           4
        .value_kind:     hidden_block_count_x
      - .offset:         460
        .size:           4
        .value_kind:     hidden_block_count_y
      - .offset:         464
        .size:           4
        .value_kind:     hidden_block_count_z
      - .offset:         468
        .size:           2
        .value_kind:     hidden_group_size_x
      - .offset:         470
        .size:           2
        .value_kind:     hidden_group_size_y
      - .offset:         472
        .size:           2
        .value_kind:     hidden_group_size_z
      - .offset:         474
        .size:           2
        .value_kind:     hidden_remainder_x
      - .offset:         476
        .size:           2
        .value_kind:     hidden_remainder_y
      - .offset:         478
        .size:           2
        .value_kind:     hidden_remainder_z
      - .offset:         496
        .size:           8
        .value_kind:     hidden_global_offset_x
      - .offset:         504
        .size:           8
        .value_kind:     hidden_global_offset_y
      - .offset:         512
        .size:           8
        .value_kind:     hidden_global_offset_z
      - .offset:         520
        .size:           2
        .value_kind:     hidden_grid_dims
    .group_segment_fixed_size: 1056
    .kernarg_segment_align: 8
    .kernarg_segment_size: 712
    .language:       OpenCL C
    .language_version:
      - 2
      - 0
    .max_flat_workgroup_size: 32
    .name:           _ZN2at6native18radixSortKVInPlaceILi2ELin1ELi32ELi4EaljEEvNS_4cuda6detail10TensorInfoIT3_T5_EES6_S6_S6_NS4_IT4_S6_EES6_b
    .private_segment_fixed_size: 0
    .sgpr_count:     48
    .sgpr_spill_count: 0
    .symbol:         _ZN2at6native18radixSortKVInPlaceILi2ELin1ELi32ELi4EaljEEvNS_4cuda6detail10TensorInfoIT3_T5_EES6_S6_S6_NS4_IT4_S6_EES6_b.kd
    .uniform_work_group_size: 1
    .uses_dynamic_stack: false
    .vgpr_count:     54
    .vgpr_spill_count: 0
    .wavefront_size: 64
  - .agpr_count:     0
    .args:
      - .offset:         0
        .size:           216
        .value_kind:     by_value
      - .offset:         216
        .size:           4
        .value_kind:     by_value
      - .offset:         220
        .size:           4
        .value_kind:     by_value
      - .offset:         224
        .size:           4
        .value_kind:     by_value
      - .offset:         232
        .size:           216
        .value_kind:     by_value
      - .offset:         448
        .size:           4
        .value_kind:     by_value
      - .offset:         452
        .size:           1
        .value_kind:     by_value
      - .offset:         456
        .size:           4
        .value_kind:     hidden_block_count_x
      - .offset:         460
        .size:           4
        .value_kind:     hidden_block_count_y
      - .offset:         464
        .size:           4
        .value_kind:     hidden_block_count_z
      - .offset:         468
        .size:           2
        .value_kind:     hidden_group_size_x
      - .offset:         470
        .size:           2
        .value_kind:     hidden_group_size_y
      - .offset:         472
        .size:           2
        .value_kind:     hidden_group_size_z
      - .offset:         474
        .size:           2
        .value_kind:     hidden_remainder_x
      - .offset:         476
        .size:           2
        .value_kind:     hidden_remainder_y
      - .offset:         478
        .size:           2
        .value_kind:     hidden_remainder_z
      - .offset:         496
        .size:           8
        .value_kind:     hidden_global_offset_x
      - .offset:         504
        .size:           8
        .value_kind:     hidden_global_offset_y
      - .offset:         512
        .size:           8
        .value_kind:     hidden_global_offset_z
      - .offset:         520
        .size:           2
        .value_kind:     hidden_grid_dims
    .group_segment_fixed_size: 528
    .kernarg_segment_align: 8
    .kernarg_segment_size: 712
    .language:       OpenCL C
    .language_version:
      - 2
      - 0
    .max_flat_workgroup_size: 16
    .name:           _ZN2at6native18radixSortKVInPlaceILi2ELin1ELi16ELi2EaljEEvNS_4cuda6detail10TensorInfoIT3_T5_EES6_S6_S6_NS4_IT4_S6_EES6_b
    .private_segment_fixed_size: 0
    .sgpr_count:     42
    .sgpr_spill_count: 0
    .symbol:         _ZN2at6native18radixSortKVInPlaceILi2ELin1ELi16ELi2EaljEEvNS_4cuda6detail10TensorInfoIT3_T5_EES6_S6_S6_NS4_IT4_S6_EES6_b.kd
    .uniform_work_group_size: 1
    .uses_dynamic_stack: false
    .vgpr_count:     34
    .vgpr_spill_count: 0
    .wavefront_size: 64
  - .agpr_count:     0
    .args:
      - .offset:         0
        .size:           216
        .value_kind:     by_value
      - .offset:         216
        .size:           4
        .value_kind:     by_value
      - .offset:         220
        .size:           4
        .value_kind:     by_value
      - .offset:         224
        .size:           4
        .value_kind:     by_value
      - .offset:         232
        .size:           216
        .value_kind:     by_value
      - .offset:         448
        .size:           4
        .value_kind:     by_value
      - .offset:         452
        .size:           1
        .value_kind:     by_value
      - .offset:         456
        .size:           4
        .value_kind:     hidden_block_count_x
      - .offset:         460
        .size:           4
        .value_kind:     hidden_block_count_y
      - .offset:         464
        .size:           4
        .value_kind:     hidden_block_count_z
      - .offset:         468
        .size:           2
        .value_kind:     hidden_group_size_x
      - .offset:         470
        .size:           2
        .value_kind:     hidden_group_size_y
      - .offset:         472
        .size:           2
        .value_kind:     hidden_group_size_z
      - .offset:         474
        .size:           2
        .value_kind:     hidden_remainder_x
      - .offset:         476
        .size:           2
        .value_kind:     hidden_remainder_y
      - .offset:         478
        .size:           2
        .value_kind:     hidden_remainder_z
      - .offset:         496
        .size:           8
        .value_kind:     hidden_global_offset_x
      - .offset:         504
        .size:           8
        .value_kind:     hidden_global_offset_y
      - .offset:         512
        .size:           8
        .value_kind:     hidden_global_offset_z
      - .offset:         520
        .size:           2
        .value_kind:     hidden_grid_dims
    .group_segment_fixed_size: 33792
    .kernarg_segment_align: 8
    .kernarg_segment_size: 712
    .language:       OpenCL C
    .language_version:
      - 2
      - 0
    .max_flat_workgroup_size: 512
    .name:           _ZN2at6native18radixSortKVInPlaceILin1ELin1ELi512ELi8EaljEEvNS_4cuda6detail10TensorInfoIT3_T5_EES6_S6_S6_NS4_IT4_S6_EES6_b
    .private_segment_fixed_size: 0
    .sgpr_count:     56
    .sgpr_spill_count: 0
    .symbol:         _ZN2at6native18radixSortKVInPlaceILin1ELin1ELi512ELi8EaljEEvNS_4cuda6detail10TensorInfoIT3_T5_EES6_S6_S6_NS4_IT4_S6_EES6_b.kd
    .uniform_work_group_size: 1
    .uses_dynamic_stack: false
    .vgpr_count:     109
    .vgpr_spill_count: 0
    .wavefront_size: 64
  - .agpr_count:     0
    .args:
      - .offset:         0
        .size:           216
        .value_kind:     by_value
      - .offset:         216
        .size:           4
        .value_kind:     by_value
      - .offset:         220
        .size:           4
        .value_kind:     by_value
      - .offset:         224
        .size:           4
        .value_kind:     by_value
      - .offset:         232
        .size:           216
        .value_kind:     by_value
      - .offset:         448
        .size:           4
        .value_kind:     by_value
      - .offset:         452
        .size:           1
        .value_kind:     by_value
      - .offset:         456
        .size:           4
        .value_kind:     hidden_block_count_x
      - .offset:         460
        .size:           4
        .value_kind:     hidden_block_count_y
      - .offset:         464
        .size:           4
        .value_kind:     hidden_block_count_z
      - .offset:         468
        .size:           2
        .value_kind:     hidden_group_size_x
      - .offset:         470
        .size:           2
        .value_kind:     hidden_group_size_y
      - .offset:         472
        .size:           2
        .value_kind:     hidden_group_size_z
      - .offset:         474
        .size:           2
        .value_kind:     hidden_remainder_x
      - .offset:         476
        .size:           2
        .value_kind:     hidden_remainder_y
      - .offset:         478
        .size:           2
        .value_kind:     hidden_remainder_z
      - .offset:         496
        .size:           8
        .value_kind:     hidden_global_offset_x
      - .offset:         504
        .size:           8
        .value_kind:     hidden_global_offset_y
      - .offset:         512
        .size:           8
        .value_kind:     hidden_global_offset_z
      - .offset:         520
        .size:           2
        .value_kind:     hidden_grid_dims
    .group_segment_fixed_size: 16896
    .kernarg_segment_align: 8
    .kernarg_segment_size: 712
    .language:       OpenCL C
    .language_version:
      - 2
      - 0
    .max_flat_workgroup_size: 256
    .name:           _ZN2at6native18radixSortKVInPlaceILin1ELin1ELi256ELi8EaljEEvNS_4cuda6detail10TensorInfoIT3_T5_EES6_S6_S6_NS4_IT4_S6_EES6_b
    .private_segment_fixed_size: 0
    .sgpr_count:     56
    .sgpr_spill_count: 0
    .symbol:         _ZN2at6native18radixSortKVInPlaceILin1ELin1ELi256ELi8EaljEEvNS_4cuda6detail10TensorInfoIT3_T5_EES6_S6_S6_NS4_IT4_S6_EES6_b.kd
    .uniform_work_group_size: 1
    .uses_dynamic_stack: false
    .vgpr_count:     109
    .vgpr_spill_count: 0
    .wavefront_size: 64
  - .agpr_count:     0
    .args:
      - .offset:         0
        .size:           216
        .value_kind:     by_value
      - .offset:         216
        .size:           4
        .value_kind:     by_value
      - .offset:         220
        .size:           4
        .value_kind:     by_value
      - .offset:         224
        .size:           4
        .value_kind:     by_value
      - .offset:         232
        .size:           216
        .value_kind:     by_value
      - .offset:         448
        .size:           4
        .value_kind:     by_value
      - .offset:         452
        .size:           1
        .value_kind:     by_value
      - .offset:         456
        .size:           4
        .value_kind:     hidden_block_count_x
      - .offset:         460
        .size:           4
        .value_kind:     hidden_block_count_y
      - .offset:         464
        .size:           4
        .value_kind:     hidden_block_count_z
      - .offset:         468
        .size:           2
        .value_kind:     hidden_group_size_x
      - .offset:         470
        .size:           2
        .value_kind:     hidden_group_size_y
      - .offset:         472
        .size:           2
        .value_kind:     hidden_group_size_z
      - .offset:         474
        .size:           2
        .value_kind:     hidden_remainder_x
      - .offset:         476
        .size:           2
        .value_kind:     hidden_remainder_y
      - .offset:         478
        .size:           2
        .value_kind:     hidden_remainder_z
      - .offset:         496
        .size:           8
        .value_kind:     hidden_global_offset_x
      - .offset:         504
        .size:           8
        .value_kind:     hidden_global_offset_y
      - .offset:         512
        .size:           8
        .value_kind:     hidden_global_offset_z
      - .offset:         520
        .size:           2
        .value_kind:     hidden_grid_dims
    .group_segment_fixed_size: 8448
    .kernarg_segment_align: 8
    .kernarg_segment_size: 712
    .language:       OpenCL C
    .language_version:
      - 2
      - 0
    .max_flat_workgroup_size: 128
    .name:           _ZN2at6native18radixSortKVInPlaceILin1ELin1ELi128ELi8EaljEEvNS_4cuda6detail10TensorInfoIT3_T5_EES6_S6_S6_NS4_IT4_S6_EES6_b
    .private_segment_fixed_size: 0
    .sgpr_count:     56
    .sgpr_spill_count: 0
    .symbol:         _ZN2at6native18radixSortKVInPlaceILin1ELin1ELi128ELi8EaljEEvNS_4cuda6detail10TensorInfoIT3_T5_EES6_S6_S6_NS4_IT4_S6_EES6_b.kd
    .uniform_work_group_size: 1
    .uses_dynamic_stack: false
    .vgpr_count:     109
    .vgpr_spill_count: 0
    .wavefront_size: 64
  - .agpr_count:     0
    .args:
      - .offset:         0
        .size:           216
        .value_kind:     by_value
      - .offset:         216
        .size:           4
        .value_kind:     by_value
      - .offset:         220
        .size:           4
        .value_kind:     by_value
      - .offset:         224
        .size:           4
        .value_kind:     by_value
      - .offset:         232
        .size:           216
        .value_kind:     by_value
      - .offset:         448
        .size:           4
        .value_kind:     by_value
      - .offset:         452
        .size:           1
        .value_kind:     by_value
      - .offset:         456
        .size:           4
        .value_kind:     hidden_block_count_x
      - .offset:         460
        .size:           4
        .value_kind:     hidden_block_count_y
      - .offset:         464
        .size:           4
        .value_kind:     hidden_block_count_z
      - .offset:         468
        .size:           2
        .value_kind:     hidden_group_size_x
      - .offset:         470
        .size:           2
        .value_kind:     hidden_group_size_y
      - .offset:         472
        .size:           2
        .value_kind:     hidden_group_size_z
      - .offset:         474
        .size:           2
        .value_kind:     hidden_remainder_x
      - .offset:         476
        .size:           2
        .value_kind:     hidden_remainder_y
      - .offset:         478
        .size:           2
        .value_kind:     hidden_remainder_z
      - .offset:         496
        .size:           8
        .value_kind:     hidden_global_offset_x
      - .offset:         504
        .size:           8
        .value_kind:     hidden_global_offset_y
      - .offset:         512
        .size:           8
        .value_kind:     hidden_global_offset_z
      - .offset:         520
        .size:           2
        .value_kind:     hidden_grid_dims
    .group_segment_fixed_size: 1056
    .kernarg_segment_align: 8
    .kernarg_segment_size: 712
    .language:       OpenCL C
    .language_version:
      - 2
      - 0
    .max_flat_workgroup_size: 32
    .name:           _ZN2at6native18radixSortKVInPlaceILin1ELin1ELi32ELi4EaljEEvNS_4cuda6detail10TensorInfoIT3_T5_EES6_S6_S6_NS4_IT4_S6_EES6_b
    .private_segment_fixed_size: 0
    .sgpr_count:     48
    .sgpr_spill_count: 0
    .symbol:         _ZN2at6native18radixSortKVInPlaceILin1ELin1ELi32ELi4EaljEEvNS_4cuda6detail10TensorInfoIT3_T5_EES6_S6_S6_NS4_IT4_S6_EES6_b.kd
    .uniform_work_group_size: 1
    .uses_dynamic_stack: false
    .vgpr_count:     54
    .vgpr_spill_count: 0
    .wavefront_size: 64
  - .agpr_count:     0
    .args:
      - .offset:         0
        .size:           216
        .value_kind:     by_value
      - .offset:         216
        .size:           4
        .value_kind:     by_value
      - .offset:         220
        .size:           4
        .value_kind:     by_value
      - .offset:         224
        .size:           4
        .value_kind:     by_value
      - .offset:         232
        .size:           216
        .value_kind:     by_value
      - .offset:         448
        .size:           4
        .value_kind:     by_value
      - .offset:         452
        .size:           1
        .value_kind:     by_value
      - .offset:         456
        .size:           4
        .value_kind:     hidden_block_count_x
      - .offset:         460
        .size:           4
        .value_kind:     hidden_block_count_y
      - .offset:         464
        .size:           4
        .value_kind:     hidden_block_count_z
      - .offset:         468
        .size:           2
        .value_kind:     hidden_group_size_x
      - .offset:         470
        .size:           2
        .value_kind:     hidden_group_size_y
      - .offset:         472
        .size:           2
        .value_kind:     hidden_group_size_z
      - .offset:         474
        .size:           2
        .value_kind:     hidden_remainder_x
      - .offset:         476
        .size:           2
        .value_kind:     hidden_remainder_y
      - .offset:         478
        .size:           2
        .value_kind:     hidden_remainder_z
      - .offset:         496
        .size:           8
        .value_kind:     hidden_global_offset_x
      - .offset:         504
        .size:           8
        .value_kind:     hidden_global_offset_y
      - .offset:         512
        .size:           8
        .value_kind:     hidden_global_offset_z
      - .offset:         520
        .size:           2
        .value_kind:     hidden_grid_dims
    .group_segment_fixed_size: 528
    .kernarg_segment_align: 8
    .kernarg_segment_size: 712
    .language:       OpenCL C
    .language_version:
      - 2
      - 0
    .max_flat_workgroup_size: 16
    .name:           _ZN2at6native18radixSortKVInPlaceILin1ELin1ELi16ELi2EaljEEvNS_4cuda6detail10TensorInfoIT3_T5_EES6_S6_S6_NS4_IT4_S6_EES6_b
    .private_segment_fixed_size: 0
    .sgpr_count:     42
    .sgpr_spill_count: 0
    .symbol:         _ZN2at6native18radixSortKVInPlaceILin1ELin1ELi16ELi2EaljEEvNS_4cuda6detail10TensorInfoIT3_T5_EES6_S6_S6_NS4_IT4_S6_EES6_b.kd
    .uniform_work_group_size: 1
    .uses_dynamic_stack: false
    .vgpr_count:     34
    .vgpr_spill_count: 0
    .wavefront_size: 64
  - .agpr_count:     0
    .args:
      - .offset:         0
        .size:           416
        .value_kind:     by_value
      - .offset:         416
        .size:           8
        .value_kind:     by_value
      - .offset:         424
        .size:           8
        .value_kind:     by_value
      - .offset:         432
        .size:           8
        .value_kind:     by_value
      - .offset:         440
        .size:           416
        .value_kind:     by_value
      - .offset:         856
        .size:           8
        .value_kind:     by_value
      - .offset:         864
        .size:           1
        .value_kind:     by_value
      - .offset:         872
        .size:           4
        .value_kind:     hidden_block_count_x
      - .offset:         876
        .size:           4
        .value_kind:     hidden_block_count_y
      - .offset:         880
        .size:           4
        .value_kind:     hidden_block_count_z
      - .offset:         884
        .size:           2
        .value_kind:     hidden_group_size_x
      - .offset:         886
        .size:           2
        .value_kind:     hidden_group_size_y
      - .offset:         888
        .size:           2
        .value_kind:     hidden_group_size_z
      - .offset:         890
        .size:           2
        .value_kind:     hidden_remainder_x
      - .offset:         892
        .size:           2
        .value_kind:     hidden_remainder_y
      - .offset:         894
        .size:           2
        .value_kind:     hidden_remainder_z
      - .offset:         912
        .size:           8
        .value_kind:     hidden_global_offset_x
      - .offset:         920
        .size:           8
        .value_kind:     hidden_global_offset_y
      - .offset:         928
        .size:           8
        .value_kind:     hidden_global_offset_z
      - .offset:         936
        .size:           2
        .value_kind:     hidden_grid_dims
    .group_segment_fixed_size: 33792
    .kernarg_segment_align: 8
    .kernarg_segment_size: 1128
    .language:       OpenCL C
    .language_version:
      - 2
      - 0
    .max_flat_workgroup_size: 512
    .name:           _ZN2at6native18radixSortKVInPlaceILin1ELin1ELi512ELi8EalmEEvNS_4cuda6detail10TensorInfoIT3_T5_EES6_S6_S6_NS4_IT4_S6_EES6_b
    .private_segment_fixed_size: 0
    .sgpr_count:     56
    .sgpr_spill_count: 0
    .symbol:         _ZN2at6native18radixSortKVInPlaceILin1ELin1ELi512ELi8EalmEEvNS_4cuda6detail10TensorInfoIT3_T5_EES6_S6_S6_NS4_IT4_S6_EES6_b.kd
    .uniform_work_group_size: 1
    .uses_dynamic_stack: false
    .vgpr_count:     107
    .vgpr_spill_count: 0
    .wavefront_size: 64
  - .agpr_count:     0
    .args:
      - .offset:         0
        .size:           416
        .value_kind:     by_value
      - .offset:         416
        .size:           8
        .value_kind:     by_value
      - .offset:         424
        .size:           8
        .value_kind:     by_value
      - .offset:         432
        .size:           8
        .value_kind:     by_value
      - .offset:         440
        .size:           416
        .value_kind:     by_value
      - .offset:         856
        .size:           8
        .value_kind:     by_value
      - .offset:         864
        .size:           1
        .value_kind:     by_value
      - .offset:         872
        .size:           4
        .value_kind:     hidden_block_count_x
      - .offset:         876
        .size:           4
        .value_kind:     hidden_block_count_y
      - .offset:         880
        .size:           4
        .value_kind:     hidden_block_count_z
      - .offset:         884
        .size:           2
        .value_kind:     hidden_group_size_x
      - .offset:         886
        .size:           2
        .value_kind:     hidden_group_size_y
      - .offset:         888
        .size:           2
        .value_kind:     hidden_group_size_z
      - .offset:         890
        .size:           2
        .value_kind:     hidden_remainder_x
      - .offset:         892
        .size:           2
        .value_kind:     hidden_remainder_y
      - .offset:         894
        .size:           2
        .value_kind:     hidden_remainder_z
      - .offset:         912
        .size:           8
        .value_kind:     hidden_global_offset_x
      - .offset:         920
        .size:           8
        .value_kind:     hidden_global_offset_y
      - .offset:         928
        .size:           8
        .value_kind:     hidden_global_offset_z
      - .offset:         936
        .size:           2
        .value_kind:     hidden_grid_dims
    .group_segment_fixed_size: 16896
    .kernarg_segment_align: 8
    .kernarg_segment_size: 1128
    .language:       OpenCL C
    .language_version:
      - 2
      - 0
    .max_flat_workgroup_size: 256
    .name:           _ZN2at6native18radixSortKVInPlaceILin1ELin1ELi256ELi8EalmEEvNS_4cuda6detail10TensorInfoIT3_T5_EES6_S6_S6_NS4_IT4_S6_EES6_b
    .private_segment_fixed_size: 0
    .sgpr_count:     56
    .sgpr_spill_count: 0
    .symbol:         _ZN2at6native18radixSortKVInPlaceILin1ELin1ELi256ELi8EalmEEvNS_4cuda6detail10TensorInfoIT3_T5_EES6_S6_S6_NS4_IT4_S6_EES6_b.kd
    .uniform_work_group_size: 1
    .uses_dynamic_stack: false
    .vgpr_count:     107
    .vgpr_spill_count: 0
    .wavefront_size: 64
  - .agpr_count:     0
    .args:
      - .offset:         0
        .size:           416
        .value_kind:     by_value
      - .offset:         416
        .size:           8
        .value_kind:     by_value
      - .offset:         424
        .size:           8
        .value_kind:     by_value
      - .offset:         432
        .size:           8
        .value_kind:     by_value
      - .offset:         440
        .size:           416
        .value_kind:     by_value
      - .offset:         856
        .size:           8
        .value_kind:     by_value
      - .offset:         864
        .size:           1
        .value_kind:     by_value
      - .offset:         872
        .size:           4
        .value_kind:     hidden_block_count_x
      - .offset:         876
        .size:           4
        .value_kind:     hidden_block_count_y
      - .offset:         880
        .size:           4
        .value_kind:     hidden_block_count_z
      - .offset:         884
        .size:           2
        .value_kind:     hidden_group_size_x
      - .offset:         886
        .size:           2
        .value_kind:     hidden_group_size_y
      - .offset:         888
        .size:           2
        .value_kind:     hidden_group_size_z
      - .offset:         890
        .size:           2
        .value_kind:     hidden_remainder_x
      - .offset:         892
        .size:           2
        .value_kind:     hidden_remainder_y
      - .offset:         894
        .size:           2
        .value_kind:     hidden_remainder_z
      - .offset:         912
        .size:           8
        .value_kind:     hidden_global_offset_x
      - .offset:         920
        .size:           8
        .value_kind:     hidden_global_offset_y
      - .offset:         928
        .size:           8
        .value_kind:     hidden_global_offset_z
      - .offset:         936
        .size:           2
        .value_kind:     hidden_grid_dims
    .group_segment_fixed_size: 8448
    .kernarg_segment_align: 8
    .kernarg_segment_size: 1128
    .language:       OpenCL C
    .language_version:
      - 2
      - 0
    .max_flat_workgroup_size: 128
    .name:           _ZN2at6native18radixSortKVInPlaceILin1ELin1ELi128ELi8EalmEEvNS_4cuda6detail10TensorInfoIT3_T5_EES6_S6_S6_NS4_IT4_S6_EES6_b
    .private_segment_fixed_size: 0
    .sgpr_count:     56
    .sgpr_spill_count: 0
    .symbol:         _ZN2at6native18radixSortKVInPlaceILin1ELin1ELi128ELi8EalmEEvNS_4cuda6detail10TensorInfoIT3_T5_EES6_S6_S6_NS4_IT4_S6_EES6_b.kd
    .uniform_work_group_size: 1
    .uses_dynamic_stack: false
    .vgpr_count:     107
    .vgpr_spill_count: 0
    .wavefront_size: 64
  - .agpr_count:     0
    .args:
      - .offset:         0
        .size:           416
        .value_kind:     by_value
      - .offset:         416
        .size:           8
        .value_kind:     by_value
      - .offset:         424
        .size:           8
        .value_kind:     by_value
      - .offset:         432
        .size:           8
        .value_kind:     by_value
      - .offset:         440
        .size:           416
        .value_kind:     by_value
      - .offset:         856
        .size:           8
        .value_kind:     by_value
      - .offset:         864
        .size:           1
        .value_kind:     by_value
      - .offset:         872
        .size:           4
        .value_kind:     hidden_block_count_x
      - .offset:         876
        .size:           4
        .value_kind:     hidden_block_count_y
      - .offset:         880
        .size:           4
        .value_kind:     hidden_block_count_z
      - .offset:         884
        .size:           2
        .value_kind:     hidden_group_size_x
      - .offset:         886
        .size:           2
        .value_kind:     hidden_group_size_y
      - .offset:         888
        .size:           2
        .value_kind:     hidden_group_size_z
      - .offset:         890
        .size:           2
        .value_kind:     hidden_remainder_x
      - .offset:         892
        .size:           2
        .value_kind:     hidden_remainder_y
      - .offset:         894
        .size:           2
        .value_kind:     hidden_remainder_z
      - .offset:         912
        .size:           8
        .value_kind:     hidden_global_offset_x
      - .offset:         920
        .size:           8
        .value_kind:     hidden_global_offset_y
      - .offset:         928
        .size:           8
        .value_kind:     hidden_global_offset_z
      - .offset:         936
        .size:           2
        .value_kind:     hidden_grid_dims
    .group_segment_fixed_size: 1056
    .kernarg_segment_align: 8
    .kernarg_segment_size: 1128
    .language:       OpenCL C
    .language_version:
      - 2
      - 0
    .max_flat_workgroup_size: 32
    .name:           _ZN2at6native18radixSortKVInPlaceILin1ELin1ELi32ELi4EalmEEvNS_4cuda6detail10TensorInfoIT3_T5_EES6_S6_S6_NS4_IT4_S6_EES6_b
    .private_segment_fixed_size: 0
    .sgpr_count:     50
    .sgpr_spill_count: 0
    .symbol:         _ZN2at6native18radixSortKVInPlaceILin1ELin1ELi32ELi4EalmEEvNS_4cuda6detail10TensorInfoIT3_T5_EES6_S6_S6_NS4_IT4_S6_EES6_b.kd
    .uniform_work_group_size: 1
    .uses_dynamic_stack: false
    .vgpr_count:     52
    .vgpr_spill_count: 0
    .wavefront_size: 64
  - .agpr_count:     0
    .args:
      - .offset:         0
        .size:           416
        .value_kind:     by_value
      - .offset:         416
        .size:           8
        .value_kind:     by_value
      - .offset:         424
        .size:           8
        .value_kind:     by_value
      - .offset:         432
        .size:           8
        .value_kind:     by_value
      - .offset:         440
        .size:           416
        .value_kind:     by_value
      - .offset:         856
        .size:           8
        .value_kind:     by_value
      - .offset:         864
        .size:           1
        .value_kind:     by_value
      - .offset:         872
        .size:           4
        .value_kind:     hidden_block_count_x
      - .offset:         876
        .size:           4
        .value_kind:     hidden_block_count_y
      - .offset:         880
        .size:           4
        .value_kind:     hidden_block_count_z
      - .offset:         884
        .size:           2
        .value_kind:     hidden_group_size_x
      - .offset:         886
        .size:           2
        .value_kind:     hidden_group_size_y
      - .offset:         888
        .size:           2
        .value_kind:     hidden_group_size_z
      - .offset:         890
        .size:           2
        .value_kind:     hidden_remainder_x
      - .offset:         892
        .size:           2
        .value_kind:     hidden_remainder_y
      - .offset:         894
        .size:           2
        .value_kind:     hidden_remainder_z
      - .offset:         912
        .size:           8
        .value_kind:     hidden_global_offset_x
      - .offset:         920
        .size:           8
        .value_kind:     hidden_global_offset_y
      - .offset:         928
        .size:           8
        .value_kind:     hidden_global_offset_z
      - .offset:         936
        .size:           2
        .value_kind:     hidden_grid_dims
    .group_segment_fixed_size: 528
    .kernarg_segment_align: 8
    .kernarg_segment_size: 1128
    .language:       OpenCL C
    .language_version:
      - 2
      - 0
    .max_flat_workgroup_size: 16
    .name:           _ZN2at6native18radixSortKVInPlaceILin1ELin1ELi16ELi2EalmEEvNS_4cuda6detail10TensorInfoIT3_T5_EES6_S6_S6_NS4_IT4_S6_EES6_b
    .private_segment_fixed_size: 0
    .sgpr_count:     44
    .sgpr_spill_count: 0
    .symbol:         _ZN2at6native18radixSortKVInPlaceILin1ELin1ELi16ELi2EalmEEvNS_4cuda6detail10TensorInfoIT3_T5_EES6_S6_S6_NS4_IT4_S6_EES6_b.kd
    .uniform_work_group_size: 1
    .uses_dynamic_stack: false
    .vgpr_count:     32
    .vgpr_spill_count: 0
    .wavefront_size: 64
  - .agpr_count:     0
    .args:
      - .offset:         0
        .size:           216
        .value_kind:     by_value
      - .offset:         216
        .size:           4
        .value_kind:     by_value
      - .offset:         220
        .size:           4
        .value_kind:     by_value
      - .offset:         224
        .size:           4
        .value_kind:     by_value
      - .offset:         232
        .size:           216
        .value_kind:     by_value
      - .offset:         448
        .size:           4
        .value_kind:     by_value
      - .offset:         452
        .size:           1
        .value_kind:     by_value
      - .offset:         456
        .size:           4
        .value_kind:     hidden_block_count_x
      - .offset:         460
        .size:           4
        .value_kind:     hidden_block_count_y
      - .offset:         464
        .size:           4
        .value_kind:     hidden_block_count_z
      - .offset:         468
        .size:           2
        .value_kind:     hidden_group_size_x
      - .offset:         470
        .size:           2
        .value_kind:     hidden_group_size_y
      - .offset:         472
        .size:           2
        .value_kind:     hidden_group_size_z
      - .offset:         474
        .size:           2
        .value_kind:     hidden_remainder_x
      - .offset:         476
        .size:           2
        .value_kind:     hidden_remainder_y
      - .offset:         478
        .size:           2
        .value_kind:     hidden_remainder_z
      - .offset:         496
        .size:           8
        .value_kind:     hidden_global_offset_x
      - .offset:         504
        .size:           8
        .value_kind:     hidden_global_offset_y
      - .offset:         512
        .size:           8
        .value_kind:     hidden_global_offset_z
      - .offset:         520
        .size:           2
        .value_kind:     hidden_grid_dims
    .group_segment_fixed_size: 33792
    .kernarg_segment_align: 8
    .kernarg_segment_size: 712
    .language:       OpenCL C
    .language_version:
      - 2
      - 0
    .max_flat_workgroup_size: 512
    .name:           _ZN2at6native18radixSortKVInPlaceILin2ELin1ELi512ELi8EiljEEvNS_4cuda6detail10TensorInfoIT3_T5_EES6_S6_S6_NS4_IT4_S6_EES6_b
    .private_segment_fixed_size: 0
    .sgpr_count:     66
    .sgpr_spill_count: 0
    .symbol:         _ZN2at6native18radixSortKVInPlaceILin2ELin1ELi512ELi8EiljEEvNS_4cuda6detail10TensorInfoIT3_T5_EES6_S6_S6_NS4_IT4_S6_EES6_b.kd
    .uniform_work_group_size: 1
    .uses_dynamic_stack: false
    .vgpr_count:     128
    .vgpr_spill_count: 0
    .wavefront_size: 64
  - .agpr_count:     0
    .args:
      - .offset:         0
        .size:           216
        .value_kind:     by_value
      - .offset:         216
        .size:           4
        .value_kind:     by_value
      - .offset:         220
        .size:           4
        .value_kind:     by_value
      - .offset:         224
        .size:           4
        .value_kind:     by_value
      - .offset:         232
        .size:           216
        .value_kind:     by_value
      - .offset:         448
        .size:           4
        .value_kind:     by_value
      - .offset:         452
        .size:           1
        .value_kind:     by_value
      - .offset:         456
        .size:           4
        .value_kind:     hidden_block_count_x
      - .offset:         460
        .size:           4
        .value_kind:     hidden_block_count_y
      - .offset:         464
        .size:           4
        .value_kind:     hidden_block_count_z
      - .offset:         468
        .size:           2
        .value_kind:     hidden_group_size_x
      - .offset:         470
        .size:           2
        .value_kind:     hidden_group_size_y
      - .offset:         472
        .size:           2
        .value_kind:     hidden_group_size_z
      - .offset:         474
        .size:           2
        .value_kind:     hidden_remainder_x
      - .offset:         476
        .size:           2
        .value_kind:     hidden_remainder_y
      - .offset:         478
        .size:           2
        .value_kind:     hidden_remainder_z
      - .offset:         496
        .size:           8
        .value_kind:     hidden_global_offset_x
      - .offset:         504
        .size:           8
        .value_kind:     hidden_global_offset_y
      - .offset:         512
        .size:           8
        .value_kind:     hidden_global_offset_z
      - .offset:         520
        .size:           2
        .value_kind:     hidden_grid_dims
    .group_segment_fixed_size: 16896
    .kernarg_segment_align: 8
    .kernarg_segment_size: 712
    .language:       OpenCL C
    .language_version:
      - 2
      - 0
    .max_flat_workgroup_size: 256
    .name:           _ZN2at6native18radixSortKVInPlaceILin2ELin1ELi256ELi8EiljEEvNS_4cuda6detail10TensorInfoIT3_T5_EES6_S6_S6_NS4_IT4_S6_EES6_b
    .private_segment_fixed_size: 0
    .sgpr_count:     64
    .sgpr_spill_count: 0
    .symbol:         _ZN2at6native18radixSortKVInPlaceILin2ELin1ELi256ELi8EiljEEvNS_4cuda6detail10TensorInfoIT3_T5_EES6_S6_S6_NS4_IT4_S6_EES6_b.kd
    .uniform_work_group_size: 1
    .uses_dynamic_stack: false
    .vgpr_count:     128
    .vgpr_spill_count: 0
    .wavefront_size: 64
  - .agpr_count:     0
    .args:
      - .offset:         0
        .size:           216
        .value_kind:     by_value
      - .offset:         216
        .size:           4
        .value_kind:     by_value
      - .offset:         220
        .size:           4
        .value_kind:     by_value
      - .offset:         224
        .size:           4
        .value_kind:     by_value
      - .offset:         232
        .size:           216
        .value_kind:     by_value
      - .offset:         448
        .size:           4
        .value_kind:     by_value
      - .offset:         452
        .size:           1
        .value_kind:     by_value
      - .offset:         456
        .size:           4
        .value_kind:     hidden_block_count_x
      - .offset:         460
        .size:           4
        .value_kind:     hidden_block_count_y
      - .offset:         464
        .size:           4
        .value_kind:     hidden_block_count_z
      - .offset:         468
        .size:           2
        .value_kind:     hidden_group_size_x
      - .offset:         470
        .size:           2
        .value_kind:     hidden_group_size_y
      - .offset:         472
        .size:           2
        .value_kind:     hidden_group_size_z
      - .offset:         474
        .size:           2
        .value_kind:     hidden_remainder_x
      - .offset:         476
        .size:           2
        .value_kind:     hidden_remainder_y
      - .offset:         478
        .size:           2
        .value_kind:     hidden_remainder_z
      - .offset:         496
        .size:           8
        .value_kind:     hidden_global_offset_x
      - .offset:         504
        .size:           8
        .value_kind:     hidden_global_offset_y
      - .offset:         512
        .size:           8
        .value_kind:     hidden_global_offset_z
      - .offset:         520
        .size:           2
        .value_kind:     hidden_grid_dims
    .group_segment_fixed_size: 8448
    .kernarg_segment_align: 8
    .kernarg_segment_size: 712
    .language:       OpenCL C
    .language_version:
      - 2
      - 0
    .max_flat_workgroup_size: 128
    .name:           _ZN2at6native18radixSortKVInPlaceILin2ELin1ELi128ELi8EiljEEvNS_4cuda6detail10TensorInfoIT3_T5_EES6_S6_S6_NS4_IT4_S6_EES6_b
    .private_segment_fixed_size: 0
    .sgpr_count:     62
    .sgpr_spill_count: 0
    .symbol:         _ZN2at6native18radixSortKVInPlaceILin2ELin1ELi128ELi8EiljEEvNS_4cuda6detail10TensorInfoIT3_T5_EES6_S6_S6_NS4_IT4_S6_EES6_b.kd
    .uniform_work_group_size: 1
    .uses_dynamic_stack: false
    .vgpr_count:     128
    .vgpr_spill_count: 0
    .wavefront_size: 64
  - .agpr_count:     0
    .args:
      - .offset:         0
        .size:           216
        .value_kind:     by_value
      - .offset:         216
        .size:           4
        .value_kind:     by_value
      - .offset:         220
        .size:           4
        .value_kind:     by_value
      - .offset:         224
        .size:           4
        .value_kind:     by_value
      - .offset:         232
        .size:           216
        .value_kind:     by_value
      - .offset:         448
        .size:           4
        .value_kind:     by_value
      - .offset:         452
        .size:           1
        .value_kind:     by_value
      - .offset:         456
        .size:           4
        .value_kind:     hidden_block_count_x
      - .offset:         460
        .size:           4
        .value_kind:     hidden_block_count_y
      - .offset:         464
        .size:           4
        .value_kind:     hidden_block_count_z
      - .offset:         468
        .size:           2
        .value_kind:     hidden_group_size_x
      - .offset:         470
        .size:           2
        .value_kind:     hidden_group_size_y
      - .offset:         472
        .size:           2
        .value_kind:     hidden_group_size_z
      - .offset:         474
        .size:           2
        .value_kind:     hidden_remainder_x
      - .offset:         476
        .size:           2
        .value_kind:     hidden_remainder_y
      - .offset:         478
        .size:           2
        .value_kind:     hidden_remainder_z
      - .offset:         496
        .size:           8
        .value_kind:     hidden_global_offset_x
      - .offset:         504
        .size:           8
        .value_kind:     hidden_global_offset_y
      - .offset:         512
        .size:           8
        .value_kind:     hidden_global_offset_z
      - .offset:         520
        .size:           2
        .value_kind:     hidden_grid_dims
    .group_segment_fixed_size: 1056
    .kernarg_segment_align: 8
    .kernarg_segment_size: 712
    .language:       OpenCL C
    .language_version:
      - 2
      - 0
    .max_flat_workgroup_size: 32
    .name:           _ZN2at6native18radixSortKVInPlaceILin2ELin1ELi32ELi4EiljEEvNS_4cuda6detail10TensorInfoIT3_T5_EES6_S6_S6_NS4_IT4_S6_EES6_b
    .private_segment_fixed_size: 0
    .sgpr_count:     50
    .sgpr_spill_count: 0
    .symbol:         _ZN2at6native18radixSortKVInPlaceILin2ELin1ELi32ELi4EiljEEvNS_4cuda6detail10TensorInfoIT3_T5_EES6_S6_S6_NS4_IT4_S6_EES6_b.kd
    .uniform_work_group_size: 1
    .uses_dynamic_stack: false
    .vgpr_count:     62
    .vgpr_spill_count: 0
    .wavefront_size: 64
  - .agpr_count:     0
    .args:
      - .offset:         0
        .size:           216
        .value_kind:     by_value
      - .offset:         216
        .size:           4
        .value_kind:     by_value
      - .offset:         220
        .size:           4
        .value_kind:     by_value
      - .offset:         224
        .size:           4
        .value_kind:     by_value
      - .offset:         232
        .size:           216
        .value_kind:     by_value
      - .offset:         448
        .size:           4
        .value_kind:     by_value
      - .offset:         452
        .size:           1
        .value_kind:     by_value
      - .offset:         456
        .size:           4
        .value_kind:     hidden_block_count_x
      - .offset:         460
        .size:           4
        .value_kind:     hidden_block_count_y
      - .offset:         464
        .size:           4
        .value_kind:     hidden_block_count_z
      - .offset:         468
        .size:           2
        .value_kind:     hidden_group_size_x
      - .offset:         470
        .size:           2
        .value_kind:     hidden_group_size_y
      - .offset:         472
        .size:           2
        .value_kind:     hidden_group_size_z
      - .offset:         474
        .size:           2
        .value_kind:     hidden_remainder_x
      - .offset:         476
        .size:           2
        .value_kind:     hidden_remainder_y
      - .offset:         478
        .size:           2
        .value_kind:     hidden_remainder_z
      - .offset:         496
        .size:           8
        .value_kind:     hidden_global_offset_x
      - .offset:         504
        .size:           8
        .value_kind:     hidden_global_offset_y
      - .offset:         512
        .size:           8
        .value_kind:     hidden_global_offset_z
      - .offset:         520
        .size:           2
        .value_kind:     hidden_grid_dims
    .group_segment_fixed_size: 528
    .kernarg_segment_align: 8
    .kernarg_segment_size: 712
    .language:       OpenCL C
    .language_version:
      - 2
      - 0
    .max_flat_workgroup_size: 16
    .name:           _ZN2at6native18radixSortKVInPlaceILin2ELin1ELi16ELi2EiljEEvNS_4cuda6detail10TensorInfoIT3_T5_EES6_S6_S6_NS4_IT4_S6_EES6_b
    .private_segment_fixed_size: 0
    .sgpr_count:     44
    .sgpr_spill_count: 0
    .symbol:         _ZN2at6native18radixSortKVInPlaceILin2ELin1ELi16ELi2EiljEEvNS_4cuda6detail10TensorInfoIT3_T5_EES6_S6_S6_NS4_IT4_S6_EES6_b.kd
    .uniform_work_group_size: 1
    .uses_dynamic_stack: false
    .vgpr_count:     38
    .vgpr_spill_count: 0
    .wavefront_size: 64
  - .agpr_count:     0
    .args:
      - .offset:         0
        .size:           216
        .value_kind:     by_value
      - .offset:         216
        .size:           4
        .value_kind:     by_value
      - .offset:         220
        .size:           4
        .value_kind:     by_value
      - .offset:         224
        .size:           4
        .value_kind:     by_value
      - .offset:         232
        .size:           216
        .value_kind:     by_value
      - .offset:         448
        .size:           4
        .value_kind:     by_value
      - .offset:         452
        .size:           1
        .value_kind:     by_value
      - .offset:         456
        .size:           4
        .value_kind:     hidden_block_count_x
      - .offset:         460
        .size:           4
        .value_kind:     hidden_block_count_y
      - .offset:         464
        .size:           4
        .value_kind:     hidden_block_count_z
      - .offset:         468
        .size:           2
        .value_kind:     hidden_group_size_x
      - .offset:         470
        .size:           2
        .value_kind:     hidden_group_size_y
      - .offset:         472
        .size:           2
        .value_kind:     hidden_group_size_z
      - .offset:         474
        .size:           2
        .value_kind:     hidden_remainder_x
      - .offset:         476
        .size:           2
        .value_kind:     hidden_remainder_y
      - .offset:         478
        .size:           2
        .value_kind:     hidden_remainder_z
      - .offset:         496
        .size:           8
        .value_kind:     hidden_global_offset_x
      - .offset:         504
        .size:           8
        .value_kind:     hidden_global_offset_y
      - .offset:         512
        .size:           8
        .value_kind:     hidden_global_offset_z
      - .offset:         520
        .size:           2
        .value_kind:     hidden_grid_dims
    .group_segment_fixed_size: 33792
    .kernarg_segment_align: 8
    .kernarg_segment_size: 712
    .language:       OpenCL C
    .language_version:
      - 2
      - 0
    .max_flat_workgroup_size: 512
    .name:           _ZN2at6native18radixSortKVInPlaceILi2ELin1ELi512ELi8EiljEEvNS_4cuda6detail10TensorInfoIT3_T5_EES6_S6_S6_NS4_IT4_S6_EES6_b
    .private_segment_fixed_size: 0
    .sgpr_count:     66
    .sgpr_spill_count: 0
    .symbol:         _ZN2at6native18radixSortKVInPlaceILi2ELin1ELi512ELi8EiljEEvNS_4cuda6detail10TensorInfoIT3_T5_EES6_S6_S6_NS4_IT4_S6_EES6_b.kd
    .uniform_work_group_size: 1
    .uses_dynamic_stack: false
    .vgpr_count:     128
    .vgpr_spill_count: 0
    .wavefront_size: 64
  - .agpr_count:     0
    .args:
      - .offset:         0
        .size:           216
        .value_kind:     by_value
      - .offset:         216
        .size:           4
        .value_kind:     by_value
      - .offset:         220
        .size:           4
        .value_kind:     by_value
      - .offset:         224
        .size:           4
        .value_kind:     by_value
      - .offset:         232
        .size:           216
        .value_kind:     by_value
      - .offset:         448
        .size:           4
        .value_kind:     by_value
      - .offset:         452
        .size:           1
        .value_kind:     by_value
      - .offset:         456
        .size:           4
        .value_kind:     hidden_block_count_x
      - .offset:         460
        .size:           4
        .value_kind:     hidden_block_count_y
      - .offset:         464
        .size:           4
        .value_kind:     hidden_block_count_z
      - .offset:         468
        .size:           2
        .value_kind:     hidden_group_size_x
      - .offset:         470
        .size:           2
        .value_kind:     hidden_group_size_y
      - .offset:         472
        .size:           2
        .value_kind:     hidden_group_size_z
      - .offset:         474
        .size:           2
        .value_kind:     hidden_remainder_x
      - .offset:         476
        .size:           2
        .value_kind:     hidden_remainder_y
      - .offset:         478
        .size:           2
        .value_kind:     hidden_remainder_z
      - .offset:         496
        .size:           8
        .value_kind:     hidden_global_offset_x
      - .offset:         504
        .size:           8
        .value_kind:     hidden_global_offset_y
      - .offset:         512
        .size:           8
        .value_kind:     hidden_global_offset_z
      - .offset:         520
        .size:           2
        .value_kind:     hidden_grid_dims
    .group_segment_fixed_size: 16896
    .kernarg_segment_align: 8
    .kernarg_segment_size: 712
    .language:       OpenCL C
    .language_version:
      - 2
      - 0
    .max_flat_workgroup_size: 256
    .name:           _ZN2at6native18radixSortKVInPlaceILi2ELin1ELi256ELi8EiljEEvNS_4cuda6detail10TensorInfoIT3_T5_EES6_S6_S6_NS4_IT4_S6_EES6_b
    .private_segment_fixed_size: 0
    .sgpr_count:     64
    .sgpr_spill_count: 0
    .symbol:         _ZN2at6native18radixSortKVInPlaceILi2ELin1ELi256ELi8EiljEEvNS_4cuda6detail10TensorInfoIT3_T5_EES6_S6_S6_NS4_IT4_S6_EES6_b.kd
    .uniform_work_group_size: 1
    .uses_dynamic_stack: false
    .vgpr_count:     128
    .vgpr_spill_count: 0
    .wavefront_size: 64
  - .agpr_count:     0
    .args:
      - .offset:         0
        .size:           216
        .value_kind:     by_value
      - .offset:         216
        .size:           4
        .value_kind:     by_value
      - .offset:         220
        .size:           4
        .value_kind:     by_value
      - .offset:         224
        .size:           4
        .value_kind:     by_value
      - .offset:         232
        .size:           216
        .value_kind:     by_value
      - .offset:         448
        .size:           4
        .value_kind:     by_value
      - .offset:         452
        .size:           1
        .value_kind:     by_value
      - .offset:         456
        .size:           4
        .value_kind:     hidden_block_count_x
      - .offset:         460
        .size:           4
        .value_kind:     hidden_block_count_y
      - .offset:         464
        .size:           4
        .value_kind:     hidden_block_count_z
      - .offset:         468
        .size:           2
        .value_kind:     hidden_group_size_x
      - .offset:         470
        .size:           2
        .value_kind:     hidden_group_size_y
      - .offset:         472
        .size:           2
        .value_kind:     hidden_group_size_z
      - .offset:         474
        .size:           2
        .value_kind:     hidden_remainder_x
      - .offset:         476
        .size:           2
        .value_kind:     hidden_remainder_y
      - .offset:         478
        .size:           2
        .value_kind:     hidden_remainder_z
      - .offset:         496
        .size:           8
        .value_kind:     hidden_global_offset_x
      - .offset:         504
        .size:           8
        .value_kind:     hidden_global_offset_y
      - .offset:         512
        .size:           8
        .value_kind:     hidden_global_offset_z
      - .offset:         520
        .size:           2
        .value_kind:     hidden_grid_dims
    .group_segment_fixed_size: 8448
    .kernarg_segment_align: 8
    .kernarg_segment_size: 712
    .language:       OpenCL C
    .language_version:
      - 2
      - 0
    .max_flat_workgroup_size: 128
    .name:           _ZN2at6native18radixSortKVInPlaceILi2ELin1ELi128ELi8EiljEEvNS_4cuda6detail10TensorInfoIT3_T5_EES6_S6_S6_NS4_IT4_S6_EES6_b
    .private_segment_fixed_size: 0
    .sgpr_count:     62
    .sgpr_spill_count: 0
    .symbol:         _ZN2at6native18radixSortKVInPlaceILi2ELin1ELi128ELi8EiljEEvNS_4cuda6detail10TensorInfoIT3_T5_EES6_S6_S6_NS4_IT4_S6_EES6_b.kd
    .uniform_work_group_size: 1
    .uses_dynamic_stack: false
    .vgpr_count:     128
    .vgpr_spill_count: 0
    .wavefront_size: 64
  - .agpr_count:     0
    .args:
      - .offset:         0
        .size:           216
        .value_kind:     by_value
      - .offset:         216
        .size:           4
        .value_kind:     by_value
      - .offset:         220
        .size:           4
        .value_kind:     by_value
      - .offset:         224
        .size:           4
        .value_kind:     by_value
      - .offset:         232
        .size:           216
        .value_kind:     by_value
      - .offset:         448
        .size:           4
        .value_kind:     by_value
      - .offset:         452
        .size:           1
        .value_kind:     by_value
      - .offset:         456
        .size:           4
        .value_kind:     hidden_block_count_x
      - .offset:         460
        .size:           4
        .value_kind:     hidden_block_count_y
      - .offset:         464
        .size:           4
        .value_kind:     hidden_block_count_z
      - .offset:         468
        .size:           2
        .value_kind:     hidden_group_size_x
      - .offset:         470
        .size:           2
        .value_kind:     hidden_group_size_y
      - .offset:         472
        .size:           2
        .value_kind:     hidden_group_size_z
      - .offset:         474
        .size:           2
        .value_kind:     hidden_remainder_x
      - .offset:         476
        .size:           2
        .value_kind:     hidden_remainder_y
      - .offset:         478
        .size:           2
        .value_kind:     hidden_remainder_z
      - .offset:         496
        .size:           8
        .value_kind:     hidden_global_offset_x
      - .offset:         504
        .size:           8
        .value_kind:     hidden_global_offset_y
      - .offset:         512
        .size:           8
        .value_kind:     hidden_global_offset_z
      - .offset:         520
        .size:           2
        .value_kind:     hidden_grid_dims
    .group_segment_fixed_size: 1056
    .kernarg_segment_align: 8
    .kernarg_segment_size: 712
    .language:       OpenCL C
    .language_version:
      - 2
      - 0
    .max_flat_workgroup_size: 32
    .name:           _ZN2at6native18radixSortKVInPlaceILi2ELin1ELi32ELi4EiljEEvNS_4cuda6detail10TensorInfoIT3_T5_EES6_S6_S6_NS4_IT4_S6_EES6_b
    .private_segment_fixed_size: 0
    .sgpr_count:     50
    .sgpr_spill_count: 0
    .symbol:         _ZN2at6native18radixSortKVInPlaceILi2ELin1ELi32ELi4EiljEEvNS_4cuda6detail10TensorInfoIT3_T5_EES6_S6_S6_NS4_IT4_S6_EES6_b.kd
    .uniform_work_group_size: 1
    .uses_dynamic_stack: false
    .vgpr_count:     62
    .vgpr_spill_count: 0
    .wavefront_size: 64
  - .agpr_count:     0
    .args:
      - .offset:         0
        .size:           216
        .value_kind:     by_value
      - .offset:         216
        .size:           4
        .value_kind:     by_value
      - .offset:         220
        .size:           4
        .value_kind:     by_value
      - .offset:         224
        .size:           4
        .value_kind:     by_value
      - .offset:         232
        .size:           216
        .value_kind:     by_value
      - .offset:         448
        .size:           4
        .value_kind:     by_value
      - .offset:         452
        .size:           1
        .value_kind:     by_value
      - .offset:         456
        .size:           4
        .value_kind:     hidden_block_count_x
      - .offset:         460
        .size:           4
        .value_kind:     hidden_block_count_y
      - .offset:         464
        .size:           4
        .value_kind:     hidden_block_count_z
      - .offset:         468
        .size:           2
        .value_kind:     hidden_group_size_x
      - .offset:         470
        .size:           2
        .value_kind:     hidden_group_size_y
      - .offset:         472
        .size:           2
        .value_kind:     hidden_group_size_z
      - .offset:         474
        .size:           2
        .value_kind:     hidden_remainder_x
      - .offset:         476
        .size:           2
        .value_kind:     hidden_remainder_y
      - .offset:         478
        .size:           2
        .value_kind:     hidden_remainder_z
      - .offset:         496
        .size:           8
        .value_kind:     hidden_global_offset_x
      - .offset:         504
        .size:           8
        .value_kind:     hidden_global_offset_y
      - .offset:         512
        .size:           8
        .value_kind:     hidden_global_offset_z
      - .offset:         520
        .size:           2
        .value_kind:     hidden_grid_dims
    .group_segment_fixed_size: 528
    .kernarg_segment_align: 8
    .kernarg_segment_size: 712
    .language:       OpenCL C
    .language_version:
      - 2
      - 0
    .max_flat_workgroup_size: 16
    .name:           _ZN2at6native18radixSortKVInPlaceILi2ELin1ELi16ELi2EiljEEvNS_4cuda6detail10TensorInfoIT3_T5_EES6_S6_S6_NS4_IT4_S6_EES6_b
    .private_segment_fixed_size: 0
    .sgpr_count:     44
    .sgpr_spill_count: 0
    .symbol:         _ZN2at6native18radixSortKVInPlaceILi2ELin1ELi16ELi2EiljEEvNS_4cuda6detail10TensorInfoIT3_T5_EES6_S6_S6_NS4_IT4_S6_EES6_b.kd
    .uniform_work_group_size: 1
    .uses_dynamic_stack: false
    .vgpr_count:     38
    .vgpr_spill_count: 0
    .wavefront_size: 64
  - .agpr_count:     0
    .args:
      - .offset:         0
        .size:           216
        .value_kind:     by_value
      - .offset:         216
        .size:           4
        .value_kind:     by_value
      - .offset:         220
        .size:           4
        .value_kind:     by_value
      - .offset:         224
        .size:           4
        .value_kind:     by_value
      - .offset:         232
        .size:           216
        .value_kind:     by_value
      - .offset:         448
        .size:           4
        .value_kind:     by_value
      - .offset:         452
        .size:           1
        .value_kind:     by_value
      - .offset:         456
        .size:           4
        .value_kind:     hidden_block_count_x
      - .offset:         460
        .size:           4
        .value_kind:     hidden_block_count_y
      - .offset:         464
        .size:           4
        .value_kind:     hidden_block_count_z
      - .offset:         468
        .size:           2
        .value_kind:     hidden_group_size_x
      - .offset:         470
        .size:           2
        .value_kind:     hidden_group_size_y
      - .offset:         472
        .size:           2
        .value_kind:     hidden_group_size_z
      - .offset:         474
        .size:           2
        .value_kind:     hidden_remainder_x
      - .offset:         476
        .size:           2
        .value_kind:     hidden_remainder_y
      - .offset:         478
        .size:           2
        .value_kind:     hidden_remainder_z
      - .offset:         496
        .size:           8
        .value_kind:     hidden_global_offset_x
      - .offset:         504
        .size:           8
        .value_kind:     hidden_global_offset_y
      - .offset:         512
        .size:           8
        .value_kind:     hidden_global_offset_z
      - .offset:         520
        .size:           2
        .value_kind:     hidden_grid_dims
    .group_segment_fixed_size: 33792
    .kernarg_segment_align: 8
    .kernarg_segment_size: 712
    .language:       OpenCL C
    .language_version:
      - 2
      - 0
    .max_flat_workgroup_size: 512
    .name:           _ZN2at6native18radixSortKVInPlaceILin1ELin1ELi512ELi8EiljEEvNS_4cuda6detail10TensorInfoIT3_T5_EES6_S6_S6_NS4_IT4_S6_EES6_b
    .private_segment_fixed_size: 0
    .sgpr_count:     66
    .sgpr_spill_count: 0
    .symbol:         _ZN2at6native18radixSortKVInPlaceILin1ELin1ELi512ELi8EiljEEvNS_4cuda6detail10TensorInfoIT3_T5_EES6_S6_S6_NS4_IT4_S6_EES6_b.kd
    .uniform_work_group_size: 1
    .uses_dynamic_stack: false
    .vgpr_count:     128
    .vgpr_spill_count: 0
    .wavefront_size: 64
  - .agpr_count:     0
    .args:
      - .offset:         0
        .size:           216
        .value_kind:     by_value
      - .offset:         216
        .size:           4
        .value_kind:     by_value
      - .offset:         220
        .size:           4
        .value_kind:     by_value
      - .offset:         224
        .size:           4
        .value_kind:     by_value
      - .offset:         232
        .size:           216
        .value_kind:     by_value
      - .offset:         448
        .size:           4
        .value_kind:     by_value
      - .offset:         452
        .size:           1
        .value_kind:     by_value
      - .offset:         456
        .size:           4
        .value_kind:     hidden_block_count_x
      - .offset:         460
        .size:           4
        .value_kind:     hidden_block_count_y
      - .offset:         464
        .size:           4
        .value_kind:     hidden_block_count_z
      - .offset:         468
        .size:           2
        .value_kind:     hidden_group_size_x
      - .offset:         470
        .size:           2
        .value_kind:     hidden_group_size_y
      - .offset:         472
        .size:           2
        .value_kind:     hidden_group_size_z
      - .offset:         474
        .size:           2
        .value_kind:     hidden_remainder_x
      - .offset:         476
        .size:           2
        .value_kind:     hidden_remainder_y
      - .offset:         478
        .size:           2
        .value_kind:     hidden_remainder_z
      - .offset:         496
        .size:           8
        .value_kind:     hidden_global_offset_x
      - .offset:         504
        .size:           8
        .value_kind:     hidden_global_offset_y
      - .offset:         512
        .size:           8
        .value_kind:     hidden_global_offset_z
      - .offset:         520
        .size:           2
        .value_kind:     hidden_grid_dims
    .group_segment_fixed_size: 16896
    .kernarg_segment_align: 8
    .kernarg_segment_size: 712
    .language:       OpenCL C
    .language_version:
      - 2
      - 0
    .max_flat_workgroup_size: 256
    .name:           _ZN2at6native18radixSortKVInPlaceILin1ELin1ELi256ELi8EiljEEvNS_4cuda6detail10TensorInfoIT3_T5_EES6_S6_S6_NS4_IT4_S6_EES6_b
    .private_segment_fixed_size: 0
    .sgpr_count:     64
    .sgpr_spill_count: 0
    .symbol:         _ZN2at6native18radixSortKVInPlaceILin1ELin1ELi256ELi8EiljEEvNS_4cuda6detail10TensorInfoIT3_T5_EES6_S6_S6_NS4_IT4_S6_EES6_b.kd
    .uniform_work_group_size: 1
    .uses_dynamic_stack: false
    .vgpr_count:     128
    .vgpr_spill_count: 0
    .wavefront_size: 64
  - .agpr_count:     0
    .args:
      - .offset:         0
        .size:           216
        .value_kind:     by_value
      - .offset:         216
        .size:           4
        .value_kind:     by_value
      - .offset:         220
        .size:           4
        .value_kind:     by_value
      - .offset:         224
        .size:           4
        .value_kind:     by_value
      - .offset:         232
        .size:           216
        .value_kind:     by_value
      - .offset:         448
        .size:           4
        .value_kind:     by_value
      - .offset:         452
        .size:           1
        .value_kind:     by_value
      - .offset:         456
        .size:           4
        .value_kind:     hidden_block_count_x
      - .offset:         460
        .size:           4
        .value_kind:     hidden_block_count_y
      - .offset:         464
        .size:           4
        .value_kind:     hidden_block_count_z
      - .offset:         468
        .size:           2
        .value_kind:     hidden_group_size_x
      - .offset:         470
        .size:           2
        .value_kind:     hidden_group_size_y
      - .offset:         472
        .size:           2
        .value_kind:     hidden_group_size_z
      - .offset:         474
        .size:           2
        .value_kind:     hidden_remainder_x
      - .offset:         476
        .size:           2
        .value_kind:     hidden_remainder_y
      - .offset:         478
        .size:           2
        .value_kind:     hidden_remainder_z
      - .offset:         496
        .size:           8
        .value_kind:     hidden_global_offset_x
      - .offset:         504
        .size:           8
        .value_kind:     hidden_global_offset_y
      - .offset:         512
        .size:           8
        .value_kind:     hidden_global_offset_z
      - .offset:         520
        .size:           2
        .value_kind:     hidden_grid_dims
    .group_segment_fixed_size: 8448
    .kernarg_segment_align: 8
    .kernarg_segment_size: 712
    .language:       OpenCL C
    .language_version:
      - 2
      - 0
    .max_flat_workgroup_size: 128
    .name:           _ZN2at6native18radixSortKVInPlaceILin1ELin1ELi128ELi8EiljEEvNS_4cuda6detail10TensorInfoIT3_T5_EES6_S6_S6_NS4_IT4_S6_EES6_b
    .private_segment_fixed_size: 0
    .sgpr_count:     62
    .sgpr_spill_count: 0
    .symbol:         _ZN2at6native18radixSortKVInPlaceILin1ELin1ELi128ELi8EiljEEvNS_4cuda6detail10TensorInfoIT3_T5_EES6_S6_S6_NS4_IT4_S6_EES6_b.kd
    .uniform_work_group_size: 1
    .uses_dynamic_stack: false
    .vgpr_count:     128
    .vgpr_spill_count: 0
    .wavefront_size: 64
  - .agpr_count:     0
    .args:
      - .offset:         0
        .size:           216
        .value_kind:     by_value
      - .offset:         216
        .size:           4
        .value_kind:     by_value
      - .offset:         220
        .size:           4
        .value_kind:     by_value
      - .offset:         224
        .size:           4
        .value_kind:     by_value
      - .offset:         232
        .size:           216
        .value_kind:     by_value
      - .offset:         448
        .size:           4
        .value_kind:     by_value
      - .offset:         452
        .size:           1
        .value_kind:     by_value
      - .offset:         456
        .size:           4
        .value_kind:     hidden_block_count_x
      - .offset:         460
        .size:           4
        .value_kind:     hidden_block_count_y
      - .offset:         464
        .size:           4
        .value_kind:     hidden_block_count_z
      - .offset:         468
        .size:           2
        .value_kind:     hidden_group_size_x
      - .offset:         470
        .size:           2
        .value_kind:     hidden_group_size_y
      - .offset:         472
        .size:           2
        .value_kind:     hidden_group_size_z
      - .offset:         474
        .size:           2
        .value_kind:     hidden_remainder_x
      - .offset:         476
        .size:           2
        .value_kind:     hidden_remainder_y
      - .offset:         478
        .size:           2
        .value_kind:     hidden_remainder_z
      - .offset:         496
        .size:           8
        .value_kind:     hidden_global_offset_x
      - .offset:         504
        .size:           8
        .value_kind:     hidden_global_offset_y
      - .offset:         512
        .size:           8
        .value_kind:     hidden_global_offset_z
      - .offset:         520
        .size:           2
        .value_kind:     hidden_grid_dims
    .group_segment_fixed_size: 1056
    .kernarg_segment_align: 8
    .kernarg_segment_size: 712
    .language:       OpenCL C
    .language_version:
      - 2
      - 0
    .max_flat_workgroup_size: 32
    .name:           _ZN2at6native18radixSortKVInPlaceILin1ELin1ELi32ELi4EiljEEvNS_4cuda6detail10TensorInfoIT3_T5_EES6_S6_S6_NS4_IT4_S6_EES6_b
    .private_segment_fixed_size: 0
    .sgpr_count:     50
    .sgpr_spill_count: 0
    .symbol:         _ZN2at6native18radixSortKVInPlaceILin1ELin1ELi32ELi4EiljEEvNS_4cuda6detail10TensorInfoIT3_T5_EES6_S6_S6_NS4_IT4_S6_EES6_b.kd
    .uniform_work_group_size: 1
    .uses_dynamic_stack: false
    .vgpr_count:     62
    .vgpr_spill_count: 0
    .wavefront_size: 64
  - .agpr_count:     0
    .args:
      - .offset:         0
        .size:           216
        .value_kind:     by_value
      - .offset:         216
        .size:           4
        .value_kind:     by_value
      - .offset:         220
        .size:           4
        .value_kind:     by_value
      - .offset:         224
        .size:           4
        .value_kind:     by_value
      - .offset:         232
        .size:           216
        .value_kind:     by_value
      - .offset:         448
        .size:           4
        .value_kind:     by_value
      - .offset:         452
        .size:           1
        .value_kind:     by_value
      - .offset:         456
        .size:           4
        .value_kind:     hidden_block_count_x
      - .offset:         460
        .size:           4
        .value_kind:     hidden_block_count_y
      - .offset:         464
        .size:           4
        .value_kind:     hidden_block_count_z
      - .offset:         468
        .size:           2
        .value_kind:     hidden_group_size_x
      - .offset:         470
        .size:           2
        .value_kind:     hidden_group_size_y
      - .offset:         472
        .size:           2
        .value_kind:     hidden_group_size_z
      - .offset:         474
        .size:           2
        .value_kind:     hidden_remainder_x
      - .offset:         476
        .size:           2
        .value_kind:     hidden_remainder_y
      - .offset:         478
        .size:           2
        .value_kind:     hidden_remainder_z
      - .offset:         496
        .size:           8
        .value_kind:     hidden_global_offset_x
      - .offset:         504
        .size:           8
        .value_kind:     hidden_global_offset_y
      - .offset:         512
        .size:           8
        .value_kind:     hidden_global_offset_z
      - .offset:         520
        .size:           2
        .value_kind:     hidden_grid_dims
    .group_segment_fixed_size: 528
    .kernarg_segment_align: 8
    .kernarg_segment_size: 712
    .language:       OpenCL C
    .language_version:
      - 2
      - 0
    .max_flat_workgroup_size: 16
    .name:           _ZN2at6native18radixSortKVInPlaceILin1ELin1ELi16ELi2EiljEEvNS_4cuda6detail10TensorInfoIT3_T5_EES6_S6_S6_NS4_IT4_S6_EES6_b
    .private_segment_fixed_size: 0
    .sgpr_count:     44
    .sgpr_spill_count: 0
    .symbol:         _ZN2at6native18radixSortKVInPlaceILin1ELin1ELi16ELi2EiljEEvNS_4cuda6detail10TensorInfoIT3_T5_EES6_S6_S6_NS4_IT4_S6_EES6_b.kd
    .uniform_work_group_size: 1
    .uses_dynamic_stack: false
    .vgpr_count:     38
    .vgpr_spill_count: 0
    .wavefront_size: 64
  - .agpr_count:     0
    .args:
      - .offset:         0
        .size:           416
        .value_kind:     by_value
      - .offset:         416
        .size:           8
        .value_kind:     by_value
      - .offset:         424
        .size:           8
        .value_kind:     by_value
      - .offset:         432
        .size:           8
        .value_kind:     by_value
      - .offset:         440
        .size:           416
        .value_kind:     by_value
      - .offset:         856
        .size:           8
        .value_kind:     by_value
      - .offset:         864
        .size:           1
        .value_kind:     by_value
      - .offset:         872
        .size:           4
        .value_kind:     hidden_block_count_x
      - .offset:         876
        .size:           4
        .value_kind:     hidden_block_count_y
      - .offset:         880
        .size:           4
        .value_kind:     hidden_block_count_z
      - .offset:         884
        .size:           2
        .value_kind:     hidden_group_size_x
      - .offset:         886
        .size:           2
        .value_kind:     hidden_group_size_y
      - .offset:         888
        .size:           2
        .value_kind:     hidden_group_size_z
      - .offset:         890
        .size:           2
        .value_kind:     hidden_remainder_x
      - .offset:         892
        .size:           2
        .value_kind:     hidden_remainder_y
      - .offset:         894
        .size:           2
        .value_kind:     hidden_remainder_z
      - .offset:         912
        .size:           8
        .value_kind:     hidden_global_offset_x
      - .offset:         920
        .size:           8
        .value_kind:     hidden_global_offset_y
      - .offset:         928
        .size:           8
        .value_kind:     hidden_global_offset_z
      - .offset:         936
        .size:           2
        .value_kind:     hidden_grid_dims
    .group_segment_fixed_size: 33792
    .kernarg_segment_align: 8
    .kernarg_segment_size: 1128
    .language:       OpenCL C
    .language_version:
      - 2
      - 0
    .max_flat_workgroup_size: 512
    .name:           _ZN2at6native18radixSortKVInPlaceILin1ELin1ELi512ELi8EilmEEvNS_4cuda6detail10TensorInfoIT3_T5_EES6_S6_S6_NS4_IT4_S6_EES6_b
    .private_segment_fixed_size: 0
    .sgpr_count:     68
    .sgpr_spill_count: 0
    .symbol:         _ZN2at6native18radixSortKVInPlaceILin1ELin1ELi512ELi8EilmEEvNS_4cuda6detail10TensorInfoIT3_T5_EES6_S6_S6_NS4_IT4_S6_EES6_b.kd
    .uniform_work_group_size: 1
    .uses_dynamic_stack: false
    .vgpr_count:     126
    .vgpr_spill_count: 0
    .wavefront_size: 64
  - .agpr_count:     0
    .args:
      - .offset:         0
        .size:           416
        .value_kind:     by_value
      - .offset:         416
        .size:           8
        .value_kind:     by_value
      - .offset:         424
        .size:           8
        .value_kind:     by_value
      - .offset:         432
        .size:           8
        .value_kind:     by_value
      - .offset:         440
        .size:           416
        .value_kind:     by_value
      - .offset:         856
        .size:           8
        .value_kind:     by_value
      - .offset:         864
        .size:           1
        .value_kind:     by_value
      - .offset:         872
        .size:           4
        .value_kind:     hidden_block_count_x
      - .offset:         876
        .size:           4
        .value_kind:     hidden_block_count_y
      - .offset:         880
        .size:           4
        .value_kind:     hidden_block_count_z
      - .offset:         884
        .size:           2
        .value_kind:     hidden_group_size_x
      - .offset:         886
        .size:           2
        .value_kind:     hidden_group_size_y
      - .offset:         888
        .size:           2
        .value_kind:     hidden_group_size_z
      - .offset:         890
        .size:           2
        .value_kind:     hidden_remainder_x
      - .offset:         892
        .size:           2
        .value_kind:     hidden_remainder_y
      - .offset:         894
        .size:           2
        .value_kind:     hidden_remainder_z
      - .offset:         912
        .size:           8
        .value_kind:     hidden_global_offset_x
      - .offset:         920
        .size:           8
        .value_kind:     hidden_global_offset_y
      - .offset:         928
        .size:           8
        .value_kind:     hidden_global_offset_z
      - .offset:         936
        .size:           2
        .value_kind:     hidden_grid_dims
    .group_segment_fixed_size: 16896
    .kernarg_segment_align: 8
    .kernarg_segment_size: 1128
    .language:       OpenCL C
    .language_version:
      - 2
      - 0
    .max_flat_workgroup_size: 256
    .name:           _ZN2at6native18radixSortKVInPlaceILin1ELin1ELi256ELi8EilmEEvNS_4cuda6detail10TensorInfoIT3_T5_EES6_S6_S6_NS4_IT4_S6_EES6_b
    .private_segment_fixed_size: 0
    .sgpr_count:     66
    .sgpr_spill_count: 0
    .symbol:         _ZN2at6native18radixSortKVInPlaceILin1ELin1ELi256ELi8EilmEEvNS_4cuda6detail10TensorInfoIT3_T5_EES6_S6_S6_NS4_IT4_S6_EES6_b.kd
    .uniform_work_group_size: 1
    .uses_dynamic_stack: false
    .vgpr_count:     126
    .vgpr_spill_count: 0
    .wavefront_size: 64
  - .agpr_count:     0
    .args:
      - .offset:         0
        .size:           416
        .value_kind:     by_value
      - .offset:         416
        .size:           8
        .value_kind:     by_value
      - .offset:         424
        .size:           8
        .value_kind:     by_value
      - .offset:         432
        .size:           8
        .value_kind:     by_value
      - .offset:         440
        .size:           416
        .value_kind:     by_value
      - .offset:         856
        .size:           8
        .value_kind:     by_value
      - .offset:         864
        .size:           1
        .value_kind:     by_value
      - .offset:         872
        .size:           4
        .value_kind:     hidden_block_count_x
      - .offset:         876
        .size:           4
        .value_kind:     hidden_block_count_y
      - .offset:         880
        .size:           4
        .value_kind:     hidden_block_count_z
      - .offset:         884
        .size:           2
        .value_kind:     hidden_group_size_x
      - .offset:         886
        .size:           2
        .value_kind:     hidden_group_size_y
      - .offset:         888
        .size:           2
        .value_kind:     hidden_group_size_z
      - .offset:         890
        .size:           2
        .value_kind:     hidden_remainder_x
      - .offset:         892
        .size:           2
        .value_kind:     hidden_remainder_y
      - .offset:         894
        .size:           2
        .value_kind:     hidden_remainder_z
      - .offset:         912
        .size:           8
        .value_kind:     hidden_global_offset_x
      - .offset:         920
        .size:           8
        .value_kind:     hidden_global_offset_y
      - .offset:         928
        .size:           8
        .value_kind:     hidden_global_offset_z
      - .offset:         936
        .size:           2
        .value_kind:     hidden_grid_dims
    .group_segment_fixed_size: 8448
    .kernarg_segment_align: 8
    .kernarg_segment_size: 1128
    .language:       OpenCL C
    .language_version:
      - 2
      - 0
    .max_flat_workgroup_size: 128
    .name:           _ZN2at6native18radixSortKVInPlaceILin1ELin1ELi128ELi8EilmEEvNS_4cuda6detail10TensorInfoIT3_T5_EES6_S6_S6_NS4_IT4_S6_EES6_b
    .private_segment_fixed_size: 0
    .sgpr_count:     64
    .sgpr_spill_count: 0
    .symbol:         _ZN2at6native18radixSortKVInPlaceILin1ELin1ELi128ELi8EilmEEvNS_4cuda6detail10TensorInfoIT3_T5_EES6_S6_S6_NS4_IT4_S6_EES6_b.kd
    .uniform_work_group_size: 1
    .uses_dynamic_stack: false
    .vgpr_count:     126
    .vgpr_spill_count: 0
    .wavefront_size: 64
  - .agpr_count:     0
    .args:
      - .offset:         0
        .size:           416
        .value_kind:     by_value
      - .offset:         416
        .size:           8
        .value_kind:     by_value
      - .offset:         424
        .size:           8
        .value_kind:     by_value
      - .offset:         432
        .size:           8
        .value_kind:     by_value
      - .offset:         440
        .size:           416
        .value_kind:     by_value
      - .offset:         856
        .size:           8
        .value_kind:     by_value
      - .offset:         864
        .size:           1
        .value_kind:     by_value
      - .offset:         872
        .size:           4
        .value_kind:     hidden_block_count_x
      - .offset:         876
        .size:           4
        .value_kind:     hidden_block_count_y
      - .offset:         880
        .size:           4
        .value_kind:     hidden_block_count_z
      - .offset:         884
        .size:           2
        .value_kind:     hidden_group_size_x
      - .offset:         886
        .size:           2
        .value_kind:     hidden_group_size_y
      - .offset:         888
        .size:           2
        .value_kind:     hidden_group_size_z
      - .offset:         890
        .size:           2
        .value_kind:     hidden_remainder_x
      - .offset:         892
        .size:           2
        .value_kind:     hidden_remainder_y
      - .offset:         894
        .size:           2
        .value_kind:     hidden_remainder_z
      - .offset:         912
        .size:           8
        .value_kind:     hidden_global_offset_x
      - .offset:         920
        .size:           8
        .value_kind:     hidden_global_offset_y
      - .offset:         928
        .size:           8
        .value_kind:     hidden_global_offset_z
      - .offset:         936
        .size:           2
        .value_kind:     hidden_grid_dims
    .group_segment_fixed_size: 1056
    .kernarg_segment_align: 8
    .kernarg_segment_size: 1128
    .language:       OpenCL C
    .language_version:
      - 2
      - 0
    .max_flat_workgroup_size: 32
    .name:           _ZN2at6native18radixSortKVInPlaceILin1ELin1ELi32ELi4EilmEEvNS_4cuda6detail10TensorInfoIT3_T5_EES6_S6_S6_NS4_IT4_S6_EES6_b
    .private_segment_fixed_size: 0
    .sgpr_count:     52
    .sgpr_spill_count: 0
    .symbol:         _ZN2at6native18radixSortKVInPlaceILin1ELin1ELi32ELi4EilmEEvNS_4cuda6detail10TensorInfoIT3_T5_EES6_S6_S6_NS4_IT4_S6_EES6_b.kd
    .uniform_work_group_size: 1
    .uses_dynamic_stack: false
    .vgpr_count:     60
    .vgpr_spill_count: 0
    .wavefront_size: 64
  - .agpr_count:     0
    .args:
      - .offset:         0
        .size:           416
        .value_kind:     by_value
      - .offset:         416
        .size:           8
        .value_kind:     by_value
      - .offset:         424
        .size:           8
        .value_kind:     by_value
      - .offset:         432
        .size:           8
        .value_kind:     by_value
      - .offset:         440
        .size:           416
        .value_kind:     by_value
      - .offset:         856
        .size:           8
        .value_kind:     by_value
      - .offset:         864
        .size:           1
        .value_kind:     by_value
      - .offset:         872
        .size:           4
        .value_kind:     hidden_block_count_x
      - .offset:         876
        .size:           4
        .value_kind:     hidden_block_count_y
      - .offset:         880
        .size:           4
        .value_kind:     hidden_block_count_z
      - .offset:         884
        .size:           2
        .value_kind:     hidden_group_size_x
      - .offset:         886
        .size:           2
        .value_kind:     hidden_group_size_y
      - .offset:         888
        .size:           2
        .value_kind:     hidden_group_size_z
      - .offset:         890
        .size:           2
        .value_kind:     hidden_remainder_x
      - .offset:         892
        .size:           2
        .value_kind:     hidden_remainder_y
      - .offset:         894
        .size:           2
        .value_kind:     hidden_remainder_z
      - .offset:         912
        .size:           8
        .value_kind:     hidden_global_offset_x
      - .offset:         920
        .size:           8
        .value_kind:     hidden_global_offset_y
      - .offset:         928
        .size:           8
        .value_kind:     hidden_global_offset_z
      - .offset:         936
        .size:           2
        .value_kind:     hidden_grid_dims
    .group_segment_fixed_size: 528
    .kernarg_segment_align: 8
    .kernarg_segment_size: 1128
    .language:       OpenCL C
    .language_version:
      - 2
      - 0
    .max_flat_workgroup_size: 16
    .name:           _ZN2at6native18radixSortKVInPlaceILin1ELin1ELi16ELi2EilmEEvNS_4cuda6detail10TensorInfoIT3_T5_EES6_S6_S6_NS4_IT4_S6_EES6_b
    .private_segment_fixed_size: 0
    .sgpr_count:     46
    .sgpr_spill_count: 0
    .symbol:         _ZN2at6native18radixSortKVInPlaceILin1ELin1ELi16ELi2EilmEEvNS_4cuda6detail10TensorInfoIT3_T5_EES6_S6_S6_NS4_IT4_S6_EES6_b.kd
    .uniform_work_group_size: 1
    .uses_dynamic_stack: false
    .vgpr_count:     36
    .vgpr_spill_count: 0
    .wavefront_size: 64
  - .agpr_count:     0
    .args:
      - .offset:         0
        .size:           216
        .value_kind:     by_value
      - .offset:         216
        .size:           4
        .value_kind:     by_value
      - .offset:         220
        .size:           4
        .value_kind:     by_value
      - .offset:         224
        .size:           4
        .value_kind:     by_value
      - .offset:         232
        .size:           216
        .value_kind:     by_value
      - .offset:         448
        .size:           4
        .value_kind:     by_value
      - .offset:         452
        .size:           1
        .value_kind:     by_value
      - .offset:         456
        .size:           4
        .value_kind:     hidden_block_count_x
      - .offset:         460
        .size:           4
        .value_kind:     hidden_block_count_y
      - .offset:         464
        .size:           4
        .value_kind:     hidden_block_count_z
      - .offset:         468
        .size:           2
        .value_kind:     hidden_group_size_x
      - .offset:         470
        .size:           2
        .value_kind:     hidden_group_size_y
      - .offset:         472
        .size:           2
        .value_kind:     hidden_group_size_z
      - .offset:         474
        .size:           2
        .value_kind:     hidden_remainder_x
      - .offset:         476
        .size:           2
        .value_kind:     hidden_remainder_y
      - .offset:         478
        .size:           2
        .value_kind:     hidden_remainder_z
      - .offset:         496
        .size:           8
        .value_kind:     hidden_global_offset_x
      - .offset:         504
        .size:           8
        .value_kind:     hidden_global_offset_y
      - .offset:         512
        .size:           8
        .value_kind:     hidden_global_offset_z
      - .offset:         520
        .size:           2
        .value_kind:     hidden_grid_dims
    .group_segment_fixed_size: 33792
    .kernarg_segment_align: 8
    .kernarg_segment_size: 712
    .language:       OpenCL C
    .language_version:
      - 2
      - 0
    .max_flat_workgroup_size: 512
    .name:           _ZN2at6native18radixSortKVInPlaceILin2ELin1ELi512ELi8ElljEEvNS_4cuda6detail10TensorInfoIT3_T5_EES6_S6_S6_NS4_IT4_S6_EES6_b
    .private_segment_fixed_size: 0
    .sgpr_count:     66
    .sgpr_spill_count: 0
    .symbol:         _ZN2at6native18radixSortKVInPlaceILin2ELin1ELi512ELi8ElljEEvNS_4cuda6detail10TensorInfoIT3_T5_EES6_S6_S6_NS4_IT4_S6_EES6_b.kd
    .uniform_work_group_size: 1
    .uses_dynamic_stack: false
    .vgpr_count:     139
    .vgpr_spill_count: 0
    .wavefront_size: 64
  - .agpr_count:     0
    .args:
      - .offset:         0
        .size:           216
        .value_kind:     by_value
      - .offset:         216
        .size:           4
        .value_kind:     by_value
      - .offset:         220
        .size:           4
        .value_kind:     by_value
      - .offset:         224
        .size:           4
        .value_kind:     by_value
      - .offset:         232
        .size:           216
        .value_kind:     by_value
      - .offset:         448
        .size:           4
        .value_kind:     by_value
      - .offset:         452
        .size:           1
        .value_kind:     by_value
      - .offset:         456
        .size:           4
        .value_kind:     hidden_block_count_x
      - .offset:         460
        .size:           4
        .value_kind:     hidden_block_count_y
      - .offset:         464
        .size:           4
        .value_kind:     hidden_block_count_z
      - .offset:         468
        .size:           2
        .value_kind:     hidden_group_size_x
      - .offset:         470
        .size:           2
        .value_kind:     hidden_group_size_y
      - .offset:         472
        .size:           2
        .value_kind:     hidden_group_size_z
      - .offset:         474
        .size:           2
        .value_kind:     hidden_remainder_x
      - .offset:         476
        .size:           2
        .value_kind:     hidden_remainder_y
      - .offset:         478
        .size:           2
        .value_kind:     hidden_remainder_z
      - .offset:         496
        .size:           8
        .value_kind:     hidden_global_offset_x
      - .offset:         504
        .size:           8
        .value_kind:     hidden_global_offset_y
      - .offset:         512
        .size:           8
        .value_kind:     hidden_global_offset_z
      - .offset:         520
        .size:           2
        .value_kind:     hidden_grid_dims
    .group_segment_fixed_size: 16896
    .kernarg_segment_align: 8
    .kernarg_segment_size: 712
    .language:       OpenCL C
    .language_version:
      - 2
      - 0
    .max_flat_workgroup_size: 256
    .name:           _ZN2at6native18radixSortKVInPlaceILin2ELin1ELi256ELi8ElljEEvNS_4cuda6detail10TensorInfoIT3_T5_EES6_S6_S6_NS4_IT4_S6_EES6_b
    .private_segment_fixed_size: 0
    .sgpr_count:     64
    .sgpr_spill_count: 0
    .symbol:         _ZN2at6native18radixSortKVInPlaceILin2ELin1ELi256ELi8ElljEEvNS_4cuda6detail10TensorInfoIT3_T5_EES6_S6_S6_NS4_IT4_S6_EES6_b.kd
    .uniform_work_group_size: 1
    .uses_dynamic_stack: false
    .vgpr_count:     139
    .vgpr_spill_count: 0
    .wavefront_size: 64
  - .agpr_count:     0
    .args:
      - .offset:         0
        .size:           216
        .value_kind:     by_value
      - .offset:         216
        .size:           4
        .value_kind:     by_value
      - .offset:         220
        .size:           4
        .value_kind:     by_value
      - .offset:         224
        .size:           4
        .value_kind:     by_value
      - .offset:         232
        .size:           216
        .value_kind:     by_value
      - .offset:         448
        .size:           4
        .value_kind:     by_value
      - .offset:         452
        .size:           1
        .value_kind:     by_value
      - .offset:         456
        .size:           4
        .value_kind:     hidden_block_count_x
      - .offset:         460
        .size:           4
        .value_kind:     hidden_block_count_y
      - .offset:         464
        .size:           4
        .value_kind:     hidden_block_count_z
      - .offset:         468
        .size:           2
        .value_kind:     hidden_group_size_x
      - .offset:         470
        .size:           2
        .value_kind:     hidden_group_size_y
      - .offset:         472
        .size:           2
        .value_kind:     hidden_group_size_z
      - .offset:         474
        .size:           2
        .value_kind:     hidden_remainder_x
      - .offset:         476
        .size:           2
        .value_kind:     hidden_remainder_y
      - .offset:         478
        .size:           2
        .value_kind:     hidden_remainder_z
      - .offset:         496
        .size:           8
        .value_kind:     hidden_global_offset_x
      - .offset:         504
        .size:           8
        .value_kind:     hidden_global_offset_y
      - .offset:         512
        .size:           8
        .value_kind:     hidden_global_offset_z
      - .offset:         520
        .size:           2
        .value_kind:     hidden_grid_dims
    .group_segment_fixed_size: 8448
    .kernarg_segment_align: 8
    .kernarg_segment_size: 712
    .language:       OpenCL C
    .language_version:
      - 2
      - 0
    .max_flat_workgroup_size: 128
    .name:           _ZN2at6native18radixSortKVInPlaceILin2ELin1ELi128ELi8ElljEEvNS_4cuda6detail10TensorInfoIT3_T5_EES6_S6_S6_NS4_IT4_S6_EES6_b
    .private_segment_fixed_size: 0
    .sgpr_count:     62
    .sgpr_spill_count: 0
    .symbol:         _ZN2at6native18radixSortKVInPlaceILin2ELin1ELi128ELi8ElljEEvNS_4cuda6detail10TensorInfoIT3_T5_EES6_S6_S6_NS4_IT4_S6_EES6_b.kd
    .uniform_work_group_size: 1
    .uses_dynamic_stack: false
    .vgpr_count:     139
    .vgpr_spill_count: 0
    .wavefront_size: 64
  - .agpr_count:     0
    .args:
      - .offset:         0
        .size:           216
        .value_kind:     by_value
      - .offset:         216
        .size:           4
        .value_kind:     by_value
      - .offset:         220
        .size:           4
        .value_kind:     by_value
      - .offset:         224
        .size:           4
        .value_kind:     by_value
      - .offset:         232
        .size:           216
        .value_kind:     by_value
      - .offset:         448
        .size:           4
        .value_kind:     by_value
      - .offset:         452
        .size:           1
        .value_kind:     by_value
      - .offset:         456
        .size:           4
        .value_kind:     hidden_block_count_x
      - .offset:         460
        .size:           4
        .value_kind:     hidden_block_count_y
      - .offset:         464
        .size:           4
        .value_kind:     hidden_block_count_z
      - .offset:         468
        .size:           2
        .value_kind:     hidden_group_size_x
      - .offset:         470
        .size:           2
        .value_kind:     hidden_group_size_y
      - .offset:         472
        .size:           2
        .value_kind:     hidden_group_size_z
      - .offset:         474
        .size:           2
        .value_kind:     hidden_remainder_x
      - .offset:         476
        .size:           2
        .value_kind:     hidden_remainder_y
      - .offset:         478
        .size:           2
        .value_kind:     hidden_remainder_z
      - .offset:         496
        .size:           8
        .value_kind:     hidden_global_offset_x
      - .offset:         504
        .size:           8
        .value_kind:     hidden_global_offset_y
      - .offset:         512
        .size:           8
        .value_kind:     hidden_global_offset_z
      - .offset:         520
        .size:           2
        .value_kind:     hidden_grid_dims
    .group_segment_fixed_size: 1056
    .kernarg_segment_align: 8
    .kernarg_segment_size: 712
    .language:       OpenCL C
    .language_version:
      - 2
      - 0
    .max_flat_workgroup_size: 32
    .name:           _ZN2at6native18radixSortKVInPlaceILin2ELin1ELi32ELi4ElljEEvNS_4cuda6detail10TensorInfoIT3_T5_EES6_S6_S6_NS4_IT4_S6_EES6_b
    .private_segment_fixed_size: 0
    .sgpr_count:     50
    .sgpr_spill_count: 0
    .symbol:         _ZN2at6native18radixSortKVInPlaceILin2ELin1ELi32ELi4ElljEEvNS_4cuda6detail10TensorInfoIT3_T5_EES6_S6_S6_NS4_IT4_S6_EES6_b.kd
    .uniform_work_group_size: 1
    .uses_dynamic_stack: false
    .vgpr_count:     67
    .vgpr_spill_count: 0
    .wavefront_size: 64
  - .agpr_count:     0
    .args:
      - .offset:         0
        .size:           216
        .value_kind:     by_value
      - .offset:         216
        .size:           4
        .value_kind:     by_value
      - .offset:         220
        .size:           4
        .value_kind:     by_value
      - .offset:         224
        .size:           4
        .value_kind:     by_value
      - .offset:         232
        .size:           216
        .value_kind:     by_value
      - .offset:         448
        .size:           4
        .value_kind:     by_value
      - .offset:         452
        .size:           1
        .value_kind:     by_value
      - .offset:         456
        .size:           4
        .value_kind:     hidden_block_count_x
      - .offset:         460
        .size:           4
        .value_kind:     hidden_block_count_y
      - .offset:         464
        .size:           4
        .value_kind:     hidden_block_count_z
      - .offset:         468
        .size:           2
        .value_kind:     hidden_group_size_x
      - .offset:         470
        .size:           2
        .value_kind:     hidden_group_size_y
      - .offset:         472
        .size:           2
        .value_kind:     hidden_group_size_z
      - .offset:         474
        .size:           2
        .value_kind:     hidden_remainder_x
      - .offset:         476
        .size:           2
        .value_kind:     hidden_remainder_y
      - .offset:         478
        .size:           2
        .value_kind:     hidden_remainder_z
      - .offset:         496
        .size:           8
        .value_kind:     hidden_global_offset_x
      - .offset:         504
        .size:           8
        .value_kind:     hidden_global_offset_y
      - .offset:         512
        .size:           8
        .value_kind:     hidden_global_offset_z
      - .offset:         520
        .size:           2
        .value_kind:     hidden_grid_dims
    .group_segment_fixed_size: 528
    .kernarg_segment_align: 8
    .kernarg_segment_size: 712
    .language:       OpenCL C
    .language_version:
      - 2
      - 0
    .max_flat_workgroup_size: 16
    .name:           _ZN2at6native18radixSortKVInPlaceILin2ELin1ELi16ELi2ElljEEvNS_4cuda6detail10TensorInfoIT3_T5_EES6_S6_S6_NS4_IT4_S6_EES6_b
    .private_segment_fixed_size: 0
    .sgpr_count:     44
    .sgpr_spill_count: 0
    .symbol:         _ZN2at6native18radixSortKVInPlaceILin2ELin1ELi16ELi2ElljEEvNS_4cuda6detail10TensorInfoIT3_T5_EES6_S6_S6_NS4_IT4_S6_EES6_b.kd
    .uniform_work_group_size: 1
    .uses_dynamic_stack: false
    .vgpr_count:     41
    .vgpr_spill_count: 0
    .wavefront_size: 64
  - .agpr_count:     0
    .args:
      - .offset:         0
        .size:           216
        .value_kind:     by_value
      - .offset:         216
        .size:           4
        .value_kind:     by_value
      - .offset:         220
        .size:           4
        .value_kind:     by_value
      - .offset:         224
        .size:           4
        .value_kind:     by_value
      - .offset:         232
        .size:           216
        .value_kind:     by_value
      - .offset:         448
        .size:           4
        .value_kind:     by_value
      - .offset:         452
        .size:           1
        .value_kind:     by_value
      - .offset:         456
        .size:           4
        .value_kind:     hidden_block_count_x
      - .offset:         460
        .size:           4
        .value_kind:     hidden_block_count_y
      - .offset:         464
        .size:           4
        .value_kind:     hidden_block_count_z
      - .offset:         468
        .size:           2
        .value_kind:     hidden_group_size_x
      - .offset:         470
        .size:           2
        .value_kind:     hidden_group_size_y
      - .offset:         472
        .size:           2
        .value_kind:     hidden_group_size_z
      - .offset:         474
        .size:           2
        .value_kind:     hidden_remainder_x
      - .offset:         476
        .size:           2
        .value_kind:     hidden_remainder_y
      - .offset:         478
        .size:           2
        .value_kind:     hidden_remainder_z
      - .offset:         496
        .size:           8
        .value_kind:     hidden_global_offset_x
      - .offset:         504
        .size:           8
        .value_kind:     hidden_global_offset_y
      - .offset:         512
        .size:           8
        .value_kind:     hidden_global_offset_z
      - .offset:         520
        .size:           2
        .value_kind:     hidden_grid_dims
    .group_segment_fixed_size: 33792
    .kernarg_segment_align: 8
    .kernarg_segment_size: 712
    .language:       OpenCL C
    .language_version:
      - 2
      - 0
    .max_flat_workgroup_size: 512
    .name:           _ZN2at6native18radixSortKVInPlaceILi2ELin1ELi512ELi8ElljEEvNS_4cuda6detail10TensorInfoIT3_T5_EES6_S6_S6_NS4_IT4_S6_EES6_b
    .private_segment_fixed_size: 0
    .sgpr_count:     66
    .sgpr_spill_count: 0
    .symbol:         _ZN2at6native18radixSortKVInPlaceILi2ELin1ELi512ELi8ElljEEvNS_4cuda6detail10TensorInfoIT3_T5_EES6_S6_S6_NS4_IT4_S6_EES6_b.kd
    .uniform_work_group_size: 1
    .uses_dynamic_stack: false
    .vgpr_count:     139
    .vgpr_spill_count: 0
    .wavefront_size: 64
  - .agpr_count:     0
    .args:
      - .offset:         0
        .size:           216
        .value_kind:     by_value
      - .offset:         216
        .size:           4
        .value_kind:     by_value
      - .offset:         220
        .size:           4
        .value_kind:     by_value
      - .offset:         224
        .size:           4
        .value_kind:     by_value
      - .offset:         232
        .size:           216
        .value_kind:     by_value
      - .offset:         448
        .size:           4
        .value_kind:     by_value
      - .offset:         452
        .size:           1
        .value_kind:     by_value
      - .offset:         456
        .size:           4
        .value_kind:     hidden_block_count_x
      - .offset:         460
        .size:           4
        .value_kind:     hidden_block_count_y
      - .offset:         464
        .size:           4
        .value_kind:     hidden_block_count_z
      - .offset:         468
        .size:           2
        .value_kind:     hidden_group_size_x
      - .offset:         470
        .size:           2
        .value_kind:     hidden_group_size_y
      - .offset:         472
        .size:           2
        .value_kind:     hidden_group_size_z
      - .offset:         474
        .size:           2
        .value_kind:     hidden_remainder_x
      - .offset:         476
        .size:           2
        .value_kind:     hidden_remainder_y
      - .offset:         478
        .size:           2
        .value_kind:     hidden_remainder_z
      - .offset:         496
        .size:           8
        .value_kind:     hidden_global_offset_x
      - .offset:         504
        .size:           8
        .value_kind:     hidden_global_offset_y
      - .offset:         512
        .size:           8
        .value_kind:     hidden_global_offset_z
      - .offset:         520
        .size:           2
        .value_kind:     hidden_grid_dims
    .group_segment_fixed_size: 16896
    .kernarg_segment_align: 8
    .kernarg_segment_size: 712
    .language:       OpenCL C
    .language_version:
      - 2
      - 0
    .max_flat_workgroup_size: 256
    .name:           _ZN2at6native18radixSortKVInPlaceILi2ELin1ELi256ELi8ElljEEvNS_4cuda6detail10TensorInfoIT3_T5_EES6_S6_S6_NS4_IT4_S6_EES6_b
    .private_segment_fixed_size: 0
    .sgpr_count:     64
    .sgpr_spill_count: 0
    .symbol:         _ZN2at6native18radixSortKVInPlaceILi2ELin1ELi256ELi8ElljEEvNS_4cuda6detail10TensorInfoIT3_T5_EES6_S6_S6_NS4_IT4_S6_EES6_b.kd
    .uniform_work_group_size: 1
    .uses_dynamic_stack: false
    .vgpr_count:     139
    .vgpr_spill_count: 0
    .wavefront_size: 64
  - .agpr_count:     0
    .args:
      - .offset:         0
        .size:           216
        .value_kind:     by_value
      - .offset:         216
        .size:           4
        .value_kind:     by_value
      - .offset:         220
        .size:           4
        .value_kind:     by_value
      - .offset:         224
        .size:           4
        .value_kind:     by_value
      - .offset:         232
        .size:           216
        .value_kind:     by_value
      - .offset:         448
        .size:           4
        .value_kind:     by_value
      - .offset:         452
        .size:           1
        .value_kind:     by_value
      - .offset:         456
        .size:           4
        .value_kind:     hidden_block_count_x
      - .offset:         460
        .size:           4
        .value_kind:     hidden_block_count_y
      - .offset:         464
        .size:           4
        .value_kind:     hidden_block_count_z
      - .offset:         468
        .size:           2
        .value_kind:     hidden_group_size_x
      - .offset:         470
        .size:           2
        .value_kind:     hidden_group_size_y
      - .offset:         472
        .size:           2
        .value_kind:     hidden_group_size_z
      - .offset:         474
        .size:           2
        .value_kind:     hidden_remainder_x
      - .offset:         476
        .size:           2
        .value_kind:     hidden_remainder_y
      - .offset:         478
        .size:           2
        .value_kind:     hidden_remainder_z
      - .offset:         496
        .size:           8
        .value_kind:     hidden_global_offset_x
      - .offset:         504
        .size:           8
        .value_kind:     hidden_global_offset_y
      - .offset:         512
        .size:           8
        .value_kind:     hidden_global_offset_z
      - .offset:         520
        .size:           2
        .value_kind:     hidden_grid_dims
    .group_segment_fixed_size: 8448
    .kernarg_segment_align: 8
    .kernarg_segment_size: 712
    .language:       OpenCL C
    .language_version:
      - 2
      - 0
    .max_flat_workgroup_size: 128
    .name:           _ZN2at6native18radixSortKVInPlaceILi2ELin1ELi128ELi8ElljEEvNS_4cuda6detail10TensorInfoIT3_T5_EES6_S6_S6_NS4_IT4_S6_EES6_b
    .private_segment_fixed_size: 0
    .sgpr_count:     62
    .sgpr_spill_count: 0
    .symbol:         _ZN2at6native18radixSortKVInPlaceILi2ELin1ELi128ELi8ElljEEvNS_4cuda6detail10TensorInfoIT3_T5_EES6_S6_S6_NS4_IT4_S6_EES6_b.kd
    .uniform_work_group_size: 1
    .uses_dynamic_stack: false
    .vgpr_count:     139
    .vgpr_spill_count: 0
    .wavefront_size: 64
  - .agpr_count:     0
    .args:
      - .offset:         0
        .size:           216
        .value_kind:     by_value
      - .offset:         216
        .size:           4
        .value_kind:     by_value
      - .offset:         220
        .size:           4
        .value_kind:     by_value
      - .offset:         224
        .size:           4
        .value_kind:     by_value
      - .offset:         232
        .size:           216
        .value_kind:     by_value
      - .offset:         448
        .size:           4
        .value_kind:     by_value
      - .offset:         452
        .size:           1
        .value_kind:     by_value
      - .offset:         456
        .size:           4
        .value_kind:     hidden_block_count_x
      - .offset:         460
        .size:           4
        .value_kind:     hidden_block_count_y
      - .offset:         464
        .size:           4
        .value_kind:     hidden_block_count_z
      - .offset:         468
        .size:           2
        .value_kind:     hidden_group_size_x
      - .offset:         470
        .size:           2
        .value_kind:     hidden_group_size_y
      - .offset:         472
        .size:           2
        .value_kind:     hidden_group_size_z
      - .offset:         474
        .size:           2
        .value_kind:     hidden_remainder_x
      - .offset:         476
        .size:           2
        .value_kind:     hidden_remainder_y
      - .offset:         478
        .size:           2
        .value_kind:     hidden_remainder_z
      - .offset:         496
        .size:           8
        .value_kind:     hidden_global_offset_x
      - .offset:         504
        .size:           8
        .value_kind:     hidden_global_offset_y
      - .offset:         512
        .size:           8
        .value_kind:     hidden_global_offset_z
      - .offset:         520
        .size:           2
        .value_kind:     hidden_grid_dims
    .group_segment_fixed_size: 1056
    .kernarg_segment_align: 8
    .kernarg_segment_size: 712
    .language:       OpenCL C
    .language_version:
      - 2
      - 0
    .max_flat_workgroup_size: 32
    .name:           _ZN2at6native18radixSortKVInPlaceILi2ELin1ELi32ELi4ElljEEvNS_4cuda6detail10TensorInfoIT3_T5_EES6_S6_S6_NS4_IT4_S6_EES6_b
    .private_segment_fixed_size: 0
    .sgpr_count:     50
    .sgpr_spill_count: 0
    .symbol:         _ZN2at6native18radixSortKVInPlaceILi2ELin1ELi32ELi4ElljEEvNS_4cuda6detail10TensorInfoIT3_T5_EES6_S6_S6_NS4_IT4_S6_EES6_b.kd
    .uniform_work_group_size: 1
    .uses_dynamic_stack: false
    .vgpr_count:     67
    .vgpr_spill_count: 0
    .wavefront_size: 64
  - .agpr_count:     0
    .args:
      - .offset:         0
        .size:           216
        .value_kind:     by_value
      - .offset:         216
        .size:           4
        .value_kind:     by_value
      - .offset:         220
        .size:           4
        .value_kind:     by_value
      - .offset:         224
        .size:           4
        .value_kind:     by_value
      - .offset:         232
        .size:           216
        .value_kind:     by_value
      - .offset:         448
        .size:           4
        .value_kind:     by_value
      - .offset:         452
        .size:           1
        .value_kind:     by_value
      - .offset:         456
        .size:           4
        .value_kind:     hidden_block_count_x
      - .offset:         460
        .size:           4
        .value_kind:     hidden_block_count_y
      - .offset:         464
        .size:           4
        .value_kind:     hidden_block_count_z
      - .offset:         468
        .size:           2
        .value_kind:     hidden_group_size_x
      - .offset:         470
        .size:           2
        .value_kind:     hidden_group_size_y
      - .offset:         472
        .size:           2
        .value_kind:     hidden_group_size_z
      - .offset:         474
        .size:           2
        .value_kind:     hidden_remainder_x
      - .offset:         476
        .size:           2
        .value_kind:     hidden_remainder_y
      - .offset:         478
        .size:           2
        .value_kind:     hidden_remainder_z
      - .offset:         496
        .size:           8
        .value_kind:     hidden_global_offset_x
      - .offset:         504
        .size:           8
        .value_kind:     hidden_global_offset_y
      - .offset:         512
        .size:           8
        .value_kind:     hidden_global_offset_z
      - .offset:         520
        .size:           2
        .value_kind:     hidden_grid_dims
    .group_segment_fixed_size: 528
    .kernarg_segment_align: 8
    .kernarg_segment_size: 712
    .language:       OpenCL C
    .language_version:
      - 2
      - 0
    .max_flat_workgroup_size: 16
    .name:           _ZN2at6native18radixSortKVInPlaceILi2ELin1ELi16ELi2ElljEEvNS_4cuda6detail10TensorInfoIT3_T5_EES6_S6_S6_NS4_IT4_S6_EES6_b
    .private_segment_fixed_size: 0
    .sgpr_count:     44
    .sgpr_spill_count: 0
    .symbol:         _ZN2at6native18radixSortKVInPlaceILi2ELin1ELi16ELi2ElljEEvNS_4cuda6detail10TensorInfoIT3_T5_EES6_S6_S6_NS4_IT4_S6_EES6_b.kd
    .uniform_work_group_size: 1
    .uses_dynamic_stack: false
    .vgpr_count:     41
    .vgpr_spill_count: 0
    .wavefront_size: 64
  - .agpr_count:     0
    .args:
      - .offset:         0
        .size:           216
        .value_kind:     by_value
      - .offset:         216
        .size:           4
        .value_kind:     by_value
      - .offset:         220
        .size:           4
        .value_kind:     by_value
      - .offset:         224
        .size:           4
        .value_kind:     by_value
      - .offset:         232
        .size:           216
        .value_kind:     by_value
      - .offset:         448
        .size:           4
        .value_kind:     by_value
      - .offset:         452
        .size:           1
        .value_kind:     by_value
      - .offset:         456
        .size:           4
        .value_kind:     hidden_block_count_x
      - .offset:         460
        .size:           4
        .value_kind:     hidden_block_count_y
      - .offset:         464
        .size:           4
        .value_kind:     hidden_block_count_z
      - .offset:         468
        .size:           2
        .value_kind:     hidden_group_size_x
      - .offset:         470
        .size:           2
        .value_kind:     hidden_group_size_y
      - .offset:         472
        .size:           2
        .value_kind:     hidden_group_size_z
      - .offset:         474
        .size:           2
        .value_kind:     hidden_remainder_x
      - .offset:         476
        .size:           2
        .value_kind:     hidden_remainder_y
      - .offset:         478
        .size:           2
        .value_kind:     hidden_remainder_z
      - .offset:         496
        .size:           8
        .value_kind:     hidden_global_offset_x
      - .offset:         504
        .size:           8
        .value_kind:     hidden_global_offset_y
      - .offset:         512
        .size:           8
        .value_kind:     hidden_global_offset_z
      - .offset:         520
        .size:           2
        .value_kind:     hidden_grid_dims
    .group_segment_fixed_size: 33792
    .kernarg_segment_align: 8
    .kernarg_segment_size: 712
    .language:       OpenCL C
    .language_version:
      - 2
      - 0
    .max_flat_workgroup_size: 512
    .name:           _ZN2at6native18radixSortKVInPlaceILin1ELin1ELi512ELi8ElljEEvNS_4cuda6detail10TensorInfoIT3_T5_EES6_S6_S6_NS4_IT4_S6_EES6_b
    .private_segment_fixed_size: 0
    .sgpr_count:     66
    .sgpr_spill_count: 0
    .symbol:         _ZN2at6native18radixSortKVInPlaceILin1ELin1ELi512ELi8ElljEEvNS_4cuda6detail10TensorInfoIT3_T5_EES6_S6_S6_NS4_IT4_S6_EES6_b.kd
    .uniform_work_group_size: 1
    .uses_dynamic_stack: false
    .vgpr_count:     139
    .vgpr_spill_count: 0
    .wavefront_size: 64
  - .agpr_count:     0
    .args:
      - .offset:         0
        .size:           216
        .value_kind:     by_value
      - .offset:         216
        .size:           4
        .value_kind:     by_value
      - .offset:         220
        .size:           4
        .value_kind:     by_value
      - .offset:         224
        .size:           4
        .value_kind:     by_value
      - .offset:         232
        .size:           216
        .value_kind:     by_value
      - .offset:         448
        .size:           4
        .value_kind:     by_value
      - .offset:         452
        .size:           1
        .value_kind:     by_value
      - .offset:         456
        .size:           4
        .value_kind:     hidden_block_count_x
      - .offset:         460
        .size:           4
        .value_kind:     hidden_block_count_y
      - .offset:         464
        .size:           4
        .value_kind:     hidden_block_count_z
      - .offset:         468
        .size:           2
        .value_kind:     hidden_group_size_x
      - .offset:         470
        .size:           2
        .value_kind:     hidden_group_size_y
      - .offset:         472
        .size:           2
        .value_kind:     hidden_group_size_z
      - .offset:         474
        .size:           2
        .value_kind:     hidden_remainder_x
      - .offset:         476
        .size:           2
        .value_kind:     hidden_remainder_y
      - .offset:         478
        .size:           2
        .value_kind:     hidden_remainder_z
      - .offset:         496
        .size:           8
        .value_kind:     hidden_global_offset_x
      - .offset:         504
        .size:           8
        .value_kind:     hidden_global_offset_y
      - .offset:         512
        .size:           8
        .value_kind:     hidden_global_offset_z
      - .offset:         520
        .size:           2
        .value_kind:     hidden_grid_dims
    .group_segment_fixed_size: 16896
    .kernarg_segment_align: 8
    .kernarg_segment_size: 712
    .language:       OpenCL C
    .language_version:
      - 2
      - 0
    .max_flat_workgroup_size: 256
    .name:           _ZN2at6native18radixSortKVInPlaceILin1ELin1ELi256ELi8ElljEEvNS_4cuda6detail10TensorInfoIT3_T5_EES6_S6_S6_NS4_IT4_S6_EES6_b
    .private_segment_fixed_size: 0
    .sgpr_count:     64
    .sgpr_spill_count: 0
    .symbol:         _ZN2at6native18radixSortKVInPlaceILin1ELin1ELi256ELi8ElljEEvNS_4cuda6detail10TensorInfoIT3_T5_EES6_S6_S6_NS4_IT4_S6_EES6_b.kd
    .uniform_work_group_size: 1
    .uses_dynamic_stack: false
    .vgpr_count:     139
    .vgpr_spill_count: 0
    .wavefront_size: 64
  - .agpr_count:     0
    .args:
      - .offset:         0
        .size:           216
        .value_kind:     by_value
      - .offset:         216
        .size:           4
        .value_kind:     by_value
      - .offset:         220
        .size:           4
        .value_kind:     by_value
      - .offset:         224
        .size:           4
        .value_kind:     by_value
      - .offset:         232
        .size:           216
        .value_kind:     by_value
      - .offset:         448
        .size:           4
        .value_kind:     by_value
      - .offset:         452
        .size:           1
        .value_kind:     by_value
      - .offset:         456
        .size:           4
        .value_kind:     hidden_block_count_x
      - .offset:         460
        .size:           4
        .value_kind:     hidden_block_count_y
      - .offset:         464
        .size:           4
        .value_kind:     hidden_block_count_z
      - .offset:         468
        .size:           2
        .value_kind:     hidden_group_size_x
      - .offset:         470
        .size:           2
        .value_kind:     hidden_group_size_y
      - .offset:         472
        .size:           2
        .value_kind:     hidden_group_size_z
      - .offset:         474
        .size:           2
        .value_kind:     hidden_remainder_x
      - .offset:         476
        .size:           2
        .value_kind:     hidden_remainder_y
      - .offset:         478
        .size:           2
        .value_kind:     hidden_remainder_z
      - .offset:         496
        .size:           8
        .value_kind:     hidden_global_offset_x
      - .offset:         504
        .size:           8
        .value_kind:     hidden_global_offset_y
      - .offset:         512
        .size:           8
        .value_kind:     hidden_global_offset_z
      - .offset:         520
        .size:           2
        .value_kind:     hidden_grid_dims
    .group_segment_fixed_size: 8448
    .kernarg_segment_align: 8
    .kernarg_segment_size: 712
    .language:       OpenCL C
    .language_version:
      - 2
      - 0
    .max_flat_workgroup_size: 128
    .name:           _ZN2at6native18radixSortKVInPlaceILin1ELin1ELi128ELi8ElljEEvNS_4cuda6detail10TensorInfoIT3_T5_EES6_S6_S6_NS4_IT4_S6_EES6_b
    .private_segment_fixed_size: 0
    .sgpr_count:     62
    .sgpr_spill_count: 0
    .symbol:         _ZN2at6native18radixSortKVInPlaceILin1ELin1ELi128ELi8ElljEEvNS_4cuda6detail10TensorInfoIT3_T5_EES6_S6_S6_NS4_IT4_S6_EES6_b.kd
    .uniform_work_group_size: 1
    .uses_dynamic_stack: false
    .vgpr_count:     139
    .vgpr_spill_count: 0
    .wavefront_size: 64
  - .agpr_count:     0
    .args:
      - .offset:         0
        .size:           216
        .value_kind:     by_value
      - .offset:         216
        .size:           4
        .value_kind:     by_value
      - .offset:         220
        .size:           4
        .value_kind:     by_value
      - .offset:         224
        .size:           4
        .value_kind:     by_value
      - .offset:         232
        .size:           216
        .value_kind:     by_value
      - .offset:         448
        .size:           4
        .value_kind:     by_value
      - .offset:         452
        .size:           1
        .value_kind:     by_value
      - .offset:         456
        .size:           4
        .value_kind:     hidden_block_count_x
      - .offset:         460
        .size:           4
        .value_kind:     hidden_block_count_y
      - .offset:         464
        .size:           4
        .value_kind:     hidden_block_count_z
      - .offset:         468
        .size:           2
        .value_kind:     hidden_group_size_x
      - .offset:         470
        .size:           2
        .value_kind:     hidden_group_size_y
      - .offset:         472
        .size:           2
        .value_kind:     hidden_group_size_z
      - .offset:         474
        .size:           2
        .value_kind:     hidden_remainder_x
      - .offset:         476
        .size:           2
        .value_kind:     hidden_remainder_y
      - .offset:         478
        .size:           2
        .value_kind:     hidden_remainder_z
      - .offset:         496
        .size:           8
        .value_kind:     hidden_global_offset_x
      - .offset:         504
        .size:           8
        .value_kind:     hidden_global_offset_y
      - .offset:         512
        .size:           8
        .value_kind:     hidden_global_offset_z
      - .offset:         520
        .size:           2
        .value_kind:     hidden_grid_dims
    .group_segment_fixed_size: 1056
    .kernarg_segment_align: 8
    .kernarg_segment_size: 712
    .language:       OpenCL C
    .language_version:
      - 2
      - 0
    .max_flat_workgroup_size: 32
    .name:           _ZN2at6native18radixSortKVInPlaceILin1ELin1ELi32ELi4ElljEEvNS_4cuda6detail10TensorInfoIT3_T5_EES6_S6_S6_NS4_IT4_S6_EES6_b
    .private_segment_fixed_size: 0
    .sgpr_count:     50
    .sgpr_spill_count: 0
    .symbol:         _ZN2at6native18radixSortKVInPlaceILin1ELin1ELi32ELi4ElljEEvNS_4cuda6detail10TensorInfoIT3_T5_EES6_S6_S6_NS4_IT4_S6_EES6_b.kd
    .uniform_work_group_size: 1
    .uses_dynamic_stack: false
    .vgpr_count:     67
    .vgpr_spill_count: 0
    .wavefront_size: 64
  - .agpr_count:     0
    .args:
      - .offset:         0
        .size:           216
        .value_kind:     by_value
      - .offset:         216
        .size:           4
        .value_kind:     by_value
      - .offset:         220
        .size:           4
        .value_kind:     by_value
      - .offset:         224
        .size:           4
        .value_kind:     by_value
      - .offset:         232
        .size:           216
        .value_kind:     by_value
      - .offset:         448
        .size:           4
        .value_kind:     by_value
      - .offset:         452
        .size:           1
        .value_kind:     by_value
      - .offset:         456
        .size:           4
        .value_kind:     hidden_block_count_x
      - .offset:         460
        .size:           4
        .value_kind:     hidden_block_count_y
      - .offset:         464
        .size:           4
        .value_kind:     hidden_block_count_z
      - .offset:         468
        .size:           2
        .value_kind:     hidden_group_size_x
      - .offset:         470
        .size:           2
        .value_kind:     hidden_group_size_y
      - .offset:         472
        .size:           2
        .value_kind:     hidden_group_size_z
      - .offset:         474
        .size:           2
        .value_kind:     hidden_remainder_x
      - .offset:         476
        .size:           2
        .value_kind:     hidden_remainder_y
      - .offset:         478
        .size:           2
        .value_kind:     hidden_remainder_z
      - .offset:         496
        .size:           8
        .value_kind:     hidden_global_offset_x
      - .offset:         504
        .size:           8
        .value_kind:     hidden_global_offset_y
      - .offset:         512
        .size:           8
        .value_kind:     hidden_global_offset_z
      - .offset:         520
        .size:           2
        .value_kind:     hidden_grid_dims
    .group_segment_fixed_size: 528
    .kernarg_segment_align: 8
    .kernarg_segment_size: 712
    .language:       OpenCL C
    .language_version:
      - 2
      - 0
    .max_flat_workgroup_size: 16
    .name:           _ZN2at6native18radixSortKVInPlaceILin1ELin1ELi16ELi2ElljEEvNS_4cuda6detail10TensorInfoIT3_T5_EES6_S6_S6_NS4_IT4_S6_EES6_b
    .private_segment_fixed_size: 0
    .sgpr_count:     44
    .sgpr_spill_count: 0
    .symbol:         _ZN2at6native18radixSortKVInPlaceILin1ELin1ELi16ELi2ElljEEvNS_4cuda6detail10TensorInfoIT3_T5_EES6_S6_S6_NS4_IT4_S6_EES6_b.kd
    .uniform_work_group_size: 1
    .uses_dynamic_stack: false
    .vgpr_count:     41
    .vgpr_spill_count: 0
    .wavefront_size: 64
  - .agpr_count:     0
    .args:
      - .offset:         0
        .size:           416
        .value_kind:     by_value
      - .offset:         416
        .size:           8
        .value_kind:     by_value
      - .offset:         424
        .size:           8
        .value_kind:     by_value
      - .offset:         432
        .size:           8
        .value_kind:     by_value
      - .offset:         440
        .size:           416
        .value_kind:     by_value
      - .offset:         856
        .size:           8
        .value_kind:     by_value
      - .offset:         864
        .size:           1
        .value_kind:     by_value
      - .offset:         872
        .size:           4
        .value_kind:     hidden_block_count_x
      - .offset:         876
        .size:           4
        .value_kind:     hidden_block_count_y
      - .offset:         880
        .size:           4
        .value_kind:     hidden_block_count_z
      - .offset:         884
        .size:           2
        .value_kind:     hidden_group_size_x
      - .offset:         886
        .size:           2
        .value_kind:     hidden_group_size_y
      - .offset:         888
        .size:           2
        .value_kind:     hidden_group_size_z
      - .offset:         890
        .size:           2
        .value_kind:     hidden_remainder_x
      - .offset:         892
        .size:           2
        .value_kind:     hidden_remainder_y
      - .offset:         894
        .size:           2
        .value_kind:     hidden_remainder_z
      - .offset:         912
        .size:           8
        .value_kind:     hidden_global_offset_x
      - .offset:         920
        .size:           8
        .value_kind:     hidden_global_offset_y
      - .offset:         928
        .size:           8
        .value_kind:     hidden_global_offset_z
      - .offset:         936
        .size:           2
        .value_kind:     hidden_grid_dims
    .group_segment_fixed_size: 33792
    .kernarg_segment_align: 8
    .kernarg_segment_size: 1128
    .language:       OpenCL C
    .language_version:
      - 2
      - 0
    .max_flat_workgroup_size: 512
    .name:           _ZN2at6native18radixSortKVInPlaceILin1ELin1ELi512ELi8EllmEEvNS_4cuda6detail10TensorInfoIT3_T5_EES6_S6_S6_NS4_IT4_S6_EES6_b
    .private_segment_fixed_size: 0
    .sgpr_count:     68
    .sgpr_spill_count: 0
    .symbol:         _ZN2at6native18radixSortKVInPlaceILin1ELin1ELi512ELi8EllmEEvNS_4cuda6detail10TensorInfoIT3_T5_EES6_S6_S6_NS4_IT4_S6_EES6_b.kd
    .uniform_work_group_size: 1
    .uses_dynamic_stack: false
    .vgpr_count:     137
    .vgpr_spill_count: 0
    .wavefront_size: 64
  - .agpr_count:     0
    .args:
      - .offset:         0
        .size:           416
        .value_kind:     by_value
      - .offset:         416
        .size:           8
        .value_kind:     by_value
      - .offset:         424
        .size:           8
        .value_kind:     by_value
      - .offset:         432
        .size:           8
        .value_kind:     by_value
      - .offset:         440
        .size:           416
        .value_kind:     by_value
      - .offset:         856
        .size:           8
        .value_kind:     by_value
      - .offset:         864
        .size:           1
        .value_kind:     by_value
      - .offset:         872
        .size:           4
        .value_kind:     hidden_block_count_x
      - .offset:         876
        .size:           4
        .value_kind:     hidden_block_count_y
      - .offset:         880
        .size:           4
        .value_kind:     hidden_block_count_z
      - .offset:         884
        .size:           2
        .value_kind:     hidden_group_size_x
      - .offset:         886
        .size:           2
        .value_kind:     hidden_group_size_y
      - .offset:         888
        .size:           2
        .value_kind:     hidden_group_size_z
      - .offset:         890
        .size:           2
        .value_kind:     hidden_remainder_x
      - .offset:         892
        .size:           2
        .value_kind:     hidden_remainder_y
      - .offset:         894
        .size:           2
        .value_kind:     hidden_remainder_z
      - .offset:         912
        .size:           8
        .value_kind:     hidden_global_offset_x
      - .offset:         920
        .size:           8
        .value_kind:     hidden_global_offset_y
      - .offset:         928
        .size:           8
        .value_kind:     hidden_global_offset_z
      - .offset:         936
        .size:           2
        .value_kind:     hidden_grid_dims
    .group_segment_fixed_size: 16896
    .kernarg_segment_align: 8
    .kernarg_segment_size: 1128
    .language:       OpenCL C
    .language_version:
      - 2
      - 0
    .max_flat_workgroup_size: 256
    .name:           _ZN2at6native18radixSortKVInPlaceILin1ELin1ELi256ELi8EllmEEvNS_4cuda6detail10TensorInfoIT3_T5_EES6_S6_S6_NS4_IT4_S6_EES6_b
    .private_segment_fixed_size: 0
    .sgpr_count:     66
    .sgpr_spill_count: 0
    .symbol:         _ZN2at6native18radixSortKVInPlaceILin1ELin1ELi256ELi8EllmEEvNS_4cuda6detail10TensorInfoIT3_T5_EES6_S6_S6_NS4_IT4_S6_EES6_b.kd
    .uniform_work_group_size: 1
    .uses_dynamic_stack: false
    .vgpr_count:     137
    .vgpr_spill_count: 0
    .wavefront_size: 64
  - .agpr_count:     0
    .args:
      - .offset:         0
        .size:           416
        .value_kind:     by_value
      - .offset:         416
        .size:           8
        .value_kind:     by_value
      - .offset:         424
        .size:           8
        .value_kind:     by_value
      - .offset:         432
        .size:           8
        .value_kind:     by_value
      - .offset:         440
        .size:           416
        .value_kind:     by_value
      - .offset:         856
        .size:           8
        .value_kind:     by_value
      - .offset:         864
        .size:           1
        .value_kind:     by_value
      - .offset:         872
        .size:           4
        .value_kind:     hidden_block_count_x
      - .offset:         876
        .size:           4
        .value_kind:     hidden_block_count_y
      - .offset:         880
        .size:           4
        .value_kind:     hidden_block_count_z
      - .offset:         884
        .size:           2
        .value_kind:     hidden_group_size_x
      - .offset:         886
        .size:           2
        .value_kind:     hidden_group_size_y
      - .offset:         888
        .size:           2
        .value_kind:     hidden_group_size_z
      - .offset:         890
        .size:           2
        .value_kind:     hidden_remainder_x
      - .offset:         892
        .size:           2
        .value_kind:     hidden_remainder_y
      - .offset:         894
        .size:           2
        .value_kind:     hidden_remainder_z
      - .offset:         912
        .size:           8
        .value_kind:     hidden_global_offset_x
      - .offset:         920
        .size:           8
        .value_kind:     hidden_global_offset_y
      - .offset:         928
        .size:           8
        .value_kind:     hidden_global_offset_z
      - .offset:         936
        .size:           2
        .value_kind:     hidden_grid_dims
    .group_segment_fixed_size: 8448
    .kernarg_segment_align: 8
    .kernarg_segment_size: 1128
    .language:       OpenCL C
    .language_version:
      - 2
      - 0
    .max_flat_workgroup_size: 128
    .name:           _ZN2at6native18radixSortKVInPlaceILin1ELin1ELi128ELi8EllmEEvNS_4cuda6detail10TensorInfoIT3_T5_EES6_S6_S6_NS4_IT4_S6_EES6_b
    .private_segment_fixed_size: 0
    .sgpr_count:     64
    .sgpr_spill_count: 0
    .symbol:         _ZN2at6native18radixSortKVInPlaceILin1ELin1ELi128ELi8EllmEEvNS_4cuda6detail10TensorInfoIT3_T5_EES6_S6_S6_NS4_IT4_S6_EES6_b.kd
    .uniform_work_group_size: 1
    .uses_dynamic_stack: false
    .vgpr_count:     137
    .vgpr_spill_count: 0
    .wavefront_size: 64
  - .agpr_count:     0
    .args:
      - .offset:         0
        .size:           416
        .value_kind:     by_value
      - .offset:         416
        .size:           8
        .value_kind:     by_value
      - .offset:         424
        .size:           8
        .value_kind:     by_value
      - .offset:         432
        .size:           8
        .value_kind:     by_value
      - .offset:         440
        .size:           416
        .value_kind:     by_value
      - .offset:         856
        .size:           8
        .value_kind:     by_value
      - .offset:         864
        .size:           1
        .value_kind:     by_value
      - .offset:         872
        .size:           4
        .value_kind:     hidden_block_count_x
      - .offset:         876
        .size:           4
        .value_kind:     hidden_block_count_y
      - .offset:         880
        .size:           4
        .value_kind:     hidden_block_count_z
      - .offset:         884
        .size:           2
        .value_kind:     hidden_group_size_x
      - .offset:         886
        .size:           2
        .value_kind:     hidden_group_size_y
      - .offset:         888
        .size:           2
        .value_kind:     hidden_group_size_z
      - .offset:         890
        .size:           2
        .value_kind:     hidden_remainder_x
      - .offset:         892
        .size:           2
        .value_kind:     hidden_remainder_y
      - .offset:         894
        .size:           2
        .value_kind:     hidden_remainder_z
      - .offset:         912
        .size:           8
        .value_kind:     hidden_global_offset_x
      - .offset:         920
        .size:           8
        .value_kind:     hidden_global_offset_y
      - .offset:         928
        .size:           8
        .value_kind:     hidden_global_offset_z
      - .offset:         936
        .size:           2
        .value_kind:     hidden_grid_dims
    .group_segment_fixed_size: 1056
    .kernarg_segment_align: 8
    .kernarg_segment_size: 1128
    .language:       OpenCL C
    .language_version:
      - 2
      - 0
    .max_flat_workgroup_size: 32
    .name:           _ZN2at6native18radixSortKVInPlaceILin1ELin1ELi32ELi4EllmEEvNS_4cuda6detail10TensorInfoIT3_T5_EES6_S6_S6_NS4_IT4_S6_EES6_b
    .private_segment_fixed_size: 0
    .sgpr_count:     52
    .sgpr_spill_count: 0
    .symbol:         _ZN2at6native18radixSortKVInPlaceILin1ELin1ELi32ELi4EllmEEvNS_4cuda6detail10TensorInfoIT3_T5_EES6_S6_S6_NS4_IT4_S6_EES6_b.kd
    .uniform_work_group_size: 1
    .uses_dynamic_stack: false
    .vgpr_count:     65
    .vgpr_spill_count: 0
    .wavefront_size: 64
  - .agpr_count:     0
    .args:
      - .offset:         0
        .size:           416
        .value_kind:     by_value
      - .offset:         416
        .size:           8
        .value_kind:     by_value
      - .offset:         424
        .size:           8
        .value_kind:     by_value
      - .offset:         432
        .size:           8
        .value_kind:     by_value
      - .offset:         440
        .size:           416
        .value_kind:     by_value
      - .offset:         856
        .size:           8
        .value_kind:     by_value
      - .offset:         864
        .size:           1
        .value_kind:     by_value
      - .offset:         872
        .size:           4
        .value_kind:     hidden_block_count_x
      - .offset:         876
        .size:           4
        .value_kind:     hidden_block_count_y
      - .offset:         880
        .size:           4
        .value_kind:     hidden_block_count_z
      - .offset:         884
        .size:           2
        .value_kind:     hidden_group_size_x
      - .offset:         886
        .size:           2
        .value_kind:     hidden_group_size_y
      - .offset:         888
        .size:           2
        .value_kind:     hidden_group_size_z
      - .offset:         890
        .size:           2
        .value_kind:     hidden_remainder_x
      - .offset:         892
        .size:           2
        .value_kind:     hidden_remainder_y
      - .offset:         894
        .size:           2
        .value_kind:     hidden_remainder_z
      - .offset:         912
        .size:           8
        .value_kind:     hidden_global_offset_x
      - .offset:         920
        .size:           8
        .value_kind:     hidden_global_offset_y
      - .offset:         928
        .size:           8
        .value_kind:     hidden_global_offset_z
      - .offset:         936
        .size:           2
        .value_kind:     hidden_grid_dims
    .group_segment_fixed_size: 528
    .kernarg_segment_align: 8
    .kernarg_segment_size: 1128
    .language:       OpenCL C
    .language_version:
      - 2
      - 0
    .max_flat_workgroup_size: 16
    .name:           _ZN2at6native18radixSortKVInPlaceILin1ELin1ELi16ELi2EllmEEvNS_4cuda6detail10TensorInfoIT3_T5_EES6_S6_S6_NS4_IT4_S6_EES6_b
    .private_segment_fixed_size: 0
    .sgpr_count:     46
    .sgpr_spill_count: 0
    .symbol:         _ZN2at6native18radixSortKVInPlaceILin1ELin1ELi16ELi2EllmEEvNS_4cuda6detail10TensorInfoIT3_T5_EES6_S6_S6_NS4_IT4_S6_EES6_b.kd
    .uniform_work_group_size: 1
    .uses_dynamic_stack: false
    .vgpr_count:     39
    .vgpr_spill_count: 0
    .wavefront_size: 64
  - .agpr_count:     0
    .args:
      - .offset:         0
        .size:           216
        .value_kind:     by_value
      - .offset:         216
        .size:           4
        .value_kind:     by_value
      - .offset:         220
        .size:           4
        .value_kind:     by_value
      - .offset:         224
        .size:           4
        .value_kind:     by_value
      - .offset:         232
        .size:           216
        .value_kind:     by_value
      - .offset:         448
        .size:           4
        .value_kind:     by_value
      - .offset:         452
        .size:           1
        .value_kind:     by_value
      - .offset:         456
        .size:           4
        .value_kind:     hidden_block_count_x
      - .offset:         460
        .size:           4
        .value_kind:     hidden_block_count_y
      - .offset:         464
        .size:           4
        .value_kind:     hidden_block_count_z
      - .offset:         468
        .size:           2
        .value_kind:     hidden_group_size_x
      - .offset:         470
        .size:           2
        .value_kind:     hidden_group_size_y
      - .offset:         472
        .size:           2
        .value_kind:     hidden_group_size_z
      - .offset:         474
        .size:           2
        .value_kind:     hidden_remainder_x
      - .offset:         476
        .size:           2
        .value_kind:     hidden_remainder_y
      - .offset:         478
        .size:           2
        .value_kind:     hidden_remainder_z
      - .offset:         496
        .size:           8
        .value_kind:     hidden_global_offset_x
      - .offset:         504
        .size:           8
        .value_kind:     hidden_global_offset_y
      - .offset:         512
        .size:           8
        .value_kind:     hidden_global_offset_z
      - .offset:         520
        .size:           2
        .value_kind:     hidden_grid_dims
    .group_segment_fixed_size: 33792
    .kernarg_segment_align: 8
    .kernarg_segment_size: 712
    .language:       OpenCL C
    .language_version:
      - 2
      - 0
    .max_flat_workgroup_size: 512
    .name:           _ZN2at6native18radixSortKVInPlaceILin2ELin1ELi512ELi8EsljEEvNS_4cuda6detail10TensorInfoIT3_T5_EES6_S6_S6_NS4_IT4_S6_EES6_b
    .private_segment_fixed_size: 0
    .sgpr_count:     60
    .sgpr_spill_count: 0
    .symbol:         _ZN2at6native18radixSortKVInPlaceILin2ELin1ELi512ELi8EsljEEvNS_4cuda6detail10TensorInfoIT3_T5_EES6_S6_S6_NS4_IT4_S6_EES6_b.kd
    .uniform_work_group_size: 1
    .uses_dynamic_stack: false
    .vgpr_count:     113
    .vgpr_spill_count: 0
    .wavefront_size: 64
  - .agpr_count:     0
    .args:
      - .offset:         0
        .size:           216
        .value_kind:     by_value
      - .offset:         216
        .size:           4
        .value_kind:     by_value
      - .offset:         220
        .size:           4
        .value_kind:     by_value
      - .offset:         224
        .size:           4
        .value_kind:     by_value
      - .offset:         232
        .size:           216
        .value_kind:     by_value
      - .offset:         448
        .size:           4
        .value_kind:     by_value
      - .offset:         452
        .size:           1
        .value_kind:     by_value
      - .offset:         456
        .size:           4
        .value_kind:     hidden_block_count_x
      - .offset:         460
        .size:           4
        .value_kind:     hidden_block_count_y
      - .offset:         464
        .size:           4
        .value_kind:     hidden_block_count_z
      - .offset:         468
        .size:           2
        .value_kind:     hidden_group_size_x
      - .offset:         470
        .size:           2
        .value_kind:     hidden_group_size_y
      - .offset:         472
        .size:           2
        .value_kind:     hidden_group_size_z
      - .offset:         474
        .size:           2
        .value_kind:     hidden_remainder_x
      - .offset:         476
        .size:           2
        .value_kind:     hidden_remainder_y
      - .offset:         478
        .size:           2
        .value_kind:     hidden_remainder_z
      - .offset:         496
        .size:           8
        .value_kind:     hidden_global_offset_x
      - .offset:         504
        .size:           8
        .value_kind:     hidden_global_offset_y
      - .offset:         512
        .size:           8
        .value_kind:     hidden_global_offset_z
      - .offset:         520
        .size:           2
        .value_kind:     hidden_grid_dims
    .group_segment_fixed_size: 16896
    .kernarg_segment_align: 8
    .kernarg_segment_size: 712
    .language:       OpenCL C
    .language_version:
      - 2
      - 0
    .max_flat_workgroup_size: 256
    .name:           _ZN2at6native18radixSortKVInPlaceILin2ELin1ELi256ELi8EsljEEvNS_4cuda6detail10TensorInfoIT3_T5_EES6_S6_S6_NS4_IT4_S6_EES6_b
    .private_segment_fixed_size: 0
    .sgpr_count:     58
    .sgpr_spill_count: 0
    .symbol:         _ZN2at6native18radixSortKVInPlaceILin2ELin1ELi256ELi8EsljEEvNS_4cuda6detail10TensorInfoIT3_T5_EES6_S6_S6_NS4_IT4_S6_EES6_b.kd
    .uniform_work_group_size: 1
    .uses_dynamic_stack: false
    .vgpr_count:     113
    .vgpr_spill_count: 0
    .wavefront_size: 64
  - .agpr_count:     0
    .args:
      - .offset:         0
        .size:           216
        .value_kind:     by_value
      - .offset:         216
        .size:           4
        .value_kind:     by_value
      - .offset:         220
        .size:           4
        .value_kind:     by_value
      - .offset:         224
        .size:           4
        .value_kind:     by_value
      - .offset:         232
        .size:           216
        .value_kind:     by_value
      - .offset:         448
        .size:           4
        .value_kind:     by_value
      - .offset:         452
        .size:           1
        .value_kind:     by_value
      - .offset:         456
        .size:           4
        .value_kind:     hidden_block_count_x
      - .offset:         460
        .size:           4
        .value_kind:     hidden_block_count_y
      - .offset:         464
        .size:           4
        .value_kind:     hidden_block_count_z
      - .offset:         468
        .size:           2
        .value_kind:     hidden_group_size_x
      - .offset:         470
        .size:           2
        .value_kind:     hidden_group_size_y
      - .offset:         472
        .size:           2
        .value_kind:     hidden_group_size_z
      - .offset:         474
        .size:           2
        .value_kind:     hidden_remainder_x
      - .offset:         476
        .size:           2
        .value_kind:     hidden_remainder_y
      - .offset:         478
        .size:           2
        .value_kind:     hidden_remainder_z
      - .offset:         496
        .size:           8
        .value_kind:     hidden_global_offset_x
      - .offset:         504
        .size:           8
        .value_kind:     hidden_global_offset_y
      - .offset:         512
        .size:           8
        .value_kind:     hidden_global_offset_z
      - .offset:         520
        .size:           2
        .value_kind:     hidden_grid_dims
    .group_segment_fixed_size: 8448
    .kernarg_segment_align: 8
    .kernarg_segment_size: 712
    .language:       OpenCL C
    .language_version:
      - 2
      - 0
    .max_flat_workgroup_size: 128
    .name:           _ZN2at6native18radixSortKVInPlaceILin2ELin1ELi128ELi8EsljEEvNS_4cuda6detail10TensorInfoIT3_T5_EES6_S6_S6_NS4_IT4_S6_EES6_b
    .private_segment_fixed_size: 0
    .sgpr_count:     56
    .sgpr_spill_count: 0
    .symbol:         _ZN2at6native18radixSortKVInPlaceILin2ELin1ELi128ELi8EsljEEvNS_4cuda6detail10TensorInfoIT3_T5_EES6_S6_S6_NS4_IT4_S6_EES6_b.kd
    .uniform_work_group_size: 1
    .uses_dynamic_stack: false
    .vgpr_count:     113
    .vgpr_spill_count: 0
    .wavefront_size: 64
  - .agpr_count:     0
    .args:
      - .offset:         0
        .size:           216
        .value_kind:     by_value
      - .offset:         216
        .size:           4
        .value_kind:     by_value
      - .offset:         220
        .size:           4
        .value_kind:     by_value
      - .offset:         224
        .size:           4
        .value_kind:     by_value
      - .offset:         232
        .size:           216
        .value_kind:     by_value
      - .offset:         448
        .size:           4
        .value_kind:     by_value
      - .offset:         452
        .size:           1
        .value_kind:     by_value
      - .offset:         456
        .size:           4
        .value_kind:     hidden_block_count_x
      - .offset:         460
        .size:           4
        .value_kind:     hidden_block_count_y
      - .offset:         464
        .size:           4
        .value_kind:     hidden_block_count_z
      - .offset:         468
        .size:           2
        .value_kind:     hidden_group_size_x
      - .offset:         470
        .size:           2
        .value_kind:     hidden_group_size_y
      - .offset:         472
        .size:           2
        .value_kind:     hidden_group_size_z
      - .offset:         474
        .size:           2
        .value_kind:     hidden_remainder_x
      - .offset:         476
        .size:           2
        .value_kind:     hidden_remainder_y
      - .offset:         478
        .size:           2
        .value_kind:     hidden_remainder_z
      - .offset:         496
        .size:           8
        .value_kind:     hidden_global_offset_x
      - .offset:         504
        .size:           8
        .value_kind:     hidden_global_offset_y
      - .offset:         512
        .size:           8
        .value_kind:     hidden_global_offset_z
      - .offset:         520
        .size:           2
        .value_kind:     hidden_grid_dims
    .group_segment_fixed_size: 1056
    .kernarg_segment_align: 8
    .kernarg_segment_size: 712
    .language:       OpenCL C
    .language_version:
      - 2
      - 0
    .max_flat_workgroup_size: 32
    .name:           _ZN2at6native18radixSortKVInPlaceILin2ELin1ELi32ELi4EsljEEvNS_4cuda6detail10TensorInfoIT3_T5_EES6_S6_S6_NS4_IT4_S6_EES6_b
    .private_segment_fixed_size: 0
    .sgpr_count:     50
    .sgpr_spill_count: 0
    .symbol:         _ZN2at6native18radixSortKVInPlaceILin2ELin1ELi32ELi4EsljEEvNS_4cuda6detail10TensorInfoIT3_T5_EES6_S6_S6_NS4_IT4_S6_EES6_b.kd
    .uniform_work_group_size: 1
    .uses_dynamic_stack: false
    .vgpr_count:     60
    .vgpr_spill_count: 0
    .wavefront_size: 64
  - .agpr_count:     0
    .args:
      - .offset:         0
        .size:           216
        .value_kind:     by_value
      - .offset:         216
        .size:           4
        .value_kind:     by_value
      - .offset:         220
        .size:           4
        .value_kind:     by_value
      - .offset:         224
        .size:           4
        .value_kind:     by_value
      - .offset:         232
        .size:           216
        .value_kind:     by_value
      - .offset:         448
        .size:           4
        .value_kind:     by_value
      - .offset:         452
        .size:           1
        .value_kind:     by_value
      - .offset:         456
        .size:           4
        .value_kind:     hidden_block_count_x
      - .offset:         460
        .size:           4
        .value_kind:     hidden_block_count_y
      - .offset:         464
        .size:           4
        .value_kind:     hidden_block_count_z
      - .offset:         468
        .size:           2
        .value_kind:     hidden_group_size_x
      - .offset:         470
        .size:           2
        .value_kind:     hidden_group_size_y
      - .offset:         472
        .size:           2
        .value_kind:     hidden_group_size_z
      - .offset:         474
        .size:           2
        .value_kind:     hidden_remainder_x
      - .offset:         476
        .size:           2
        .value_kind:     hidden_remainder_y
      - .offset:         478
        .size:           2
        .value_kind:     hidden_remainder_z
      - .offset:         496
        .size:           8
        .value_kind:     hidden_global_offset_x
      - .offset:         504
        .size:           8
        .value_kind:     hidden_global_offset_y
      - .offset:         512
        .size:           8
        .value_kind:     hidden_global_offset_z
      - .offset:         520
        .size:           2
        .value_kind:     hidden_grid_dims
    .group_segment_fixed_size: 528
    .kernarg_segment_align: 8
    .kernarg_segment_size: 712
    .language:       OpenCL C
    .language_version:
      - 2
      - 0
    .max_flat_workgroup_size: 16
    .name:           _ZN2at6native18radixSortKVInPlaceILin2ELin1ELi16ELi2EsljEEvNS_4cuda6detail10TensorInfoIT3_T5_EES6_S6_S6_NS4_IT4_S6_EES6_b
    .private_segment_fixed_size: 0
    .sgpr_count:     44
    .sgpr_spill_count: 0
    .symbol:         _ZN2at6native18radixSortKVInPlaceILin2ELin1ELi16ELi2EsljEEvNS_4cuda6detail10TensorInfoIT3_T5_EES6_S6_S6_NS4_IT4_S6_EES6_b.kd
    .uniform_work_group_size: 1
    .uses_dynamic_stack: false
    .vgpr_count:     38
    .vgpr_spill_count: 0
    .wavefront_size: 64
  - .agpr_count:     0
    .args:
      - .offset:         0
        .size:           216
        .value_kind:     by_value
      - .offset:         216
        .size:           4
        .value_kind:     by_value
      - .offset:         220
        .size:           4
        .value_kind:     by_value
      - .offset:         224
        .size:           4
        .value_kind:     by_value
      - .offset:         232
        .size:           216
        .value_kind:     by_value
      - .offset:         448
        .size:           4
        .value_kind:     by_value
      - .offset:         452
        .size:           1
        .value_kind:     by_value
      - .offset:         456
        .size:           4
        .value_kind:     hidden_block_count_x
      - .offset:         460
        .size:           4
        .value_kind:     hidden_block_count_y
      - .offset:         464
        .size:           4
        .value_kind:     hidden_block_count_z
      - .offset:         468
        .size:           2
        .value_kind:     hidden_group_size_x
      - .offset:         470
        .size:           2
        .value_kind:     hidden_group_size_y
      - .offset:         472
        .size:           2
        .value_kind:     hidden_group_size_z
      - .offset:         474
        .size:           2
        .value_kind:     hidden_remainder_x
      - .offset:         476
        .size:           2
        .value_kind:     hidden_remainder_y
      - .offset:         478
        .size:           2
        .value_kind:     hidden_remainder_z
      - .offset:         496
        .size:           8
        .value_kind:     hidden_global_offset_x
      - .offset:         504
        .size:           8
        .value_kind:     hidden_global_offset_y
      - .offset:         512
        .size:           8
        .value_kind:     hidden_global_offset_z
      - .offset:         520
        .size:           2
        .value_kind:     hidden_grid_dims
    .group_segment_fixed_size: 33792
    .kernarg_segment_align: 8
    .kernarg_segment_size: 712
    .language:       OpenCL C
    .language_version:
      - 2
      - 0
    .max_flat_workgroup_size: 512
    .name:           _ZN2at6native18radixSortKVInPlaceILi2ELin1ELi512ELi8EsljEEvNS_4cuda6detail10TensorInfoIT3_T5_EES6_S6_S6_NS4_IT4_S6_EES6_b
    .private_segment_fixed_size: 0
    .sgpr_count:     60
    .sgpr_spill_count: 0
    .symbol:         _ZN2at6native18radixSortKVInPlaceILi2ELin1ELi512ELi8EsljEEvNS_4cuda6detail10TensorInfoIT3_T5_EES6_S6_S6_NS4_IT4_S6_EES6_b.kd
    .uniform_work_group_size: 1
    .uses_dynamic_stack: false
    .vgpr_count:     113
    .vgpr_spill_count: 0
    .wavefront_size: 64
  - .agpr_count:     0
    .args:
      - .offset:         0
        .size:           216
        .value_kind:     by_value
      - .offset:         216
        .size:           4
        .value_kind:     by_value
      - .offset:         220
        .size:           4
        .value_kind:     by_value
      - .offset:         224
        .size:           4
        .value_kind:     by_value
      - .offset:         232
        .size:           216
        .value_kind:     by_value
      - .offset:         448
        .size:           4
        .value_kind:     by_value
      - .offset:         452
        .size:           1
        .value_kind:     by_value
      - .offset:         456
        .size:           4
        .value_kind:     hidden_block_count_x
      - .offset:         460
        .size:           4
        .value_kind:     hidden_block_count_y
      - .offset:         464
        .size:           4
        .value_kind:     hidden_block_count_z
      - .offset:         468
        .size:           2
        .value_kind:     hidden_group_size_x
      - .offset:         470
        .size:           2
        .value_kind:     hidden_group_size_y
      - .offset:         472
        .size:           2
        .value_kind:     hidden_group_size_z
      - .offset:         474
        .size:           2
        .value_kind:     hidden_remainder_x
      - .offset:         476
        .size:           2
        .value_kind:     hidden_remainder_y
      - .offset:         478
        .size:           2
        .value_kind:     hidden_remainder_z
      - .offset:         496
        .size:           8
        .value_kind:     hidden_global_offset_x
      - .offset:         504
        .size:           8
        .value_kind:     hidden_global_offset_y
      - .offset:         512
        .size:           8
        .value_kind:     hidden_global_offset_z
      - .offset:         520
        .size:           2
        .value_kind:     hidden_grid_dims
    .group_segment_fixed_size: 16896
    .kernarg_segment_align: 8
    .kernarg_segment_size: 712
    .language:       OpenCL C
    .language_version:
      - 2
      - 0
    .max_flat_workgroup_size: 256
    .name:           _ZN2at6native18radixSortKVInPlaceILi2ELin1ELi256ELi8EsljEEvNS_4cuda6detail10TensorInfoIT3_T5_EES6_S6_S6_NS4_IT4_S6_EES6_b
    .private_segment_fixed_size: 0
    .sgpr_count:     58
    .sgpr_spill_count: 0
    .symbol:         _ZN2at6native18radixSortKVInPlaceILi2ELin1ELi256ELi8EsljEEvNS_4cuda6detail10TensorInfoIT3_T5_EES6_S6_S6_NS4_IT4_S6_EES6_b.kd
    .uniform_work_group_size: 1
    .uses_dynamic_stack: false
    .vgpr_count:     113
    .vgpr_spill_count: 0
    .wavefront_size: 64
  - .agpr_count:     0
    .args:
      - .offset:         0
        .size:           216
        .value_kind:     by_value
      - .offset:         216
        .size:           4
        .value_kind:     by_value
      - .offset:         220
        .size:           4
        .value_kind:     by_value
      - .offset:         224
        .size:           4
        .value_kind:     by_value
      - .offset:         232
        .size:           216
        .value_kind:     by_value
      - .offset:         448
        .size:           4
        .value_kind:     by_value
      - .offset:         452
        .size:           1
        .value_kind:     by_value
      - .offset:         456
        .size:           4
        .value_kind:     hidden_block_count_x
      - .offset:         460
        .size:           4
        .value_kind:     hidden_block_count_y
      - .offset:         464
        .size:           4
        .value_kind:     hidden_block_count_z
      - .offset:         468
        .size:           2
        .value_kind:     hidden_group_size_x
      - .offset:         470
        .size:           2
        .value_kind:     hidden_group_size_y
      - .offset:         472
        .size:           2
        .value_kind:     hidden_group_size_z
      - .offset:         474
        .size:           2
        .value_kind:     hidden_remainder_x
      - .offset:         476
        .size:           2
        .value_kind:     hidden_remainder_y
      - .offset:         478
        .size:           2
        .value_kind:     hidden_remainder_z
      - .offset:         496
        .size:           8
        .value_kind:     hidden_global_offset_x
      - .offset:         504
        .size:           8
        .value_kind:     hidden_global_offset_y
      - .offset:         512
        .size:           8
        .value_kind:     hidden_global_offset_z
      - .offset:         520
        .size:           2
        .value_kind:     hidden_grid_dims
    .group_segment_fixed_size: 8448
    .kernarg_segment_align: 8
    .kernarg_segment_size: 712
    .language:       OpenCL C
    .language_version:
      - 2
      - 0
    .max_flat_workgroup_size: 128
    .name:           _ZN2at6native18radixSortKVInPlaceILi2ELin1ELi128ELi8EsljEEvNS_4cuda6detail10TensorInfoIT3_T5_EES6_S6_S6_NS4_IT4_S6_EES6_b
    .private_segment_fixed_size: 0
    .sgpr_count:     56
    .sgpr_spill_count: 0
    .symbol:         _ZN2at6native18radixSortKVInPlaceILi2ELin1ELi128ELi8EsljEEvNS_4cuda6detail10TensorInfoIT3_T5_EES6_S6_S6_NS4_IT4_S6_EES6_b.kd
    .uniform_work_group_size: 1
    .uses_dynamic_stack: false
    .vgpr_count:     113
    .vgpr_spill_count: 0
    .wavefront_size: 64
  - .agpr_count:     0
    .args:
      - .offset:         0
        .size:           216
        .value_kind:     by_value
      - .offset:         216
        .size:           4
        .value_kind:     by_value
      - .offset:         220
        .size:           4
        .value_kind:     by_value
      - .offset:         224
        .size:           4
        .value_kind:     by_value
      - .offset:         232
        .size:           216
        .value_kind:     by_value
      - .offset:         448
        .size:           4
        .value_kind:     by_value
      - .offset:         452
        .size:           1
        .value_kind:     by_value
      - .offset:         456
        .size:           4
        .value_kind:     hidden_block_count_x
      - .offset:         460
        .size:           4
        .value_kind:     hidden_block_count_y
      - .offset:         464
        .size:           4
        .value_kind:     hidden_block_count_z
      - .offset:         468
        .size:           2
        .value_kind:     hidden_group_size_x
      - .offset:         470
        .size:           2
        .value_kind:     hidden_group_size_y
      - .offset:         472
        .size:           2
        .value_kind:     hidden_group_size_z
      - .offset:         474
        .size:           2
        .value_kind:     hidden_remainder_x
      - .offset:         476
        .size:           2
        .value_kind:     hidden_remainder_y
      - .offset:         478
        .size:           2
        .value_kind:     hidden_remainder_z
      - .offset:         496
        .size:           8
        .value_kind:     hidden_global_offset_x
      - .offset:         504
        .size:           8
        .value_kind:     hidden_global_offset_y
      - .offset:         512
        .size:           8
        .value_kind:     hidden_global_offset_z
      - .offset:         520
        .size:           2
        .value_kind:     hidden_grid_dims
    .group_segment_fixed_size: 1056
    .kernarg_segment_align: 8
    .kernarg_segment_size: 712
    .language:       OpenCL C
    .language_version:
      - 2
      - 0
    .max_flat_workgroup_size: 32
    .name:           _ZN2at6native18radixSortKVInPlaceILi2ELin1ELi32ELi4EsljEEvNS_4cuda6detail10TensorInfoIT3_T5_EES6_S6_S6_NS4_IT4_S6_EES6_b
    .private_segment_fixed_size: 0
    .sgpr_count:     50
    .sgpr_spill_count: 0
    .symbol:         _ZN2at6native18radixSortKVInPlaceILi2ELin1ELi32ELi4EsljEEvNS_4cuda6detail10TensorInfoIT3_T5_EES6_S6_S6_NS4_IT4_S6_EES6_b.kd
    .uniform_work_group_size: 1
    .uses_dynamic_stack: false
    .vgpr_count:     60
    .vgpr_spill_count: 0
    .wavefront_size: 64
  - .agpr_count:     0
    .args:
      - .offset:         0
        .size:           216
        .value_kind:     by_value
      - .offset:         216
        .size:           4
        .value_kind:     by_value
      - .offset:         220
        .size:           4
        .value_kind:     by_value
      - .offset:         224
        .size:           4
        .value_kind:     by_value
      - .offset:         232
        .size:           216
        .value_kind:     by_value
      - .offset:         448
        .size:           4
        .value_kind:     by_value
      - .offset:         452
        .size:           1
        .value_kind:     by_value
      - .offset:         456
        .size:           4
        .value_kind:     hidden_block_count_x
      - .offset:         460
        .size:           4
        .value_kind:     hidden_block_count_y
      - .offset:         464
        .size:           4
        .value_kind:     hidden_block_count_z
      - .offset:         468
        .size:           2
        .value_kind:     hidden_group_size_x
      - .offset:         470
        .size:           2
        .value_kind:     hidden_group_size_y
      - .offset:         472
        .size:           2
        .value_kind:     hidden_group_size_z
      - .offset:         474
        .size:           2
        .value_kind:     hidden_remainder_x
      - .offset:         476
        .size:           2
        .value_kind:     hidden_remainder_y
      - .offset:         478
        .size:           2
        .value_kind:     hidden_remainder_z
      - .offset:         496
        .size:           8
        .value_kind:     hidden_global_offset_x
      - .offset:         504
        .size:           8
        .value_kind:     hidden_global_offset_y
      - .offset:         512
        .size:           8
        .value_kind:     hidden_global_offset_z
      - .offset:         520
        .size:           2
        .value_kind:     hidden_grid_dims
    .group_segment_fixed_size: 528
    .kernarg_segment_align: 8
    .kernarg_segment_size: 712
    .language:       OpenCL C
    .language_version:
      - 2
      - 0
    .max_flat_workgroup_size: 16
    .name:           _ZN2at6native18radixSortKVInPlaceILi2ELin1ELi16ELi2EsljEEvNS_4cuda6detail10TensorInfoIT3_T5_EES6_S6_S6_NS4_IT4_S6_EES6_b
    .private_segment_fixed_size: 0
    .sgpr_count:     44
    .sgpr_spill_count: 0
    .symbol:         _ZN2at6native18radixSortKVInPlaceILi2ELin1ELi16ELi2EsljEEvNS_4cuda6detail10TensorInfoIT3_T5_EES6_S6_S6_NS4_IT4_S6_EES6_b.kd
    .uniform_work_group_size: 1
    .uses_dynamic_stack: false
    .vgpr_count:     38
    .vgpr_spill_count: 0
    .wavefront_size: 64
  - .agpr_count:     0
    .args:
      - .offset:         0
        .size:           216
        .value_kind:     by_value
      - .offset:         216
        .size:           4
        .value_kind:     by_value
      - .offset:         220
        .size:           4
        .value_kind:     by_value
      - .offset:         224
        .size:           4
        .value_kind:     by_value
      - .offset:         232
        .size:           216
        .value_kind:     by_value
      - .offset:         448
        .size:           4
        .value_kind:     by_value
      - .offset:         452
        .size:           1
        .value_kind:     by_value
      - .offset:         456
        .size:           4
        .value_kind:     hidden_block_count_x
      - .offset:         460
        .size:           4
        .value_kind:     hidden_block_count_y
      - .offset:         464
        .size:           4
        .value_kind:     hidden_block_count_z
      - .offset:         468
        .size:           2
        .value_kind:     hidden_group_size_x
      - .offset:         470
        .size:           2
        .value_kind:     hidden_group_size_y
      - .offset:         472
        .size:           2
        .value_kind:     hidden_group_size_z
      - .offset:         474
        .size:           2
        .value_kind:     hidden_remainder_x
      - .offset:         476
        .size:           2
        .value_kind:     hidden_remainder_y
      - .offset:         478
        .size:           2
        .value_kind:     hidden_remainder_z
      - .offset:         496
        .size:           8
        .value_kind:     hidden_global_offset_x
      - .offset:         504
        .size:           8
        .value_kind:     hidden_global_offset_y
      - .offset:         512
        .size:           8
        .value_kind:     hidden_global_offset_z
      - .offset:         520
        .size:           2
        .value_kind:     hidden_grid_dims
    .group_segment_fixed_size: 33792
    .kernarg_segment_align: 8
    .kernarg_segment_size: 712
    .language:       OpenCL C
    .language_version:
      - 2
      - 0
    .max_flat_workgroup_size: 512
    .name:           _ZN2at6native18radixSortKVInPlaceILin1ELin1ELi512ELi8EsljEEvNS_4cuda6detail10TensorInfoIT3_T5_EES6_S6_S6_NS4_IT4_S6_EES6_b
    .private_segment_fixed_size: 0
    .sgpr_count:     60
    .sgpr_spill_count: 0
    .symbol:         _ZN2at6native18radixSortKVInPlaceILin1ELin1ELi512ELi8EsljEEvNS_4cuda6detail10TensorInfoIT3_T5_EES6_S6_S6_NS4_IT4_S6_EES6_b.kd
    .uniform_work_group_size: 1
    .uses_dynamic_stack: false
    .vgpr_count:     113
    .vgpr_spill_count: 0
    .wavefront_size: 64
  - .agpr_count:     0
    .args:
      - .offset:         0
        .size:           216
        .value_kind:     by_value
      - .offset:         216
        .size:           4
        .value_kind:     by_value
      - .offset:         220
        .size:           4
        .value_kind:     by_value
      - .offset:         224
        .size:           4
        .value_kind:     by_value
      - .offset:         232
        .size:           216
        .value_kind:     by_value
      - .offset:         448
        .size:           4
        .value_kind:     by_value
      - .offset:         452
        .size:           1
        .value_kind:     by_value
      - .offset:         456
        .size:           4
        .value_kind:     hidden_block_count_x
      - .offset:         460
        .size:           4
        .value_kind:     hidden_block_count_y
      - .offset:         464
        .size:           4
        .value_kind:     hidden_block_count_z
      - .offset:         468
        .size:           2
        .value_kind:     hidden_group_size_x
      - .offset:         470
        .size:           2
        .value_kind:     hidden_group_size_y
      - .offset:         472
        .size:           2
        .value_kind:     hidden_group_size_z
      - .offset:         474
        .size:           2
        .value_kind:     hidden_remainder_x
      - .offset:         476
        .size:           2
        .value_kind:     hidden_remainder_y
      - .offset:         478
        .size:           2
        .value_kind:     hidden_remainder_z
      - .offset:         496
        .size:           8
        .value_kind:     hidden_global_offset_x
      - .offset:         504
        .size:           8
        .value_kind:     hidden_global_offset_y
      - .offset:         512
        .size:           8
        .value_kind:     hidden_global_offset_z
      - .offset:         520
        .size:           2
        .value_kind:     hidden_grid_dims
    .group_segment_fixed_size: 16896
    .kernarg_segment_align: 8
    .kernarg_segment_size: 712
    .language:       OpenCL C
    .language_version:
      - 2
      - 0
    .max_flat_workgroup_size: 256
    .name:           _ZN2at6native18radixSortKVInPlaceILin1ELin1ELi256ELi8EsljEEvNS_4cuda6detail10TensorInfoIT3_T5_EES6_S6_S6_NS4_IT4_S6_EES6_b
    .private_segment_fixed_size: 0
    .sgpr_count:     58
    .sgpr_spill_count: 0
    .symbol:         _ZN2at6native18radixSortKVInPlaceILin1ELin1ELi256ELi8EsljEEvNS_4cuda6detail10TensorInfoIT3_T5_EES6_S6_S6_NS4_IT4_S6_EES6_b.kd
    .uniform_work_group_size: 1
    .uses_dynamic_stack: false
    .vgpr_count:     113
    .vgpr_spill_count: 0
    .wavefront_size: 64
  - .agpr_count:     0
    .args:
      - .offset:         0
        .size:           216
        .value_kind:     by_value
      - .offset:         216
        .size:           4
        .value_kind:     by_value
      - .offset:         220
        .size:           4
        .value_kind:     by_value
      - .offset:         224
        .size:           4
        .value_kind:     by_value
      - .offset:         232
        .size:           216
        .value_kind:     by_value
      - .offset:         448
        .size:           4
        .value_kind:     by_value
      - .offset:         452
        .size:           1
        .value_kind:     by_value
      - .offset:         456
        .size:           4
        .value_kind:     hidden_block_count_x
      - .offset:         460
        .size:           4
        .value_kind:     hidden_block_count_y
      - .offset:         464
        .size:           4
        .value_kind:     hidden_block_count_z
      - .offset:         468
        .size:           2
        .value_kind:     hidden_group_size_x
      - .offset:         470
        .size:           2
        .value_kind:     hidden_group_size_y
      - .offset:         472
        .size:           2
        .value_kind:     hidden_group_size_z
      - .offset:         474
        .size:           2
        .value_kind:     hidden_remainder_x
      - .offset:         476
        .size:           2
        .value_kind:     hidden_remainder_y
      - .offset:         478
        .size:           2
        .value_kind:     hidden_remainder_z
      - .offset:         496
        .size:           8
        .value_kind:     hidden_global_offset_x
      - .offset:         504
        .size:           8
        .value_kind:     hidden_global_offset_y
      - .offset:         512
        .size:           8
        .value_kind:     hidden_global_offset_z
      - .offset:         520
        .size:           2
        .value_kind:     hidden_grid_dims
    .group_segment_fixed_size: 8448
    .kernarg_segment_align: 8
    .kernarg_segment_size: 712
    .language:       OpenCL C
    .language_version:
      - 2
      - 0
    .max_flat_workgroup_size: 128
    .name:           _ZN2at6native18radixSortKVInPlaceILin1ELin1ELi128ELi8EsljEEvNS_4cuda6detail10TensorInfoIT3_T5_EES6_S6_S6_NS4_IT4_S6_EES6_b
    .private_segment_fixed_size: 0
    .sgpr_count:     56
    .sgpr_spill_count: 0
    .symbol:         _ZN2at6native18radixSortKVInPlaceILin1ELin1ELi128ELi8EsljEEvNS_4cuda6detail10TensorInfoIT3_T5_EES6_S6_S6_NS4_IT4_S6_EES6_b.kd
    .uniform_work_group_size: 1
    .uses_dynamic_stack: false
    .vgpr_count:     113
    .vgpr_spill_count: 0
    .wavefront_size: 64
  - .agpr_count:     0
    .args:
      - .offset:         0
        .size:           216
        .value_kind:     by_value
      - .offset:         216
        .size:           4
        .value_kind:     by_value
      - .offset:         220
        .size:           4
        .value_kind:     by_value
      - .offset:         224
        .size:           4
        .value_kind:     by_value
      - .offset:         232
        .size:           216
        .value_kind:     by_value
      - .offset:         448
        .size:           4
        .value_kind:     by_value
      - .offset:         452
        .size:           1
        .value_kind:     by_value
      - .offset:         456
        .size:           4
        .value_kind:     hidden_block_count_x
      - .offset:         460
        .size:           4
        .value_kind:     hidden_block_count_y
      - .offset:         464
        .size:           4
        .value_kind:     hidden_block_count_z
      - .offset:         468
        .size:           2
        .value_kind:     hidden_group_size_x
      - .offset:         470
        .size:           2
        .value_kind:     hidden_group_size_y
      - .offset:         472
        .size:           2
        .value_kind:     hidden_group_size_z
      - .offset:         474
        .size:           2
        .value_kind:     hidden_remainder_x
      - .offset:         476
        .size:           2
        .value_kind:     hidden_remainder_y
      - .offset:         478
        .size:           2
        .value_kind:     hidden_remainder_z
      - .offset:         496
        .size:           8
        .value_kind:     hidden_global_offset_x
      - .offset:         504
        .size:           8
        .value_kind:     hidden_global_offset_y
      - .offset:         512
        .size:           8
        .value_kind:     hidden_global_offset_z
      - .offset:         520
        .size:           2
        .value_kind:     hidden_grid_dims
    .group_segment_fixed_size: 1056
    .kernarg_segment_align: 8
    .kernarg_segment_size: 712
    .language:       OpenCL C
    .language_version:
      - 2
      - 0
    .max_flat_workgroup_size: 32
    .name:           _ZN2at6native18radixSortKVInPlaceILin1ELin1ELi32ELi4EsljEEvNS_4cuda6detail10TensorInfoIT3_T5_EES6_S6_S6_NS4_IT4_S6_EES6_b
    .private_segment_fixed_size: 0
    .sgpr_count:     50
    .sgpr_spill_count: 0
    .symbol:         _ZN2at6native18radixSortKVInPlaceILin1ELin1ELi32ELi4EsljEEvNS_4cuda6detail10TensorInfoIT3_T5_EES6_S6_S6_NS4_IT4_S6_EES6_b.kd
    .uniform_work_group_size: 1
    .uses_dynamic_stack: false
    .vgpr_count:     60
    .vgpr_spill_count: 0
    .wavefront_size: 64
  - .agpr_count:     0
    .args:
      - .offset:         0
        .size:           216
        .value_kind:     by_value
      - .offset:         216
        .size:           4
        .value_kind:     by_value
      - .offset:         220
        .size:           4
        .value_kind:     by_value
      - .offset:         224
        .size:           4
        .value_kind:     by_value
      - .offset:         232
        .size:           216
        .value_kind:     by_value
      - .offset:         448
        .size:           4
        .value_kind:     by_value
      - .offset:         452
        .size:           1
        .value_kind:     by_value
      - .offset:         456
        .size:           4
        .value_kind:     hidden_block_count_x
      - .offset:         460
        .size:           4
        .value_kind:     hidden_block_count_y
      - .offset:         464
        .size:           4
        .value_kind:     hidden_block_count_z
      - .offset:         468
        .size:           2
        .value_kind:     hidden_group_size_x
      - .offset:         470
        .size:           2
        .value_kind:     hidden_group_size_y
      - .offset:         472
        .size:           2
        .value_kind:     hidden_group_size_z
      - .offset:         474
        .size:           2
        .value_kind:     hidden_remainder_x
      - .offset:         476
        .size:           2
        .value_kind:     hidden_remainder_y
      - .offset:         478
        .size:           2
        .value_kind:     hidden_remainder_z
      - .offset:         496
        .size:           8
        .value_kind:     hidden_global_offset_x
      - .offset:         504
        .size:           8
        .value_kind:     hidden_global_offset_y
      - .offset:         512
        .size:           8
        .value_kind:     hidden_global_offset_z
      - .offset:         520
        .size:           2
        .value_kind:     hidden_grid_dims
    .group_segment_fixed_size: 528
    .kernarg_segment_align: 8
    .kernarg_segment_size: 712
    .language:       OpenCL C
    .language_version:
      - 2
      - 0
    .max_flat_workgroup_size: 16
    .name:           _ZN2at6native18radixSortKVInPlaceILin1ELin1ELi16ELi2EsljEEvNS_4cuda6detail10TensorInfoIT3_T5_EES6_S6_S6_NS4_IT4_S6_EES6_b
    .private_segment_fixed_size: 0
    .sgpr_count:     44
    .sgpr_spill_count: 0
    .symbol:         _ZN2at6native18radixSortKVInPlaceILin1ELin1ELi16ELi2EsljEEvNS_4cuda6detail10TensorInfoIT3_T5_EES6_S6_S6_NS4_IT4_S6_EES6_b.kd
    .uniform_work_group_size: 1
    .uses_dynamic_stack: false
    .vgpr_count:     38
    .vgpr_spill_count: 0
    .wavefront_size: 64
  - .agpr_count:     0
    .args:
      - .offset:         0
        .size:           416
        .value_kind:     by_value
      - .offset:         416
        .size:           8
        .value_kind:     by_value
      - .offset:         424
        .size:           8
        .value_kind:     by_value
      - .offset:         432
        .size:           8
        .value_kind:     by_value
      - .offset:         440
        .size:           416
        .value_kind:     by_value
      - .offset:         856
        .size:           8
        .value_kind:     by_value
      - .offset:         864
        .size:           1
        .value_kind:     by_value
      - .offset:         872
        .size:           4
        .value_kind:     hidden_block_count_x
      - .offset:         876
        .size:           4
        .value_kind:     hidden_block_count_y
      - .offset:         880
        .size:           4
        .value_kind:     hidden_block_count_z
      - .offset:         884
        .size:           2
        .value_kind:     hidden_group_size_x
      - .offset:         886
        .size:           2
        .value_kind:     hidden_group_size_y
      - .offset:         888
        .size:           2
        .value_kind:     hidden_group_size_z
      - .offset:         890
        .size:           2
        .value_kind:     hidden_remainder_x
      - .offset:         892
        .size:           2
        .value_kind:     hidden_remainder_y
      - .offset:         894
        .size:           2
        .value_kind:     hidden_remainder_z
      - .offset:         912
        .size:           8
        .value_kind:     hidden_global_offset_x
      - .offset:         920
        .size:           8
        .value_kind:     hidden_global_offset_y
      - .offset:         928
        .size:           8
        .value_kind:     hidden_global_offset_z
      - .offset:         936
        .size:           2
        .value_kind:     hidden_grid_dims
    .group_segment_fixed_size: 33792
    .kernarg_segment_align: 8
    .kernarg_segment_size: 1128
    .language:       OpenCL C
    .language_version:
      - 2
      - 0
    .max_flat_workgroup_size: 512
    .name:           _ZN2at6native18radixSortKVInPlaceILin1ELin1ELi512ELi8EslmEEvNS_4cuda6detail10TensorInfoIT3_T5_EES6_S6_S6_NS4_IT4_S6_EES6_b
    .private_segment_fixed_size: 0
    .sgpr_count:     62
    .sgpr_spill_count: 0
    .symbol:         _ZN2at6native18radixSortKVInPlaceILin1ELin1ELi512ELi8EslmEEvNS_4cuda6detail10TensorInfoIT3_T5_EES6_S6_S6_NS4_IT4_S6_EES6_b.kd
    .uniform_work_group_size: 1
    .uses_dynamic_stack: false
    .vgpr_count:     111
    .vgpr_spill_count: 0
    .wavefront_size: 64
  - .agpr_count:     0
    .args:
      - .offset:         0
        .size:           416
        .value_kind:     by_value
      - .offset:         416
        .size:           8
        .value_kind:     by_value
      - .offset:         424
        .size:           8
        .value_kind:     by_value
      - .offset:         432
        .size:           8
        .value_kind:     by_value
      - .offset:         440
        .size:           416
        .value_kind:     by_value
      - .offset:         856
        .size:           8
        .value_kind:     by_value
      - .offset:         864
        .size:           1
        .value_kind:     by_value
      - .offset:         872
        .size:           4
        .value_kind:     hidden_block_count_x
      - .offset:         876
        .size:           4
        .value_kind:     hidden_block_count_y
      - .offset:         880
        .size:           4
        .value_kind:     hidden_block_count_z
      - .offset:         884
        .size:           2
        .value_kind:     hidden_group_size_x
      - .offset:         886
        .size:           2
        .value_kind:     hidden_group_size_y
      - .offset:         888
        .size:           2
        .value_kind:     hidden_group_size_z
      - .offset:         890
        .size:           2
        .value_kind:     hidden_remainder_x
      - .offset:         892
        .size:           2
        .value_kind:     hidden_remainder_y
      - .offset:         894
        .size:           2
        .value_kind:     hidden_remainder_z
      - .offset:         912
        .size:           8
        .value_kind:     hidden_global_offset_x
      - .offset:         920
        .size:           8
        .value_kind:     hidden_global_offset_y
      - .offset:         928
        .size:           8
        .value_kind:     hidden_global_offset_z
      - .offset:         936
        .size:           2
        .value_kind:     hidden_grid_dims
    .group_segment_fixed_size: 16896
    .kernarg_segment_align: 8
    .kernarg_segment_size: 1128
    .language:       OpenCL C
    .language_version:
      - 2
      - 0
    .max_flat_workgroup_size: 256
    .name:           _ZN2at6native18radixSortKVInPlaceILin1ELin1ELi256ELi8EslmEEvNS_4cuda6detail10TensorInfoIT3_T5_EES6_S6_S6_NS4_IT4_S6_EES6_b
    .private_segment_fixed_size: 0
    .sgpr_count:     60
    .sgpr_spill_count: 0
    .symbol:         _ZN2at6native18radixSortKVInPlaceILin1ELin1ELi256ELi8EslmEEvNS_4cuda6detail10TensorInfoIT3_T5_EES6_S6_S6_NS4_IT4_S6_EES6_b.kd
    .uniform_work_group_size: 1
    .uses_dynamic_stack: false
    .vgpr_count:     111
    .vgpr_spill_count: 0
    .wavefront_size: 64
  - .agpr_count:     0
    .args:
      - .offset:         0
        .size:           416
        .value_kind:     by_value
      - .offset:         416
        .size:           8
        .value_kind:     by_value
      - .offset:         424
        .size:           8
        .value_kind:     by_value
      - .offset:         432
        .size:           8
        .value_kind:     by_value
      - .offset:         440
        .size:           416
        .value_kind:     by_value
      - .offset:         856
        .size:           8
        .value_kind:     by_value
      - .offset:         864
        .size:           1
        .value_kind:     by_value
      - .offset:         872
        .size:           4
        .value_kind:     hidden_block_count_x
      - .offset:         876
        .size:           4
        .value_kind:     hidden_block_count_y
      - .offset:         880
        .size:           4
        .value_kind:     hidden_block_count_z
      - .offset:         884
        .size:           2
        .value_kind:     hidden_group_size_x
      - .offset:         886
        .size:           2
        .value_kind:     hidden_group_size_y
      - .offset:         888
        .size:           2
        .value_kind:     hidden_group_size_z
      - .offset:         890
        .size:           2
        .value_kind:     hidden_remainder_x
      - .offset:         892
        .size:           2
        .value_kind:     hidden_remainder_y
      - .offset:         894
        .size:           2
        .value_kind:     hidden_remainder_z
      - .offset:         912
        .size:           8
        .value_kind:     hidden_global_offset_x
      - .offset:         920
        .size:           8
        .value_kind:     hidden_global_offset_y
      - .offset:         928
        .size:           8
        .value_kind:     hidden_global_offset_z
      - .offset:         936
        .size:           2
        .value_kind:     hidden_grid_dims
    .group_segment_fixed_size: 8448
    .kernarg_segment_align: 8
    .kernarg_segment_size: 1128
    .language:       OpenCL C
    .language_version:
      - 2
      - 0
    .max_flat_workgroup_size: 128
    .name:           _ZN2at6native18radixSortKVInPlaceILin1ELin1ELi128ELi8EslmEEvNS_4cuda6detail10TensorInfoIT3_T5_EES6_S6_S6_NS4_IT4_S6_EES6_b
    .private_segment_fixed_size: 0
    .sgpr_count:     58
    .sgpr_spill_count: 0
    .symbol:         _ZN2at6native18radixSortKVInPlaceILin1ELin1ELi128ELi8EslmEEvNS_4cuda6detail10TensorInfoIT3_T5_EES6_S6_S6_NS4_IT4_S6_EES6_b.kd
    .uniform_work_group_size: 1
    .uses_dynamic_stack: false
    .vgpr_count:     111
    .vgpr_spill_count: 0
    .wavefront_size: 64
  - .agpr_count:     0
    .args:
      - .offset:         0
        .size:           416
        .value_kind:     by_value
      - .offset:         416
        .size:           8
        .value_kind:     by_value
      - .offset:         424
        .size:           8
        .value_kind:     by_value
      - .offset:         432
        .size:           8
        .value_kind:     by_value
      - .offset:         440
        .size:           416
        .value_kind:     by_value
      - .offset:         856
        .size:           8
        .value_kind:     by_value
      - .offset:         864
        .size:           1
        .value_kind:     by_value
      - .offset:         872
        .size:           4
        .value_kind:     hidden_block_count_x
      - .offset:         876
        .size:           4
        .value_kind:     hidden_block_count_y
      - .offset:         880
        .size:           4
        .value_kind:     hidden_block_count_z
      - .offset:         884
        .size:           2
        .value_kind:     hidden_group_size_x
      - .offset:         886
        .size:           2
        .value_kind:     hidden_group_size_y
      - .offset:         888
        .size:           2
        .value_kind:     hidden_group_size_z
      - .offset:         890
        .size:           2
        .value_kind:     hidden_remainder_x
      - .offset:         892
        .size:           2
        .value_kind:     hidden_remainder_y
      - .offset:         894
        .size:           2
        .value_kind:     hidden_remainder_z
      - .offset:         912
        .size:           8
        .value_kind:     hidden_global_offset_x
      - .offset:         920
        .size:           8
        .value_kind:     hidden_global_offset_y
      - .offset:         928
        .size:           8
        .value_kind:     hidden_global_offset_z
      - .offset:         936
        .size:           2
        .value_kind:     hidden_grid_dims
    .group_segment_fixed_size: 1056
    .kernarg_segment_align: 8
    .kernarg_segment_size: 1128
    .language:       OpenCL C
    .language_version:
      - 2
      - 0
    .max_flat_workgroup_size: 32
    .name:           _ZN2at6native18radixSortKVInPlaceILin1ELin1ELi32ELi4EslmEEvNS_4cuda6detail10TensorInfoIT3_T5_EES6_S6_S6_NS4_IT4_S6_EES6_b
    .private_segment_fixed_size: 0
    .sgpr_count:     52
    .sgpr_spill_count: 0
    .symbol:         _ZN2at6native18radixSortKVInPlaceILin1ELin1ELi32ELi4EslmEEvNS_4cuda6detail10TensorInfoIT3_T5_EES6_S6_S6_NS4_IT4_S6_EES6_b.kd
    .uniform_work_group_size: 1
    .uses_dynamic_stack: false
    .vgpr_count:     58
    .vgpr_spill_count: 0
    .wavefront_size: 64
  - .agpr_count:     0
    .args:
      - .offset:         0
        .size:           416
        .value_kind:     by_value
      - .offset:         416
        .size:           8
        .value_kind:     by_value
      - .offset:         424
        .size:           8
        .value_kind:     by_value
      - .offset:         432
        .size:           8
        .value_kind:     by_value
      - .offset:         440
        .size:           416
        .value_kind:     by_value
      - .offset:         856
        .size:           8
        .value_kind:     by_value
      - .offset:         864
        .size:           1
        .value_kind:     by_value
      - .offset:         872
        .size:           4
        .value_kind:     hidden_block_count_x
      - .offset:         876
        .size:           4
        .value_kind:     hidden_block_count_y
      - .offset:         880
        .size:           4
        .value_kind:     hidden_block_count_z
      - .offset:         884
        .size:           2
        .value_kind:     hidden_group_size_x
      - .offset:         886
        .size:           2
        .value_kind:     hidden_group_size_y
      - .offset:         888
        .size:           2
        .value_kind:     hidden_group_size_z
      - .offset:         890
        .size:           2
        .value_kind:     hidden_remainder_x
      - .offset:         892
        .size:           2
        .value_kind:     hidden_remainder_y
      - .offset:         894
        .size:           2
        .value_kind:     hidden_remainder_z
      - .offset:         912
        .size:           8
        .value_kind:     hidden_global_offset_x
      - .offset:         920
        .size:           8
        .value_kind:     hidden_global_offset_y
      - .offset:         928
        .size:           8
        .value_kind:     hidden_global_offset_z
      - .offset:         936
        .size:           2
        .value_kind:     hidden_grid_dims
    .group_segment_fixed_size: 528
    .kernarg_segment_align: 8
    .kernarg_segment_size: 1128
    .language:       OpenCL C
    .language_version:
      - 2
      - 0
    .max_flat_workgroup_size: 16
    .name:           _ZN2at6native18radixSortKVInPlaceILin1ELin1ELi16ELi2EslmEEvNS_4cuda6detail10TensorInfoIT3_T5_EES6_S6_S6_NS4_IT4_S6_EES6_b
    .private_segment_fixed_size: 0
    .sgpr_count:     46
    .sgpr_spill_count: 0
    .symbol:         _ZN2at6native18radixSortKVInPlaceILin1ELin1ELi16ELi2EslmEEvNS_4cuda6detail10TensorInfoIT3_T5_EES6_S6_S6_NS4_IT4_S6_EES6_b.kd
    .uniform_work_group_size: 1
    .uses_dynamic_stack: false
    .vgpr_count:     36
    .vgpr_spill_count: 0
    .wavefront_size: 64
  - .agpr_count:     0
    .args:
      - .offset:         0
        .size:           216
        .value_kind:     by_value
      - .offset:         216
        .size:           4
        .value_kind:     by_value
      - .offset:         220
        .size:           4
        .value_kind:     by_value
      - .offset:         224
        .size:           4
        .value_kind:     by_value
      - .offset:         232
        .size:           216
        .value_kind:     by_value
      - .offset:         448
        .size:           4
        .value_kind:     by_value
      - .offset:         452
        .size:           1
        .value_kind:     by_value
      - .offset:         456
        .size:           4
        .value_kind:     hidden_block_count_x
      - .offset:         460
        .size:           4
        .value_kind:     hidden_block_count_y
      - .offset:         464
        .size:           4
        .value_kind:     hidden_block_count_z
      - .offset:         468
        .size:           2
        .value_kind:     hidden_group_size_x
      - .offset:         470
        .size:           2
        .value_kind:     hidden_group_size_y
      - .offset:         472
        .size:           2
        .value_kind:     hidden_group_size_z
      - .offset:         474
        .size:           2
        .value_kind:     hidden_remainder_x
      - .offset:         476
        .size:           2
        .value_kind:     hidden_remainder_y
      - .offset:         478
        .size:           2
        .value_kind:     hidden_remainder_z
      - .offset:         496
        .size:           8
        .value_kind:     hidden_global_offset_x
      - .offset:         504
        .size:           8
        .value_kind:     hidden_global_offset_y
      - .offset:         512
        .size:           8
        .value_kind:     hidden_global_offset_z
      - .offset:         520
        .size:           2
        .value_kind:     hidden_grid_dims
    .group_segment_fixed_size: 33792
    .kernarg_segment_align: 8
    .kernarg_segment_size: 712
    .language:       OpenCL C
    .language_version:
      - 2
      - 0
    .max_flat_workgroup_size: 512
    .name:           _ZN2at6native18radixSortKVInPlaceILin2ELin1ELi512ELi8EdljEEvNS_4cuda6detail10TensorInfoIT3_T5_EES6_S6_S6_NS4_IT4_S6_EES6_b
    .private_segment_fixed_size: 0
    .sgpr_count:     68
    .sgpr_spill_count: 0
    .symbol:         _ZN2at6native18radixSortKVInPlaceILin2ELin1ELi512ELi8EdljEEvNS_4cuda6detail10TensorInfoIT3_T5_EES6_S6_S6_NS4_IT4_S6_EES6_b.kd
    .uniform_work_group_size: 1
    .uses_dynamic_stack: false
    .vgpr_count:     139
    .vgpr_spill_count: 0
    .wavefront_size: 64
  - .agpr_count:     0
    .args:
      - .offset:         0
        .size:           216
        .value_kind:     by_value
      - .offset:         216
        .size:           4
        .value_kind:     by_value
      - .offset:         220
        .size:           4
        .value_kind:     by_value
      - .offset:         224
        .size:           4
        .value_kind:     by_value
      - .offset:         232
        .size:           216
        .value_kind:     by_value
      - .offset:         448
        .size:           4
        .value_kind:     by_value
      - .offset:         452
        .size:           1
        .value_kind:     by_value
      - .offset:         456
        .size:           4
        .value_kind:     hidden_block_count_x
      - .offset:         460
        .size:           4
        .value_kind:     hidden_block_count_y
      - .offset:         464
        .size:           4
        .value_kind:     hidden_block_count_z
      - .offset:         468
        .size:           2
        .value_kind:     hidden_group_size_x
      - .offset:         470
        .size:           2
        .value_kind:     hidden_group_size_y
      - .offset:         472
        .size:           2
        .value_kind:     hidden_group_size_z
      - .offset:         474
        .size:           2
        .value_kind:     hidden_remainder_x
      - .offset:         476
        .size:           2
        .value_kind:     hidden_remainder_y
      - .offset:         478
        .size:           2
        .value_kind:     hidden_remainder_z
      - .offset:         496
        .size:           8
        .value_kind:     hidden_global_offset_x
      - .offset:         504
        .size:           8
        .value_kind:     hidden_global_offset_y
      - .offset:         512
        .size:           8
        .value_kind:     hidden_global_offset_z
      - .offset:         520
        .size:           2
        .value_kind:     hidden_grid_dims
    .group_segment_fixed_size: 16896
    .kernarg_segment_align: 8
    .kernarg_segment_size: 712
    .language:       OpenCL C
    .language_version:
      - 2
      - 0
    .max_flat_workgroup_size: 256
    .name:           _ZN2at6native18radixSortKVInPlaceILin2ELin1ELi256ELi8EdljEEvNS_4cuda6detail10TensorInfoIT3_T5_EES6_S6_S6_NS4_IT4_S6_EES6_b
    .private_segment_fixed_size: 0
    .sgpr_count:     66
    .sgpr_spill_count: 0
    .symbol:         _ZN2at6native18radixSortKVInPlaceILin2ELin1ELi256ELi8EdljEEvNS_4cuda6detail10TensorInfoIT3_T5_EES6_S6_S6_NS4_IT4_S6_EES6_b.kd
    .uniform_work_group_size: 1
    .uses_dynamic_stack: false
    .vgpr_count:     139
    .vgpr_spill_count: 0
    .wavefront_size: 64
  - .agpr_count:     0
    .args:
      - .offset:         0
        .size:           216
        .value_kind:     by_value
      - .offset:         216
        .size:           4
        .value_kind:     by_value
      - .offset:         220
        .size:           4
        .value_kind:     by_value
      - .offset:         224
        .size:           4
        .value_kind:     by_value
      - .offset:         232
        .size:           216
        .value_kind:     by_value
      - .offset:         448
        .size:           4
        .value_kind:     by_value
      - .offset:         452
        .size:           1
        .value_kind:     by_value
      - .offset:         456
        .size:           4
        .value_kind:     hidden_block_count_x
      - .offset:         460
        .size:           4
        .value_kind:     hidden_block_count_y
      - .offset:         464
        .size:           4
        .value_kind:     hidden_block_count_z
      - .offset:         468
        .size:           2
        .value_kind:     hidden_group_size_x
      - .offset:         470
        .size:           2
        .value_kind:     hidden_group_size_y
      - .offset:         472
        .size:           2
        .value_kind:     hidden_group_size_z
      - .offset:         474
        .size:           2
        .value_kind:     hidden_remainder_x
      - .offset:         476
        .size:           2
        .value_kind:     hidden_remainder_y
      - .offset:         478
        .size:           2
        .value_kind:     hidden_remainder_z
      - .offset:         496
        .size:           8
        .value_kind:     hidden_global_offset_x
      - .offset:         504
        .size:           8
        .value_kind:     hidden_global_offset_y
      - .offset:         512
        .size:           8
        .value_kind:     hidden_global_offset_z
      - .offset:         520
        .size:           2
        .value_kind:     hidden_grid_dims
    .group_segment_fixed_size: 8448
    .kernarg_segment_align: 8
    .kernarg_segment_size: 712
    .language:       OpenCL C
    .language_version:
      - 2
      - 0
    .max_flat_workgroup_size: 128
    .name:           _ZN2at6native18radixSortKVInPlaceILin2ELin1ELi128ELi8EdljEEvNS_4cuda6detail10TensorInfoIT3_T5_EES6_S6_S6_NS4_IT4_S6_EES6_b
    .private_segment_fixed_size: 0
    .sgpr_count:     64
    .sgpr_spill_count: 0
    .symbol:         _ZN2at6native18radixSortKVInPlaceILin2ELin1ELi128ELi8EdljEEvNS_4cuda6detail10TensorInfoIT3_T5_EES6_S6_S6_NS4_IT4_S6_EES6_b.kd
    .uniform_work_group_size: 1
    .uses_dynamic_stack: false
    .vgpr_count:     139
    .vgpr_spill_count: 0
    .wavefront_size: 64
  - .agpr_count:     0
    .args:
      - .offset:         0
        .size:           216
        .value_kind:     by_value
      - .offset:         216
        .size:           4
        .value_kind:     by_value
      - .offset:         220
        .size:           4
        .value_kind:     by_value
      - .offset:         224
        .size:           4
        .value_kind:     by_value
      - .offset:         232
        .size:           216
        .value_kind:     by_value
      - .offset:         448
        .size:           4
        .value_kind:     by_value
      - .offset:         452
        .size:           1
        .value_kind:     by_value
      - .offset:         456
        .size:           4
        .value_kind:     hidden_block_count_x
      - .offset:         460
        .size:           4
        .value_kind:     hidden_block_count_y
      - .offset:         464
        .size:           4
        .value_kind:     hidden_block_count_z
      - .offset:         468
        .size:           2
        .value_kind:     hidden_group_size_x
      - .offset:         470
        .size:           2
        .value_kind:     hidden_group_size_y
      - .offset:         472
        .size:           2
        .value_kind:     hidden_group_size_z
      - .offset:         474
        .size:           2
        .value_kind:     hidden_remainder_x
      - .offset:         476
        .size:           2
        .value_kind:     hidden_remainder_y
      - .offset:         478
        .size:           2
        .value_kind:     hidden_remainder_z
      - .offset:         496
        .size:           8
        .value_kind:     hidden_global_offset_x
      - .offset:         504
        .size:           8
        .value_kind:     hidden_global_offset_y
      - .offset:         512
        .size:           8
        .value_kind:     hidden_global_offset_z
      - .offset:         520
        .size:           2
        .value_kind:     hidden_grid_dims
    .group_segment_fixed_size: 1056
    .kernarg_segment_align: 8
    .kernarg_segment_size: 712
    .language:       OpenCL C
    .language_version:
      - 2
      - 0
    .max_flat_workgroup_size: 32
    .name:           _ZN2at6native18radixSortKVInPlaceILin2ELin1ELi32ELi4EdljEEvNS_4cuda6detail10TensorInfoIT3_T5_EES6_S6_S6_NS4_IT4_S6_EES6_b
    .private_segment_fixed_size: 0
    .sgpr_count:     52
    .sgpr_spill_count: 0
    .symbol:         _ZN2at6native18radixSortKVInPlaceILin2ELin1ELi32ELi4EdljEEvNS_4cuda6detail10TensorInfoIT3_T5_EES6_S6_S6_NS4_IT4_S6_EES6_b.kd
    .uniform_work_group_size: 1
    .uses_dynamic_stack: false
    .vgpr_count:     72
    .vgpr_spill_count: 0
    .wavefront_size: 64
  - .agpr_count:     0
    .args:
      - .offset:         0
        .size:           216
        .value_kind:     by_value
      - .offset:         216
        .size:           4
        .value_kind:     by_value
      - .offset:         220
        .size:           4
        .value_kind:     by_value
      - .offset:         224
        .size:           4
        .value_kind:     by_value
      - .offset:         232
        .size:           216
        .value_kind:     by_value
      - .offset:         448
        .size:           4
        .value_kind:     by_value
      - .offset:         452
        .size:           1
        .value_kind:     by_value
      - .offset:         456
        .size:           4
        .value_kind:     hidden_block_count_x
      - .offset:         460
        .size:           4
        .value_kind:     hidden_block_count_y
      - .offset:         464
        .size:           4
        .value_kind:     hidden_block_count_z
      - .offset:         468
        .size:           2
        .value_kind:     hidden_group_size_x
      - .offset:         470
        .size:           2
        .value_kind:     hidden_group_size_y
      - .offset:         472
        .size:           2
        .value_kind:     hidden_group_size_z
      - .offset:         474
        .size:           2
        .value_kind:     hidden_remainder_x
      - .offset:         476
        .size:           2
        .value_kind:     hidden_remainder_y
      - .offset:         478
        .size:           2
        .value_kind:     hidden_remainder_z
      - .offset:         496
        .size:           8
        .value_kind:     hidden_global_offset_x
      - .offset:         504
        .size:           8
        .value_kind:     hidden_global_offset_y
      - .offset:         512
        .size:           8
        .value_kind:     hidden_global_offset_z
      - .offset:         520
        .size:           2
        .value_kind:     hidden_grid_dims
    .group_segment_fixed_size: 528
    .kernarg_segment_align: 8
    .kernarg_segment_size: 712
    .language:       OpenCL C
    .language_version:
      - 2
      - 0
    .max_flat_workgroup_size: 16
    .name:           _ZN2at6native18radixSortKVInPlaceILin2ELin1ELi16ELi2EdljEEvNS_4cuda6detail10TensorInfoIT3_T5_EES6_S6_S6_NS4_IT4_S6_EES6_b
    .private_segment_fixed_size: 0
    .sgpr_count:     46
    .sgpr_spill_count: 0
    .symbol:         _ZN2at6native18radixSortKVInPlaceILin2ELin1ELi16ELi2EdljEEvNS_4cuda6detail10TensorInfoIT3_T5_EES6_S6_S6_NS4_IT4_S6_EES6_b.kd
    .uniform_work_group_size: 1
    .uses_dynamic_stack: false
    .vgpr_count:     44
    .vgpr_spill_count: 0
    .wavefront_size: 64
  - .agpr_count:     0
    .args:
      - .offset:         0
        .size:           216
        .value_kind:     by_value
      - .offset:         216
        .size:           4
        .value_kind:     by_value
      - .offset:         220
        .size:           4
        .value_kind:     by_value
      - .offset:         224
        .size:           4
        .value_kind:     by_value
      - .offset:         232
        .size:           216
        .value_kind:     by_value
      - .offset:         448
        .size:           4
        .value_kind:     by_value
      - .offset:         452
        .size:           1
        .value_kind:     by_value
      - .offset:         456
        .size:           4
        .value_kind:     hidden_block_count_x
      - .offset:         460
        .size:           4
        .value_kind:     hidden_block_count_y
      - .offset:         464
        .size:           4
        .value_kind:     hidden_block_count_z
      - .offset:         468
        .size:           2
        .value_kind:     hidden_group_size_x
      - .offset:         470
        .size:           2
        .value_kind:     hidden_group_size_y
      - .offset:         472
        .size:           2
        .value_kind:     hidden_group_size_z
      - .offset:         474
        .size:           2
        .value_kind:     hidden_remainder_x
      - .offset:         476
        .size:           2
        .value_kind:     hidden_remainder_y
      - .offset:         478
        .size:           2
        .value_kind:     hidden_remainder_z
      - .offset:         496
        .size:           8
        .value_kind:     hidden_global_offset_x
      - .offset:         504
        .size:           8
        .value_kind:     hidden_global_offset_y
      - .offset:         512
        .size:           8
        .value_kind:     hidden_global_offset_z
      - .offset:         520
        .size:           2
        .value_kind:     hidden_grid_dims
    .group_segment_fixed_size: 33792
    .kernarg_segment_align: 8
    .kernarg_segment_size: 712
    .language:       OpenCL C
    .language_version:
      - 2
      - 0
    .max_flat_workgroup_size: 512
    .name:           _ZN2at6native18radixSortKVInPlaceILi2ELin1ELi512ELi8EdljEEvNS_4cuda6detail10TensorInfoIT3_T5_EES6_S6_S6_NS4_IT4_S6_EES6_b
    .private_segment_fixed_size: 0
    .sgpr_count:     68
    .sgpr_spill_count: 0
    .symbol:         _ZN2at6native18radixSortKVInPlaceILi2ELin1ELi512ELi8EdljEEvNS_4cuda6detail10TensorInfoIT3_T5_EES6_S6_S6_NS4_IT4_S6_EES6_b.kd
    .uniform_work_group_size: 1
    .uses_dynamic_stack: false
    .vgpr_count:     139
    .vgpr_spill_count: 0
    .wavefront_size: 64
  - .agpr_count:     0
    .args:
      - .offset:         0
        .size:           216
        .value_kind:     by_value
      - .offset:         216
        .size:           4
        .value_kind:     by_value
      - .offset:         220
        .size:           4
        .value_kind:     by_value
      - .offset:         224
        .size:           4
        .value_kind:     by_value
      - .offset:         232
        .size:           216
        .value_kind:     by_value
      - .offset:         448
        .size:           4
        .value_kind:     by_value
      - .offset:         452
        .size:           1
        .value_kind:     by_value
      - .offset:         456
        .size:           4
        .value_kind:     hidden_block_count_x
      - .offset:         460
        .size:           4
        .value_kind:     hidden_block_count_y
      - .offset:         464
        .size:           4
        .value_kind:     hidden_block_count_z
      - .offset:         468
        .size:           2
        .value_kind:     hidden_group_size_x
      - .offset:         470
        .size:           2
        .value_kind:     hidden_group_size_y
      - .offset:         472
        .size:           2
        .value_kind:     hidden_group_size_z
      - .offset:         474
        .size:           2
        .value_kind:     hidden_remainder_x
      - .offset:         476
        .size:           2
        .value_kind:     hidden_remainder_y
      - .offset:         478
        .size:           2
        .value_kind:     hidden_remainder_z
      - .offset:         496
        .size:           8
        .value_kind:     hidden_global_offset_x
      - .offset:         504
        .size:           8
        .value_kind:     hidden_global_offset_y
      - .offset:         512
        .size:           8
        .value_kind:     hidden_global_offset_z
      - .offset:         520
        .size:           2
        .value_kind:     hidden_grid_dims
    .group_segment_fixed_size: 16896
    .kernarg_segment_align: 8
    .kernarg_segment_size: 712
    .language:       OpenCL C
    .language_version:
      - 2
      - 0
    .max_flat_workgroup_size: 256
    .name:           _ZN2at6native18radixSortKVInPlaceILi2ELin1ELi256ELi8EdljEEvNS_4cuda6detail10TensorInfoIT3_T5_EES6_S6_S6_NS4_IT4_S6_EES6_b
    .private_segment_fixed_size: 0
    .sgpr_count:     66
    .sgpr_spill_count: 0
    .symbol:         _ZN2at6native18radixSortKVInPlaceILi2ELin1ELi256ELi8EdljEEvNS_4cuda6detail10TensorInfoIT3_T5_EES6_S6_S6_NS4_IT4_S6_EES6_b.kd
    .uniform_work_group_size: 1
    .uses_dynamic_stack: false
    .vgpr_count:     139
    .vgpr_spill_count: 0
    .wavefront_size: 64
  - .agpr_count:     0
    .args:
      - .offset:         0
        .size:           216
        .value_kind:     by_value
      - .offset:         216
        .size:           4
        .value_kind:     by_value
      - .offset:         220
        .size:           4
        .value_kind:     by_value
      - .offset:         224
        .size:           4
        .value_kind:     by_value
      - .offset:         232
        .size:           216
        .value_kind:     by_value
      - .offset:         448
        .size:           4
        .value_kind:     by_value
      - .offset:         452
        .size:           1
        .value_kind:     by_value
      - .offset:         456
        .size:           4
        .value_kind:     hidden_block_count_x
      - .offset:         460
        .size:           4
        .value_kind:     hidden_block_count_y
      - .offset:         464
        .size:           4
        .value_kind:     hidden_block_count_z
      - .offset:         468
        .size:           2
        .value_kind:     hidden_group_size_x
      - .offset:         470
        .size:           2
        .value_kind:     hidden_group_size_y
      - .offset:         472
        .size:           2
        .value_kind:     hidden_group_size_z
      - .offset:         474
        .size:           2
        .value_kind:     hidden_remainder_x
      - .offset:         476
        .size:           2
        .value_kind:     hidden_remainder_y
      - .offset:         478
        .size:           2
        .value_kind:     hidden_remainder_z
      - .offset:         496
        .size:           8
        .value_kind:     hidden_global_offset_x
      - .offset:         504
        .size:           8
        .value_kind:     hidden_global_offset_y
      - .offset:         512
        .size:           8
        .value_kind:     hidden_global_offset_z
      - .offset:         520
        .size:           2
        .value_kind:     hidden_grid_dims
    .group_segment_fixed_size: 8448
    .kernarg_segment_align: 8
    .kernarg_segment_size: 712
    .language:       OpenCL C
    .language_version:
      - 2
      - 0
    .max_flat_workgroup_size: 128
    .name:           _ZN2at6native18radixSortKVInPlaceILi2ELin1ELi128ELi8EdljEEvNS_4cuda6detail10TensorInfoIT3_T5_EES6_S6_S6_NS4_IT4_S6_EES6_b
    .private_segment_fixed_size: 0
    .sgpr_count:     64
    .sgpr_spill_count: 0
    .symbol:         _ZN2at6native18radixSortKVInPlaceILi2ELin1ELi128ELi8EdljEEvNS_4cuda6detail10TensorInfoIT3_T5_EES6_S6_S6_NS4_IT4_S6_EES6_b.kd
    .uniform_work_group_size: 1
    .uses_dynamic_stack: false
    .vgpr_count:     139
    .vgpr_spill_count: 0
    .wavefront_size: 64
  - .agpr_count:     0
    .args:
      - .offset:         0
        .size:           216
        .value_kind:     by_value
      - .offset:         216
        .size:           4
        .value_kind:     by_value
      - .offset:         220
        .size:           4
        .value_kind:     by_value
      - .offset:         224
        .size:           4
        .value_kind:     by_value
      - .offset:         232
        .size:           216
        .value_kind:     by_value
      - .offset:         448
        .size:           4
        .value_kind:     by_value
      - .offset:         452
        .size:           1
        .value_kind:     by_value
      - .offset:         456
        .size:           4
        .value_kind:     hidden_block_count_x
      - .offset:         460
        .size:           4
        .value_kind:     hidden_block_count_y
      - .offset:         464
        .size:           4
        .value_kind:     hidden_block_count_z
      - .offset:         468
        .size:           2
        .value_kind:     hidden_group_size_x
      - .offset:         470
        .size:           2
        .value_kind:     hidden_group_size_y
      - .offset:         472
        .size:           2
        .value_kind:     hidden_group_size_z
      - .offset:         474
        .size:           2
        .value_kind:     hidden_remainder_x
      - .offset:         476
        .size:           2
        .value_kind:     hidden_remainder_y
      - .offset:         478
        .size:           2
        .value_kind:     hidden_remainder_z
      - .offset:         496
        .size:           8
        .value_kind:     hidden_global_offset_x
      - .offset:         504
        .size:           8
        .value_kind:     hidden_global_offset_y
      - .offset:         512
        .size:           8
        .value_kind:     hidden_global_offset_z
      - .offset:         520
        .size:           2
        .value_kind:     hidden_grid_dims
    .group_segment_fixed_size: 1056
    .kernarg_segment_align: 8
    .kernarg_segment_size: 712
    .language:       OpenCL C
    .language_version:
      - 2
      - 0
    .max_flat_workgroup_size: 32
    .name:           _ZN2at6native18radixSortKVInPlaceILi2ELin1ELi32ELi4EdljEEvNS_4cuda6detail10TensorInfoIT3_T5_EES6_S6_S6_NS4_IT4_S6_EES6_b
    .private_segment_fixed_size: 0
    .sgpr_count:     52
    .sgpr_spill_count: 0
    .symbol:         _ZN2at6native18radixSortKVInPlaceILi2ELin1ELi32ELi4EdljEEvNS_4cuda6detail10TensorInfoIT3_T5_EES6_S6_S6_NS4_IT4_S6_EES6_b.kd
    .uniform_work_group_size: 1
    .uses_dynamic_stack: false
    .vgpr_count:     72
    .vgpr_spill_count: 0
    .wavefront_size: 64
  - .agpr_count:     0
    .args:
      - .offset:         0
        .size:           216
        .value_kind:     by_value
      - .offset:         216
        .size:           4
        .value_kind:     by_value
      - .offset:         220
        .size:           4
        .value_kind:     by_value
      - .offset:         224
        .size:           4
        .value_kind:     by_value
      - .offset:         232
        .size:           216
        .value_kind:     by_value
      - .offset:         448
        .size:           4
        .value_kind:     by_value
      - .offset:         452
        .size:           1
        .value_kind:     by_value
      - .offset:         456
        .size:           4
        .value_kind:     hidden_block_count_x
      - .offset:         460
        .size:           4
        .value_kind:     hidden_block_count_y
      - .offset:         464
        .size:           4
        .value_kind:     hidden_block_count_z
      - .offset:         468
        .size:           2
        .value_kind:     hidden_group_size_x
      - .offset:         470
        .size:           2
        .value_kind:     hidden_group_size_y
      - .offset:         472
        .size:           2
        .value_kind:     hidden_group_size_z
      - .offset:         474
        .size:           2
        .value_kind:     hidden_remainder_x
      - .offset:         476
        .size:           2
        .value_kind:     hidden_remainder_y
      - .offset:         478
        .size:           2
        .value_kind:     hidden_remainder_z
      - .offset:         496
        .size:           8
        .value_kind:     hidden_global_offset_x
      - .offset:         504
        .size:           8
        .value_kind:     hidden_global_offset_y
      - .offset:         512
        .size:           8
        .value_kind:     hidden_global_offset_z
      - .offset:         520
        .size:           2
        .value_kind:     hidden_grid_dims
    .group_segment_fixed_size: 528
    .kernarg_segment_align: 8
    .kernarg_segment_size: 712
    .language:       OpenCL C
    .language_version:
      - 2
      - 0
    .max_flat_workgroup_size: 16
    .name:           _ZN2at6native18radixSortKVInPlaceILi2ELin1ELi16ELi2EdljEEvNS_4cuda6detail10TensorInfoIT3_T5_EES6_S6_S6_NS4_IT4_S6_EES6_b
    .private_segment_fixed_size: 0
    .sgpr_count:     46
    .sgpr_spill_count: 0
    .symbol:         _ZN2at6native18radixSortKVInPlaceILi2ELin1ELi16ELi2EdljEEvNS_4cuda6detail10TensorInfoIT3_T5_EES6_S6_S6_NS4_IT4_S6_EES6_b.kd
    .uniform_work_group_size: 1
    .uses_dynamic_stack: false
    .vgpr_count:     44
    .vgpr_spill_count: 0
    .wavefront_size: 64
  - .agpr_count:     0
    .args:
      - .offset:         0
        .size:           216
        .value_kind:     by_value
      - .offset:         216
        .size:           4
        .value_kind:     by_value
      - .offset:         220
        .size:           4
        .value_kind:     by_value
      - .offset:         224
        .size:           4
        .value_kind:     by_value
      - .offset:         232
        .size:           216
        .value_kind:     by_value
      - .offset:         448
        .size:           4
        .value_kind:     by_value
      - .offset:         452
        .size:           1
        .value_kind:     by_value
      - .offset:         456
        .size:           4
        .value_kind:     hidden_block_count_x
      - .offset:         460
        .size:           4
        .value_kind:     hidden_block_count_y
      - .offset:         464
        .size:           4
        .value_kind:     hidden_block_count_z
      - .offset:         468
        .size:           2
        .value_kind:     hidden_group_size_x
      - .offset:         470
        .size:           2
        .value_kind:     hidden_group_size_y
      - .offset:         472
        .size:           2
        .value_kind:     hidden_group_size_z
      - .offset:         474
        .size:           2
        .value_kind:     hidden_remainder_x
      - .offset:         476
        .size:           2
        .value_kind:     hidden_remainder_y
      - .offset:         478
        .size:           2
        .value_kind:     hidden_remainder_z
      - .offset:         496
        .size:           8
        .value_kind:     hidden_global_offset_x
      - .offset:         504
        .size:           8
        .value_kind:     hidden_global_offset_y
      - .offset:         512
        .size:           8
        .value_kind:     hidden_global_offset_z
      - .offset:         520
        .size:           2
        .value_kind:     hidden_grid_dims
    .group_segment_fixed_size: 33792
    .kernarg_segment_align: 8
    .kernarg_segment_size: 712
    .language:       OpenCL C
    .language_version:
      - 2
      - 0
    .max_flat_workgroup_size: 512
    .name:           _ZN2at6native18radixSortKVInPlaceILin1ELin1ELi512ELi8EdljEEvNS_4cuda6detail10TensorInfoIT3_T5_EES6_S6_S6_NS4_IT4_S6_EES6_b
    .private_segment_fixed_size: 0
    .sgpr_count:     68
    .sgpr_spill_count: 0
    .symbol:         _ZN2at6native18radixSortKVInPlaceILin1ELin1ELi512ELi8EdljEEvNS_4cuda6detail10TensorInfoIT3_T5_EES6_S6_S6_NS4_IT4_S6_EES6_b.kd
    .uniform_work_group_size: 1
    .uses_dynamic_stack: false
    .vgpr_count:     139
    .vgpr_spill_count: 0
    .wavefront_size: 64
  - .agpr_count:     0
    .args:
      - .offset:         0
        .size:           216
        .value_kind:     by_value
      - .offset:         216
        .size:           4
        .value_kind:     by_value
      - .offset:         220
        .size:           4
        .value_kind:     by_value
      - .offset:         224
        .size:           4
        .value_kind:     by_value
      - .offset:         232
        .size:           216
        .value_kind:     by_value
      - .offset:         448
        .size:           4
        .value_kind:     by_value
      - .offset:         452
        .size:           1
        .value_kind:     by_value
      - .offset:         456
        .size:           4
        .value_kind:     hidden_block_count_x
      - .offset:         460
        .size:           4
        .value_kind:     hidden_block_count_y
      - .offset:         464
        .size:           4
        .value_kind:     hidden_block_count_z
      - .offset:         468
        .size:           2
        .value_kind:     hidden_group_size_x
      - .offset:         470
        .size:           2
        .value_kind:     hidden_group_size_y
      - .offset:         472
        .size:           2
        .value_kind:     hidden_group_size_z
      - .offset:         474
        .size:           2
        .value_kind:     hidden_remainder_x
      - .offset:         476
        .size:           2
        .value_kind:     hidden_remainder_y
      - .offset:         478
        .size:           2
        .value_kind:     hidden_remainder_z
      - .offset:         496
        .size:           8
        .value_kind:     hidden_global_offset_x
      - .offset:         504
        .size:           8
        .value_kind:     hidden_global_offset_y
      - .offset:         512
        .size:           8
        .value_kind:     hidden_global_offset_z
      - .offset:         520
        .size:           2
        .value_kind:     hidden_grid_dims
    .group_segment_fixed_size: 16896
    .kernarg_segment_align: 8
    .kernarg_segment_size: 712
    .language:       OpenCL C
    .language_version:
      - 2
      - 0
    .max_flat_workgroup_size: 256
    .name:           _ZN2at6native18radixSortKVInPlaceILin1ELin1ELi256ELi8EdljEEvNS_4cuda6detail10TensorInfoIT3_T5_EES6_S6_S6_NS4_IT4_S6_EES6_b
    .private_segment_fixed_size: 0
    .sgpr_count:     66
    .sgpr_spill_count: 0
    .symbol:         _ZN2at6native18radixSortKVInPlaceILin1ELin1ELi256ELi8EdljEEvNS_4cuda6detail10TensorInfoIT3_T5_EES6_S6_S6_NS4_IT4_S6_EES6_b.kd
    .uniform_work_group_size: 1
    .uses_dynamic_stack: false
    .vgpr_count:     139
    .vgpr_spill_count: 0
    .wavefront_size: 64
  - .agpr_count:     0
    .args:
      - .offset:         0
        .size:           216
        .value_kind:     by_value
      - .offset:         216
        .size:           4
        .value_kind:     by_value
      - .offset:         220
        .size:           4
        .value_kind:     by_value
      - .offset:         224
        .size:           4
        .value_kind:     by_value
      - .offset:         232
        .size:           216
        .value_kind:     by_value
      - .offset:         448
        .size:           4
        .value_kind:     by_value
      - .offset:         452
        .size:           1
        .value_kind:     by_value
      - .offset:         456
        .size:           4
        .value_kind:     hidden_block_count_x
      - .offset:         460
        .size:           4
        .value_kind:     hidden_block_count_y
      - .offset:         464
        .size:           4
        .value_kind:     hidden_block_count_z
      - .offset:         468
        .size:           2
        .value_kind:     hidden_group_size_x
      - .offset:         470
        .size:           2
        .value_kind:     hidden_group_size_y
      - .offset:         472
        .size:           2
        .value_kind:     hidden_group_size_z
      - .offset:         474
        .size:           2
        .value_kind:     hidden_remainder_x
      - .offset:         476
        .size:           2
        .value_kind:     hidden_remainder_y
      - .offset:         478
        .size:           2
        .value_kind:     hidden_remainder_z
      - .offset:         496
        .size:           8
        .value_kind:     hidden_global_offset_x
      - .offset:         504
        .size:           8
        .value_kind:     hidden_global_offset_y
      - .offset:         512
        .size:           8
        .value_kind:     hidden_global_offset_z
      - .offset:         520
        .size:           2
        .value_kind:     hidden_grid_dims
    .group_segment_fixed_size: 8448
    .kernarg_segment_align: 8
    .kernarg_segment_size: 712
    .language:       OpenCL C
    .language_version:
      - 2
      - 0
    .max_flat_workgroup_size: 128
    .name:           _ZN2at6native18radixSortKVInPlaceILin1ELin1ELi128ELi8EdljEEvNS_4cuda6detail10TensorInfoIT3_T5_EES6_S6_S6_NS4_IT4_S6_EES6_b
    .private_segment_fixed_size: 0
    .sgpr_count:     64
    .sgpr_spill_count: 0
    .symbol:         _ZN2at6native18radixSortKVInPlaceILin1ELin1ELi128ELi8EdljEEvNS_4cuda6detail10TensorInfoIT3_T5_EES6_S6_S6_NS4_IT4_S6_EES6_b.kd
    .uniform_work_group_size: 1
    .uses_dynamic_stack: false
    .vgpr_count:     139
    .vgpr_spill_count: 0
    .wavefront_size: 64
  - .agpr_count:     0
    .args:
      - .offset:         0
        .size:           216
        .value_kind:     by_value
      - .offset:         216
        .size:           4
        .value_kind:     by_value
      - .offset:         220
        .size:           4
        .value_kind:     by_value
      - .offset:         224
        .size:           4
        .value_kind:     by_value
      - .offset:         232
        .size:           216
        .value_kind:     by_value
      - .offset:         448
        .size:           4
        .value_kind:     by_value
      - .offset:         452
        .size:           1
        .value_kind:     by_value
      - .offset:         456
        .size:           4
        .value_kind:     hidden_block_count_x
      - .offset:         460
        .size:           4
        .value_kind:     hidden_block_count_y
      - .offset:         464
        .size:           4
        .value_kind:     hidden_block_count_z
      - .offset:         468
        .size:           2
        .value_kind:     hidden_group_size_x
      - .offset:         470
        .size:           2
        .value_kind:     hidden_group_size_y
      - .offset:         472
        .size:           2
        .value_kind:     hidden_group_size_z
      - .offset:         474
        .size:           2
        .value_kind:     hidden_remainder_x
      - .offset:         476
        .size:           2
        .value_kind:     hidden_remainder_y
      - .offset:         478
        .size:           2
        .value_kind:     hidden_remainder_z
      - .offset:         496
        .size:           8
        .value_kind:     hidden_global_offset_x
      - .offset:         504
        .size:           8
        .value_kind:     hidden_global_offset_y
      - .offset:         512
        .size:           8
        .value_kind:     hidden_global_offset_z
      - .offset:         520
        .size:           2
        .value_kind:     hidden_grid_dims
    .group_segment_fixed_size: 1056
    .kernarg_segment_align: 8
    .kernarg_segment_size: 712
    .language:       OpenCL C
    .language_version:
      - 2
      - 0
    .max_flat_workgroup_size: 32
    .name:           _ZN2at6native18radixSortKVInPlaceILin1ELin1ELi32ELi4EdljEEvNS_4cuda6detail10TensorInfoIT3_T5_EES6_S6_S6_NS4_IT4_S6_EES6_b
    .private_segment_fixed_size: 0
    .sgpr_count:     52
    .sgpr_spill_count: 0
    .symbol:         _ZN2at6native18radixSortKVInPlaceILin1ELin1ELi32ELi4EdljEEvNS_4cuda6detail10TensorInfoIT3_T5_EES6_S6_S6_NS4_IT4_S6_EES6_b.kd
    .uniform_work_group_size: 1
    .uses_dynamic_stack: false
    .vgpr_count:     72
    .vgpr_spill_count: 0
    .wavefront_size: 64
  - .agpr_count:     0
    .args:
      - .offset:         0
        .size:           216
        .value_kind:     by_value
      - .offset:         216
        .size:           4
        .value_kind:     by_value
      - .offset:         220
        .size:           4
        .value_kind:     by_value
      - .offset:         224
        .size:           4
        .value_kind:     by_value
      - .offset:         232
        .size:           216
        .value_kind:     by_value
      - .offset:         448
        .size:           4
        .value_kind:     by_value
      - .offset:         452
        .size:           1
        .value_kind:     by_value
      - .offset:         456
        .size:           4
        .value_kind:     hidden_block_count_x
      - .offset:         460
        .size:           4
        .value_kind:     hidden_block_count_y
      - .offset:         464
        .size:           4
        .value_kind:     hidden_block_count_z
      - .offset:         468
        .size:           2
        .value_kind:     hidden_group_size_x
      - .offset:         470
        .size:           2
        .value_kind:     hidden_group_size_y
      - .offset:         472
        .size:           2
        .value_kind:     hidden_group_size_z
      - .offset:         474
        .size:           2
        .value_kind:     hidden_remainder_x
      - .offset:         476
        .size:           2
        .value_kind:     hidden_remainder_y
      - .offset:         478
        .size:           2
        .value_kind:     hidden_remainder_z
      - .offset:         496
        .size:           8
        .value_kind:     hidden_global_offset_x
      - .offset:         504
        .size:           8
        .value_kind:     hidden_global_offset_y
      - .offset:         512
        .size:           8
        .value_kind:     hidden_global_offset_z
      - .offset:         520
        .size:           2
        .value_kind:     hidden_grid_dims
    .group_segment_fixed_size: 528
    .kernarg_segment_align: 8
    .kernarg_segment_size: 712
    .language:       OpenCL C
    .language_version:
      - 2
      - 0
    .max_flat_workgroup_size: 16
    .name:           _ZN2at6native18radixSortKVInPlaceILin1ELin1ELi16ELi2EdljEEvNS_4cuda6detail10TensorInfoIT3_T5_EES6_S6_S6_NS4_IT4_S6_EES6_b
    .private_segment_fixed_size: 0
    .sgpr_count:     46
    .sgpr_spill_count: 0
    .symbol:         _ZN2at6native18radixSortKVInPlaceILin1ELin1ELi16ELi2EdljEEvNS_4cuda6detail10TensorInfoIT3_T5_EES6_S6_S6_NS4_IT4_S6_EES6_b.kd
    .uniform_work_group_size: 1
    .uses_dynamic_stack: false
    .vgpr_count:     44
    .vgpr_spill_count: 0
    .wavefront_size: 64
  - .agpr_count:     0
    .args:
      - .offset:         0
        .size:           416
        .value_kind:     by_value
      - .offset:         416
        .size:           8
        .value_kind:     by_value
      - .offset:         424
        .size:           8
        .value_kind:     by_value
      - .offset:         432
        .size:           8
        .value_kind:     by_value
      - .offset:         440
        .size:           416
        .value_kind:     by_value
      - .offset:         856
        .size:           8
        .value_kind:     by_value
      - .offset:         864
        .size:           1
        .value_kind:     by_value
      - .offset:         872
        .size:           4
        .value_kind:     hidden_block_count_x
      - .offset:         876
        .size:           4
        .value_kind:     hidden_block_count_y
      - .offset:         880
        .size:           4
        .value_kind:     hidden_block_count_z
      - .offset:         884
        .size:           2
        .value_kind:     hidden_group_size_x
      - .offset:         886
        .size:           2
        .value_kind:     hidden_group_size_y
      - .offset:         888
        .size:           2
        .value_kind:     hidden_group_size_z
      - .offset:         890
        .size:           2
        .value_kind:     hidden_remainder_x
      - .offset:         892
        .size:           2
        .value_kind:     hidden_remainder_y
      - .offset:         894
        .size:           2
        .value_kind:     hidden_remainder_z
      - .offset:         912
        .size:           8
        .value_kind:     hidden_global_offset_x
      - .offset:         920
        .size:           8
        .value_kind:     hidden_global_offset_y
      - .offset:         928
        .size:           8
        .value_kind:     hidden_global_offset_z
      - .offset:         936
        .size:           2
        .value_kind:     hidden_grid_dims
    .group_segment_fixed_size: 33792
    .kernarg_segment_align: 8
    .kernarg_segment_size: 1128
    .language:       OpenCL C
    .language_version:
      - 2
      - 0
    .max_flat_workgroup_size: 512
    .name:           _ZN2at6native18radixSortKVInPlaceILin1ELin1ELi512ELi8EdlmEEvNS_4cuda6detail10TensorInfoIT3_T5_EES6_S6_S6_NS4_IT4_S6_EES6_b
    .private_segment_fixed_size: 0
    .sgpr_count:     70
    .sgpr_spill_count: 0
    .symbol:         _ZN2at6native18radixSortKVInPlaceILin1ELin1ELi512ELi8EdlmEEvNS_4cuda6detail10TensorInfoIT3_T5_EES6_S6_S6_NS4_IT4_S6_EES6_b.kd
    .uniform_work_group_size: 1
    .uses_dynamic_stack: false
    .vgpr_count:     137
    .vgpr_spill_count: 0
    .wavefront_size: 64
  - .agpr_count:     0
    .args:
      - .offset:         0
        .size:           416
        .value_kind:     by_value
      - .offset:         416
        .size:           8
        .value_kind:     by_value
      - .offset:         424
        .size:           8
        .value_kind:     by_value
      - .offset:         432
        .size:           8
        .value_kind:     by_value
      - .offset:         440
        .size:           416
        .value_kind:     by_value
      - .offset:         856
        .size:           8
        .value_kind:     by_value
      - .offset:         864
        .size:           1
        .value_kind:     by_value
      - .offset:         872
        .size:           4
        .value_kind:     hidden_block_count_x
      - .offset:         876
        .size:           4
        .value_kind:     hidden_block_count_y
      - .offset:         880
        .size:           4
        .value_kind:     hidden_block_count_z
      - .offset:         884
        .size:           2
        .value_kind:     hidden_group_size_x
      - .offset:         886
        .size:           2
        .value_kind:     hidden_group_size_y
      - .offset:         888
        .size:           2
        .value_kind:     hidden_group_size_z
      - .offset:         890
        .size:           2
        .value_kind:     hidden_remainder_x
      - .offset:         892
        .size:           2
        .value_kind:     hidden_remainder_y
      - .offset:         894
        .size:           2
        .value_kind:     hidden_remainder_z
      - .offset:         912
        .size:           8
        .value_kind:     hidden_global_offset_x
      - .offset:         920
        .size:           8
        .value_kind:     hidden_global_offset_y
      - .offset:         928
        .size:           8
        .value_kind:     hidden_global_offset_z
      - .offset:         936
        .size:           2
        .value_kind:     hidden_grid_dims
    .group_segment_fixed_size: 16896
    .kernarg_segment_align: 8
    .kernarg_segment_size: 1128
    .language:       OpenCL C
    .language_version:
      - 2
      - 0
    .max_flat_workgroup_size: 256
    .name:           _ZN2at6native18radixSortKVInPlaceILin1ELin1ELi256ELi8EdlmEEvNS_4cuda6detail10TensorInfoIT3_T5_EES6_S6_S6_NS4_IT4_S6_EES6_b
    .private_segment_fixed_size: 0
    .sgpr_count:     68
    .sgpr_spill_count: 0
    .symbol:         _ZN2at6native18radixSortKVInPlaceILin1ELin1ELi256ELi8EdlmEEvNS_4cuda6detail10TensorInfoIT3_T5_EES6_S6_S6_NS4_IT4_S6_EES6_b.kd
    .uniform_work_group_size: 1
    .uses_dynamic_stack: false
    .vgpr_count:     137
    .vgpr_spill_count: 0
    .wavefront_size: 64
  - .agpr_count:     0
    .args:
      - .offset:         0
        .size:           416
        .value_kind:     by_value
      - .offset:         416
        .size:           8
        .value_kind:     by_value
      - .offset:         424
        .size:           8
        .value_kind:     by_value
      - .offset:         432
        .size:           8
        .value_kind:     by_value
      - .offset:         440
        .size:           416
        .value_kind:     by_value
      - .offset:         856
        .size:           8
        .value_kind:     by_value
      - .offset:         864
        .size:           1
        .value_kind:     by_value
      - .offset:         872
        .size:           4
        .value_kind:     hidden_block_count_x
      - .offset:         876
        .size:           4
        .value_kind:     hidden_block_count_y
      - .offset:         880
        .size:           4
        .value_kind:     hidden_block_count_z
      - .offset:         884
        .size:           2
        .value_kind:     hidden_group_size_x
      - .offset:         886
        .size:           2
        .value_kind:     hidden_group_size_y
      - .offset:         888
        .size:           2
        .value_kind:     hidden_group_size_z
      - .offset:         890
        .size:           2
        .value_kind:     hidden_remainder_x
      - .offset:         892
        .size:           2
        .value_kind:     hidden_remainder_y
      - .offset:         894
        .size:           2
        .value_kind:     hidden_remainder_z
      - .offset:         912
        .size:           8
        .value_kind:     hidden_global_offset_x
      - .offset:         920
        .size:           8
        .value_kind:     hidden_global_offset_y
      - .offset:         928
        .size:           8
        .value_kind:     hidden_global_offset_z
      - .offset:         936
        .size:           2
        .value_kind:     hidden_grid_dims
    .group_segment_fixed_size: 8448
    .kernarg_segment_align: 8
    .kernarg_segment_size: 1128
    .language:       OpenCL C
    .language_version:
      - 2
      - 0
    .max_flat_workgroup_size: 128
    .name:           _ZN2at6native18radixSortKVInPlaceILin1ELin1ELi128ELi8EdlmEEvNS_4cuda6detail10TensorInfoIT3_T5_EES6_S6_S6_NS4_IT4_S6_EES6_b
    .private_segment_fixed_size: 0
    .sgpr_count:     66
    .sgpr_spill_count: 0
    .symbol:         _ZN2at6native18radixSortKVInPlaceILin1ELin1ELi128ELi8EdlmEEvNS_4cuda6detail10TensorInfoIT3_T5_EES6_S6_S6_NS4_IT4_S6_EES6_b.kd
    .uniform_work_group_size: 1
    .uses_dynamic_stack: false
    .vgpr_count:     137
    .vgpr_spill_count: 0
    .wavefront_size: 64
  - .agpr_count:     0
    .args:
      - .offset:         0
        .size:           416
        .value_kind:     by_value
      - .offset:         416
        .size:           8
        .value_kind:     by_value
      - .offset:         424
        .size:           8
        .value_kind:     by_value
      - .offset:         432
        .size:           8
        .value_kind:     by_value
      - .offset:         440
        .size:           416
        .value_kind:     by_value
      - .offset:         856
        .size:           8
        .value_kind:     by_value
      - .offset:         864
        .size:           1
        .value_kind:     by_value
      - .offset:         872
        .size:           4
        .value_kind:     hidden_block_count_x
      - .offset:         876
        .size:           4
        .value_kind:     hidden_block_count_y
      - .offset:         880
        .size:           4
        .value_kind:     hidden_block_count_z
      - .offset:         884
        .size:           2
        .value_kind:     hidden_group_size_x
      - .offset:         886
        .size:           2
        .value_kind:     hidden_group_size_y
      - .offset:         888
        .size:           2
        .value_kind:     hidden_group_size_z
      - .offset:         890
        .size:           2
        .value_kind:     hidden_remainder_x
      - .offset:         892
        .size:           2
        .value_kind:     hidden_remainder_y
      - .offset:         894
        .size:           2
        .value_kind:     hidden_remainder_z
      - .offset:         912
        .size:           8
        .value_kind:     hidden_global_offset_x
      - .offset:         920
        .size:           8
        .value_kind:     hidden_global_offset_y
      - .offset:         928
        .size:           8
        .value_kind:     hidden_global_offset_z
      - .offset:         936
        .size:           2
        .value_kind:     hidden_grid_dims
    .group_segment_fixed_size: 1056
    .kernarg_segment_align: 8
    .kernarg_segment_size: 1128
    .language:       OpenCL C
    .language_version:
      - 2
      - 0
    .max_flat_workgroup_size: 32
    .name:           _ZN2at6native18radixSortKVInPlaceILin1ELin1ELi32ELi4EdlmEEvNS_4cuda6detail10TensorInfoIT3_T5_EES6_S6_S6_NS4_IT4_S6_EES6_b
    .private_segment_fixed_size: 0
    .sgpr_count:     54
    .sgpr_spill_count: 0
    .symbol:         _ZN2at6native18radixSortKVInPlaceILin1ELin1ELi32ELi4EdlmEEvNS_4cuda6detail10TensorInfoIT3_T5_EES6_S6_S6_NS4_IT4_S6_EES6_b.kd
    .uniform_work_group_size: 1
    .uses_dynamic_stack: false
    .vgpr_count:     70
    .vgpr_spill_count: 0
    .wavefront_size: 64
  - .agpr_count:     0
    .args:
      - .offset:         0
        .size:           416
        .value_kind:     by_value
      - .offset:         416
        .size:           8
        .value_kind:     by_value
      - .offset:         424
        .size:           8
        .value_kind:     by_value
      - .offset:         432
        .size:           8
        .value_kind:     by_value
      - .offset:         440
        .size:           416
        .value_kind:     by_value
      - .offset:         856
        .size:           8
        .value_kind:     by_value
      - .offset:         864
        .size:           1
        .value_kind:     by_value
      - .offset:         872
        .size:           4
        .value_kind:     hidden_block_count_x
      - .offset:         876
        .size:           4
        .value_kind:     hidden_block_count_y
      - .offset:         880
        .size:           4
        .value_kind:     hidden_block_count_z
      - .offset:         884
        .size:           2
        .value_kind:     hidden_group_size_x
      - .offset:         886
        .size:           2
        .value_kind:     hidden_group_size_y
      - .offset:         888
        .size:           2
        .value_kind:     hidden_group_size_z
      - .offset:         890
        .size:           2
        .value_kind:     hidden_remainder_x
      - .offset:         892
        .size:           2
        .value_kind:     hidden_remainder_y
      - .offset:         894
        .size:           2
        .value_kind:     hidden_remainder_z
      - .offset:         912
        .size:           8
        .value_kind:     hidden_global_offset_x
      - .offset:         920
        .size:           8
        .value_kind:     hidden_global_offset_y
      - .offset:         928
        .size:           8
        .value_kind:     hidden_global_offset_z
      - .offset:         936
        .size:           2
        .value_kind:     hidden_grid_dims
    .group_segment_fixed_size: 528
    .kernarg_segment_align: 8
    .kernarg_segment_size: 1128
    .language:       OpenCL C
    .language_version:
      - 2
      - 0
    .max_flat_workgroup_size: 16
    .name:           _ZN2at6native18radixSortKVInPlaceILin1ELin1ELi16ELi2EdlmEEvNS_4cuda6detail10TensorInfoIT3_T5_EES6_S6_S6_NS4_IT4_S6_EES6_b
    .private_segment_fixed_size: 0
    .sgpr_count:     48
    .sgpr_spill_count: 0
    .symbol:         _ZN2at6native18radixSortKVInPlaceILin1ELin1ELi16ELi2EdlmEEvNS_4cuda6detail10TensorInfoIT3_T5_EES6_S6_S6_NS4_IT4_S6_EES6_b.kd
    .uniform_work_group_size: 1
    .uses_dynamic_stack: false
    .vgpr_count:     42
    .vgpr_spill_count: 0
    .wavefront_size: 64
  - .agpr_count:     0
    .args:
      - .offset:         0
        .size:           216
        .value_kind:     by_value
      - .offset:         216
        .size:           4
        .value_kind:     by_value
      - .offset:         220
        .size:           4
        .value_kind:     by_value
      - .offset:         224
        .size:           4
        .value_kind:     by_value
      - .offset:         232
        .size:           216
        .value_kind:     by_value
      - .offset:         448
        .size:           4
        .value_kind:     by_value
      - .offset:         452
        .size:           1
        .value_kind:     by_value
      - .offset:         456
        .size:           4
        .value_kind:     hidden_block_count_x
      - .offset:         460
        .size:           4
        .value_kind:     hidden_block_count_y
      - .offset:         464
        .size:           4
        .value_kind:     hidden_block_count_z
      - .offset:         468
        .size:           2
        .value_kind:     hidden_group_size_x
      - .offset:         470
        .size:           2
        .value_kind:     hidden_group_size_y
      - .offset:         472
        .size:           2
        .value_kind:     hidden_group_size_z
      - .offset:         474
        .size:           2
        .value_kind:     hidden_remainder_x
      - .offset:         476
        .size:           2
        .value_kind:     hidden_remainder_y
      - .offset:         478
        .size:           2
        .value_kind:     hidden_remainder_z
      - .offset:         496
        .size:           8
        .value_kind:     hidden_global_offset_x
      - .offset:         504
        .size:           8
        .value_kind:     hidden_global_offset_y
      - .offset:         512
        .size:           8
        .value_kind:     hidden_global_offset_z
      - .offset:         520
        .size:           2
        .value_kind:     hidden_grid_dims
    .group_segment_fixed_size: 33792
    .kernarg_segment_align: 8
    .kernarg_segment_size: 712
    .language:       OpenCL C
    .language_version:
      - 2
      - 0
    .max_flat_workgroup_size: 512
    .name:           _ZN2at6native18radixSortKVInPlaceILin2ELin1ELi512ELi8EfljEEvNS_4cuda6detail10TensorInfoIT3_T5_EES6_S6_S6_NS4_IT4_S6_EES6_b
    .private_segment_fixed_size: 0
    .sgpr_count:     66
    .sgpr_spill_count: 0
    .symbol:         _ZN2at6native18radixSortKVInPlaceILin2ELin1ELi512ELi8EfljEEvNS_4cuda6detail10TensorInfoIT3_T5_EES6_S6_S6_NS4_IT4_S6_EES6_b.kd
    .uniform_work_group_size: 1
    .uses_dynamic_stack: false
    .vgpr_count:     118
    .vgpr_spill_count: 0
    .wavefront_size: 64
  - .agpr_count:     0
    .args:
      - .offset:         0
        .size:           216
        .value_kind:     by_value
      - .offset:         216
        .size:           4
        .value_kind:     by_value
      - .offset:         220
        .size:           4
        .value_kind:     by_value
      - .offset:         224
        .size:           4
        .value_kind:     by_value
      - .offset:         232
        .size:           216
        .value_kind:     by_value
      - .offset:         448
        .size:           4
        .value_kind:     by_value
      - .offset:         452
        .size:           1
        .value_kind:     by_value
      - .offset:         456
        .size:           4
        .value_kind:     hidden_block_count_x
      - .offset:         460
        .size:           4
        .value_kind:     hidden_block_count_y
      - .offset:         464
        .size:           4
        .value_kind:     hidden_block_count_z
      - .offset:         468
        .size:           2
        .value_kind:     hidden_group_size_x
      - .offset:         470
        .size:           2
        .value_kind:     hidden_group_size_y
      - .offset:         472
        .size:           2
        .value_kind:     hidden_group_size_z
      - .offset:         474
        .size:           2
        .value_kind:     hidden_remainder_x
      - .offset:         476
        .size:           2
        .value_kind:     hidden_remainder_y
      - .offset:         478
        .size:           2
        .value_kind:     hidden_remainder_z
      - .offset:         496
        .size:           8
        .value_kind:     hidden_global_offset_x
      - .offset:         504
        .size:           8
        .value_kind:     hidden_global_offset_y
      - .offset:         512
        .size:           8
        .value_kind:     hidden_global_offset_z
      - .offset:         520
        .size:           2
        .value_kind:     hidden_grid_dims
    .group_segment_fixed_size: 16896
    .kernarg_segment_align: 8
    .kernarg_segment_size: 712
    .language:       OpenCL C
    .language_version:
      - 2
      - 0
    .max_flat_workgroup_size: 256
    .name:           _ZN2at6native18radixSortKVInPlaceILin2ELin1ELi256ELi8EfljEEvNS_4cuda6detail10TensorInfoIT3_T5_EES6_S6_S6_NS4_IT4_S6_EES6_b
    .private_segment_fixed_size: 0
    .sgpr_count:     64
    .sgpr_spill_count: 0
    .symbol:         _ZN2at6native18radixSortKVInPlaceILin2ELin1ELi256ELi8EfljEEvNS_4cuda6detail10TensorInfoIT3_T5_EES6_S6_S6_NS4_IT4_S6_EES6_b.kd
    .uniform_work_group_size: 1
    .uses_dynamic_stack: false
    .vgpr_count:     118
    .vgpr_spill_count: 0
    .wavefront_size: 64
  - .agpr_count:     0
    .args:
      - .offset:         0
        .size:           216
        .value_kind:     by_value
      - .offset:         216
        .size:           4
        .value_kind:     by_value
      - .offset:         220
        .size:           4
        .value_kind:     by_value
      - .offset:         224
        .size:           4
        .value_kind:     by_value
      - .offset:         232
        .size:           216
        .value_kind:     by_value
      - .offset:         448
        .size:           4
        .value_kind:     by_value
      - .offset:         452
        .size:           1
        .value_kind:     by_value
      - .offset:         456
        .size:           4
        .value_kind:     hidden_block_count_x
      - .offset:         460
        .size:           4
        .value_kind:     hidden_block_count_y
      - .offset:         464
        .size:           4
        .value_kind:     hidden_block_count_z
      - .offset:         468
        .size:           2
        .value_kind:     hidden_group_size_x
      - .offset:         470
        .size:           2
        .value_kind:     hidden_group_size_y
      - .offset:         472
        .size:           2
        .value_kind:     hidden_group_size_z
      - .offset:         474
        .size:           2
        .value_kind:     hidden_remainder_x
      - .offset:         476
        .size:           2
        .value_kind:     hidden_remainder_y
      - .offset:         478
        .size:           2
        .value_kind:     hidden_remainder_z
      - .offset:         496
        .size:           8
        .value_kind:     hidden_global_offset_x
      - .offset:         504
        .size:           8
        .value_kind:     hidden_global_offset_y
      - .offset:         512
        .size:           8
        .value_kind:     hidden_global_offset_z
      - .offset:         520
        .size:           2
        .value_kind:     hidden_grid_dims
    .group_segment_fixed_size: 8448
    .kernarg_segment_align: 8
    .kernarg_segment_size: 712
    .language:       OpenCL C
    .language_version:
      - 2
      - 0
    .max_flat_workgroup_size: 128
    .name:           _ZN2at6native18radixSortKVInPlaceILin2ELin1ELi128ELi8EfljEEvNS_4cuda6detail10TensorInfoIT3_T5_EES6_S6_S6_NS4_IT4_S6_EES6_b
    .private_segment_fixed_size: 0
    .sgpr_count:     62
    .sgpr_spill_count: 0
    .symbol:         _ZN2at6native18radixSortKVInPlaceILin2ELin1ELi128ELi8EfljEEvNS_4cuda6detail10TensorInfoIT3_T5_EES6_S6_S6_NS4_IT4_S6_EES6_b.kd
    .uniform_work_group_size: 1
    .uses_dynamic_stack: false
    .vgpr_count:     118
    .vgpr_spill_count: 0
    .wavefront_size: 64
  - .agpr_count:     0
    .args:
      - .offset:         0
        .size:           216
        .value_kind:     by_value
      - .offset:         216
        .size:           4
        .value_kind:     by_value
      - .offset:         220
        .size:           4
        .value_kind:     by_value
      - .offset:         224
        .size:           4
        .value_kind:     by_value
      - .offset:         232
        .size:           216
        .value_kind:     by_value
      - .offset:         448
        .size:           4
        .value_kind:     by_value
      - .offset:         452
        .size:           1
        .value_kind:     by_value
      - .offset:         456
        .size:           4
        .value_kind:     hidden_block_count_x
      - .offset:         460
        .size:           4
        .value_kind:     hidden_block_count_y
      - .offset:         464
        .size:           4
        .value_kind:     hidden_block_count_z
      - .offset:         468
        .size:           2
        .value_kind:     hidden_group_size_x
      - .offset:         470
        .size:           2
        .value_kind:     hidden_group_size_y
      - .offset:         472
        .size:           2
        .value_kind:     hidden_group_size_z
      - .offset:         474
        .size:           2
        .value_kind:     hidden_remainder_x
      - .offset:         476
        .size:           2
        .value_kind:     hidden_remainder_y
      - .offset:         478
        .size:           2
        .value_kind:     hidden_remainder_z
      - .offset:         496
        .size:           8
        .value_kind:     hidden_global_offset_x
      - .offset:         504
        .size:           8
        .value_kind:     hidden_global_offset_y
      - .offset:         512
        .size:           8
        .value_kind:     hidden_global_offset_z
      - .offset:         520
        .size:           2
        .value_kind:     hidden_grid_dims
    .group_segment_fixed_size: 1056
    .kernarg_segment_align: 8
    .kernarg_segment_size: 712
    .language:       OpenCL C
    .language_version:
      - 2
      - 0
    .max_flat_workgroup_size: 32
    .name:           _ZN2at6native18radixSortKVInPlaceILin2ELin1ELi32ELi4EfljEEvNS_4cuda6detail10TensorInfoIT3_T5_EES6_S6_S6_NS4_IT4_S6_EES6_b
    .private_segment_fixed_size: 0
    .sgpr_count:     50
    .sgpr_spill_count: 0
    .symbol:         _ZN2at6native18radixSortKVInPlaceILin2ELin1ELi32ELi4EfljEEvNS_4cuda6detail10TensorInfoIT3_T5_EES6_S6_S6_NS4_IT4_S6_EES6_b.kd
    .uniform_work_group_size: 1
    .uses_dynamic_stack: false
    .vgpr_count:     63
    .vgpr_spill_count: 0
    .wavefront_size: 64
  - .agpr_count:     0
    .args:
      - .offset:         0
        .size:           216
        .value_kind:     by_value
      - .offset:         216
        .size:           4
        .value_kind:     by_value
      - .offset:         220
        .size:           4
        .value_kind:     by_value
      - .offset:         224
        .size:           4
        .value_kind:     by_value
      - .offset:         232
        .size:           216
        .value_kind:     by_value
      - .offset:         448
        .size:           4
        .value_kind:     by_value
      - .offset:         452
        .size:           1
        .value_kind:     by_value
      - .offset:         456
        .size:           4
        .value_kind:     hidden_block_count_x
      - .offset:         460
        .size:           4
        .value_kind:     hidden_block_count_y
      - .offset:         464
        .size:           4
        .value_kind:     hidden_block_count_z
      - .offset:         468
        .size:           2
        .value_kind:     hidden_group_size_x
      - .offset:         470
        .size:           2
        .value_kind:     hidden_group_size_y
      - .offset:         472
        .size:           2
        .value_kind:     hidden_group_size_z
      - .offset:         474
        .size:           2
        .value_kind:     hidden_remainder_x
      - .offset:         476
        .size:           2
        .value_kind:     hidden_remainder_y
      - .offset:         478
        .size:           2
        .value_kind:     hidden_remainder_z
      - .offset:         496
        .size:           8
        .value_kind:     hidden_global_offset_x
      - .offset:         504
        .size:           8
        .value_kind:     hidden_global_offset_y
      - .offset:         512
        .size:           8
        .value_kind:     hidden_global_offset_z
      - .offset:         520
        .size:           2
        .value_kind:     hidden_grid_dims
    .group_segment_fixed_size: 528
    .kernarg_segment_align: 8
    .kernarg_segment_size: 712
    .language:       OpenCL C
    .language_version:
      - 2
      - 0
    .max_flat_workgroup_size: 16
    .name:           _ZN2at6native18radixSortKVInPlaceILin2ELin1ELi16ELi2EfljEEvNS_4cuda6detail10TensorInfoIT3_T5_EES6_S6_S6_NS4_IT4_S6_EES6_b
    .private_segment_fixed_size: 0
    .sgpr_count:     44
    .sgpr_spill_count: 0
    .symbol:         _ZN2at6native18radixSortKVInPlaceILin2ELin1ELi16ELi2EfljEEvNS_4cuda6detail10TensorInfoIT3_T5_EES6_S6_S6_NS4_IT4_S6_EES6_b.kd
    .uniform_work_group_size: 1
    .uses_dynamic_stack: false
    .vgpr_count:     39
    .vgpr_spill_count: 0
    .wavefront_size: 64
  - .agpr_count:     0
    .args:
      - .offset:         0
        .size:           216
        .value_kind:     by_value
      - .offset:         216
        .size:           4
        .value_kind:     by_value
      - .offset:         220
        .size:           4
        .value_kind:     by_value
      - .offset:         224
        .size:           4
        .value_kind:     by_value
      - .offset:         232
        .size:           216
        .value_kind:     by_value
      - .offset:         448
        .size:           4
        .value_kind:     by_value
      - .offset:         452
        .size:           1
        .value_kind:     by_value
      - .offset:         456
        .size:           4
        .value_kind:     hidden_block_count_x
      - .offset:         460
        .size:           4
        .value_kind:     hidden_block_count_y
      - .offset:         464
        .size:           4
        .value_kind:     hidden_block_count_z
      - .offset:         468
        .size:           2
        .value_kind:     hidden_group_size_x
      - .offset:         470
        .size:           2
        .value_kind:     hidden_group_size_y
      - .offset:         472
        .size:           2
        .value_kind:     hidden_group_size_z
      - .offset:         474
        .size:           2
        .value_kind:     hidden_remainder_x
      - .offset:         476
        .size:           2
        .value_kind:     hidden_remainder_y
      - .offset:         478
        .size:           2
        .value_kind:     hidden_remainder_z
      - .offset:         496
        .size:           8
        .value_kind:     hidden_global_offset_x
      - .offset:         504
        .size:           8
        .value_kind:     hidden_global_offset_y
      - .offset:         512
        .size:           8
        .value_kind:     hidden_global_offset_z
      - .offset:         520
        .size:           2
        .value_kind:     hidden_grid_dims
    .group_segment_fixed_size: 33792
    .kernarg_segment_align: 8
    .kernarg_segment_size: 712
    .language:       OpenCL C
    .language_version:
      - 2
      - 0
    .max_flat_workgroup_size: 512
    .name:           _ZN2at6native18radixSortKVInPlaceILi2ELin1ELi512ELi8EfljEEvNS_4cuda6detail10TensorInfoIT3_T5_EES6_S6_S6_NS4_IT4_S6_EES6_b
    .private_segment_fixed_size: 0
    .sgpr_count:     66
    .sgpr_spill_count: 0
    .symbol:         _ZN2at6native18radixSortKVInPlaceILi2ELin1ELi512ELi8EfljEEvNS_4cuda6detail10TensorInfoIT3_T5_EES6_S6_S6_NS4_IT4_S6_EES6_b.kd
    .uniform_work_group_size: 1
    .uses_dynamic_stack: false
    .vgpr_count:     118
    .vgpr_spill_count: 0
    .wavefront_size: 64
  - .agpr_count:     0
    .args:
      - .offset:         0
        .size:           216
        .value_kind:     by_value
      - .offset:         216
        .size:           4
        .value_kind:     by_value
      - .offset:         220
        .size:           4
        .value_kind:     by_value
      - .offset:         224
        .size:           4
        .value_kind:     by_value
      - .offset:         232
        .size:           216
        .value_kind:     by_value
      - .offset:         448
        .size:           4
        .value_kind:     by_value
      - .offset:         452
        .size:           1
        .value_kind:     by_value
      - .offset:         456
        .size:           4
        .value_kind:     hidden_block_count_x
      - .offset:         460
        .size:           4
        .value_kind:     hidden_block_count_y
      - .offset:         464
        .size:           4
        .value_kind:     hidden_block_count_z
      - .offset:         468
        .size:           2
        .value_kind:     hidden_group_size_x
      - .offset:         470
        .size:           2
        .value_kind:     hidden_group_size_y
      - .offset:         472
        .size:           2
        .value_kind:     hidden_group_size_z
      - .offset:         474
        .size:           2
        .value_kind:     hidden_remainder_x
      - .offset:         476
        .size:           2
        .value_kind:     hidden_remainder_y
      - .offset:         478
        .size:           2
        .value_kind:     hidden_remainder_z
      - .offset:         496
        .size:           8
        .value_kind:     hidden_global_offset_x
      - .offset:         504
        .size:           8
        .value_kind:     hidden_global_offset_y
      - .offset:         512
        .size:           8
        .value_kind:     hidden_global_offset_z
      - .offset:         520
        .size:           2
        .value_kind:     hidden_grid_dims
    .group_segment_fixed_size: 16896
    .kernarg_segment_align: 8
    .kernarg_segment_size: 712
    .language:       OpenCL C
    .language_version:
      - 2
      - 0
    .max_flat_workgroup_size: 256
    .name:           _ZN2at6native18radixSortKVInPlaceILi2ELin1ELi256ELi8EfljEEvNS_4cuda6detail10TensorInfoIT3_T5_EES6_S6_S6_NS4_IT4_S6_EES6_b
    .private_segment_fixed_size: 0
    .sgpr_count:     64
    .sgpr_spill_count: 0
    .symbol:         _ZN2at6native18radixSortKVInPlaceILi2ELin1ELi256ELi8EfljEEvNS_4cuda6detail10TensorInfoIT3_T5_EES6_S6_S6_NS4_IT4_S6_EES6_b.kd
    .uniform_work_group_size: 1
    .uses_dynamic_stack: false
    .vgpr_count:     118
    .vgpr_spill_count: 0
    .wavefront_size: 64
  - .agpr_count:     0
    .args:
      - .offset:         0
        .size:           216
        .value_kind:     by_value
      - .offset:         216
        .size:           4
        .value_kind:     by_value
      - .offset:         220
        .size:           4
        .value_kind:     by_value
      - .offset:         224
        .size:           4
        .value_kind:     by_value
      - .offset:         232
        .size:           216
        .value_kind:     by_value
      - .offset:         448
        .size:           4
        .value_kind:     by_value
      - .offset:         452
        .size:           1
        .value_kind:     by_value
      - .offset:         456
        .size:           4
        .value_kind:     hidden_block_count_x
      - .offset:         460
        .size:           4
        .value_kind:     hidden_block_count_y
      - .offset:         464
        .size:           4
        .value_kind:     hidden_block_count_z
      - .offset:         468
        .size:           2
        .value_kind:     hidden_group_size_x
      - .offset:         470
        .size:           2
        .value_kind:     hidden_group_size_y
      - .offset:         472
        .size:           2
        .value_kind:     hidden_group_size_z
      - .offset:         474
        .size:           2
        .value_kind:     hidden_remainder_x
      - .offset:         476
        .size:           2
        .value_kind:     hidden_remainder_y
      - .offset:         478
        .size:           2
        .value_kind:     hidden_remainder_z
      - .offset:         496
        .size:           8
        .value_kind:     hidden_global_offset_x
      - .offset:         504
        .size:           8
        .value_kind:     hidden_global_offset_y
      - .offset:         512
        .size:           8
        .value_kind:     hidden_global_offset_z
      - .offset:         520
        .size:           2
        .value_kind:     hidden_grid_dims
    .group_segment_fixed_size: 8448
    .kernarg_segment_align: 8
    .kernarg_segment_size: 712
    .language:       OpenCL C
    .language_version:
      - 2
      - 0
    .max_flat_workgroup_size: 128
    .name:           _ZN2at6native18radixSortKVInPlaceILi2ELin1ELi128ELi8EfljEEvNS_4cuda6detail10TensorInfoIT3_T5_EES6_S6_S6_NS4_IT4_S6_EES6_b
    .private_segment_fixed_size: 0
    .sgpr_count:     62
    .sgpr_spill_count: 0
    .symbol:         _ZN2at6native18radixSortKVInPlaceILi2ELin1ELi128ELi8EfljEEvNS_4cuda6detail10TensorInfoIT3_T5_EES6_S6_S6_NS4_IT4_S6_EES6_b.kd
    .uniform_work_group_size: 1
    .uses_dynamic_stack: false
    .vgpr_count:     118
    .vgpr_spill_count: 0
    .wavefront_size: 64
  - .agpr_count:     0
    .args:
      - .offset:         0
        .size:           216
        .value_kind:     by_value
      - .offset:         216
        .size:           4
        .value_kind:     by_value
      - .offset:         220
        .size:           4
        .value_kind:     by_value
      - .offset:         224
        .size:           4
        .value_kind:     by_value
      - .offset:         232
        .size:           216
        .value_kind:     by_value
      - .offset:         448
        .size:           4
        .value_kind:     by_value
      - .offset:         452
        .size:           1
        .value_kind:     by_value
      - .offset:         456
        .size:           4
        .value_kind:     hidden_block_count_x
      - .offset:         460
        .size:           4
        .value_kind:     hidden_block_count_y
      - .offset:         464
        .size:           4
        .value_kind:     hidden_block_count_z
      - .offset:         468
        .size:           2
        .value_kind:     hidden_group_size_x
      - .offset:         470
        .size:           2
        .value_kind:     hidden_group_size_y
      - .offset:         472
        .size:           2
        .value_kind:     hidden_group_size_z
      - .offset:         474
        .size:           2
        .value_kind:     hidden_remainder_x
      - .offset:         476
        .size:           2
        .value_kind:     hidden_remainder_y
      - .offset:         478
        .size:           2
        .value_kind:     hidden_remainder_z
      - .offset:         496
        .size:           8
        .value_kind:     hidden_global_offset_x
      - .offset:         504
        .size:           8
        .value_kind:     hidden_global_offset_y
      - .offset:         512
        .size:           8
        .value_kind:     hidden_global_offset_z
      - .offset:         520
        .size:           2
        .value_kind:     hidden_grid_dims
    .group_segment_fixed_size: 1056
    .kernarg_segment_align: 8
    .kernarg_segment_size: 712
    .language:       OpenCL C
    .language_version:
      - 2
      - 0
    .max_flat_workgroup_size: 32
    .name:           _ZN2at6native18radixSortKVInPlaceILi2ELin1ELi32ELi4EfljEEvNS_4cuda6detail10TensorInfoIT3_T5_EES6_S6_S6_NS4_IT4_S6_EES6_b
    .private_segment_fixed_size: 0
    .sgpr_count:     50
    .sgpr_spill_count: 0
    .symbol:         _ZN2at6native18radixSortKVInPlaceILi2ELin1ELi32ELi4EfljEEvNS_4cuda6detail10TensorInfoIT3_T5_EES6_S6_S6_NS4_IT4_S6_EES6_b.kd
    .uniform_work_group_size: 1
    .uses_dynamic_stack: false
    .vgpr_count:     63
    .vgpr_spill_count: 0
    .wavefront_size: 64
  - .agpr_count:     0
    .args:
      - .offset:         0
        .size:           216
        .value_kind:     by_value
      - .offset:         216
        .size:           4
        .value_kind:     by_value
      - .offset:         220
        .size:           4
        .value_kind:     by_value
      - .offset:         224
        .size:           4
        .value_kind:     by_value
      - .offset:         232
        .size:           216
        .value_kind:     by_value
      - .offset:         448
        .size:           4
        .value_kind:     by_value
      - .offset:         452
        .size:           1
        .value_kind:     by_value
      - .offset:         456
        .size:           4
        .value_kind:     hidden_block_count_x
      - .offset:         460
        .size:           4
        .value_kind:     hidden_block_count_y
      - .offset:         464
        .size:           4
        .value_kind:     hidden_block_count_z
      - .offset:         468
        .size:           2
        .value_kind:     hidden_group_size_x
      - .offset:         470
        .size:           2
        .value_kind:     hidden_group_size_y
      - .offset:         472
        .size:           2
        .value_kind:     hidden_group_size_z
      - .offset:         474
        .size:           2
        .value_kind:     hidden_remainder_x
      - .offset:         476
        .size:           2
        .value_kind:     hidden_remainder_y
      - .offset:         478
        .size:           2
        .value_kind:     hidden_remainder_z
      - .offset:         496
        .size:           8
        .value_kind:     hidden_global_offset_x
      - .offset:         504
        .size:           8
        .value_kind:     hidden_global_offset_y
      - .offset:         512
        .size:           8
        .value_kind:     hidden_global_offset_z
      - .offset:         520
        .size:           2
        .value_kind:     hidden_grid_dims
    .group_segment_fixed_size: 528
    .kernarg_segment_align: 8
    .kernarg_segment_size: 712
    .language:       OpenCL C
    .language_version:
      - 2
      - 0
    .max_flat_workgroup_size: 16
    .name:           _ZN2at6native18radixSortKVInPlaceILi2ELin1ELi16ELi2EfljEEvNS_4cuda6detail10TensorInfoIT3_T5_EES6_S6_S6_NS4_IT4_S6_EES6_b
    .private_segment_fixed_size: 0
    .sgpr_count:     44
    .sgpr_spill_count: 0
    .symbol:         _ZN2at6native18radixSortKVInPlaceILi2ELin1ELi16ELi2EfljEEvNS_4cuda6detail10TensorInfoIT3_T5_EES6_S6_S6_NS4_IT4_S6_EES6_b.kd
    .uniform_work_group_size: 1
    .uses_dynamic_stack: false
    .vgpr_count:     39
    .vgpr_spill_count: 0
    .wavefront_size: 64
  - .agpr_count:     0
    .args:
      - .offset:         0
        .size:           216
        .value_kind:     by_value
      - .offset:         216
        .size:           4
        .value_kind:     by_value
      - .offset:         220
        .size:           4
        .value_kind:     by_value
      - .offset:         224
        .size:           4
        .value_kind:     by_value
      - .offset:         232
        .size:           216
        .value_kind:     by_value
      - .offset:         448
        .size:           4
        .value_kind:     by_value
      - .offset:         452
        .size:           1
        .value_kind:     by_value
      - .offset:         456
        .size:           4
        .value_kind:     hidden_block_count_x
      - .offset:         460
        .size:           4
        .value_kind:     hidden_block_count_y
      - .offset:         464
        .size:           4
        .value_kind:     hidden_block_count_z
      - .offset:         468
        .size:           2
        .value_kind:     hidden_group_size_x
      - .offset:         470
        .size:           2
        .value_kind:     hidden_group_size_y
      - .offset:         472
        .size:           2
        .value_kind:     hidden_group_size_z
      - .offset:         474
        .size:           2
        .value_kind:     hidden_remainder_x
      - .offset:         476
        .size:           2
        .value_kind:     hidden_remainder_y
      - .offset:         478
        .size:           2
        .value_kind:     hidden_remainder_z
      - .offset:         496
        .size:           8
        .value_kind:     hidden_global_offset_x
      - .offset:         504
        .size:           8
        .value_kind:     hidden_global_offset_y
      - .offset:         512
        .size:           8
        .value_kind:     hidden_global_offset_z
      - .offset:         520
        .size:           2
        .value_kind:     hidden_grid_dims
    .group_segment_fixed_size: 33792
    .kernarg_segment_align: 8
    .kernarg_segment_size: 712
    .language:       OpenCL C
    .language_version:
      - 2
      - 0
    .max_flat_workgroup_size: 512
    .name:           _ZN2at6native18radixSortKVInPlaceILin1ELin1ELi512ELi8EfljEEvNS_4cuda6detail10TensorInfoIT3_T5_EES6_S6_S6_NS4_IT4_S6_EES6_b
    .private_segment_fixed_size: 0
    .sgpr_count:     66
    .sgpr_spill_count: 0
    .symbol:         _ZN2at6native18radixSortKVInPlaceILin1ELin1ELi512ELi8EfljEEvNS_4cuda6detail10TensorInfoIT3_T5_EES6_S6_S6_NS4_IT4_S6_EES6_b.kd
    .uniform_work_group_size: 1
    .uses_dynamic_stack: false
    .vgpr_count:     118
    .vgpr_spill_count: 0
    .wavefront_size: 64
  - .agpr_count:     0
    .args:
      - .offset:         0
        .size:           216
        .value_kind:     by_value
      - .offset:         216
        .size:           4
        .value_kind:     by_value
      - .offset:         220
        .size:           4
        .value_kind:     by_value
      - .offset:         224
        .size:           4
        .value_kind:     by_value
      - .offset:         232
        .size:           216
        .value_kind:     by_value
      - .offset:         448
        .size:           4
        .value_kind:     by_value
      - .offset:         452
        .size:           1
        .value_kind:     by_value
      - .offset:         456
        .size:           4
        .value_kind:     hidden_block_count_x
      - .offset:         460
        .size:           4
        .value_kind:     hidden_block_count_y
      - .offset:         464
        .size:           4
        .value_kind:     hidden_block_count_z
      - .offset:         468
        .size:           2
        .value_kind:     hidden_group_size_x
      - .offset:         470
        .size:           2
        .value_kind:     hidden_group_size_y
      - .offset:         472
        .size:           2
        .value_kind:     hidden_group_size_z
      - .offset:         474
        .size:           2
        .value_kind:     hidden_remainder_x
      - .offset:         476
        .size:           2
        .value_kind:     hidden_remainder_y
      - .offset:         478
        .size:           2
        .value_kind:     hidden_remainder_z
      - .offset:         496
        .size:           8
        .value_kind:     hidden_global_offset_x
      - .offset:         504
        .size:           8
        .value_kind:     hidden_global_offset_y
      - .offset:         512
        .size:           8
        .value_kind:     hidden_global_offset_z
      - .offset:         520
        .size:           2
        .value_kind:     hidden_grid_dims
    .group_segment_fixed_size: 16896
    .kernarg_segment_align: 8
    .kernarg_segment_size: 712
    .language:       OpenCL C
    .language_version:
      - 2
      - 0
    .max_flat_workgroup_size: 256
    .name:           _ZN2at6native18radixSortKVInPlaceILin1ELin1ELi256ELi8EfljEEvNS_4cuda6detail10TensorInfoIT3_T5_EES6_S6_S6_NS4_IT4_S6_EES6_b
    .private_segment_fixed_size: 0
    .sgpr_count:     64
    .sgpr_spill_count: 0
    .symbol:         _ZN2at6native18radixSortKVInPlaceILin1ELin1ELi256ELi8EfljEEvNS_4cuda6detail10TensorInfoIT3_T5_EES6_S6_S6_NS4_IT4_S6_EES6_b.kd
    .uniform_work_group_size: 1
    .uses_dynamic_stack: false
    .vgpr_count:     118
    .vgpr_spill_count: 0
    .wavefront_size: 64
  - .agpr_count:     0
    .args:
      - .offset:         0
        .size:           216
        .value_kind:     by_value
      - .offset:         216
        .size:           4
        .value_kind:     by_value
      - .offset:         220
        .size:           4
        .value_kind:     by_value
      - .offset:         224
        .size:           4
        .value_kind:     by_value
      - .offset:         232
        .size:           216
        .value_kind:     by_value
      - .offset:         448
        .size:           4
        .value_kind:     by_value
      - .offset:         452
        .size:           1
        .value_kind:     by_value
      - .offset:         456
        .size:           4
        .value_kind:     hidden_block_count_x
      - .offset:         460
        .size:           4
        .value_kind:     hidden_block_count_y
      - .offset:         464
        .size:           4
        .value_kind:     hidden_block_count_z
      - .offset:         468
        .size:           2
        .value_kind:     hidden_group_size_x
      - .offset:         470
        .size:           2
        .value_kind:     hidden_group_size_y
      - .offset:         472
        .size:           2
        .value_kind:     hidden_group_size_z
      - .offset:         474
        .size:           2
        .value_kind:     hidden_remainder_x
      - .offset:         476
        .size:           2
        .value_kind:     hidden_remainder_y
      - .offset:         478
        .size:           2
        .value_kind:     hidden_remainder_z
      - .offset:         496
        .size:           8
        .value_kind:     hidden_global_offset_x
      - .offset:         504
        .size:           8
        .value_kind:     hidden_global_offset_y
      - .offset:         512
        .size:           8
        .value_kind:     hidden_global_offset_z
      - .offset:         520
        .size:           2
        .value_kind:     hidden_grid_dims
    .group_segment_fixed_size: 8448
    .kernarg_segment_align: 8
    .kernarg_segment_size: 712
    .language:       OpenCL C
    .language_version:
      - 2
      - 0
    .max_flat_workgroup_size: 128
    .name:           _ZN2at6native18radixSortKVInPlaceILin1ELin1ELi128ELi8EfljEEvNS_4cuda6detail10TensorInfoIT3_T5_EES6_S6_S6_NS4_IT4_S6_EES6_b
    .private_segment_fixed_size: 0
    .sgpr_count:     62
    .sgpr_spill_count: 0
    .symbol:         _ZN2at6native18radixSortKVInPlaceILin1ELin1ELi128ELi8EfljEEvNS_4cuda6detail10TensorInfoIT3_T5_EES6_S6_S6_NS4_IT4_S6_EES6_b.kd
    .uniform_work_group_size: 1
    .uses_dynamic_stack: false
    .vgpr_count:     118
    .vgpr_spill_count: 0
    .wavefront_size: 64
  - .agpr_count:     0
    .args:
      - .offset:         0
        .size:           216
        .value_kind:     by_value
      - .offset:         216
        .size:           4
        .value_kind:     by_value
      - .offset:         220
        .size:           4
        .value_kind:     by_value
      - .offset:         224
        .size:           4
        .value_kind:     by_value
      - .offset:         232
        .size:           216
        .value_kind:     by_value
      - .offset:         448
        .size:           4
        .value_kind:     by_value
      - .offset:         452
        .size:           1
        .value_kind:     by_value
      - .offset:         456
        .size:           4
        .value_kind:     hidden_block_count_x
      - .offset:         460
        .size:           4
        .value_kind:     hidden_block_count_y
      - .offset:         464
        .size:           4
        .value_kind:     hidden_block_count_z
      - .offset:         468
        .size:           2
        .value_kind:     hidden_group_size_x
      - .offset:         470
        .size:           2
        .value_kind:     hidden_group_size_y
      - .offset:         472
        .size:           2
        .value_kind:     hidden_group_size_z
      - .offset:         474
        .size:           2
        .value_kind:     hidden_remainder_x
      - .offset:         476
        .size:           2
        .value_kind:     hidden_remainder_y
      - .offset:         478
        .size:           2
        .value_kind:     hidden_remainder_z
      - .offset:         496
        .size:           8
        .value_kind:     hidden_global_offset_x
      - .offset:         504
        .size:           8
        .value_kind:     hidden_global_offset_y
      - .offset:         512
        .size:           8
        .value_kind:     hidden_global_offset_z
      - .offset:         520
        .size:           2
        .value_kind:     hidden_grid_dims
    .group_segment_fixed_size: 1056
    .kernarg_segment_align: 8
    .kernarg_segment_size: 712
    .language:       OpenCL C
    .language_version:
      - 2
      - 0
    .max_flat_workgroup_size: 32
    .name:           _ZN2at6native18radixSortKVInPlaceILin1ELin1ELi32ELi4EfljEEvNS_4cuda6detail10TensorInfoIT3_T5_EES6_S6_S6_NS4_IT4_S6_EES6_b
    .private_segment_fixed_size: 0
    .sgpr_count:     50
    .sgpr_spill_count: 0
    .symbol:         _ZN2at6native18radixSortKVInPlaceILin1ELin1ELi32ELi4EfljEEvNS_4cuda6detail10TensorInfoIT3_T5_EES6_S6_S6_NS4_IT4_S6_EES6_b.kd
    .uniform_work_group_size: 1
    .uses_dynamic_stack: false
    .vgpr_count:     63
    .vgpr_spill_count: 0
    .wavefront_size: 64
  - .agpr_count:     0
    .args:
      - .offset:         0
        .size:           216
        .value_kind:     by_value
      - .offset:         216
        .size:           4
        .value_kind:     by_value
      - .offset:         220
        .size:           4
        .value_kind:     by_value
      - .offset:         224
        .size:           4
        .value_kind:     by_value
      - .offset:         232
        .size:           216
        .value_kind:     by_value
      - .offset:         448
        .size:           4
        .value_kind:     by_value
      - .offset:         452
        .size:           1
        .value_kind:     by_value
      - .offset:         456
        .size:           4
        .value_kind:     hidden_block_count_x
      - .offset:         460
        .size:           4
        .value_kind:     hidden_block_count_y
      - .offset:         464
        .size:           4
        .value_kind:     hidden_block_count_z
      - .offset:         468
        .size:           2
        .value_kind:     hidden_group_size_x
      - .offset:         470
        .size:           2
        .value_kind:     hidden_group_size_y
      - .offset:         472
        .size:           2
        .value_kind:     hidden_group_size_z
      - .offset:         474
        .size:           2
        .value_kind:     hidden_remainder_x
      - .offset:         476
        .size:           2
        .value_kind:     hidden_remainder_y
      - .offset:         478
        .size:           2
        .value_kind:     hidden_remainder_z
      - .offset:         496
        .size:           8
        .value_kind:     hidden_global_offset_x
      - .offset:         504
        .size:           8
        .value_kind:     hidden_global_offset_y
      - .offset:         512
        .size:           8
        .value_kind:     hidden_global_offset_z
      - .offset:         520
        .size:           2
        .value_kind:     hidden_grid_dims
    .group_segment_fixed_size: 528
    .kernarg_segment_align: 8
    .kernarg_segment_size: 712
    .language:       OpenCL C
    .language_version:
      - 2
      - 0
    .max_flat_workgroup_size: 16
    .name:           _ZN2at6native18radixSortKVInPlaceILin1ELin1ELi16ELi2EfljEEvNS_4cuda6detail10TensorInfoIT3_T5_EES6_S6_S6_NS4_IT4_S6_EES6_b
    .private_segment_fixed_size: 0
    .sgpr_count:     44
    .sgpr_spill_count: 0
    .symbol:         _ZN2at6native18radixSortKVInPlaceILin1ELin1ELi16ELi2EfljEEvNS_4cuda6detail10TensorInfoIT3_T5_EES6_S6_S6_NS4_IT4_S6_EES6_b.kd
    .uniform_work_group_size: 1
    .uses_dynamic_stack: false
    .vgpr_count:     39
    .vgpr_spill_count: 0
    .wavefront_size: 64
  - .agpr_count:     0
    .args:
      - .offset:         0
        .size:           416
        .value_kind:     by_value
      - .offset:         416
        .size:           8
        .value_kind:     by_value
      - .offset:         424
        .size:           8
        .value_kind:     by_value
      - .offset:         432
        .size:           8
        .value_kind:     by_value
      - .offset:         440
        .size:           416
        .value_kind:     by_value
      - .offset:         856
        .size:           8
        .value_kind:     by_value
      - .offset:         864
        .size:           1
        .value_kind:     by_value
      - .offset:         872
        .size:           4
        .value_kind:     hidden_block_count_x
      - .offset:         876
        .size:           4
        .value_kind:     hidden_block_count_y
      - .offset:         880
        .size:           4
        .value_kind:     hidden_block_count_z
      - .offset:         884
        .size:           2
        .value_kind:     hidden_group_size_x
      - .offset:         886
        .size:           2
        .value_kind:     hidden_group_size_y
      - .offset:         888
        .size:           2
        .value_kind:     hidden_group_size_z
      - .offset:         890
        .size:           2
        .value_kind:     hidden_remainder_x
      - .offset:         892
        .size:           2
        .value_kind:     hidden_remainder_y
      - .offset:         894
        .size:           2
        .value_kind:     hidden_remainder_z
      - .offset:         912
        .size:           8
        .value_kind:     hidden_global_offset_x
      - .offset:         920
        .size:           8
        .value_kind:     hidden_global_offset_y
      - .offset:         928
        .size:           8
        .value_kind:     hidden_global_offset_z
      - .offset:         936
        .size:           2
        .value_kind:     hidden_grid_dims
    .group_segment_fixed_size: 33792
    .kernarg_segment_align: 8
    .kernarg_segment_size: 1128
    .language:       OpenCL C
    .language_version:
      - 2
      - 0
    .max_flat_workgroup_size: 512
    .name:           _ZN2at6native18radixSortKVInPlaceILin1ELin1ELi512ELi8EflmEEvNS_4cuda6detail10TensorInfoIT3_T5_EES6_S6_S6_NS4_IT4_S6_EES6_b
    .private_segment_fixed_size: 0
    .sgpr_count:     68
    .sgpr_spill_count: 0
    .symbol:         _ZN2at6native18radixSortKVInPlaceILin1ELin1ELi512ELi8EflmEEvNS_4cuda6detail10TensorInfoIT3_T5_EES6_S6_S6_NS4_IT4_S6_EES6_b.kd
    .uniform_work_group_size: 1
    .uses_dynamic_stack: false
    .vgpr_count:     116
    .vgpr_spill_count: 0
    .wavefront_size: 64
  - .agpr_count:     0
    .args:
      - .offset:         0
        .size:           416
        .value_kind:     by_value
      - .offset:         416
        .size:           8
        .value_kind:     by_value
      - .offset:         424
        .size:           8
        .value_kind:     by_value
      - .offset:         432
        .size:           8
        .value_kind:     by_value
      - .offset:         440
        .size:           416
        .value_kind:     by_value
      - .offset:         856
        .size:           8
        .value_kind:     by_value
      - .offset:         864
        .size:           1
        .value_kind:     by_value
      - .offset:         872
        .size:           4
        .value_kind:     hidden_block_count_x
      - .offset:         876
        .size:           4
        .value_kind:     hidden_block_count_y
      - .offset:         880
        .size:           4
        .value_kind:     hidden_block_count_z
      - .offset:         884
        .size:           2
        .value_kind:     hidden_group_size_x
      - .offset:         886
        .size:           2
        .value_kind:     hidden_group_size_y
      - .offset:         888
        .size:           2
        .value_kind:     hidden_group_size_z
      - .offset:         890
        .size:           2
        .value_kind:     hidden_remainder_x
      - .offset:         892
        .size:           2
        .value_kind:     hidden_remainder_y
      - .offset:         894
        .size:           2
        .value_kind:     hidden_remainder_z
      - .offset:         912
        .size:           8
        .value_kind:     hidden_global_offset_x
      - .offset:         920
        .size:           8
        .value_kind:     hidden_global_offset_y
      - .offset:         928
        .size:           8
        .value_kind:     hidden_global_offset_z
      - .offset:         936
        .size:           2
        .value_kind:     hidden_grid_dims
    .group_segment_fixed_size: 16896
    .kernarg_segment_align: 8
    .kernarg_segment_size: 1128
    .language:       OpenCL C
    .language_version:
      - 2
      - 0
    .max_flat_workgroup_size: 256
    .name:           _ZN2at6native18radixSortKVInPlaceILin1ELin1ELi256ELi8EflmEEvNS_4cuda6detail10TensorInfoIT3_T5_EES6_S6_S6_NS4_IT4_S6_EES6_b
    .private_segment_fixed_size: 0
    .sgpr_count:     66
    .sgpr_spill_count: 0
    .symbol:         _ZN2at6native18radixSortKVInPlaceILin1ELin1ELi256ELi8EflmEEvNS_4cuda6detail10TensorInfoIT3_T5_EES6_S6_S6_NS4_IT4_S6_EES6_b.kd
    .uniform_work_group_size: 1
    .uses_dynamic_stack: false
    .vgpr_count:     116
    .vgpr_spill_count: 0
    .wavefront_size: 64
  - .agpr_count:     0
    .args:
      - .offset:         0
        .size:           416
        .value_kind:     by_value
      - .offset:         416
        .size:           8
        .value_kind:     by_value
      - .offset:         424
        .size:           8
        .value_kind:     by_value
      - .offset:         432
        .size:           8
        .value_kind:     by_value
      - .offset:         440
        .size:           416
        .value_kind:     by_value
      - .offset:         856
        .size:           8
        .value_kind:     by_value
      - .offset:         864
        .size:           1
        .value_kind:     by_value
      - .offset:         872
        .size:           4
        .value_kind:     hidden_block_count_x
      - .offset:         876
        .size:           4
        .value_kind:     hidden_block_count_y
      - .offset:         880
        .size:           4
        .value_kind:     hidden_block_count_z
      - .offset:         884
        .size:           2
        .value_kind:     hidden_group_size_x
      - .offset:         886
        .size:           2
        .value_kind:     hidden_group_size_y
      - .offset:         888
        .size:           2
        .value_kind:     hidden_group_size_z
      - .offset:         890
        .size:           2
        .value_kind:     hidden_remainder_x
      - .offset:         892
        .size:           2
        .value_kind:     hidden_remainder_y
      - .offset:         894
        .size:           2
        .value_kind:     hidden_remainder_z
      - .offset:         912
        .size:           8
        .value_kind:     hidden_global_offset_x
      - .offset:         920
        .size:           8
        .value_kind:     hidden_global_offset_y
      - .offset:         928
        .size:           8
        .value_kind:     hidden_global_offset_z
      - .offset:         936
        .size:           2
        .value_kind:     hidden_grid_dims
    .group_segment_fixed_size: 8448
    .kernarg_segment_align: 8
    .kernarg_segment_size: 1128
    .language:       OpenCL C
    .language_version:
      - 2
      - 0
    .max_flat_workgroup_size: 128
    .name:           _ZN2at6native18radixSortKVInPlaceILin1ELin1ELi128ELi8EflmEEvNS_4cuda6detail10TensorInfoIT3_T5_EES6_S6_S6_NS4_IT4_S6_EES6_b
    .private_segment_fixed_size: 0
    .sgpr_count:     64
    .sgpr_spill_count: 0
    .symbol:         _ZN2at6native18radixSortKVInPlaceILin1ELin1ELi128ELi8EflmEEvNS_4cuda6detail10TensorInfoIT3_T5_EES6_S6_S6_NS4_IT4_S6_EES6_b.kd
    .uniform_work_group_size: 1
    .uses_dynamic_stack: false
    .vgpr_count:     116
    .vgpr_spill_count: 0
    .wavefront_size: 64
  - .agpr_count:     0
    .args:
      - .offset:         0
        .size:           416
        .value_kind:     by_value
      - .offset:         416
        .size:           8
        .value_kind:     by_value
      - .offset:         424
        .size:           8
        .value_kind:     by_value
      - .offset:         432
        .size:           8
        .value_kind:     by_value
      - .offset:         440
        .size:           416
        .value_kind:     by_value
      - .offset:         856
        .size:           8
        .value_kind:     by_value
      - .offset:         864
        .size:           1
        .value_kind:     by_value
      - .offset:         872
        .size:           4
        .value_kind:     hidden_block_count_x
      - .offset:         876
        .size:           4
        .value_kind:     hidden_block_count_y
      - .offset:         880
        .size:           4
        .value_kind:     hidden_block_count_z
      - .offset:         884
        .size:           2
        .value_kind:     hidden_group_size_x
      - .offset:         886
        .size:           2
        .value_kind:     hidden_group_size_y
      - .offset:         888
        .size:           2
        .value_kind:     hidden_group_size_z
      - .offset:         890
        .size:           2
        .value_kind:     hidden_remainder_x
      - .offset:         892
        .size:           2
        .value_kind:     hidden_remainder_y
      - .offset:         894
        .size:           2
        .value_kind:     hidden_remainder_z
      - .offset:         912
        .size:           8
        .value_kind:     hidden_global_offset_x
      - .offset:         920
        .size:           8
        .value_kind:     hidden_global_offset_y
      - .offset:         928
        .size:           8
        .value_kind:     hidden_global_offset_z
      - .offset:         936
        .size:           2
        .value_kind:     hidden_grid_dims
    .group_segment_fixed_size: 1056
    .kernarg_segment_align: 8
    .kernarg_segment_size: 1128
    .language:       OpenCL C
    .language_version:
      - 2
      - 0
    .max_flat_workgroup_size: 32
    .name:           _ZN2at6native18radixSortKVInPlaceILin1ELin1ELi32ELi4EflmEEvNS_4cuda6detail10TensorInfoIT3_T5_EES6_S6_S6_NS4_IT4_S6_EES6_b
    .private_segment_fixed_size: 0
    .sgpr_count:     52
    .sgpr_spill_count: 0
    .symbol:         _ZN2at6native18radixSortKVInPlaceILin1ELin1ELi32ELi4EflmEEvNS_4cuda6detail10TensorInfoIT3_T5_EES6_S6_S6_NS4_IT4_S6_EES6_b.kd
    .uniform_work_group_size: 1
    .uses_dynamic_stack: false
    .vgpr_count:     61
    .vgpr_spill_count: 0
    .wavefront_size: 64
  - .agpr_count:     0
    .args:
      - .offset:         0
        .size:           416
        .value_kind:     by_value
      - .offset:         416
        .size:           8
        .value_kind:     by_value
      - .offset:         424
        .size:           8
        .value_kind:     by_value
      - .offset:         432
        .size:           8
        .value_kind:     by_value
      - .offset:         440
        .size:           416
        .value_kind:     by_value
      - .offset:         856
        .size:           8
        .value_kind:     by_value
      - .offset:         864
        .size:           1
        .value_kind:     by_value
      - .offset:         872
        .size:           4
        .value_kind:     hidden_block_count_x
      - .offset:         876
        .size:           4
        .value_kind:     hidden_block_count_y
      - .offset:         880
        .size:           4
        .value_kind:     hidden_block_count_z
      - .offset:         884
        .size:           2
        .value_kind:     hidden_group_size_x
      - .offset:         886
        .size:           2
        .value_kind:     hidden_group_size_y
      - .offset:         888
        .size:           2
        .value_kind:     hidden_group_size_z
      - .offset:         890
        .size:           2
        .value_kind:     hidden_remainder_x
      - .offset:         892
        .size:           2
        .value_kind:     hidden_remainder_y
      - .offset:         894
        .size:           2
        .value_kind:     hidden_remainder_z
      - .offset:         912
        .size:           8
        .value_kind:     hidden_global_offset_x
      - .offset:         920
        .size:           8
        .value_kind:     hidden_global_offset_y
      - .offset:         928
        .size:           8
        .value_kind:     hidden_global_offset_z
      - .offset:         936
        .size:           2
        .value_kind:     hidden_grid_dims
    .group_segment_fixed_size: 528
    .kernarg_segment_align: 8
    .kernarg_segment_size: 1128
    .language:       OpenCL C
    .language_version:
      - 2
      - 0
    .max_flat_workgroup_size: 16
    .name:           _ZN2at6native18radixSortKVInPlaceILin1ELin1ELi16ELi2EflmEEvNS_4cuda6detail10TensorInfoIT3_T5_EES6_S6_S6_NS4_IT4_S6_EES6_b
    .private_segment_fixed_size: 0
    .sgpr_count:     46
    .sgpr_spill_count: 0
    .symbol:         _ZN2at6native18radixSortKVInPlaceILin1ELin1ELi16ELi2EflmEEvNS_4cuda6detail10TensorInfoIT3_T5_EES6_S6_S6_NS4_IT4_S6_EES6_b.kd
    .uniform_work_group_size: 1
    .uses_dynamic_stack: false
    .vgpr_count:     37
    .vgpr_spill_count: 0
    .wavefront_size: 64
  - .agpr_count:     0
    .args:
      - .offset:         0
        .size:           216
        .value_kind:     by_value
      - .offset:         216
        .size:           4
        .value_kind:     by_value
      - .offset:         220
        .size:           4
        .value_kind:     by_value
      - .offset:         224
        .size:           4
        .value_kind:     by_value
      - .offset:         232
        .size:           216
        .value_kind:     by_value
      - .offset:         448
        .size:           4
        .value_kind:     by_value
      - .offset:         452
        .size:           1
        .value_kind:     by_value
      - .offset:         456
        .size:           4
        .value_kind:     hidden_block_count_x
      - .offset:         460
        .size:           4
        .value_kind:     hidden_block_count_y
      - .offset:         464
        .size:           4
        .value_kind:     hidden_block_count_z
      - .offset:         468
        .size:           2
        .value_kind:     hidden_group_size_x
      - .offset:         470
        .size:           2
        .value_kind:     hidden_group_size_y
      - .offset:         472
        .size:           2
        .value_kind:     hidden_group_size_z
      - .offset:         474
        .size:           2
        .value_kind:     hidden_remainder_x
      - .offset:         476
        .size:           2
        .value_kind:     hidden_remainder_y
      - .offset:         478
        .size:           2
        .value_kind:     hidden_remainder_z
      - .offset:         496
        .size:           8
        .value_kind:     hidden_global_offset_x
      - .offset:         504
        .size:           8
        .value_kind:     hidden_global_offset_y
      - .offset:         512
        .size:           8
        .value_kind:     hidden_global_offset_z
      - .offset:         520
        .size:           2
        .value_kind:     hidden_grid_dims
    .group_segment_fixed_size: 33792
    .kernarg_segment_align: 8
    .kernarg_segment_size: 712
    .language:       OpenCL C
    .language_version:
      - 2
      - 0
    .max_flat_workgroup_size: 512
    .name:           _ZN2at6native18radixSortKVInPlaceILin2ELin1ELi512ELi8EN3c104HalfEljEEvNS_4cuda6detail10TensorInfoIT3_T5_EES8_S8_S8_NS6_IT4_S8_EES8_b
    .private_segment_fixed_size: 0
    .sgpr_count:     61
    .sgpr_spill_count: 0
    .symbol:         _ZN2at6native18radixSortKVInPlaceILin2ELin1ELi512ELi8EN3c104HalfEljEEvNS_4cuda6detail10TensorInfoIT3_T5_EES8_S8_S8_NS6_IT4_S8_EES8_b.kd
    .uniform_work_group_size: 1
    .uses_dynamic_stack: false
    .vgpr_count:     108
    .vgpr_spill_count: 0
    .wavefront_size: 64
  - .agpr_count:     0
    .args:
      - .offset:         0
        .size:           216
        .value_kind:     by_value
      - .offset:         216
        .size:           4
        .value_kind:     by_value
      - .offset:         220
        .size:           4
        .value_kind:     by_value
      - .offset:         224
        .size:           4
        .value_kind:     by_value
      - .offset:         232
        .size:           216
        .value_kind:     by_value
      - .offset:         448
        .size:           4
        .value_kind:     by_value
      - .offset:         452
        .size:           1
        .value_kind:     by_value
      - .offset:         456
        .size:           4
        .value_kind:     hidden_block_count_x
      - .offset:         460
        .size:           4
        .value_kind:     hidden_block_count_y
      - .offset:         464
        .size:           4
        .value_kind:     hidden_block_count_z
      - .offset:         468
        .size:           2
        .value_kind:     hidden_group_size_x
      - .offset:         470
        .size:           2
        .value_kind:     hidden_group_size_y
      - .offset:         472
        .size:           2
        .value_kind:     hidden_group_size_z
      - .offset:         474
        .size:           2
        .value_kind:     hidden_remainder_x
      - .offset:         476
        .size:           2
        .value_kind:     hidden_remainder_y
      - .offset:         478
        .size:           2
        .value_kind:     hidden_remainder_z
      - .offset:         496
        .size:           8
        .value_kind:     hidden_global_offset_x
      - .offset:         504
        .size:           8
        .value_kind:     hidden_global_offset_y
      - .offset:         512
        .size:           8
        .value_kind:     hidden_global_offset_z
      - .offset:         520
        .size:           2
        .value_kind:     hidden_grid_dims
    .group_segment_fixed_size: 16896
    .kernarg_segment_align: 8
    .kernarg_segment_size: 712
    .language:       OpenCL C
    .language_version:
      - 2
      - 0
    .max_flat_workgroup_size: 256
    .name:           _ZN2at6native18radixSortKVInPlaceILin2ELin1ELi256ELi8EN3c104HalfEljEEvNS_4cuda6detail10TensorInfoIT3_T5_EES8_S8_S8_NS6_IT4_S8_EES8_b
    .private_segment_fixed_size: 0
    .sgpr_count:     59
    .sgpr_spill_count: 0
    .symbol:         _ZN2at6native18radixSortKVInPlaceILin2ELin1ELi256ELi8EN3c104HalfEljEEvNS_4cuda6detail10TensorInfoIT3_T5_EES8_S8_S8_NS6_IT4_S8_EES8_b.kd
    .uniform_work_group_size: 1
    .uses_dynamic_stack: false
    .vgpr_count:     108
    .vgpr_spill_count: 0
    .wavefront_size: 64
  - .agpr_count:     0
    .args:
      - .offset:         0
        .size:           216
        .value_kind:     by_value
      - .offset:         216
        .size:           4
        .value_kind:     by_value
      - .offset:         220
        .size:           4
        .value_kind:     by_value
      - .offset:         224
        .size:           4
        .value_kind:     by_value
      - .offset:         232
        .size:           216
        .value_kind:     by_value
      - .offset:         448
        .size:           4
        .value_kind:     by_value
      - .offset:         452
        .size:           1
        .value_kind:     by_value
      - .offset:         456
        .size:           4
        .value_kind:     hidden_block_count_x
      - .offset:         460
        .size:           4
        .value_kind:     hidden_block_count_y
      - .offset:         464
        .size:           4
        .value_kind:     hidden_block_count_z
      - .offset:         468
        .size:           2
        .value_kind:     hidden_group_size_x
      - .offset:         470
        .size:           2
        .value_kind:     hidden_group_size_y
      - .offset:         472
        .size:           2
        .value_kind:     hidden_group_size_z
      - .offset:         474
        .size:           2
        .value_kind:     hidden_remainder_x
      - .offset:         476
        .size:           2
        .value_kind:     hidden_remainder_y
      - .offset:         478
        .size:           2
        .value_kind:     hidden_remainder_z
      - .offset:         496
        .size:           8
        .value_kind:     hidden_global_offset_x
      - .offset:         504
        .size:           8
        .value_kind:     hidden_global_offset_y
      - .offset:         512
        .size:           8
        .value_kind:     hidden_global_offset_z
      - .offset:         520
        .size:           2
        .value_kind:     hidden_grid_dims
    .group_segment_fixed_size: 8448
    .kernarg_segment_align: 8
    .kernarg_segment_size: 712
    .language:       OpenCL C
    .language_version:
      - 2
      - 0
    .max_flat_workgroup_size: 128
    .name:           _ZN2at6native18radixSortKVInPlaceILin2ELin1ELi128ELi8EN3c104HalfEljEEvNS_4cuda6detail10TensorInfoIT3_T5_EES8_S8_S8_NS6_IT4_S8_EES8_b
    .private_segment_fixed_size: 0
    .sgpr_count:     57
    .sgpr_spill_count: 0
    .symbol:         _ZN2at6native18radixSortKVInPlaceILin2ELin1ELi128ELi8EN3c104HalfEljEEvNS_4cuda6detail10TensorInfoIT3_T5_EES8_S8_S8_NS6_IT4_S8_EES8_b.kd
    .uniform_work_group_size: 1
    .uses_dynamic_stack: false
    .vgpr_count:     108
    .vgpr_spill_count: 0
    .wavefront_size: 64
  - .agpr_count:     0
    .args:
      - .offset:         0
        .size:           216
        .value_kind:     by_value
      - .offset:         216
        .size:           4
        .value_kind:     by_value
      - .offset:         220
        .size:           4
        .value_kind:     by_value
      - .offset:         224
        .size:           4
        .value_kind:     by_value
      - .offset:         232
        .size:           216
        .value_kind:     by_value
      - .offset:         448
        .size:           4
        .value_kind:     by_value
      - .offset:         452
        .size:           1
        .value_kind:     by_value
      - .offset:         456
        .size:           4
        .value_kind:     hidden_block_count_x
      - .offset:         460
        .size:           4
        .value_kind:     hidden_block_count_y
      - .offset:         464
        .size:           4
        .value_kind:     hidden_block_count_z
      - .offset:         468
        .size:           2
        .value_kind:     hidden_group_size_x
      - .offset:         470
        .size:           2
        .value_kind:     hidden_group_size_y
      - .offset:         472
        .size:           2
        .value_kind:     hidden_group_size_z
      - .offset:         474
        .size:           2
        .value_kind:     hidden_remainder_x
      - .offset:         476
        .size:           2
        .value_kind:     hidden_remainder_y
      - .offset:         478
        .size:           2
        .value_kind:     hidden_remainder_z
      - .offset:         496
        .size:           8
        .value_kind:     hidden_global_offset_x
      - .offset:         504
        .size:           8
        .value_kind:     hidden_global_offset_y
      - .offset:         512
        .size:           8
        .value_kind:     hidden_global_offset_z
      - .offset:         520
        .size:           2
        .value_kind:     hidden_grid_dims
    .group_segment_fixed_size: 1056
    .kernarg_segment_align: 8
    .kernarg_segment_size: 712
    .language:       OpenCL C
    .language_version:
      - 2
      - 0
    .max_flat_workgroup_size: 32
    .name:           _ZN2at6native18radixSortKVInPlaceILin2ELin1ELi32ELi4EN3c104HalfEljEEvNS_4cuda6detail10TensorInfoIT3_T5_EES8_S8_S8_NS6_IT4_S8_EES8_b
    .private_segment_fixed_size: 0
    .sgpr_count:     50
    .sgpr_spill_count: 0
    .symbol:         _ZN2at6native18radixSortKVInPlaceILin2ELin1ELi32ELi4EN3c104HalfEljEEvNS_4cuda6detail10TensorInfoIT3_T5_EES8_S8_S8_NS6_IT4_S8_EES8_b.kd
    .uniform_work_group_size: 1
    .uses_dynamic_stack: false
    .vgpr_count:     60
    .vgpr_spill_count: 0
    .wavefront_size: 64
  - .agpr_count:     0
    .args:
      - .offset:         0
        .size:           216
        .value_kind:     by_value
      - .offset:         216
        .size:           4
        .value_kind:     by_value
      - .offset:         220
        .size:           4
        .value_kind:     by_value
      - .offset:         224
        .size:           4
        .value_kind:     by_value
      - .offset:         232
        .size:           216
        .value_kind:     by_value
      - .offset:         448
        .size:           4
        .value_kind:     by_value
      - .offset:         452
        .size:           1
        .value_kind:     by_value
      - .offset:         456
        .size:           4
        .value_kind:     hidden_block_count_x
      - .offset:         460
        .size:           4
        .value_kind:     hidden_block_count_y
      - .offset:         464
        .size:           4
        .value_kind:     hidden_block_count_z
      - .offset:         468
        .size:           2
        .value_kind:     hidden_group_size_x
      - .offset:         470
        .size:           2
        .value_kind:     hidden_group_size_y
      - .offset:         472
        .size:           2
        .value_kind:     hidden_group_size_z
      - .offset:         474
        .size:           2
        .value_kind:     hidden_remainder_x
      - .offset:         476
        .size:           2
        .value_kind:     hidden_remainder_y
      - .offset:         478
        .size:           2
        .value_kind:     hidden_remainder_z
      - .offset:         496
        .size:           8
        .value_kind:     hidden_global_offset_x
      - .offset:         504
        .size:           8
        .value_kind:     hidden_global_offset_y
      - .offset:         512
        .size:           8
        .value_kind:     hidden_global_offset_z
      - .offset:         520
        .size:           2
        .value_kind:     hidden_grid_dims
    .group_segment_fixed_size: 528
    .kernarg_segment_align: 8
    .kernarg_segment_size: 712
    .language:       OpenCL C
    .language_version:
      - 2
      - 0
    .max_flat_workgroup_size: 16
    .name:           _ZN2at6native18radixSortKVInPlaceILin2ELin1ELi16ELi2EN3c104HalfEljEEvNS_4cuda6detail10TensorInfoIT3_T5_EES8_S8_S8_NS6_IT4_S8_EES8_b
    .private_segment_fixed_size: 0
    .sgpr_count:     44
    .sgpr_spill_count: 0
    .symbol:         _ZN2at6native18radixSortKVInPlaceILin2ELin1ELi16ELi2EN3c104HalfEljEEvNS_4cuda6detail10TensorInfoIT3_T5_EES8_S8_S8_NS6_IT4_S8_EES8_b.kd
    .uniform_work_group_size: 1
    .uses_dynamic_stack: false
    .vgpr_count:     40
    .vgpr_spill_count: 0
    .wavefront_size: 64
  - .agpr_count:     0
    .args:
      - .offset:         0
        .size:           216
        .value_kind:     by_value
      - .offset:         216
        .size:           4
        .value_kind:     by_value
      - .offset:         220
        .size:           4
        .value_kind:     by_value
      - .offset:         224
        .size:           4
        .value_kind:     by_value
      - .offset:         232
        .size:           216
        .value_kind:     by_value
      - .offset:         448
        .size:           4
        .value_kind:     by_value
      - .offset:         452
        .size:           1
        .value_kind:     by_value
      - .offset:         456
        .size:           4
        .value_kind:     hidden_block_count_x
      - .offset:         460
        .size:           4
        .value_kind:     hidden_block_count_y
      - .offset:         464
        .size:           4
        .value_kind:     hidden_block_count_z
      - .offset:         468
        .size:           2
        .value_kind:     hidden_group_size_x
      - .offset:         470
        .size:           2
        .value_kind:     hidden_group_size_y
      - .offset:         472
        .size:           2
        .value_kind:     hidden_group_size_z
      - .offset:         474
        .size:           2
        .value_kind:     hidden_remainder_x
      - .offset:         476
        .size:           2
        .value_kind:     hidden_remainder_y
      - .offset:         478
        .size:           2
        .value_kind:     hidden_remainder_z
      - .offset:         496
        .size:           8
        .value_kind:     hidden_global_offset_x
      - .offset:         504
        .size:           8
        .value_kind:     hidden_global_offset_y
      - .offset:         512
        .size:           8
        .value_kind:     hidden_global_offset_z
      - .offset:         520
        .size:           2
        .value_kind:     hidden_grid_dims
    .group_segment_fixed_size: 33792
    .kernarg_segment_align: 8
    .kernarg_segment_size: 712
    .language:       OpenCL C
    .language_version:
      - 2
      - 0
    .max_flat_workgroup_size: 512
    .name:           _ZN2at6native18radixSortKVInPlaceILi2ELin1ELi512ELi8EN3c104HalfEljEEvNS_4cuda6detail10TensorInfoIT3_T5_EES8_S8_S8_NS6_IT4_S8_EES8_b
    .private_segment_fixed_size: 0
    .sgpr_count:     61
    .sgpr_spill_count: 0
    .symbol:         _ZN2at6native18radixSortKVInPlaceILi2ELin1ELi512ELi8EN3c104HalfEljEEvNS_4cuda6detail10TensorInfoIT3_T5_EES8_S8_S8_NS6_IT4_S8_EES8_b.kd
    .uniform_work_group_size: 1
    .uses_dynamic_stack: false
    .vgpr_count:     108
    .vgpr_spill_count: 0
    .wavefront_size: 64
  - .agpr_count:     0
    .args:
      - .offset:         0
        .size:           216
        .value_kind:     by_value
      - .offset:         216
        .size:           4
        .value_kind:     by_value
      - .offset:         220
        .size:           4
        .value_kind:     by_value
      - .offset:         224
        .size:           4
        .value_kind:     by_value
      - .offset:         232
        .size:           216
        .value_kind:     by_value
      - .offset:         448
        .size:           4
        .value_kind:     by_value
      - .offset:         452
        .size:           1
        .value_kind:     by_value
      - .offset:         456
        .size:           4
        .value_kind:     hidden_block_count_x
      - .offset:         460
        .size:           4
        .value_kind:     hidden_block_count_y
      - .offset:         464
        .size:           4
        .value_kind:     hidden_block_count_z
      - .offset:         468
        .size:           2
        .value_kind:     hidden_group_size_x
      - .offset:         470
        .size:           2
        .value_kind:     hidden_group_size_y
      - .offset:         472
        .size:           2
        .value_kind:     hidden_group_size_z
      - .offset:         474
        .size:           2
        .value_kind:     hidden_remainder_x
      - .offset:         476
        .size:           2
        .value_kind:     hidden_remainder_y
      - .offset:         478
        .size:           2
        .value_kind:     hidden_remainder_z
      - .offset:         496
        .size:           8
        .value_kind:     hidden_global_offset_x
      - .offset:         504
        .size:           8
        .value_kind:     hidden_global_offset_y
      - .offset:         512
        .size:           8
        .value_kind:     hidden_global_offset_z
      - .offset:         520
        .size:           2
        .value_kind:     hidden_grid_dims
    .group_segment_fixed_size: 16896
    .kernarg_segment_align: 8
    .kernarg_segment_size: 712
    .language:       OpenCL C
    .language_version:
      - 2
      - 0
    .max_flat_workgroup_size: 256
    .name:           _ZN2at6native18radixSortKVInPlaceILi2ELin1ELi256ELi8EN3c104HalfEljEEvNS_4cuda6detail10TensorInfoIT3_T5_EES8_S8_S8_NS6_IT4_S8_EES8_b
    .private_segment_fixed_size: 0
    .sgpr_count:     59
    .sgpr_spill_count: 0
    .symbol:         _ZN2at6native18radixSortKVInPlaceILi2ELin1ELi256ELi8EN3c104HalfEljEEvNS_4cuda6detail10TensorInfoIT3_T5_EES8_S8_S8_NS6_IT4_S8_EES8_b.kd
    .uniform_work_group_size: 1
    .uses_dynamic_stack: false
    .vgpr_count:     108
    .vgpr_spill_count: 0
    .wavefront_size: 64
  - .agpr_count:     0
    .args:
      - .offset:         0
        .size:           216
        .value_kind:     by_value
      - .offset:         216
        .size:           4
        .value_kind:     by_value
      - .offset:         220
        .size:           4
        .value_kind:     by_value
      - .offset:         224
        .size:           4
        .value_kind:     by_value
      - .offset:         232
        .size:           216
        .value_kind:     by_value
      - .offset:         448
        .size:           4
        .value_kind:     by_value
      - .offset:         452
        .size:           1
        .value_kind:     by_value
      - .offset:         456
        .size:           4
        .value_kind:     hidden_block_count_x
      - .offset:         460
        .size:           4
        .value_kind:     hidden_block_count_y
      - .offset:         464
        .size:           4
        .value_kind:     hidden_block_count_z
      - .offset:         468
        .size:           2
        .value_kind:     hidden_group_size_x
      - .offset:         470
        .size:           2
        .value_kind:     hidden_group_size_y
      - .offset:         472
        .size:           2
        .value_kind:     hidden_group_size_z
      - .offset:         474
        .size:           2
        .value_kind:     hidden_remainder_x
      - .offset:         476
        .size:           2
        .value_kind:     hidden_remainder_y
      - .offset:         478
        .size:           2
        .value_kind:     hidden_remainder_z
      - .offset:         496
        .size:           8
        .value_kind:     hidden_global_offset_x
      - .offset:         504
        .size:           8
        .value_kind:     hidden_global_offset_y
      - .offset:         512
        .size:           8
        .value_kind:     hidden_global_offset_z
      - .offset:         520
        .size:           2
        .value_kind:     hidden_grid_dims
    .group_segment_fixed_size: 8448
    .kernarg_segment_align: 8
    .kernarg_segment_size: 712
    .language:       OpenCL C
    .language_version:
      - 2
      - 0
    .max_flat_workgroup_size: 128
    .name:           _ZN2at6native18radixSortKVInPlaceILi2ELin1ELi128ELi8EN3c104HalfEljEEvNS_4cuda6detail10TensorInfoIT3_T5_EES8_S8_S8_NS6_IT4_S8_EES8_b
    .private_segment_fixed_size: 0
    .sgpr_count:     57
    .sgpr_spill_count: 0
    .symbol:         _ZN2at6native18radixSortKVInPlaceILi2ELin1ELi128ELi8EN3c104HalfEljEEvNS_4cuda6detail10TensorInfoIT3_T5_EES8_S8_S8_NS6_IT4_S8_EES8_b.kd
    .uniform_work_group_size: 1
    .uses_dynamic_stack: false
    .vgpr_count:     108
    .vgpr_spill_count: 0
    .wavefront_size: 64
  - .agpr_count:     0
    .args:
      - .offset:         0
        .size:           216
        .value_kind:     by_value
      - .offset:         216
        .size:           4
        .value_kind:     by_value
      - .offset:         220
        .size:           4
        .value_kind:     by_value
      - .offset:         224
        .size:           4
        .value_kind:     by_value
      - .offset:         232
        .size:           216
        .value_kind:     by_value
      - .offset:         448
        .size:           4
        .value_kind:     by_value
      - .offset:         452
        .size:           1
        .value_kind:     by_value
      - .offset:         456
        .size:           4
        .value_kind:     hidden_block_count_x
      - .offset:         460
        .size:           4
        .value_kind:     hidden_block_count_y
      - .offset:         464
        .size:           4
        .value_kind:     hidden_block_count_z
      - .offset:         468
        .size:           2
        .value_kind:     hidden_group_size_x
      - .offset:         470
        .size:           2
        .value_kind:     hidden_group_size_y
      - .offset:         472
        .size:           2
        .value_kind:     hidden_group_size_z
      - .offset:         474
        .size:           2
        .value_kind:     hidden_remainder_x
      - .offset:         476
        .size:           2
        .value_kind:     hidden_remainder_y
      - .offset:         478
        .size:           2
        .value_kind:     hidden_remainder_z
      - .offset:         496
        .size:           8
        .value_kind:     hidden_global_offset_x
      - .offset:         504
        .size:           8
        .value_kind:     hidden_global_offset_y
      - .offset:         512
        .size:           8
        .value_kind:     hidden_global_offset_z
      - .offset:         520
        .size:           2
        .value_kind:     hidden_grid_dims
    .group_segment_fixed_size: 1056
    .kernarg_segment_align: 8
    .kernarg_segment_size: 712
    .language:       OpenCL C
    .language_version:
      - 2
      - 0
    .max_flat_workgroup_size: 32
    .name:           _ZN2at6native18radixSortKVInPlaceILi2ELin1ELi32ELi4EN3c104HalfEljEEvNS_4cuda6detail10TensorInfoIT3_T5_EES8_S8_S8_NS6_IT4_S8_EES8_b
    .private_segment_fixed_size: 0
    .sgpr_count:     50
    .sgpr_spill_count: 0
    .symbol:         _ZN2at6native18radixSortKVInPlaceILi2ELin1ELi32ELi4EN3c104HalfEljEEvNS_4cuda6detail10TensorInfoIT3_T5_EES8_S8_S8_NS6_IT4_S8_EES8_b.kd
    .uniform_work_group_size: 1
    .uses_dynamic_stack: false
    .vgpr_count:     60
    .vgpr_spill_count: 0
    .wavefront_size: 64
  - .agpr_count:     0
    .args:
      - .offset:         0
        .size:           216
        .value_kind:     by_value
      - .offset:         216
        .size:           4
        .value_kind:     by_value
      - .offset:         220
        .size:           4
        .value_kind:     by_value
      - .offset:         224
        .size:           4
        .value_kind:     by_value
      - .offset:         232
        .size:           216
        .value_kind:     by_value
      - .offset:         448
        .size:           4
        .value_kind:     by_value
      - .offset:         452
        .size:           1
        .value_kind:     by_value
      - .offset:         456
        .size:           4
        .value_kind:     hidden_block_count_x
      - .offset:         460
        .size:           4
        .value_kind:     hidden_block_count_y
      - .offset:         464
        .size:           4
        .value_kind:     hidden_block_count_z
      - .offset:         468
        .size:           2
        .value_kind:     hidden_group_size_x
      - .offset:         470
        .size:           2
        .value_kind:     hidden_group_size_y
      - .offset:         472
        .size:           2
        .value_kind:     hidden_group_size_z
      - .offset:         474
        .size:           2
        .value_kind:     hidden_remainder_x
      - .offset:         476
        .size:           2
        .value_kind:     hidden_remainder_y
      - .offset:         478
        .size:           2
        .value_kind:     hidden_remainder_z
      - .offset:         496
        .size:           8
        .value_kind:     hidden_global_offset_x
      - .offset:         504
        .size:           8
        .value_kind:     hidden_global_offset_y
      - .offset:         512
        .size:           8
        .value_kind:     hidden_global_offset_z
      - .offset:         520
        .size:           2
        .value_kind:     hidden_grid_dims
    .group_segment_fixed_size: 528
    .kernarg_segment_align: 8
    .kernarg_segment_size: 712
    .language:       OpenCL C
    .language_version:
      - 2
      - 0
    .max_flat_workgroup_size: 16
    .name:           _ZN2at6native18radixSortKVInPlaceILi2ELin1ELi16ELi2EN3c104HalfEljEEvNS_4cuda6detail10TensorInfoIT3_T5_EES8_S8_S8_NS6_IT4_S8_EES8_b
    .private_segment_fixed_size: 0
    .sgpr_count:     44
    .sgpr_spill_count: 0
    .symbol:         _ZN2at6native18radixSortKVInPlaceILi2ELin1ELi16ELi2EN3c104HalfEljEEvNS_4cuda6detail10TensorInfoIT3_T5_EES8_S8_S8_NS6_IT4_S8_EES8_b.kd
    .uniform_work_group_size: 1
    .uses_dynamic_stack: false
    .vgpr_count:     40
    .vgpr_spill_count: 0
    .wavefront_size: 64
  - .agpr_count:     0
    .args:
      - .offset:         0
        .size:           216
        .value_kind:     by_value
      - .offset:         216
        .size:           4
        .value_kind:     by_value
      - .offset:         220
        .size:           4
        .value_kind:     by_value
      - .offset:         224
        .size:           4
        .value_kind:     by_value
      - .offset:         232
        .size:           216
        .value_kind:     by_value
      - .offset:         448
        .size:           4
        .value_kind:     by_value
      - .offset:         452
        .size:           1
        .value_kind:     by_value
      - .offset:         456
        .size:           4
        .value_kind:     hidden_block_count_x
      - .offset:         460
        .size:           4
        .value_kind:     hidden_block_count_y
      - .offset:         464
        .size:           4
        .value_kind:     hidden_block_count_z
      - .offset:         468
        .size:           2
        .value_kind:     hidden_group_size_x
      - .offset:         470
        .size:           2
        .value_kind:     hidden_group_size_y
      - .offset:         472
        .size:           2
        .value_kind:     hidden_group_size_z
      - .offset:         474
        .size:           2
        .value_kind:     hidden_remainder_x
      - .offset:         476
        .size:           2
        .value_kind:     hidden_remainder_y
      - .offset:         478
        .size:           2
        .value_kind:     hidden_remainder_z
      - .offset:         496
        .size:           8
        .value_kind:     hidden_global_offset_x
      - .offset:         504
        .size:           8
        .value_kind:     hidden_global_offset_y
      - .offset:         512
        .size:           8
        .value_kind:     hidden_global_offset_z
      - .offset:         520
        .size:           2
        .value_kind:     hidden_grid_dims
    .group_segment_fixed_size: 33792
    .kernarg_segment_align: 8
    .kernarg_segment_size: 712
    .language:       OpenCL C
    .language_version:
      - 2
      - 0
    .max_flat_workgroup_size: 512
    .name:           _ZN2at6native18radixSortKVInPlaceILin1ELin1ELi512ELi8EN3c104HalfEljEEvNS_4cuda6detail10TensorInfoIT3_T5_EES8_S8_S8_NS6_IT4_S8_EES8_b
    .private_segment_fixed_size: 0
    .sgpr_count:     61
    .sgpr_spill_count: 0
    .symbol:         _ZN2at6native18radixSortKVInPlaceILin1ELin1ELi512ELi8EN3c104HalfEljEEvNS_4cuda6detail10TensorInfoIT3_T5_EES8_S8_S8_NS6_IT4_S8_EES8_b.kd
    .uniform_work_group_size: 1
    .uses_dynamic_stack: false
    .vgpr_count:     108
    .vgpr_spill_count: 0
    .wavefront_size: 64
  - .agpr_count:     0
    .args:
      - .offset:         0
        .size:           216
        .value_kind:     by_value
      - .offset:         216
        .size:           4
        .value_kind:     by_value
      - .offset:         220
        .size:           4
        .value_kind:     by_value
      - .offset:         224
        .size:           4
        .value_kind:     by_value
      - .offset:         232
        .size:           216
        .value_kind:     by_value
      - .offset:         448
        .size:           4
        .value_kind:     by_value
      - .offset:         452
        .size:           1
        .value_kind:     by_value
      - .offset:         456
        .size:           4
        .value_kind:     hidden_block_count_x
      - .offset:         460
        .size:           4
        .value_kind:     hidden_block_count_y
      - .offset:         464
        .size:           4
        .value_kind:     hidden_block_count_z
      - .offset:         468
        .size:           2
        .value_kind:     hidden_group_size_x
      - .offset:         470
        .size:           2
        .value_kind:     hidden_group_size_y
      - .offset:         472
        .size:           2
        .value_kind:     hidden_group_size_z
      - .offset:         474
        .size:           2
        .value_kind:     hidden_remainder_x
      - .offset:         476
        .size:           2
        .value_kind:     hidden_remainder_y
      - .offset:         478
        .size:           2
        .value_kind:     hidden_remainder_z
      - .offset:         496
        .size:           8
        .value_kind:     hidden_global_offset_x
      - .offset:         504
        .size:           8
        .value_kind:     hidden_global_offset_y
      - .offset:         512
        .size:           8
        .value_kind:     hidden_global_offset_z
      - .offset:         520
        .size:           2
        .value_kind:     hidden_grid_dims
    .group_segment_fixed_size: 16896
    .kernarg_segment_align: 8
    .kernarg_segment_size: 712
    .language:       OpenCL C
    .language_version:
      - 2
      - 0
    .max_flat_workgroup_size: 256
    .name:           _ZN2at6native18radixSortKVInPlaceILin1ELin1ELi256ELi8EN3c104HalfEljEEvNS_4cuda6detail10TensorInfoIT3_T5_EES8_S8_S8_NS6_IT4_S8_EES8_b
    .private_segment_fixed_size: 0
    .sgpr_count:     59
    .sgpr_spill_count: 0
    .symbol:         _ZN2at6native18radixSortKVInPlaceILin1ELin1ELi256ELi8EN3c104HalfEljEEvNS_4cuda6detail10TensorInfoIT3_T5_EES8_S8_S8_NS6_IT4_S8_EES8_b.kd
    .uniform_work_group_size: 1
    .uses_dynamic_stack: false
    .vgpr_count:     108
    .vgpr_spill_count: 0
    .wavefront_size: 64
  - .agpr_count:     0
    .args:
      - .offset:         0
        .size:           216
        .value_kind:     by_value
      - .offset:         216
        .size:           4
        .value_kind:     by_value
      - .offset:         220
        .size:           4
        .value_kind:     by_value
      - .offset:         224
        .size:           4
        .value_kind:     by_value
      - .offset:         232
        .size:           216
        .value_kind:     by_value
      - .offset:         448
        .size:           4
        .value_kind:     by_value
      - .offset:         452
        .size:           1
        .value_kind:     by_value
      - .offset:         456
        .size:           4
        .value_kind:     hidden_block_count_x
      - .offset:         460
        .size:           4
        .value_kind:     hidden_block_count_y
      - .offset:         464
        .size:           4
        .value_kind:     hidden_block_count_z
      - .offset:         468
        .size:           2
        .value_kind:     hidden_group_size_x
      - .offset:         470
        .size:           2
        .value_kind:     hidden_group_size_y
      - .offset:         472
        .size:           2
        .value_kind:     hidden_group_size_z
      - .offset:         474
        .size:           2
        .value_kind:     hidden_remainder_x
      - .offset:         476
        .size:           2
        .value_kind:     hidden_remainder_y
      - .offset:         478
        .size:           2
        .value_kind:     hidden_remainder_z
      - .offset:         496
        .size:           8
        .value_kind:     hidden_global_offset_x
      - .offset:         504
        .size:           8
        .value_kind:     hidden_global_offset_y
      - .offset:         512
        .size:           8
        .value_kind:     hidden_global_offset_z
      - .offset:         520
        .size:           2
        .value_kind:     hidden_grid_dims
    .group_segment_fixed_size: 8448
    .kernarg_segment_align: 8
    .kernarg_segment_size: 712
    .language:       OpenCL C
    .language_version:
      - 2
      - 0
    .max_flat_workgroup_size: 128
    .name:           _ZN2at6native18radixSortKVInPlaceILin1ELin1ELi128ELi8EN3c104HalfEljEEvNS_4cuda6detail10TensorInfoIT3_T5_EES8_S8_S8_NS6_IT4_S8_EES8_b
    .private_segment_fixed_size: 0
    .sgpr_count:     57
    .sgpr_spill_count: 0
    .symbol:         _ZN2at6native18radixSortKVInPlaceILin1ELin1ELi128ELi8EN3c104HalfEljEEvNS_4cuda6detail10TensorInfoIT3_T5_EES8_S8_S8_NS6_IT4_S8_EES8_b.kd
    .uniform_work_group_size: 1
    .uses_dynamic_stack: false
    .vgpr_count:     108
    .vgpr_spill_count: 0
    .wavefront_size: 64
  - .agpr_count:     0
    .args:
      - .offset:         0
        .size:           216
        .value_kind:     by_value
      - .offset:         216
        .size:           4
        .value_kind:     by_value
      - .offset:         220
        .size:           4
        .value_kind:     by_value
      - .offset:         224
        .size:           4
        .value_kind:     by_value
      - .offset:         232
        .size:           216
        .value_kind:     by_value
      - .offset:         448
        .size:           4
        .value_kind:     by_value
      - .offset:         452
        .size:           1
        .value_kind:     by_value
      - .offset:         456
        .size:           4
        .value_kind:     hidden_block_count_x
      - .offset:         460
        .size:           4
        .value_kind:     hidden_block_count_y
      - .offset:         464
        .size:           4
        .value_kind:     hidden_block_count_z
      - .offset:         468
        .size:           2
        .value_kind:     hidden_group_size_x
      - .offset:         470
        .size:           2
        .value_kind:     hidden_group_size_y
      - .offset:         472
        .size:           2
        .value_kind:     hidden_group_size_z
      - .offset:         474
        .size:           2
        .value_kind:     hidden_remainder_x
      - .offset:         476
        .size:           2
        .value_kind:     hidden_remainder_y
      - .offset:         478
        .size:           2
        .value_kind:     hidden_remainder_z
      - .offset:         496
        .size:           8
        .value_kind:     hidden_global_offset_x
      - .offset:         504
        .size:           8
        .value_kind:     hidden_global_offset_y
      - .offset:         512
        .size:           8
        .value_kind:     hidden_global_offset_z
      - .offset:         520
        .size:           2
        .value_kind:     hidden_grid_dims
    .group_segment_fixed_size: 1056
    .kernarg_segment_align: 8
    .kernarg_segment_size: 712
    .language:       OpenCL C
    .language_version:
      - 2
      - 0
    .max_flat_workgroup_size: 32
    .name:           _ZN2at6native18radixSortKVInPlaceILin1ELin1ELi32ELi4EN3c104HalfEljEEvNS_4cuda6detail10TensorInfoIT3_T5_EES8_S8_S8_NS6_IT4_S8_EES8_b
    .private_segment_fixed_size: 0
    .sgpr_count:     50
    .sgpr_spill_count: 0
    .symbol:         _ZN2at6native18radixSortKVInPlaceILin1ELin1ELi32ELi4EN3c104HalfEljEEvNS_4cuda6detail10TensorInfoIT3_T5_EES8_S8_S8_NS6_IT4_S8_EES8_b.kd
    .uniform_work_group_size: 1
    .uses_dynamic_stack: false
    .vgpr_count:     60
    .vgpr_spill_count: 0
    .wavefront_size: 64
  - .agpr_count:     0
    .args:
      - .offset:         0
        .size:           216
        .value_kind:     by_value
      - .offset:         216
        .size:           4
        .value_kind:     by_value
      - .offset:         220
        .size:           4
        .value_kind:     by_value
      - .offset:         224
        .size:           4
        .value_kind:     by_value
      - .offset:         232
        .size:           216
        .value_kind:     by_value
      - .offset:         448
        .size:           4
        .value_kind:     by_value
      - .offset:         452
        .size:           1
        .value_kind:     by_value
      - .offset:         456
        .size:           4
        .value_kind:     hidden_block_count_x
      - .offset:         460
        .size:           4
        .value_kind:     hidden_block_count_y
      - .offset:         464
        .size:           4
        .value_kind:     hidden_block_count_z
      - .offset:         468
        .size:           2
        .value_kind:     hidden_group_size_x
      - .offset:         470
        .size:           2
        .value_kind:     hidden_group_size_y
      - .offset:         472
        .size:           2
        .value_kind:     hidden_group_size_z
      - .offset:         474
        .size:           2
        .value_kind:     hidden_remainder_x
      - .offset:         476
        .size:           2
        .value_kind:     hidden_remainder_y
      - .offset:         478
        .size:           2
        .value_kind:     hidden_remainder_z
      - .offset:         496
        .size:           8
        .value_kind:     hidden_global_offset_x
      - .offset:         504
        .size:           8
        .value_kind:     hidden_global_offset_y
      - .offset:         512
        .size:           8
        .value_kind:     hidden_global_offset_z
      - .offset:         520
        .size:           2
        .value_kind:     hidden_grid_dims
    .group_segment_fixed_size: 528
    .kernarg_segment_align: 8
    .kernarg_segment_size: 712
    .language:       OpenCL C
    .language_version:
      - 2
      - 0
    .max_flat_workgroup_size: 16
    .name:           _ZN2at6native18radixSortKVInPlaceILin1ELin1ELi16ELi2EN3c104HalfEljEEvNS_4cuda6detail10TensorInfoIT3_T5_EES8_S8_S8_NS6_IT4_S8_EES8_b
    .private_segment_fixed_size: 0
    .sgpr_count:     44
    .sgpr_spill_count: 0
    .symbol:         _ZN2at6native18radixSortKVInPlaceILin1ELin1ELi16ELi2EN3c104HalfEljEEvNS_4cuda6detail10TensorInfoIT3_T5_EES8_S8_S8_NS6_IT4_S8_EES8_b.kd
    .uniform_work_group_size: 1
    .uses_dynamic_stack: false
    .vgpr_count:     40
    .vgpr_spill_count: 0
    .wavefront_size: 64
  - .agpr_count:     0
    .args:
      - .offset:         0
        .size:           416
        .value_kind:     by_value
      - .offset:         416
        .size:           8
        .value_kind:     by_value
      - .offset:         424
        .size:           8
        .value_kind:     by_value
      - .offset:         432
        .size:           8
        .value_kind:     by_value
      - .offset:         440
        .size:           416
        .value_kind:     by_value
      - .offset:         856
        .size:           8
        .value_kind:     by_value
      - .offset:         864
        .size:           1
        .value_kind:     by_value
      - .offset:         872
        .size:           4
        .value_kind:     hidden_block_count_x
      - .offset:         876
        .size:           4
        .value_kind:     hidden_block_count_y
      - .offset:         880
        .size:           4
        .value_kind:     hidden_block_count_z
      - .offset:         884
        .size:           2
        .value_kind:     hidden_group_size_x
      - .offset:         886
        .size:           2
        .value_kind:     hidden_group_size_y
      - .offset:         888
        .size:           2
        .value_kind:     hidden_group_size_z
      - .offset:         890
        .size:           2
        .value_kind:     hidden_remainder_x
      - .offset:         892
        .size:           2
        .value_kind:     hidden_remainder_y
      - .offset:         894
        .size:           2
        .value_kind:     hidden_remainder_z
      - .offset:         912
        .size:           8
        .value_kind:     hidden_global_offset_x
      - .offset:         920
        .size:           8
        .value_kind:     hidden_global_offset_y
      - .offset:         928
        .size:           8
        .value_kind:     hidden_global_offset_z
      - .offset:         936
        .size:           2
        .value_kind:     hidden_grid_dims
    .group_segment_fixed_size: 33792
    .kernarg_segment_align: 8
    .kernarg_segment_size: 1128
    .language:       OpenCL C
    .language_version:
      - 2
      - 0
    .max_flat_workgroup_size: 512
    .name:           _ZN2at6native18radixSortKVInPlaceILin1ELin1ELi512ELi8EN3c104HalfElmEEvNS_4cuda6detail10TensorInfoIT3_T5_EES8_S8_S8_NS6_IT4_S8_EES8_b
    .private_segment_fixed_size: 0
    .sgpr_count:     63
    .sgpr_spill_count: 0
    .symbol:         _ZN2at6native18radixSortKVInPlaceILin1ELin1ELi512ELi8EN3c104HalfElmEEvNS_4cuda6detail10TensorInfoIT3_T5_EES8_S8_S8_NS6_IT4_S8_EES8_b.kd
    .uniform_work_group_size: 1
    .uses_dynamic_stack: false
    .vgpr_count:     106
    .vgpr_spill_count: 0
    .wavefront_size: 64
  - .agpr_count:     0
    .args:
      - .offset:         0
        .size:           416
        .value_kind:     by_value
      - .offset:         416
        .size:           8
        .value_kind:     by_value
      - .offset:         424
        .size:           8
        .value_kind:     by_value
      - .offset:         432
        .size:           8
        .value_kind:     by_value
      - .offset:         440
        .size:           416
        .value_kind:     by_value
      - .offset:         856
        .size:           8
        .value_kind:     by_value
      - .offset:         864
        .size:           1
        .value_kind:     by_value
      - .offset:         872
        .size:           4
        .value_kind:     hidden_block_count_x
      - .offset:         876
        .size:           4
        .value_kind:     hidden_block_count_y
      - .offset:         880
        .size:           4
        .value_kind:     hidden_block_count_z
      - .offset:         884
        .size:           2
        .value_kind:     hidden_group_size_x
      - .offset:         886
        .size:           2
        .value_kind:     hidden_group_size_y
      - .offset:         888
        .size:           2
        .value_kind:     hidden_group_size_z
      - .offset:         890
        .size:           2
        .value_kind:     hidden_remainder_x
      - .offset:         892
        .size:           2
        .value_kind:     hidden_remainder_y
      - .offset:         894
        .size:           2
        .value_kind:     hidden_remainder_z
      - .offset:         912
        .size:           8
        .value_kind:     hidden_global_offset_x
      - .offset:         920
        .size:           8
        .value_kind:     hidden_global_offset_y
      - .offset:         928
        .size:           8
        .value_kind:     hidden_global_offset_z
      - .offset:         936
        .size:           2
        .value_kind:     hidden_grid_dims
    .group_segment_fixed_size: 16896
    .kernarg_segment_align: 8
    .kernarg_segment_size: 1128
    .language:       OpenCL C
    .language_version:
      - 2
      - 0
    .max_flat_workgroup_size: 256
    .name:           _ZN2at6native18radixSortKVInPlaceILin1ELin1ELi256ELi8EN3c104HalfElmEEvNS_4cuda6detail10TensorInfoIT3_T5_EES8_S8_S8_NS6_IT4_S8_EES8_b
    .private_segment_fixed_size: 0
    .sgpr_count:     61
    .sgpr_spill_count: 0
    .symbol:         _ZN2at6native18radixSortKVInPlaceILin1ELin1ELi256ELi8EN3c104HalfElmEEvNS_4cuda6detail10TensorInfoIT3_T5_EES8_S8_S8_NS6_IT4_S8_EES8_b.kd
    .uniform_work_group_size: 1
    .uses_dynamic_stack: false
    .vgpr_count:     106
    .vgpr_spill_count: 0
    .wavefront_size: 64
  - .agpr_count:     0
    .args:
      - .offset:         0
        .size:           416
        .value_kind:     by_value
      - .offset:         416
        .size:           8
        .value_kind:     by_value
      - .offset:         424
        .size:           8
        .value_kind:     by_value
      - .offset:         432
        .size:           8
        .value_kind:     by_value
      - .offset:         440
        .size:           416
        .value_kind:     by_value
      - .offset:         856
        .size:           8
        .value_kind:     by_value
      - .offset:         864
        .size:           1
        .value_kind:     by_value
      - .offset:         872
        .size:           4
        .value_kind:     hidden_block_count_x
      - .offset:         876
        .size:           4
        .value_kind:     hidden_block_count_y
      - .offset:         880
        .size:           4
        .value_kind:     hidden_block_count_z
      - .offset:         884
        .size:           2
        .value_kind:     hidden_group_size_x
      - .offset:         886
        .size:           2
        .value_kind:     hidden_group_size_y
      - .offset:         888
        .size:           2
        .value_kind:     hidden_group_size_z
      - .offset:         890
        .size:           2
        .value_kind:     hidden_remainder_x
      - .offset:         892
        .size:           2
        .value_kind:     hidden_remainder_y
      - .offset:         894
        .size:           2
        .value_kind:     hidden_remainder_z
      - .offset:         912
        .size:           8
        .value_kind:     hidden_global_offset_x
      - .offset:         920
        .size:           8
        .value_kind:     hidden_global_offset_y
      - .offset:         928
        .size:           8
        .value_kind:     hidden_global_offset_z
      - .offset:         936
        .size:           2
        .value_kind:     hidden_grid_dims
    .group_segment_fixed_size: 8448
    .kernarg_segment_align: 8
    .kernarg_segment_size: 1128
    .language:       OpenCL C
    .language_version:
      - 2
      - 0
    .max_flat_workgroup_size: 128
    .name:           _ZN2at6native18radixSortKVInPlaceILin1ELin1ELi128ELi8EN3c104HalfElmEEvNS_4cuda6detail10TensorInfoIT3_T5_EES8_S8_S8_NS6_IT4_S8_EES8_b
    .private_segment_fixed_size: 0
    .sgpr_count:     59
    .sgpr_spill_count: 0
    .symbol:         _ZN2at6native18radixSortKVInPlaceILin1ELin1ELi128ELi8EN3c104HalfElmEEvNS_4cuda6detail10TensorInfoIT3_T5_EES8_S8_S8_NS6_IT4_S8_EES8_b.kd
    .uniform_work_group_size: 1
    .uses_dynamic_stack: false
    .vgpr_count:     106
    .vgpr_spill_count: 0
    .wavefront_size: 64
  - .agpr_count:     0
    .args:
      - .offset:         0
        .size:           416
        .value_kind:     by_value
      - .offset:         416
        .size:           8
        .value_kind:     by_value
      - .offset:         424
        .size:           8
        .value_kind:     by_value
      - .offset:         432
        .size:           8
        .value_kind:     by_value
      - .offset:         440
        .size:           416
        .value_kind:     by_value
      - .offset:         856
        .size:           8
        .value_kind:     by_value
      - .offset:         864
        .size:           1
        .value_kind:     by_value
      - .offset:         872
        .size:           4
        .value_kind:     hidden_block_count_x
      - .offset:         876
        .size:           4
        .value_kind:     hidden_block_count_y
      - .offset:         880
        .size:           4
        .value_kind:     hidden_block_count_z
      - .offset:         884
        .size:           2
        .value_kind:     hidden_group_size_x
      - .offset:         886
        .size:           2
        .value_kind:     hidden_group_size_y
      - .offset:         888
        .size:           2
        .value_kind:     hidden_group_size_z
      - .offset:         890
        .size:           2
        .value_kind:     hidden_remainder_x
      - .offset:         892
        .size:           2
        .value_kind:     hidden_remainder_y
      - .offset:         894
        .size:           2
        .value_kind:     hidden_remainder_z
      - .offset:         912
        .size:           8
        .value_kind:     hidden_global_offset_x
      - .offset:         920
        .size:           8
        .value_kind:     hidden_global_offset_y
      - .offset:         928
        .size:           8
        .value_kind:     hidden_global_offset_z
      - .offset:         936
        .size:           2
        .value_kind:     hidden_grid_dims
    .group_segment_fixed_size: 1056
    .kernarg_segment_align: 8
    .kernarg_segment_size: 1128
    .language:       OpenCL C
    .language_version:
      - 2
      - 0
    .max_flat_workgroup_size: 32
    .name:           _ZN2at6native18radixSortKVInPlaceILin1ELin1ELi32ELi4EN3c104HalfElmEEvNS_4cuda6detail10TensorInfoIT3_T5_EES8_S8_S8_NS6_IT4_S8_EES8_b
    .private_segment_fixed_size: 0
    .sgpr_count:     52
    .sgpr_spill_count: 0
    .symbol:         _ZN2at6native18radixSortKVInPlaceILin1ELin1ELi32ELi4EN3c104HalfElmEEvNS_4cuda6detail10TensorInfoIT3_T5_EES8_S8_S8_NS6_IT4_S8_EES8_b.kd
    .uniform_work_group_size: 1
    .uses_dynamic_stack: false
    .vgpr_count:     58
    .vgpr_spill_count: 0
    .wavefront_size: 64
  - .agpr_count:     0
    .args:
      - .offset:         0
        .size:           416
        .value_kind:     by_value
      - .offset:         416
        .size:           8
        .value_kind:     by_value
      - .offset:         424
        .size:           8
        .value_kind:     by_value
      - .offset:         432
        .size:           8
        .value_kind:     by_value
      - .offset:         440
        .size:           416
        .value_kind:     by_value
      - .offset:         856
        .size:           8
        .value_kind:     by_value
      - .offset:         864
        .size:           1
        .value_kind:     by_value
      - .offset:         872
        .size:           4
        .value_kind:     hidden_block_count_x
      - .offset:         876
        .size:           4
        .value_kind:     hidden_block_count_y
      - .offset:         880
        .size:           4
        .value_kind:     hidden_block_count_z
      - .offset:         884
        .size:           2
        .value_kind:     hidden_group_size_x
      - .offset:         886
        .size:           2
        .value_kind:     hidden_group_size_y
      - .offset:         888
        .size:           2
        .value_kind:     hidden_group_size_z
      - .offset:         890
        .size:           2
        .value_kind:     hidden_remainder_x
      - .offset:         892
        .size:           2
        .value_kind:     hidden_remainder_y
      - .offset:         894
        .size:           2
        .value_kind:     hidden_remainder_z
      - .offset:         912
        .size:           8
        .value_kind:     hidden_global_offset_x
      - .offset:         920
        .size:           8
        .value_kind:     hidden_global_offset_y
      - .offset:         928
        .size:           8
        .value_kind:     hidden_global_offset_z
      - .offset:         936
        .size:           2
        .value_kind:     hidden_grid_dims
    .group_segment_fixed_size: 528
    .kernarg_segment_align: 8
    .kernarg_segment_size: 1128
    .language:       OpenCL C
    .language_version:
      - 2
      - 0
    .max_flat_workgroup_size: 16
    .name:           _ZN2at6native18radixSortKVInPlaceILin1ELin1ELi16ELi2EN3c104HalfElmEEvNS_4cuda6detail10TensorInfoIT3_T5_EES8_S8_S8_NS6_IT4_S8_EES8_b
    .private_segment_fixed_size: 0
    .sgpr_count:     46
    .sgpr_spill_count: 0
    .symbol:         _ZN2at6native18radixSortKVInPlaceILin1ELin1ELi16ELi2EN3c104HalfElmEEvNS_4cuda6detail10TensorInfoIT3_T5_EES8_S8_S8_NS6_IT4_S8_EES8_b.kd
    .uniform_work_group_size: 1
    .uses_dynamic_stack: false
    .vgpr_count:     38
    .vgpr_spill_count: 0
    .wavefront_size: 64
  - .agpr_count:     0
    .args:
      - .offset:         0
        .size:           216
        .value_kind:     by_value
      - .offset:         216
        .size:           4
        .value_kind:     by_value
      - .offset:         220
        .size:           4
        .value_kind:     by_value
      - .offset:         224
        .size:           4
        .value_kind:     by_value
      - .offset:         232
        .size:           216
        .value_kind:     by_value
      - .offset:         448
        .size:           4
        .value_kind:     by_value
      - .offset:         452
        .size:           1
        .value_kind:     by_value
      - .offset:         456
        .size:           4
        .value_kind:     hidden_block_count_x
      - .offset:         460
        .size:           4
        .value_kind:     hidden_block_count_y
      - .offset:         464
        .size:           4
        .value_kind:     hidden_block_count_z
      - .offset:         468
        .size:           2
        .value_kind:     hidden_group_size_x
      - .offset:         470
        .size:           2
        .value_kind:     hidden_group_size_y
      - .offset:         472
        .size:           2
        .value_kind:     hidden_group_size_z
      - .offset:         474
        .size:           2
        .value_kind:     hidden_remainder_x
      - .offset:         476
        .size:           2
        .value_kind:     hidden_remainder_y
      - .offset:         478
        .size:           2
        .value_kind:     hidden_remainder_z
      - .offset:         496
        .size:           8
        .value_kind:     hidden_global_offset_x
      - .offset:         504
        .size:           8
        .value_kind:     hidden_global_offset_y
      - .offset:         512
        .size:           8
        .value_kind:     hidden_global_offset_z
      - .offset:         520
        .size:           2
        .value_kind:     hidden_grid_dims
    .group_segment_fixed_size: 33792
    .kernarg_segment_align: 8
    .kernarg_segment_size: 712
    .language:       OpenCL C
    .language_version:
      - 2
      - 0
    .max_flat_workgroup_size: 512
    .name:           _ZN2at6native18radixSortKVInPlaceILin2ELin1ELi512ELi8EN3c108BFloat16EljEEvNS_4cuda6detail10TensorInfoIT3_T5_EES8_S8_S8_NS6_IT4_S8_EES8_b
    .private_segment_fixed_size: 0
    .sgpr_count:     61
    .sgpr_spill_count: 0
    .symbol:         _ZN2at6native18radixSortKVInPlaceILin2ELin1ELi512ELi8EN3c108BFloat16EljEEvNS_4cuda6detail10TensorInfoIT3_T5_EES8_S8_S8_NS6_IT4_S8_EES8_b.kd
    .uniform_work_group_size: 1
    .uses_dynamic_stack: false
    .vgpr_count:     108
    .vgpr_spill_count: 0
    .wavefront_size: 64
  - .agpr_count:     0
    .args:
      - .offset:         0
        .size:           216
        .value_kind:     by_value
      - .offset:         216
        .size:           4
        .value_kind:     by_value
      - .offset:         220
        .size:           4
        .value_kind:     by_value
      - .offset:         224
        .size:           4
        .value_kind:     by_value
      - .offset:         232
        .size:           216
        .value_kind:     by_value
      - .offset:         448
        .size:           4
        .value_kind:     by_value
      - .offset:         452
        .size:           1
        .value_kind:     by_value
      - .offset:         456
        .size:           4
        .value_kind:     hidden_block_count_x
      - .offset:         460
        .size:           4
        .value_kind:     hidden_block_count_y
      - .offset:         464
        .size:           4
        .value_kind:     hidden_block_count_z
      - .offset:         468
        .size:           2
        .value_kind:     hidden_group_size_x
      - .offset:         470
        .size:           2
        .value_kind:     hidden_group_size_y
      - .offset:         472
        .size:           2
        .value_kind:     hidden_group_size_z
      - .offset:         474
        .size:           2
        .value_kind:     hidden_remainder_x
      - .offset:         476
        .size:           2
        .value_kind:     hidden_remainder_y
      - .offset:         478
        .size:           2
        .value_kind:     hidden_remainder_z
      - .offset:         496
        .size:           8
        .value_kind:     hidden_global_offset_x
      - .offset:         504
        .size:           8
        .value_kind:     hidden_global_offset_y
      - .offset:         512
        .size:           8
        .value_kind:     hidden_global_offset_z
      - .offset:         520
        .size:           2
        .value_kind:     hidden_grid_dims
    .group_segment_fixed_size: 16896
    .kernarg_segment_align: 8
    .kernarg_segment_size: 712
    .language:       OpenCL C
    .language_version:
      - 2
      - 0
    .max_flat_workgroup_size: 256
    .name:           _ZN2at6native18radixSortKVInPlaceILin2ELin1ELi256ELi8EN3c108BFloat16EljEEvNS_4cuda6detail10TensorInfoIT3_T5_EES8_S8_S8_NS6_IT4_S8_EES8_b
    .private_segment_fixed_size: 0
    .sgpr_count:     59
    .sgpr_spill_count: 0
    .symbol:         _ZN2at6native18radixSortKVInPlaceILin2ELin1ELi256ELi8EN3c108BFloat16EljEEvNS_4cuda6detail10TensorInfoIT3_T5_EES8_S8_S8_NS6_IT4_S8_EES8_b.kd
    .uniform_work_group_size: 1
    .uses_dynamic_stack: false
    .vgpr_count:     108
    .vgpr_spill_count: 0
    .wavefront_size: 64
  - .agpr_count:     0
    .args:
      - .offset:         0
        .size:           216
        .value_kind:     by_value
      - .offset:         216
        .size:           4
        .value_kind:     by_value
      - .offset:         220
        .size:           4
        .value_kind:     by_value
      - .offset:         224
        .size:           4
        .value_kind:     by_value
      - .offset:         232
        .size:           216
        .value_kind:     by_value
      - .offset:         448
        .size:           4
        .value_kind:     by_value
      - .offset:         452
        .size:           1
        .value_kind:     by_value
      - .offset:         456
        .size:           4
        .value_kind:     hidden_block_count_x
      - .offset:         460
        .size:           4
        .value_kind:     hidden_block_count_y
      - .offset:         464
        .size:           4
        .value_kind:     hidden_block_count_z
      - .offset:         468
        .size:           2
        .value_kind:     hidden_group_size_x
      - .offset:         470
        .size:           2
        .value_kind:     hidden_group_size_y
      - .offset:         472
        .size:           2
        .value_kind:     hidden_group_size_z
      - .offset:         474
        .size:           2
        .value_kind:     hidden_remainder_x
      - .offset:         476
        .size:           2
        .value_kind:     hidden_remainder_y
      - .offset:         478
        .size:           2
        .value_kind:     hidden_remainder_z
      - .offset:         496
        .size:           8
        .value_kind:     hidden_global_offset_x
      - .offset:         504
        .size:           8
        .value_kind:     hidden_global_offset_y
      - .offset:         512
        .size:           8
        .value_kind:     hidden_global_offset_z
      - .offset:         520
        .size:           2
        .value_kind:     hidden_grid_dims
    .group_segment_fixed_size: 8448
    .kernarg_segment_align: 8
    .kernarg_segment_size: 712
    .language:       OpenCL C
    .language_version:
      - 2
      - 0
    .max_flat_workgroup_size: 128
    .name:           _ZN2at6native18radixSortKVInPlaceILin2ELin1ELi128ELi8EN3c108BFloat16EljEEvNS_4cuda6detail10TensorInfoIT3_T5_EES8_S8_S8_NS6_IT4_S8_EES8_b
    .private_segment_fixed_size: 0
    .sgpr_count:     57
    .sgpr_spill_count: 0
    .symbol:         _ZN2at6native18radixSortKVInPlaceILin2ELin1ELi128ELi8EN3c108BFloat16EljEEvNS_4cuda6detail10TensorInfoIT3_T5_EES8_S8_S8_NS6_IT4_S8_EES8_b.kd
    .uniform_work_group_size: 1
    .uses_dynamic_stack: false
    .vgpr_count:     108
    .vgpr_spill_count: 0
    .wavefront_size: 64
  - .agpr_count:     0
    .args:
      - .offset:         0
        .size:           216
        .value_kind:     by_value
      - .offset:         216
        .size:           4
        .value_kind:     by_value
      - .offset:         220
        .size:           4
        .value_kind:     by_value
      - .offset:         224
        .size:           4
        .value_kind:     by_value
      - .offset:         232
        .size:           216
        .value_kind:     by_value
      - .offset:         448
        .size:           4
        .value_kind:     by_value
      - .offset:         452
        .size:           1
        .value_kind:     by_value
      - .offset:         456
        .size:           4
        .value_kind:     hidden_block_count_x
      - .offset:         460
        .size:           4
        .value_kind:     hidden_block_count_y
      - .offset:         464
        .size:           4
        .value_kind:     hidden_block_count_z
      - .offset:         468
        .size:           2
        .value_kind:     hidden_group_size_x
      - .offset:         470
        .size:           2
        .value_kind:     hidden_group_size_y
      - .offset:         472
        .size:           2
        .value_kind:     hidden_group_size_z
      - .offset:         474
        .size:           2
        .value_kind:     hidden_remainder_x
      - .offset:         476
        .size:           2
        .value_kind:     hidden_remainder_y
      - .offset:         478
        .size:           2
        .value_kind:     hidden_remainder_z
      - .offset:         496
        .size:           8
        .value_kind:     hidden_global_offset_x
      - .offset:         504
        .size:           8
        .value_kind:     hidden_global_offset_y
      - .offset:         512
        .size:           8
        .value_kind:     hidden_global_offset_z
      - .offset:         520
        .size:           2
        .value_kind:     hidden_grid_dims
    .group_segment_fixed_size: 1056
    .kernarg_segment_align: 8
    .kernarg_segment_size: 712
    .language:       OpenCL C
    .language_version:
      - 2
      - 0
    .max_flat_workgroup_size: 32
    .name:           _ZN2at6native18radixSortKVInPlaceILin2ELin1ELi32ELi4EN3c108BFloat16EljEEvNS_4cuda6detail10TensorInfoIT3_T5_EES8_S8_S8_NS6_IT4_S8_EES8_b
    .private_segment_fixed_size: 0
    .sgpr_count:     50
    .sgpr_spill_count: 0
    .symbol:         _ZN2at6native18radixSortKVInPlaceILin2ELin1ELi32ELi4EN3c108BFloat16EljEEvNS_4cuda6detail10TensorInfoIT3_T5_EES8_S8_S8_NS6_IT4_S8_EES8_b.kd
    .uniform_work_group_size: 1
    .uses_dynamic_stack: false
    .vgpr_count:     60
    .vgpr_spill_count: 0
    .wavefront_size: 64
  - .agpr_count:     0
    .args:
      - .offset:         0
        .size:           216
        .value_kind:     by_value
      - .offset:         216
        .size:           4
        .value_kind:     by_value
      - .offset:         220
        .size:           4
        .value_kind:     by_value
      - .offset:         224
        .size:           4
        .value_kind:     by_value
      - .offset:         232
        .size:           216
        .value_kind:     by_value
      - .offset:         448
        .size:           4
        .value_kind:     by_value
      - .offset:         452
        .size:           1
        .value_kind:     by_value
      - .offset:         456
        .size:           4
        .value_kind:     hidden_block_count_x
      - .offset:         460
        .size:           4
        .value_kind:     hidden_block_count_y
      - .offset:         464
        .size:           4
        .value_kind:     hidden_block_count_z
      - .offset:         468
        .size:           2
        .value_kind:     hidden_group_size_x
      - .offset:         470
        .size:           2
        .value_kind:     hidden_group_size_y
      - .offset:         472
        .size:           2
        .value_kind:     hidden_group_size_z
      - .offset:         474
        .size:           2
        .value_kind:     hidden_remainder_x
      - .offset:         476
        .size:           2
        .value_kind:     hidden_remainder_y
      - .offset:         478
        .size:           2
        .value_kind:     hidden_remainder_z
      - .offset:         496
        .size:           8
        .value_kind:     hidden_global_offset_x
      - .offset:         504
        .size:           8
        .value_kind:     hidden_global_offset_y
      - .offset:         512
        .size:           8
        .value_kind:     hidden_global_offset_z
      - .offset:         520
        .size:           2
        .value_kind:     hidden_grid_dims
    .group_segment_fixed_size: 528
    .kernarg_segment_align: 8
    .kernarg_segment_size: 712
    .language:       OpenCL C
    .language_version:
      - 2
      - 0
    .max_flat_workgroup_size: 16
    .name:           _ZN2at6native18radixSortKVInPlaceILin2ELin1ELi16ELi2EN3c108BFloat16EljEEvNS_4cuda6detail10TensorInfoIT3_T5_EES8_S8_S8_NS6_IT4_S8_EES8_b
    .private_segment_fixed_size: 0
    .sgpr_count:     44
    .sgpr_spill_count: 0
    .symbol:         _ZN2at6native18radixSortKVInPlaceILin2ELin1ELi16ELi2EN3c108BFloat16EljEEvNS_4cuda6detail10TensorInfoIT3_T5_EES8_S8_S8_NS6_IT4_S8_EES8_b.kd
    .uniform_work_group_size: 1
    .uses_dynamic_stack: false
    .vgpr_count:     40
    .vgpr_spill_count: 0
    .wavefront_size: 64
  - .agpr_count:     0
    .args:
      - .offset:         0
        .size:           216
        .value_kind:     by_value
      - .offset:         216
        .size:           4
        .value_kind:     by_value
      - .offset:         220
        .size:           4
        .value_kind:     by_value
      - .offset:         224
        .size:           4
        .value_kind:     by_value
      - .offset:         232
        .size:           216
        .value_kind:     by_value
      - .offset:         448
        .size:           4
        .value_kind:     by_value
      - .offset:         452
        .size:           1
        .value_kind:     by_value
      - .offset:         456
        .size:           4
        .value_kind:     hidden_block_count_x
      - .offset:         460
        .size:           4
        .value_kind:     hidden_block_count_y
      - .offset:         464
        .size:           4
        .value_kind:     hidden_block_count_z
      - .offset:         468
        .size:           2
        .value_kind:     hidden_group_size_x
      - .offset:         470
        .size:           2
        .value_kind:     hidden_group_size_y
      - .offset:         472
        .size:           2
        .value_kind:     hidden_group_size_z
      - .offset:         474
        .size:           2
        .value_kind:     hidden_remainder_x
      - .offset:         476
        .size:           2
        .value_kind:     hidden_remainder_y
      - .offset:         478
        .size:           2
        .value_kind:     hidden_remainder_z
      - .offset:         496
        .size:           8
        .value_kind:     hidden_global_offset_x
      - .offset:         504
        .size:           8
        .value_kind:     hidden_global_offset_y
      - .offset:         512
        .size:           8
        .value_kind:     hidden_global_offset_z
      - .offset:         520
        .size:           2
        .value_kind:     hidden_grid_dims
    .group_segment_fixed_size: 33792
    .kernarg_segment_align: 8
    .kernarg_segment_size: 712
    .language:       OpenCL C
    .language_version:
      - 2
      - 0
    .max_flat_workgroup_size: 512
    .name:           _ZN2at6native18radixSortKVInPlaceILi2ELin1ELi512ELi8EN3c108BFloat16EljEEvNS_4cuda6detail10TensorInfoIT3_T5_EES8_S8_S8_NS6_IT4_S8_EES8_b
    .private_segment_fixed_size: 0
    .sgpr_count:     61
    .sgpr_spill_count: 0
    .symbol:         _ZN2at6native18radixSortKVInPlaceILi2ELin1ELi512ELi8EN3c108BFloat16EljEEvNS_4cuda6detail10TensorInfoIT3_T5_EES8_S8_S8_NS6_IT4_S8_EES8_b.kd
    .uniform_work_group_size: 1
    .uses_dynamic_stack: false
    .vgpr_count:     108
    .vgpr_spill_count: 0
    .wavefront_size: 64
  - .agpr_count:     0
    .args:
      - .offset:         0
        .size:           216
        .value_kind:     by_value
      - .offset:         216
        .size:           4
        .value_kind:     by_value
      - .offset:         220
        .size:           4
        .value_kind:     by_value
      - .offset:         224
        .size:           4
        .value_kind:     by_value
      - .offset:         232
        .size:           216
        .value_kind:     by_value
      - .offset:         448
        .size:           4
        .value_kind:     by_value
      - .offset:         452
        .size:           1
        .value_kind:     by_value
      - .offset:         456
        .size:           4
        .value_kind:     hidden_block_count_x
      - .offset:         460
        .size:           4
        .value_kind:     hidden_block_count_y
      - .offset:         464
        .size:           4
        .value_kind:     hidden_block_count_z
      - .offset:         468
        .size:           2
        .value_kind:     hidden_group_size_x
      - .offset:         470
        .size:           2
        .value_kind:     hidden_group_size_y
      - .offset:         472
        .size:           2
        .value_kind:     hidden_group_size_z
      - .offset:         474
        .size:           2
        .value_kind:     hidden_remainder_x
      - .offset:         476
        .size:           2
        .value_kind:     hidden_remainder_y
      - .offset:         478
        .size:           2
        .value_kind:     hidden_remainder_z
      - .offset:         496
        .size:           8
        .value_kind:     hidden_global_offset_x
      - .offset:         504
        .size:           8
        .value_kind:     hidden_global_offset_y
      - .offset:         512
        .size:           8
        .value_kind:     hidden_global_offset_z
      - .offset:         520
        .size:           2
        .value_kind:     hidden_grid_dims
    .group_segment_fixed_size: 16896
    .kernarg_segment_align: 8
    .kernarg_segment_size: 712
    .language:       OpenCL C
    .language_version:
      - 2
      - 0
    .max_flat_workgroup_size: 256
    .name:           _ZN2at6native18radixSortKVInPlaceILi2ELin1ELi256ELi8EN3c108BFloat16EljEEvNS_4cuda6detail10TensorInfoIT3_T5_EES8_S8_S8_NS6_IT4_S8_EES8_b
    .private_segment_fixed_size: 0
    .sgpr_count:     59
    .sgpr_spill_count: 0
    .symbol:         _ZN2at6native18radixSortKVInPlaceILi2ELin1ELi256ELi8EN3c108BFloat16EljEEvNS_4cuda6detail10TensorInfoIT3_T5_EES8_S8_S8_NS6_IT4_S8_EES8_b.kd
    .uniform_work_group_size: 1
    .uses_dynamic_stack: false
    .vgpr_count:     108
    .vgpr_spill_count: 0
    .wavefront_size: 64
  - .agpr_count:     0
    .args:
      - .offset:         0
        .size:           216
        .value_kind:     by_value
      - .offset:         216
        .size:           4
        .value_kind:     by_value
      - .offset:         220
        .size:           4
        .value_kind:     by_value
      - .offset:         224
        .size:           4
        .value_kind:     by_value
      - .offset:         232
        .size:           216
        .value_kind:     by_value
      - .offset:         448
        .size:           4
        .value_kind:     by_value
      - .offset:         452
        .size:           1
        .value_kind:     by_value
      - .offset:         456
        .size:           4
        .value_kind:     hidden_block_count_x
      - .offset:         460
        .size:           4
        .value_kind:     hidden_block_count_y
      - .offset:         464
        .size:           4
        .value_kind:     hidden_block_count_z
      - .offset:         468
        .size:           2
        .value_kind:     hidden_group_size_x
      - .offset:         470
        .size:           2
        .value_kind:     hidden_group_size_y
      - .offset:         472
        .size:           2
        .value_kind:     hidden_group_size_z
      - .offset:         474
        .size:           2
        .value_kind:     hidden_remainder_x
      - .offset:         476
        .size:           2
        .value_kind:     hidden_remainder_y
      - .offset:         478
        .size:           2
        .value_kind:     hidden_remainder_z
      - .offset:         496
        .size:           8
        .value_kind:     hidden_global_offset_x
      - .offset:         504
        .size:           8
        .value_kind:     hidden_global_offset_y
      - .offset:         512
        .size:           8
        .value_kind:     hidden_global_offset_z
      - .offset:         520
        .size:           2
        .value_kind:     hidden_grid_dims
    .group_segment_fixed_size: 8448
    .kernarg_segment_align: 8
    .kernarg_segment_size: 712
    .language:       OpenCL C
    .language_version:
      - 2
      - 0
    .max_flat_workgroup_size: 128
    .name:           _ZN2at6native18radixSortKVInPlaceILi2ELin1ELi128ELi8EN3c108BFloat16EljEEvNS_4cuda6detail10TensorInfoIT3_T5_EES8_S8_S8_NS6_IT4_S8_EES8_b
    .private_segment_fixed_size: 0
    .sgpr_count:     57
    .sgpr_spill_count: 0
    .symbol:         _ZN2at6native18radixSortKVInPlaceILi2ELin1ELi128ELi8EN3c108BFloat16EljEEvNS_4cuda6detail10TensorInfoIT3_T5_EES8_S8_S8_NS6_IT4_S8_EES8_b.kd
    .uniform_work_group_size: 1
    .uses_dynamic_stack: false
    .vgpr_count:     108
    .vgpr_spill_count: 0
    .wavefront_size: 64
  - .agpr_count:     0
    .args:
      - .offset:         0
        .size:           216
        .value_kind:     by_value
      - .offset:         216
        .size:           4
        .value_kind:     by_value
      - .offset:         220
        .size:           4
        .value_kind:     by_value
      - .offset:         224
        .size:           4
        .value_kind:     by_value
      - .offset:         232
        .size:           216
        .value_kind:     by_value
      - .offset:         448
        .size:           4
        .value_kind:     by_value
      - .offset:         452
        .size:           1
        .value_kind:     by_value
      - .offset:         456
        .size:           4
        .value_kind:     hidden_block_count_x
      - .offset:         460
        .size:           4
        .value_kind:     hidden_block_count_y
      - .offset:         464
        .size:           4
        .value_kind:     hidden_block_count_z
      - .offset:         468
        .size:           2
        .value_kind:     hidden_group_size_x
      - .offset:         470
        .size:           2
        .value_kind:     hidden_group_size_y
      - .offset:         472
        .size:           2
        .value_kind:     hidden_group_size_z
      - .offset:         474
        .size:           2
        .value_kind:     hidden_remainder_x
      - .offset:         476
        .size:           2
        .value_kind:     hidden_remainder_y
      - .offset:         478
        .size:           2
        .value_kind:     hidden_remainder_z
      - .offset:         496
        .size:           8
        .value_kind:     hidden_global_offset_x
      - .offset:         504
        .size:           8
        .value_kind:     hidden_global_offset_y
      - .offset:         512
        .size:           8
        .value_kind:     hidden_global_offset_z
      - .offset:         520
        .size:           2
        .value_kind:     hidden_grid_dims
    .group_segment_fixed_size: 1056
    .kernarg_segment_align: 8
    .kernarg_segment_size: 712
    .language:       OpenCL C
    .language_version:
      - 2
      - 0
    .max_flat_workgroup_size: 32
    .name:           _ZN2at6native18radixSortKVInPlaceILi2ELin1ELi32ELi4EN3c108BFloat16EljEEvNS_4cuda6detail10TensorInfoIT3_T5_EES8_S8_S8_NS6_IT4_S8_EES8_b
    .private_segment_fixed_size: 0
    .sgpr_count:     50
    .sgpr_spill_count: 0
    .symbol:         _ZN2at6native18radixSortKVInPlaceILi2ELin1ELi32ELi4EN3c108BFloat16EljEEvNS_4cuda6detail10TensorInfoIT3_T5_EES8_S8_S8_NS6_IT4_S8_EES8_b.kd
    .uniform_work_group_size: 1
    .uses_dynamic_stack: false
    .vgpr_count:     60
    .vgpr_spill_count: 0
    .wavefront_size: 64
  - .agpr_count:     0
    .args:
      - .offset:         0
        .size:           216
        .value_kind:     by_value
      - .offset:         216
        .size:           4
        .value_kind:     by_value
      - .offset:         220
        .size:           4
        .value_kind:     by_value
      - .offset:         224
        .size:           4
        .value_kind:     by_value
      - .offset:         232
        .size:           216
        .value_kind:     by_value
      - .offset:         448
        .size:           4
        .value_kind:     by_value
      - .offset:         452
        .size:           1
        .value_kind:     by_value
      - .offset:         456
        .size:           4
        .value_kind:     hidden_block_count_x
      - .offset:         460
        .size:           4
        .value_kind:     hidden_block_count_y
      - .offset:         464
        .size:           4
        .value_kind:     hidden_block_count_z
      - .offset:         468
        .size:           2
        .value_kind:     hidden_group_size_x
      - .offset:         470
        .size:           2
        .value_kind:     hidden_group_size_y
      - .offset:         472
        .size:           2
        .value_kind:     hidden_group_size_z
      - .offset:         474
        .size:           2
        .value_kind:     hidden_remainder_x
      - .offset:         476
        .size:           2
        .value_kind:     hidden_remainder_y
      - .offset:         478
        .size:           2
        .value_kind:     hidden_remainder_z
      - .offset:         496
        .size:           8
        .value_kind:     hidden_global_offset_x
      - .offset:         504
        .size:           8
        .value_kind:     hidden_global_offset_y
      - .offset:         512
        .size:           8
        .value_kind:     hidden_global_offset_z
      - .offset:         520
        .size:           2
        .value_kind:     hidden_grid_dims
    .group_segment_fixed_size: 528
    .kernarg_segment_align: 8
    .kernarg_segment_size: 712
    .language:       OpenCL C
    .language_version:
      - 2
      - 0
    .max_flat_workgroup_size: 16
    .name:           _ZN2at6native18radixSortKVInPlaceILi2ELin1ELi16ELi2EN3c108BFloat16EljEEvNS_4cuda6detail10TensorInfoIT3_T5_EES8_S8_S8_NS6_IT4_S8_EES8_b
    .private_segment_fixed_size: 0
    .sgpr_count:     44
    .sgpr_spill_count: 0
    .symbol:         _ZN2at6native18radixSortKVInPlaceILi2ELin1ELi16ELi2EN3c108BFloat16EljEEvNS_4cuda6detail10TensorInfoIT3_T5_EES8_S8_S8_NS6_IT4_S8_EES8_b.kd
    .uniform_work_group_size: 1
    .uses_dynamic_stack: false
    .vgpr_count:     40
    .vgpr_spill_count: 0
    .wavefront_size: 64
  - .agpr_count:     0
    .args:
      - .offset:         0
        .size:           216
        .value_kind:     by_value
      - .offset:         216
        .size:           4
        .value_kind:     by_value
      - .offset:         220
        .size:           4
        .value_kind:     by_value
      - .offset:         224
        .size:           4
        .value_kind:     by_value
      - .offset:         232
        .size:           216
        .value_kind:     by_value
      - .offset:         448
        .size:           4
        .value_kind:     by_value
      - .offset:         452
        .size:           1
        .value_kind:     by_value
      - .offset:         456
        .size:           4
        .value_kind:     hidden_block_count_x
      - .offset:         460
        .size:           4
        .value_kind:     hidden_block_count_y
      - .offset:         464
        .size:           4
        .value_kind:     hidden_block_count_z
      - .offset:         468
        .size:           2
        .value_kind:     hidden_group_size_x
      - .offset:         470
        .size:           2
        .value_kind:     hidden_group_size_y
      - .offset:         472
        .size:           2
        .value_kind:     hidden_group_size_z
      - .offset:         474
        .size:           2
        .value_kind:     hidden_remainder_x
      - .offset:         476
        .size:           2
        .value_kind:     hidden_remainder_y
      - .offset:         478
        .size:           2
        .value_kind:     hidden_remainder_z
      - .offset:         496
        .size:           8
        .value_kind:     hidden_global_offset_x
      - .offset:         504
        .size:           8
        .value_kind:     hidden_global_offset_y
      - .offset:         512
        .size:           8
        .value_kind:     hidden_global_offset_z
      - .offset:         520
        .size:           2
        .value_kind:     hidden_grid_dims
    .group_segment_fixed_size: 33792
    .kernarg_segment_align: 8
    .kernarg_segment_size: 712
    .language:       OpenCL C
    .language_version:
      - 2
      - 0
    .max_flat_workgroup_size: 512
    .name:           _ZN2at6native18radixSortKVInPlaceILin1ELin1ELi512ELi8EN3c108BFloat16EljEEvNS_4cuda6detail10TensorInfoIT3_T5_EES8_S8_S8_NS6_IT4_S8_EES8_b
    .private_segment_fixed_size: 0
    .sgpr_count:     61
    .sgpr_spill_count: 0
    .symbol:         _ZN2at6native18radixSortKVInPlaceILin1ELin1ELi512ELi8EN3c108BFloat16EljEEvNS_4cuda6detail10TensorInfoIT3_T5_EES8_S8_S8_NS6_IT4_S8_EES8_b.kd
    .uniform_work_group_size: 1
    .uses_dynamic_stack: false
    .vgpr_count:     108
    .vgpr_spill_count: 0
    .wavefront_size: 64
  - .agpr_count:     0
    .args:
      - .offset:         0
        .size:           216
        .value_kind:     by_value
      - .offset:         216
        .size:           4
        .value_kind:     by_value
      - .offset:         220
        .size:           4
        .value_kind:     by_value
      - .offset:         224
        .size:           4
        .value_kind:     by_value
      - .offset:         232
        .size:           216
        .value_kind:     by_value
      - .offset:         448
        .size:           4
        .value_kind:     by_value
      - .offset:         452
        .size:           1
        .value_kind:     by_value
      - .offset:         456
        .size:           4
        .value_kind:     hidden_block_count_x
      - .offset:         460
        .size:           4
        .value_kind:     hidden_block_count_y
      - .offset:         464
        .size:           4
        .value_kind:     hidden_block_count_z
      - .offset:         468
        .size:           2
        .value_kind:     hidden_group_size_x
      - .offset:         470
        .size:           2
        .value_kind:     hidden_group_size_y
      - .offset:         472
        .size:           2
        .value_kind:     hidden_group_size_z
      - .offset:         474
        .size:           2
        .value_kind:     hidden_remainder_x
      - .offset:         476
        .size:           2
        .value_kind:     hidden_remainder_y
      - .offset:         478
        .size:           2
        .value_kind:     hidden_remainder_z
      - .offset:         496
        .size:           8
        .value_kind:     hidden_global_offset_x
      - .offset:         504
        .size:           8
        .value_kind:     hidden_global_offset_y
      - .offset:         512
        .size:           8
        .value_kind:     hidden_global_offset_z
      - .offset:         520
        .size:           2
        .value_kind:     hidden_grid_dims
    .group_segment_fixed_size: 16896
    .kernarg_segment_align: 8
    .kernarg_segment_size: 712
    .language:       OpenCL C
    .language_version:
      - 2
      - 0
    .max_flat_workgroup_size: 256
    .name:           _ZN2at6native18radixSortKVInPlaceILin1ELin1ELi256ELi8EN3c108BFloat16EljEEvNS_4cuda6detail10TensorInfoIT3_T5_EES8_S8_S8_NS6_IT4_S8_EES8_b
    .private_segment_fixed_size: 0
    .sgpr_count:     59
    .sgpr_spill_count: 0
    .symbol:         _ZN2at6native18radixSortKVInPlaceILin1ELin1ELi256ELi8EN3c108BFloat16EljEEvNS_4cuda6detail10TensorInfoIT3_T5_EES8_S8_S8_NS6_IT4_S8_EES8_b.kd
    .uniform_work_group_size: 1
    .uses_dynamic_stack: false
    .vgpr_count:     108
    .vgpr_spill_count: 0
    .wavefront_size: 64
  - .agpr_count:     0
    .args:
      - .offset:         0
        .size:           216
        .value_kind:     by_value
      - .offset:         216
        .size:           4
        .value_kind:     by_value
      - .offset:         220
        .size:           4
        .value_kind:     by_value
      - .offset:         224
        .size:           4
        .value_kind:     by_value
      - .offset:         232
        .size:           216
        .value_kind:     by_value
      - .offset:         448
        .size:           4
        .value_kind:     by_value
      - .offset:         452
        .size:           1
        .value_kind:     by_value
      - .offset:         456
        .size:           4
        .value_kind:     hidden_block_count_x
      - .offset:         460
        .size:           4
        .value_kind:     hidden_block_count_y
      - .offset:         464
        .size:           4
        .value_kind:     hidden_block_count_z
      - .offset:         468
        .size:           2
        .value_kind:     hidden_group_size_x
      - .offset:         470
        .size:           2
        .value_kind:     hidden_group_size_y
      - .offset:         472
        .size:           2
        .value_kind:     hidden_group_size_z
      - .offset:         474
        .size:           2
        .value_kind:     hidden_remainder_x
      - .offset:         476
        .size:           2
        .value_kind:     hidden_remainder_y
      - .offset:         478
        .size:           2
        .value_kind:     hidden_remainder_z
      - .offset:         496
        .size:           8
        .value_kind:     hidden_global_offset_x
      - .offset:         504
        .size:           8
        .value_kind:     hidden_global_offset_y
      - .offset:         512
        .size:           8
        .value_kind:     hidden_global_offset_z
      - .offset:         520
        .size:           2
        .value_kind:     hidden_grid_dims
    .group_segment_fixed_size: 8448
    .kernarg_segment_align: 8
    .kernarg_segment_size: 712
    .language:       OpenCL C
    .language_version:
      - 2
      - 0
    .max_flat_workgroup_size: 128
    .name:           _ZN2at6native18radixSortKVInPlaceILin1ELin1ELi128ELi8EN3c108BFloat16EljEEvNS_4cuda6detail10TensorInfoIT3_T5_EES8_S8_S8_NS6_IT4_S8_EES8_b
    .private_segment_fixed_size: 0
    .sgpr_count:     57
    .sgpr_spill_count: 0
    .symbol:         _ZN2at6native18radixSortKVInPlaceILin1ELin1ELi128ELi8EN3c108BFloat16EljEEvNS_4cuda6detail10TensorInfoIT3_T5_EES8_S8_S8_NS6_IT4_S8_EES8_b.kd
    .uniform_work_group_size: 1
    .uses_dynamic_stack: false
    .vgpr_count:     108
    .vgpr_spill_count: 0
    .wavefront_size: 64
  - .agpr_count:     0
    .args:
      - .offset:         0
        .size:           216
        .value_kind:     by_value
      - .offset:         216
        .size:           4
        .value_kind:     by_value
      - .offset:         220
        .size:           4
        .value_kind:     by_value
      - .offset:         224
        .size:           4
        .value_kind:     by_value
      - .offset:         232
        .size:           216
        .value_kind:     by_value
      - .offset:         448
        .size:           4
        .value_kind:     by_value
      - .offset:         452
        .size:           1
        .value_kind:     by_value
      - .offset:         456
        .size:           4
        .value_kind:     hidden_block_count_x
      - .offset:         460
        .size:           4
        .value_kind:     hidden_block_count_y
      - .offset:         464
        .size:           4
        .value_kind:     hidden_block_count_z
      - .offset:         468
        .size:           2
        .value_kind:     hidden_group_size_x
      - .offset:         470
        .size:           2
        .value_kind:     hidden_group_size_y
      - .offset:         472
        .size:           2
        .value_kind:     hidden_group_size_z
      - .offset:         474
        .size:           2
        .value_kind:     hidden_remainder_x
      - .offset:         476
        .size:           2
        .value_kind:     hidden_remainder_y
      - .offset:         478
        .size:           2
        .value_kind:     hidden_remainder_z
      - .offset:         496
        .size:           8
        .value_kind:     hidden_global_offset_x
      - .offset:         504
        .size:           8
        .value_kind:     hidden_global_offset_y
      - .offset:         512
        .size:           8
        .value_kind:     hidden_global_offset_z
      - .offset:         520
        .size:           2
        .value_kind:     hidden_grid_dims
    .group_segment_fixed_size: 1056
    .kernarg_segment_align: 8
    .kernarg_segment_size: 712
    .language:       OpenCL C
    .language_version:
      - 2
      - 0
    .max_flat_workgroup_size: 32
    .name:           _ZN2at6native18radixSortKVInPlaceILin1ELin1ELi32ELi4EN3c108BFloat16EljEEvNS_4cuda6detail10TensorInfoIT3_T5_EES8_S8_S8_NS6_IT4_S8_EES8_b
    .private_segment_fixed_size: 0
    .sgpr_count:     50
    .sgpr_spill_count: 0
    .symbol:         _ZN2at6native18radixSortKVInPlaceILin1ELin1ELi32ELi4EN3c108BFloat16EljEEvNS_4cuda6detail10TensorInfoIT3_T5_EES8_S8_S8_NS6_IT4_S8_EES8_b.kd
    .uniform_work_group_size: 1
    .uses_dynamic_stack: false
    .vgpr_count:     60
    .vgpr_spill_count: 0
    .wavefront_size: 64
  - .agpr_count:     0
    .args:
      - .offset:         0
        .size:           216
        .value_kind:     by_value
      - .offset:         216
        .size:           4
        .value_kind:     by_value
      - .offset:         220
        .size:           4
        .value_kind:     by_value
      - .offset:         224
        .size:           4
        .value_kind:     by_value
      - .offset:         232
        .size:           216
        .value_kind:     by_value
      - .offset:         448
        .size:           4
        .value_kind:     by_value
      - .offset:         452
        .size:           1
        .value_kind:     by_value
      - .offset:         456
        .size:           4
        .value_kind:     hidden_block_count_x
      - .offset:         460
        .size:           4
        .value_kind:     hidden_block_count_y
      - .offset:         464
        .size:           4
        .value_kind:     hidden_block_count_z
      - .offset:         468
        .size:           2
        .value_kind:     hidden_group_size_x
      - .offset:         470
        .size:           2
        .value_kind:     hidden_group_size_y
      - .offset:         472
        .size:           2
        .value_kind:     hidden_group_size_z
      - .offset:         474
        .size:           2
        .value_kind:     hidden_remainder_x
      - .offset:         476
        .size:           2
        .value_kind:     hidden_remainder_y
      - .offset:         478
        .size:           2
        .value_kind:     hidden_remainder_z
      - .offset:         496
        .size:           8
        .value_kind:     hidden_global_offset_x
      - .offset:         504
        .size:           8
        .value_kind:     hidden_global_offset_y
      - .offset:         512
        .size:           8
        .value_kind:     hidden_global_offset_z
      - .offset:         520
        .size:           2
        .value_kind:     hidden_grid_dims
    .group_segment_fixed_size: 528
    .kernarg_segment_align: 8
    .kernarg_segment_size: 712
    .language:       OpenCL C
    .language_version:
      - 2
      - 0
    .max_flat_workgroup_size: 16
    .name:           _ZN2at6native18radixSortKVInPlaceILin1ELin1ELi16ELi2EN3c108BFloat16EljEEvNS_4cuda6detail10TensorInfoIT3_T5_EES8_S8_S8_NS6_IT4_S8_EES8_b
    .private_segment_fixed_size: 0
    .sgpr_count:     44
    .sgpr_spill_count: 0
    .symbol:         _ZN2at6native18radixSortKVInPlaceILin1ELin1ELi16ELi2EN3c108BFloat16EljEEvNS_4cuda6detail10TensorInfoIT3_T5_EES8_S8_S8_NS6_IT4_S8_EES8_b.kd
    .uniform_work_group_size: 1
    .uses_dynamic_stack: false
    .vgpr_count:     40
    .vgpr_spill_count: 0
    .wavefront_size: 64
  - .agpr_count:     0
    .args:
      - .offset:         0
        .size:           416
        .value_kind:     by_value
      - .offset:         416
        .size:           8
        .value_kind:     by_value
      - .offset:         424
        .size:           8
        .value_kind:     by_value
      - .offset:         432
        .size:           8
        .value_kind:     by_value
      - .offset:         440
        .size:           416
        .value_kind:     by_value
      - .offset:         856
        .size:           8
        .value_kind:     by_value
      - .offset:         864
        .size:           1
        .value_kind:     by_value
      - .offset:         872
        .size:           4
        .value_kind:     hidden_block_count_x
      - .offset:         876
        .size:           4
        .value_kind:     hidden_block_count_y
      - .offset:         880
        .size:           4
        .value_kind:     hidden_block_count_z
      - .offset:         884
        .size:           2
        .value_kind:     hidden_group_size_x
      - .offset:         886
        .size:           2
        .value_kind:     hidden_group_size_y
      - .offset:         888
        .size:           2
        .value_kind:     hidden_group_size_z
      - .offset:         890
        .size:           2
        .value_kind:     hidden_remainder_x
      - .offset:         892
        .size:           2
        .value_kind:     hidden_remainder_y
      - .offset:         894
        .size:           2
        .value_kind:     hidden_remainder_z
      - .offset:         912
        .size:           8
        .value_kind:     hidden_global_offset_x
      - .offset:         920
        .size:           8
        .value_kind:     hidden_global_offset_y
      - .offset:         928
        .size:           8
        .value_kind:     hidden_global_offset_z
      - .offset:         936
        .size:           2
        .value_kind:     hidden_grid_dims
    .group_segment_fixed_size: 33792
    .kernarg_segment_align: 8
    .kernarg_segment_size: 1128
    .language:       OpenCL C
    .language_version:
      - 2
      - 0
    .max_flat_workgroup_size: 512
    .name:           _ZN2at6native18radixSortKVInPlaceILin1ELin1ELi512ELi8EN3c108BFloat16ElmEEvNS_4cuda6detail10TensorInfoIT3_T5_EES8_S8_S8_NS6_IT4_S8_EES8_b
    .private_segment_fixed_size: 0
    .sgpr_count:     63
    .sgpr_spill_count: 0
    .symbol:         _ZN2at6native18radixSortKVInPlaceILin1ELin1ELi512ELi8EN3c108BFloat16ElmEEvNS_4cuda6detail10TensorInfoIT3_T5_EES8_S8_S8_NS6_IT4_S8_EES8_b.kd
    .uniform_work_group_size: 1
    .uses_dynamic_stack: false
    .vgpr_count:     106
    .vgpr_spill_count: 0
    .wavefront_size: 64
  - .agpr_count:     0
    .args:
      - .offset:         0
        .size:           416
        .value_kind:     by_value
      - .offset:         416
        .size:           8
        .value_kind:     by_value
      - .offset:         424
        .size:           8
        .value_kind:     by_value
      - .offset:         432
        .size:           8
        .value_kind:     by_value
      - .offset:         440
        .size:           416
        .value_kind:     by_value
      - .offset:         856
        .size:           8
        .value_kind:     by_value
      - .offset:         864
        .size:           1
        .value_kind:     by_value
      - .offset:         872
        .size:           4
        .value_kind:     hidden_block_count_x
      - .offset:         876
        .size:           4
        .value_kind:     hidden_block_count_y
      - .offset:         880
        .size:           4
        .value_kind:     hidden_block_count_z
      - .offset:         884
        .size:           2
        .value_kind:     hidden_group_size_x
      - .offset:         886
        .size:           2
        .value_kind:     hidden_group_size_y
      - .offset:         888
        .size:           2
        .value_kind:     hidden_group_size_z
      - .offset:         890
        .size:           2
        .value_kind:     hidden_remainder_x
      - .offset:         892
        .size:           2
        .value_kind:     hidden_remainder_y
      - .offset:         894
        .size:           2
        .value_kind:     hidden_remainder_z
      - .offset:         912
        .size:           8
        .value_kind:     hidden_global_offset_x
      - .offset:         920
        .size:           8
        .value_kind:     hidden_global_offset_y
      - .offset:         928
        .size:           8
        .value_kind:     hidden_global_offset_z
      - .offset:         936
        .size:           2
        .value_kind:     hidden_grid_dims
    .group_segment_fixed_size: 16896
    .kernarg_segment_align: 8
    .kernarg_segment_size: 1128
    .language:       OpenCL C
    .language_version:
      - 2
      - 0
    .max_flat_workgroup_size: 256
    .name:           _ZN2at6native18radixSortKVInPlaceILin1ELin1ELi256ELi8EN3c108BFloat16ElmEEvNS_4cuda6detail10TensorInfoIT3_T5_EES8_S8_S8_NS6_IT4_S8_EES8_b
    .private_segment_fixed_size: 0
    .sgpr_count:     61
    .sgpr_spill_count: 0
    .symbol:         _ZN2at6native18radixSortKVInPlaceILin1ELin1ELi256ELi8EN3c108BFloat16ElmEEvNS_4cuda6detail10TensorInfoIT3_T5_EES8_S8_S8_NS6_IT4_S8_EES8_b.kd
    .uniform_work_group_size: 1
    .uses_dynamic_stack: false
    .vgpr_count:     106
    .vgpr_spill_count: 0
    .wavefront_size: 64
  - .agpr_count:     0
    .args:
      - .offset:         0
        .size:           416
        .value_kind:     by_value
      - .offset:         416
        .size:           8
        .value_kind:     by_value
      - .offset:         424
        .size:           8
        .value_kind:     by_value
      - .offset:         432
        .size:           8
        .value_kind:     by_value
      - .offset:         440
        .size:           416
        .value_kind:     by_value
      - .offset:         856
        .size:           8
        .value_kind:     by_value
      - .offset:         864
        .size:           1
        .value_kind:     by_value
      - .offset:         872
        .size:           4
        .value_kind:     hidden_block_count_x
      - .offset:         876
        .size:           4
        .value_kind:     hidden_block_count_y
      - .offset:         880
        .size:           4
        .value_kind:     hidden_block_count_z
      - .offset:         884
        .size:           2
        .value_kind:     hidden_group_size_x
      - .offset:         886
        .size:           2
        .value_kind:     hidden_group_size_y
      - .offset:         888
        .size:           2
        .value_kind:     hidden_group_size_z
      - .offset:         890
        .size:           2
        .value_kind:     hidden_remainder_x
      - .offset:         892
        .size:           2
        .value_kind:     hidden_remainder_y
      - .offset:         894
        .size:           2
        .value_kind:     hidden_remainder_z
      - .offset:         912
        .size:           8
        .value_kind:     hidden_global_offset_x
      - .offset:         920
        .size:           8
        .value_kind:     hidden_global_offset_y
      - .offset:         928
        .size:           8
        .value_kind:     hidden_global_offset_z
      - .offset:         936
        .size:           2
        .value_kind:     hidden_grid_dims
    .group_segment_fixed_size: 8448
    .kernarg_segment_align: 8
    .kernarg_segment_size: 1128
    .language:       OpenCL C
    .language_version:
      - 2
      - 0
    .max_flat_workgroup_size: 128
    .name:           _ZN2at6native18radixSortKVInPlaceILin1ELin1ELi128ELi8EN3c108BFloat16ElmEEvNS_4cuda6detail10TensorInfoIT3_T5_EES8_S8_S8_NS6_IT4_S8_EES8_b
    .private_segment_fixed_size: 0
    .sgpr_count:     59
    .sgpr_spill_count: 0
    .symbol:         _ZN2at6native18radixSortKVInPlaceILin1ELin1ELi128ELi8EN3c108BFloat16ElmEEvNS_4cuda6detail10TensorInfoIT3_T5_EES8_S8_S8_NS6_IT4_S8_EES8_b.kd
    .uniform_work_group_size: 1
    .uses_dynamic_stack: false
    .vgpr_count:     106
    .vgpr_spill_count: 0
    .wavefront_size: 64
  - .agpr_count:     0
    .args:
      - .offset:         0
        .size:           416
        .value_kind:     by_value
      - .offset:         416
        .size:           8
        .value_kind:     by_value
      - .offset:         424
        .size:           8
        .value_kind:     by_value
      - .offset:         432
        .size:           8
        .value_kind:     by_value
      - .offset:         440
        .size:           416
        .value_kind:     by_value
      - .offset:         856
        .size:           8
        .value_kind:     by_value
      - .offset:         864
        .size:           1
        .value_kind:     by_value
      - .offset:         872
        .size:           4
        .value_kind:     hidden_block_count_x
      - .offset:         876
        .size:           4
        .value_kind:     hidden_block_count_y
      - .offset:         880
        .size:           4
        .value_kind:     hidden_block_count_z
      - .offset:         884
        .size:           2
        .value_kind:     hidden_group_size_x
      - .offset:         886
        .size:           2
        .value_kind:     hidden_group_size_y
      - .offset:         888
        .size:           2
        .value_kind:     hidden_group_size_z
      - .offset:         890
        .size:           2
        .value_kind:     hidden_remainder_x
      - .offset:         892
        .size:           2
        .value_kind:     hidden_remainder_y
      - .offset:         894
        .size:           2
        .value_kind:     hidden_remainder_z
      - .offset:         912
        .size:           8
        .value_kind:     hidden_global_offset_x
      - .offset:         920
        .size:           8
        .value_kind:     hidden_global_offset_y
      - .offset:         928
        .size:           8
        .value_kind:     hidden_global_offset_z
      - .offset:         936
        .size:           2
        .value_kind:     hidden_grid_dims
    .group_segment_fixed_size: 1056
    .kernarg_segment_align: 8
    .kernarg_segment_size: 1128
    .language:       OpenCL C
    .language_version:
      - 2
      - 0
    .max_flat_workgroup_size: 32
    .name:           _ZN2at6native18radixSortKVInPlaceILin1ELin1ELi32ELi4EN3c108BFloat16ElmEEvNS_4cuda6detail10TensorInfoIT3_T5_EES8_S8_S8_NS6_IT4_S8_EES8_b
    .private_segment_fixed_size: 0
    .sgpr_count:     52
    .sgpr_spill_count: 0
    .symbol:         _ZN2at6native18radixSortKVInPlaceILin1ELin1ELi32ELi4EN3c108BFloat16ElmEEvNS_4cuda6detail10TensorInfoIT3_T5_EES8_S8_S8_NS6_IT4_S8_EES8_b.kd
    .uniform_work_group_size: 1
    .uses_dynamic_stack: false
    .vgpr_count:     58
    .vgpr_spill_count: 0
    .wavefront_size: 64
  - .agpr_count:     0
    .args:
      - .offset:         0
        .size:           416
        .value_kind:     by_value
      - .offset:         416
        .size:           8
        .value_kind:     by_value
      - .offset:         424
        .size:           8
        .value_kind:     by_value
      - .offset:         432
        .size:           8
        .value_kind:     by_value
      - .offset:         440
        .size:           416
        .value_kind:     by_value
      - .offset:         856
        .size:           8
        .value_kind:     by_value
      - .offset:         864
        .size:           1
        .value_kind:     by_value
      - .offset:         872
        .size:           4
        .value_kind:     hidden_block_count_x
      - .offset:         876
        .size:           4
        .value_kind:     hidden_block_count_y
      - .offset:         880
        .size:           4
        .value_kind:     hidden_block_count_z
      - .offset:         884
        .size:           2
        .value_kind:     hidden_group_size_x
      - .offset:         886
        .size:           2
        .value_kind:     hidden_group_size_y
      - .offset:         888
        .size:           2
        .value_kind:     hidden_group_size_z
      - .offset:         890
        .size:           2
        .value_kind:     hidden_remainder_x
      - .offset:         892
        .size:           2
        .value_kind:     hidden_remainder_y
      - .offset:         894
        .size:           2
        .value_kind:     hidden_remainder_z
      - .offset:         912
        .size:           8
        .value_kind:     hidden_global_offset_x
      - .offset:         920
        .size:           8
        .value_kind:     hidden_global_offset_y
      - .offset:         928
        .size:           8
        .value_kind:     hidden_global_offset_z
      - .offset:         936
        .size:           2
        .value_kind:     hidden_grid_dims
    .group_segment_fixed_size: 528
    .kernarg_segment_align: 8
    .kernarg_segment_size: 1128
    .language:       OpenCL C
    .language_version:
      - 2
      - 0
    .max_flat_workgroup_size: 16
    .name:           _ZN2at6native18radixSortKVInPlaceILin1ELin1ELi16ELi2EN3c108BFloat16ElmEEvNS_4cuda6detail10TensorInfoIT3_T5_EES8_S8_S8_NS6_IT4_S8_EES8_b
    .private_segment_fixed_size: 0
    .sgpr_count:     46
    .sgpr_spill_count: 0
    .symbol:         _ZN2at6native18radixSortKVInPlaceILin1ELin1ELi16ELi2EN3c108BFloat16ElmEEvNS_4cuda6detail10TensorInfoIT3_T5_EES8_S8_S8_NS6_IT4_S8_EES8_b.kd
    .uniform_work_group_size: 1
    .uses_dynamic_stack: false
    .vgpr_count:     38
    .vgpr_spill_count: 0
    .wavefront_size: 64
  - .agpr_count:     0
    .args:
      - .offset:         0
        .size:           216
        .value_kind:     by_value
      - .offset:         216
        .size:           4
        .value_kind:     by_value
      - .offset:         220
        .size:           4
        .value_kind:     by_value
      - .offset:         224
        .size:           4
        .value_kind:     by_value
      - .offset:         232
        .size:           216
        .value_kind:     by_value
      - .offset:         448
        .size:           4
        .value_kind:     by_value
      - .offset:         452
        .size:           1
        .value_kind:     by_value
      - .offset:         456
        .size:           4
        .value_kind:     hidden_block_count_x
      - .offset:         460
        .size:           4
        .value_kind:     hidden_block_count_y
      - .offset:         464
        .size:           4
        .value_kind:     hidden_block_count_z
      - .offset:         468
        .size:           2
        .value_kind:     hidden_group_size_x
      - .offset:         470
        .size:           2
        .value_kind:     hidden_group_size_y
      - .offset:         472
        .size:           2
        .value_kind:     hidden_group_size_z
      - .offset:         474
        .size:           2
        .value_kind:     hidden_remainder_x
      - .offset:         476
        .size:           2
        .value_kind:     hidden_remainder_y
      - .offset:         478
        .size:           2
        .value_kind:     hidden_remainder_z
      - .offset:         496
        .size:           8
        .value_kind:     hidden_global_offset_x
      - .offset:         504
        .size:           8
        .value_kind:     hidden_global_offset_y
      - .offset:         512
        .size:           8
        .value_kind:     hidden_global_offset_z
      - .offset:         520
        .size:           2
        .value_kind:     hidden_grid_dims
    .group_segment_fixed_size: 33792
    .kernarg_segment_align: 8
    .kernarg_segment_size: 712
    .language:       OpenCL C
    .language_version:
      - 2
      - 0
    .max_flat_workgroup_size: 512
    .name:           _ZN2at6native18radixSortKVInPlaceILin2ELin1ELi512ELi8EbljEEvNS_4cuda6detail10TensorInfoIT3_T5_EES6_S6_S6_NS4_IT4_S6_EES6_b
    .private_segment_fixed_size: 0
    .sgpr_count:     50
    .sgpr_spill_count: 0
    .symbol:         _ZN2at6native18radixSortKVInPlaceILin2ELin1ELi512ELi8EbljEEvNS_4cuda6detail10TensorInfoIT3_T5_EES6_S6_S6_NS4_IT4_S6_EES6_b.kd
    .uniform_work_group_size: 1
    .uses_dynamic_stack: false
    .vgpr_count:     105
    .vgpr_spill_count: 0
    .wavefront_size: 64
  - .agpr_count:     0
    .args:
      - .offset:         0
        .size:           216
        .value_kind:     by_value
      - .offset:         216
        .size:           4
        .value_kind:     by_value
      - .offset:         220
        .size:           4
        .value_kind:     by_value
      - .offset:         224
        .size:           4
        .value_kind:     by_value
      - .offset:         232
        .size:           216
        .value_kind:     by_value
      - .offset:         448
        .size:           4
        .value_kind:     by_value
      - .offset:         452
        .size:           1
        .value_kind:     by_value
      - .offset:         456
        .size:           4
        .value_kind:     hidden_block_count_x
      - .offset:         460
        .size:           4
        .value_kind:     hidden_block_count_y
      - .offset:         464
        .size:           4
        .value_kind:     hidden_block_count_z
      - .offset:         468
        .size:           2
        .value_kind:     hidden_group_size_x
      - .offset:         470
        .size:           2
        .value_kind:     hidden_group_size_y
      - .offset:         472
        .size:           2
        .value_kind:     hidden_group_size_z
      - .offset:         474
        .size:           2
        .value_kind:     hidden_remainder_x
      - .offset:         476
        .size:           2
        .value_kind:     hidden_remainder_y
      - .offset:         478
        .size:           2
        .value_kind:     hidden_remainder_z
      - .offset:         496
        .size:           8
        .value_kind:     hidden_global_offset_x
      - .offset:         504
        .size:           8
        .value_kind:     hidden_global_offset_y
      - .offset:         512
        .size:           8
        .value_kind:     hidden_global_offset_z
      - .offset:         520
        .size:           2
        .value_kind:     hidden_grid_dims
    .group_segment_fixed_size: 16896
    .kernarg_segment_align: 8
    .kernarg_segment_size: 712
    .language:       OpenCL C
    .language_version:
      - 2
      - 0
    .max_flat_workgroup_size: 256
    .name:           _ZN2at6native18radixSortKVInPlaceILin2ELin1ELi256ELi8EbljEEvNS_4cuda6detail10TensorInfoIT3_T5_EES6_S6_S6_NS4_IT4_S6_EES6_b
    .private_segment_fixed_size: 0
    .sgpr_count:     50
    .sgpr_spill_count: 0
    .symbol:         _ZN2at6native18radixSortKVInPlaceILin2ELin1ELi256ELi8EbljEEvNS_4cuda6detail10TensorInfoIT3_T5_EES6_S6_S6_NS4_IT4_S6_EES6_b.kd
    .uniform_work_group_size: 1
    .uses_dynamic_stack: false
    .vgpr_count:     105
    .vgpr_spill_count: 0
    .wavefront_size: 64
  - .agpr_count:     0
    .args:
      - .offset:         0
        .size:           216
        .value_kind:     by_value
      - .offset:         216
        .size:           4
        .value_kind:     by_value
      - .offset:         220
        .size:           4
        .value_kind:     by_value
      - .offset:         224
        .size:           4
        .value_kind:     by_value
      - .offset:         232
        .size:           216
        .value_kind:     by_value
      - .offset:         448
        .size:           4
        .value_kind:     by_value
      - .offset:         452
        .size:           1
        .value_kind:     by_value
      - .offset:         456
        .size:           4
        .value_kind:     hidden_block_count_x
      - .offset:         460
        .size:           4
        .value_kind:     hidden_block_count_y
      - .offset:         464
        .size:           4
        .value_kind:     hidden_block_count_z
      - .offset:         468
        .size:           2
        .value_kind:     hidden_group_size_x
      - .offset:         470
        .size:           2
        .value_kind:     hidden_group_size_y
      - .offset:         472
        .size:           2
        .value_kind:     hidden_group_size_z
      - .offset:         474
        .size:           2
        .value_kind:     hidden_remainder_x
      - .offset:         476
        .size:           2
        .value_kind:     hidden_remainder_y
      - .offset:         478
        .size:           2
        .value_kind:     hidden_remainder_z
      - .offset:         496
        .size:           8
        .value_kind:     hidden_global_offset_x
      - .offset:         504
        .size:           8
        .value_kind:     hidden_global_offset_y
      - .offset:         512
        .size:           8
        .value_kind:     hidden_global_offset_z
      - .offset:         520
        .size:           2
        .value_kind:     hidden_grid_dims
    .group_segment_fixed_size: 8448
    .kernarg_segment_align: 8
    .kernarg_segment_size: 712
    .language:       OpenCL C
    .language_version:
      - 2
      - 0
    .max_flat_workgroup_size: 128
    .name:           _ZN2at6native18radixSortKVInPlaceILin2ELin1ELi128ELi8EbljEEvNS_4cuda6detail10TensorInfoIT3_T5_EES6_S6_S6_NS4_IT4_S6_EES6_b
    .private_segment_fixed_size: 0
    .sgpr_count:     50
    .sgpr_spill_count: 0
    .symbol:         _ZN2at6native18radixSortKVInPlaceILin2ELin1ELi128ELi8EbljEEvNS_4cuda6detail10TensorInfoIT3_T5_EES6_S6_S6_NS4_IT4_S6_EES6_b.kd
    .uniform_work_group_size: 1
    .uses_dynamic_stack: false
    .vgpr_count:     105
    .vgpr_spill_count: 0
    .wavefront_size: 64
  - .agpr_count:     0
    .args:
      - .offset:         0
        .size:           216
        .value_kind:     by_value
      - .offset:         216
        .size:           4
        .value_kind:     by_value
      - .offset:         220
        .size:           4
        .value_kind:     by_value
      - .offset:         224
        .size:           4
        .value_kind:     by_value
      - .offset:         232
        .size:           216
        .value_kind:     by_value
      - .offset:         448
        .size:           4
        .value_kind:     by_value
      - .offset:         452
        .size:           1
        .value_kind:     by_value
      - .offset:         456
        .size:           4
        .value_kind:     hidden_block_count_x
      - .offset:         460
        .size:           4
        .value_kind:     hidden_block_count_y
      - .offset:         464
        .size:           4
        .value_kind:     hidden_block_count_z
      - .offset:         468
        .size:           2
        .value_kind:     hidden_group_size_x
      - .offset:         470
        .size:           2
        .value_kind:     hidden_group_size_y
      - .offset:         472
        .size:           2
        .value_kind:     hidden_group_size_z
      - .offset:         474
        .size:           2
        .value_kind:     hidden_remainder_x
      - .offset:         476
        .size:           2
        .value_kind:     hidden_remainder_y
      - .offset:         478
        .size:           2
        .value_kind:     hidden_remainder_z
      - .offset:         496
        .size:           8
        .value_kind:     hidden_global_offset_x
      - .offset:         504
        .size:           8
        .value_kind:     hidden_global_offset_y
      - .offset:         512
        .size:           8
        .value_kind:     hidden_global_offset_z
      - .offset:         520
        .size:           2
        .value_kind:     hidden_grid_dims
    .group_segment_fixed_size: 1056
    .kernarg_segment_align: 8
    .kernarg_segment_size: 712
    .language:       OpenCL C
    .language_version:
      - 2
      - 0
    .max_flat_workgroup_size: 32
    .name:           _ZN2at6native18radixSortKVInPlaceILin2ELin1ELi32ELi4EbljEEvNS_4cuda6detail10TensorInfoIT3_T5_EES6_S6_S6_NS4_IT4_S6_EES6_b
    .private_segment_fixed_size: 0
    .sgpr_count:     44
    .sgpr_spill_count: 0
    .symbol:         _ZN2at6native18radixSortKVInPlaceILin2ELin1ELi32ELi4EbljEEvNS_4cuda6detail10TensorInfoIT3_T5_EES6_S6_S6_NS4_IT4_S6_EES6_b.kd
    .uniform_work_group_size: 1
    .uses_dynamic_stack: false
    .vgpr_count:     48
    .vgpr_spill_count: 0
    .wavefront_size: 64
  - .agpr_count:     0
    .args:
      - .offset:         0
        .size:           216
        .value_kind:     by_value
      - .offset:         216
        .size:           4
        .value_kind:     by_value
      - .offset:         220
        .size:           4
        .value_kind:     by_value
      - .offset:         224
        .size:           4
        .value_kind:     by_value
      - .offset:         232
        .size:           216
        .value_kind:     by_value
      - .offset:         448
        .size:           4
        .value_kind:     by_value
      - .offset:         452
        .size:           1
        .value_kind:     by_value
      - .offset:         456
        .size:           4
        .value_kind:     hidden_block_count_x
      - .offset:         460
        .size:           4
        .value_kind:     hidden_block_count_y
      - .offset:         464
        .size:           4
        .value_kind:     hidden_block_count_z
      - .offset:         468
        .size:           2
        .value_kind:     hidden_group_size_x
      - .offset:         470
        .size:           2
        .value_kind:     hidden_group_size_y
      - .offset:         472
        .size:           2
        .value_kind:     hidden_group_size_z
      - .offset:         474
        .size:           2
        .value_kind:     hidden_remainder_x
      - .offset:         476
        .size:           2
        .value_kind:     hidden_remainder_y
      - .offset:         478
        .size:           2
        .value_kind:     hidden_remainder_z
      - .offset:         496
        .size:           8
        .value_kind:     hidden_global_offset_x
      - .offset:         504
        .size:           8
        .value_kind:     hidden_global_offset_y
      - .offset:         512
        .size:           8
        .value_kind:     hidden_global_offset_z
      - .offset:         520
        .size:           2
        .value_kind:     hidden_grid_dims
    .group_segment_fixed_size: 528
    .kernarg_segment_align: 8
    .kernarg_segment_size: 712
    .language:       OpenCL C
    .language_version:
      - 2
      - 0
    .max_flat_workgroup_size: 16
    .name:           _ZN2at6native18radixSortKVInPlaceILin2ELin1ELi16ELi2EbljEEvNS_4cuda6detail10TensorInfoIT3_T5_EES6_S6_S6_NS4_IT4_S6_EES6_b
    .private_segment_fixed_size: 0
    .sgpr_count:     40
    .sgpr_spill_count: 0
    .symbol:         _ZN2at6native18radixSortKVInPlaceILin2ELin1ELi16ELi2EbljEEvNS_4cuda6detail10TensorInfoIT3_T5_EES6_S6_S6_NS4_IT4_S6_EES6_b.kd
    .uniform_work_group_size: 1
    .uses_dynamic_stack: false
    .vgpr_count:     32
    .vgpr_spill_count: 0
    .wavefront_size: 64
  - .agpr_count:     0
    .args:
      - .offset:         0
        .size:           216
        .value_kind:     by_value
      - .offset:         216
        .size:           4
        .value_kind:     by_value
      - .offset:         220
        .size:           4
        .value_kind:     by_value
      - .offset:         224
        .size:           4
        .value_kind:     by_value
      - .offset:         232
        .size:           216
        .value_kind:     by_value
      - .offset:         448
        .size:           4
        .value_kind:     by_value
      - .offset:         452
        .size:           1
        .value_kind:     by_value
      - .offset:         456
        .size:           4
        .value_kind:     hidden_block_count_x
      - .offset:         460
        .size:           4
        .value_kind:     hidden_block_count_y
      - .offset:         464
        .size:           4
        .value_kind:     hidden_block_count_z
      - .offset:         468
        .size:           2
        .value_kind:     hidden_group_size_x
      - .offset:         470
        .size:           2
        .value_kind:     hidden_group_size_y
      - .offset:         472
        .size:           2
        .value_kind:     hidden_group_size_z
      - .offset:         474
        .size:           2
        .value_kind:     hidden_remainder_x
      - .offset:         476
        .size:           2
        .value_kind:     hidden_remainder_y
      - .offset:         478
        .size:           2
        .value_kind:     hidden_remainder_z
      - .offset:         496
        .size:           8
        .value_kind:     hidden_global_offset_x
      - .offset:         504
        .size:           8
        .value_kind:     hidden_global_offset_y
      - .offset:         512
        .size:           8
        .value_kind:     hidden_global_offset_z
      - .offset:         520
        .size:           2
        .value_kind:     hidden_grid_dims
    .group_segment_fixed_size: 33792
    .kernarg_segment_align: 8
    .kernarg_segment_size: 712
    .language:       OpenCL C
    .language_version:
      - 2
      - 0
    .max_flat_workgroup_size: 512
    .name:           _ZN2at6native18radixSortKVInPlaceILi2ELin1ELi512ELi8EbljEEvNS_4cuda6detail10TensorInfoIT3_T5_EES6_S6_S6_NS4_IT4_S6_EES6_b
    .private_segment_fixed_size: 0
    .sgpr_count:     50
    .sgpr_spill_count: 0
    .symbol:         _ZN2at6native18radixSortKVInPlaceILi2ELin1ELi512ELi8EbljEEvNS_4cuda6detail10TensorInfoIT3_T5_EES6_S6_S6_NS4_IT4_S6_EES6_b.kd
    .uniform_work_group_size: 1
    .uses_dynamic_stack: false
    .vgpr_count:     105
    .vgpr_spill_count: 0
    .wavefront_size: 64
  - .agpr_count:     0
    .args:
      - .offset:         0
        .size:           216
        .value_kind:     by_value
      - .offset:         216
        .size:           4
        .value_kind:     by_value
      - .offset:         220
        .size:           4
        .value_kind:     by_value
      - .offset:         224
        .size:           4
        .value_kind:     by_value
      - .offset:         232
        .size:           216
        .value_kind:     by_value
      - .offset:         448
        .size:           4
        .value_kind:     by_value
      - .offset:         452
        .size:           1
        .value_kind:     by_value
      - .offset:         456
        .size:           4
        .value_kind:     hidden_block_count_x
      - .offset:         460
        .size:           4
        .value_kind:     hidden_block_count_y
      - .offset:         464
        .size:           4
        .value_kind:     hidden_block_count_z
      - .offset:         468
        .size:           2
        .value_kind:     hidden_group_size_x
      - .offset:         470
        .size:           2
        .value_kind:     hidden_group_size_y
      - .offset:         472
        .size:           2
        .value_kind:     hidden_group_size_z
      - .offset:         474
        .size:           2
        .value_kind:     hidden_remainder_x
      - .offset:         476
        .size:           2
        .value_kind:     hidden_remainder_y
      - .offset:         478
        .size:           2
        .value_kind:     hidden_remainder_z
      - .offset:         496
        .size:           8
        .value_kind:     hidden_global_offset_x
      - .offset:         504
        .size:           8
        .value_kind:     hidden_global_offset_y
      - .offset:         512
        .size:           8
        .value_kind:     hidden_global_offset_z
      - .offset:         520
        .size:           2
        .value_kind:     hidden_grid_dims
    .group_segment_fixed_size: 16896
    .kernarg_segment_align: 8
    .kernarg_segment_size: 712
    .language:       OpenCL C
    .language_version:
      - 2
      - 0
    .max_flat_workgroup_size: 256
    .name:           _ZN2at6native18radixSortKVInPlaceILi2ELin1ELi256ELi8EbljEEvNS_4cuda6detail10TensorInfoIT3_T5_EES6_S6_S6_NS4_IT4_S6_EES6_b
    .private_segment_fixed_size: 0
    .sgpr_count:     50
    .sgpr_spill_count: 0
    .symbol:         _ZN2at6native18radixSortKVInPlaceILi2ELin1ELi256ELi8EbljEEvNS_4cuda6detail10TensorInfoIT3_T5_EES6_S6_S6_NS4_IT4_S6_EES6_b.kd
    .uniform_work_group_size: 1
    .uses_dynamic_stack: false
    .vgpr_count:     105
    .vgpr_spill_count: 0
    .wavefront_size: 64
  - .agpr_count:     0
    .args:
      - .offset:         0
        .size:           216
        .value_kind:     by_value
      - .offset:         216
        .size:           4
        .value_kind:     by_value
      - .offset:         220
        .size:           4
        .value_kind:     by_value
      - .offset:         224
        .size:           4
        .value_kind:     by_value
      - .offset:         232
        .size:           216
        .value_kind:     by_value
      - .offset:         448
        .size:           4
        .value_kind:     by_value
      - .offset:         452
        .size:           1
        .value_kind:     by_value
      - .offset:         456
        .size:           4
        .value_kind:     hidden_block_count_x
      - .offset:         460
        .size:           4
        .value_kind:     hidden_block_count_y
      - .offset:         464
        .size:           4
        .value_kind:     hidden_block_count_z
      - .offset:         468
        .size:           2
        .value_kind:     hidden_group_size_x
      - .offset:         470
        .size:           2
        .value_kind:     hidden_group_size_y
      - .offset:         472
        .size:           2
        .value_kind:     hidden_group_size_z
      - .offset:         474
        .size:           2
        .value_kind:     hidden_remainder_x
      - .offset:         476
        .size:           2
        .value_kind:     hidden_remainder_y
      - .offset:         478
        .size:           2
        .value_kind:     hidden_remainder_z
      - .offset:         496
        .size:           8
        .value_kind:     hidden_global_offset_x
      - .offset:         504
        .size:           8
        .value_kind:     hidden_global_offset_y
      - .offset:         512
        .size:           8
        .value_kind:     hidden_global_offset_z
      - .offset:         520
        .size:           2
        .value_kind:     hidden_grid_dims
    .group_segment_fixed_size: 8448
    .kernarg_segment_align: 8
    .kernarg_segment_size: 712
    .language:       OpenCL C
    .language_version:
      - 2
      - 0
    .max_flat_workgroup_size: 128
    .name:           _ZN2at6native18radixSortKVInPlaceILi2ELin1ELi128ELi8EbljEEvNS_4cuda6detail10TensorInfoIT3_T5_EES6_S6_S6_NS4_IT4_S6_EES6_b
    .private_segment_fixed_size: 0
    .sgpr_count:     50
    .sgpr_spill_count: 0
    .symbol:         _ZN2at6native18radixSortKVInPlaceILi2ELin1ELi128ELi8EbljEEvNS_4cuda6detail10TensorInfoIT3_T5_EES6_S6_S6_NS4_IT4_S6_EES6_b.kd
    .uniform_work_group_size: 1
    .uses_dynamic_stack: false
    .vgpr_count:     105
    .vgpr_spill_count: 0
    .wavefront_size: 64
  - .agpr_count:     0
    .args:
      - .offset:         0
        .size:           216
        .value_kind:     by_value
      - .offset:         216
        .size:           4
        .value_kind:     by_value
      - .offset:         220
        .size:           4
        .value_kind:     by_value
      - .offset:         224
        .size:           4
        .value_kind:     by_value
      - .offset:         232
        .size:           216
        .value_kind:     by_value
      - .offset:         448
        .size:           4
        .value_kind:     by_value
      - .offset:         452
        .size:           1
        .value_kind:     by_value
      - .offset:         456
        .size:           4
        .value_kind:     hidden_block_count_x
      - .offset:         460
        .size:           4
        .value_kind:     hidden_block_count_y
      - .offset:         464
        .size:           4
        .value_kind:     hidden_block_count_z
      - .offset:         468
        .size:           2
        .value_kind:     hidden_group_size_x
      - .offset:         470
        .size:           2
        .value_kind:     hidden_group_size_y
      - .offset:         472
        .size:           2
        .value_kind:     hidden_group_size_z
      - .offset:         474
        .size:           2
        .value_kind:     hidden_remainder_x
      - .offset:         476
        .size:           2
        .value_kind:     hidden_remainder_y
      - .offset:         478
        .size:           2
        .value_kind:     hidden_remainder_z
      - .offset:         496
        .size:           8
        .value_kind:     hidden_global_offset_x
      - .offset:         504
        .size:           8
        .value_kind:     hidden_global_offset_y
      - .offset:         512
        .size:           8
        .value_kind:     hidden_global_offset_z
      - .offset:         520
        .size:           2
        .value_kind:     hidden_grid_dims
    .group_segment_fixed_size: 1056
    .kernarg_segment_align: 8
    .kernarg_segment_size: 712
    .language:       OpenCL C
    .language_version:
      - 2
      - 0
    .max_flat_workgroup_size: 32
    .name:           _ZN2at6native18radixSortKVInPlaceILi2ELin1ELi32ELi4EbljEEvNS_4cuda6detail10TensorInfoIT3_T5_EES6_S6_S6_NS4_IT4_S6_EES6_b
    .private_segment_fixed_size: 0
    .sgpr_count:     44
    .sgpr_spill_count: 0
    .symbol:         _ZN2at6native18radixSortKVInPlaceILi2ELin1ELi32ELi4EbljEEvNS_4cuda6detail10TensorInfoIT3_T5_EES6_S6_S6_NS4_IT4_S6_EES6_b.kd
    .uniform_work_group_size: 1
    .uses_dynamic_stack: false
    .vgpr_count:     48
    .vgpr_spill_count: 0
    .wavefront_size: 64
  - .agpr_count:     0
    .args:
      - .offset:         0
        .size:           216
        .value_kind:     by_value
      - .offset:         216
        .size:           4
        .value_kind:     by_value
      - .offset:         220
        .size:           4
        .value_kind:     by_value
      - .offset:         224
        .size:           4
        .value_kind:     by_value
      - .offset:         232
        .size:           216
        .value_kind:     by_value
      - .offset:         448
        .size:           4
        .value_kind:     by_value
      - .offset:         452
        .size:           1
        .value_kind:     by_value
      - .offset:         456
        .size:           4
        .value_kind:     hidden_block_count_x
      - .offset:         460
        .size:           4
        .value_kind:     hidden_block_count_y
      - .offset:         464
        .size:           4
        .value_kind:     hidden_block_count_z
      - .offset:         468
        .size:           2
        .value_kind:     hidden_group_size_x
      - .offset:         470
        .size:           2
        .value_kind:     hidden_group_size_y
      - .offset:         472
        .size:           2
        .value_kind:     hidden_group_size_z
      - .offset:         474
        .size:           2
        .value_kind:     hidden_remainder_x
      - .offset:         476
        .size:           2
        .value_kind:     hidden_remainder_y
      - .offset:         478
        .size:           2
        .value_kind:     hidden_remainder_z
      - .offset:         496
        .size:           8
        .value_kind:     hidden_global_offset_x
      - .offset:         504
        .size:           8
        .value_kind:     hidden_global_offset_y
      - .offset:         512
        .size:           8
        .value_kind:     hidden_global_offset_z
      - .offset:         520
        .size:           2
        .value_kind:     hidden_grid_dims
    .group_segment_fixed_size: 528
    .kernarg_segment_align: 8
    .kernarg_segment_size: 712
    .language:       OpenCL C
    .language_version:
      - 2
      - 0
    .max_flat_workgroup_size: 16
    .name:           _ZN2at6native18radixSortKVInPlaceILi2ELin1ELi16ELi2EbljEEvNS_4cuda6detail10TensorInfoIT3_T5_EES6_S6_S6_NS4_IT4_S6_EES6_b
    .private_segment_fixed_size: 0
    .sgpr_count:     40
    .sgpr_spill_count: 0
    .symbol:         _ZN2at6native18radixSortKVInPlaceILi2ELin1ELi16ELi2EbljEEvNS_4cuda6detail10TensorInfoIT3_T5_EES6_S6_S6_NS4_IT4_S6_EES6_b.kd
    .uniform_work_group_size: 1
    .uses_dynamic_stack: false
    .vgpr_count:     32
    .vgpr_spill_count: 0
    .wavefront_size: 64
  - .agpr_count:     0
    .args:
      - .offset:         0
        .size:           216
        .value_kind:     by_value
      - .offset:         216
        .size:           4
        .value_kind:     by_value
      - .offset:         220
        .size:           4
        .value_kind:     by_value
      - .offset:         224
        .size:           4
        .value_kind:     by_value
      - .offset:         232
        .size:           216
        .value_kind:     by_value
      - .offset:         448
        .size:           4
        .value_kind:     by_value
      - .offset:         452
        .size:           1
        .value_kind:     by_value
      - .offset:         456
        .size:           4
        .value_kind:     hidden_block_count_x
      - .offset:         460
        .size:           4
        .value_kind:     hidden_block_count_y
      - .offset:         464
        .size:           4
        .value_kind:     hidden_block_count_z
      - .offset:         468
        .size:           2
        .value_kind:     hidden_group_size_x
      - .offset:         470
        .size:           2
        .value_kind:     hidden_group_size_y
      - .offset:         472
        .size:           2
        .value_kind:     hidden_group_size_z
      - .offset:         474
        .size:           2
        .value_kind:     hidden_remainder_x
      - .offset:         476
        .size:           2
        .value_kind:     hidden_remainder_y
      - .offset:         478
        .size:           2
        .value_kind:     hidden_remainder_z
      - .offset:         496
        .size:           8
        .value_kind:     hidden_global_offset_x
      - .offset:         504
        .size:           8
        .value_kind:     hidden_global_offset_y
      - .offset:         512
        .size:           8
        .value_kind:     hidden_global_offset_z
      - .offset:         520
        .size:           2
        .value_kind:     hidden_grid_dims
    .group_segment_fixed_size: 33792
    .kernarg_segment_align: 8
    .kernarg_segment_size: 712
    .language:       OpenCL C
    .language_version:
      - 2
      - 0
    .max_flat_workgroup_size: 512
    .name:           _ZN2at6native18radixSortKVInPlaceILin1ELin1ELi512ELi8EbljEEvNS_4cuda6detail10TensorInfoIT3_T5_EES6_S6_S6_NS4_IT4_S6_EES6_b
    .private_segment_fixed_size: 0
    .sgpr_count:     60
    .sgpr_spill_count: 0
    .symbol:         _ZN2at6native18radixSortKVInPlaceILin1ELin1ELi512ELi8EbljEEvNS_4cuda6detail10TensorInfoIT3_T5_EES6_S6_S6_NS4_IT4_S6_EES6_b.kd
    .uniform_work_group_size: 1
    .uses_dynamic_stack: false
    .vgpr_count:     105
    .vgpr_spill_count: 0
    .wavefront_size: 64
  - .agpr_count:     0
    .args:
      - .offset:         0
        .size:           216
        .value_kind:     by_value
      - .offset:         216
        .size:           4
        .value_kind:     by_value
      - .offset:         220
        .size:           4
        .value_kind:     by_value
      - .offset:         224
        .size:           4
        .value_kind:     by_value
      - .offset:         232
        .size:           216
        .value_kind:     by_value
      - .offset:         448
        .size:           4
        .value_kind:     by_value
      - .offset:         452
        .size:           1
        .value_kind:     by_value
      - .offset:         456
        .size:           4
        .value_kind:     hidden_block_count_x
      - .offset:         460
        .size:           4
        .value_kind:     hidden_block_count_y
      - .offset:         464
        .size:           4
        .value_kind:     hidden_block_count_z
      - .offset:         468
        .size:           2
        .value_kind:     hidden_group_size_x
      - .offset:         470
        .size:           2
        .value_kind:     hidden_group_size_y
      - .offset:         472
        .size:           2
        .value_kind:     hidden_group_size_z
      - .offset:         474
        .size:           2
        .value_kind:     hidden_remainder_x
      - .offset:         476
        .size:           2
        .value_kind:     hidden_remainder_y
      - .offset:         478
        .size:           2
        .value_kind:     hidden_remainder_z
      - .offset:         496
        .size:           8
        .value_kind:     hidden_global_offset_x
      - .offset:         504
        .size:           8
        .value_kind:     hidden_global_offset_y
      - .offset:         512
        .size:           8
        .value_kind:     hidden_global_offset_z
      - .offset:         520
        .size:           2
        .value_kind:     hidden_grid_dims
    .group_segment_fixed_size: 16896
    .kernarg_segment_align: 8
    .kernarg_segment_size: 712
    .language:       OpenCL C
    .language_version:
      - 2
      - 0
    .max_flat_workgroup_size: 256
    .name:           _ZN2at6native18radixSortKVInPlaceILin1ELin1ELi256ELi8EbljEEvNS_4cuda6detail10TensorInfoIT3_T5_EES6_S6_S6_NS4_IT4_S6_EES6_b
    .private_segment_fixed_size: 0
    .sgpr_count:     60
    .sgpr_spill_count: 0
    .symbol:         _ZN2at6native18radixSortKVInPlaceILin1ELin1ELi256ELi8EbljEEvNS_4cuda6detail10TensorInfoIT3_T5_EES6_S6_S6_NS4_IT4_S6_EES6_b.kd
    .uniform_work_group_size: 1
    .uses_dynamic_stack: false
    .vgpr_count:     105
    .vgpr_spill_count: 0
    .wavefront_size: 64
  - .agpr_count:     0
    .args:
      - .offset:         0
        .size:           216
        .value_kind:     by_value
      - .offset:         216
        .size:           4
        .value_kind:     by_value
      - .offset:         220
        .size:           4
        .value_kind:     by_value
      - .offset:         224
        .size:           4
        .value_kind:     by_value
      - .offset:         232
        .size:           216
        .value_kind:     by_value
      - .offset:         448
        .size:           4
        .value_kind:     by_value
      - .offset:         452
        .size:           1
        .value_kind:     by_value
      - .offset:         456
        .size:           4
        .value_kind:     hidden_block_count_x
      - .offset:         460
        .size:           4
        .value_kind:     hidden_block_count_y
      - .offset:         464
        .size:           4
        .value_kind:     hidden_block_count_z
      - .offset:         468
        .size:           2
        .value_kind:     hidden_group_size_x
      - .offset:         470
        .size:           2
        .value_kind:     hidden_group_size_y
      - .offset:         472
        .size:           2
        .value_kind:     hidden_group_size_z
      - .offset:         474
        .size:           2
        .value_kind:     hidden_remainder_x
      - .offset:         476
        .size:           2
        .value_kind:     hidden_remainder_y
      - .offset:         478
        .size:           2
        .value_kind:     hidden_remainder_z
      - .offset:         496
        .size:           8
        .value_kind:     hidden_global_offset_x
      - .offset:         504
        .size:           8
        .value_kind:     hidden_global_offset_y
      - .offset:         512
        .size:           8
        .value_kind:     hidden_global_offset_z
      - .offset:         520
        .size:           2
        .value_kind:     hidden_grid_dims
    .group_segment_fixed_size: 8448
    .kernarg_segment_align: 8
    .kernarg_segment_size: 712
    .language:       OpenCL C
    .language_version:
      - 2
      - 0
    .max_flat_workgroup_size: 128
    .name:           _ZN2at6native18radixSortKVInPlaceILin1ELin1ELi128ELi8EbljEEvNS_4cuda6detail10TensorInfoIT3_T5_EES6_S6_S6_NS4_IT4_S6_EES6_b
    .private_segment_fixed_size: 0
    .sgpr_count:     60
    .sgpr_spill_count: 0
    .symbol:         _ZN2at6native18radixSortKVInPlaceILin1ELin1ELi128ELi8EbljEEvNS_4cuda6detail10TensorInfoIT3_T5_EES6_S6_S6_NS4_IT4_S6_EES6_b.kd
    .uniform_work_group_size: 1
    .uses_dynamic_stack: false
    .vgpr_count:     105
    .vgpr_spill_count: 0
    .wavefront_size: 64
  - .agpr_count:     0
    .args:
      - .offset:         0
        .size:           216
        .value_kind:     by_value
      - .offset:         216
        .size:           4
        .value_kind:     by_value
      - .offset:         220
        .size:           4
        .value_kind:     by_value
      - .offset:         224
        .size:           4
        .value_kind:     by_value
      - .offset:         232
        .size:           216
        .value_kind:     by_value
      - .offset:         448
        .size:           4
        .value_kind:     by_value
      - .offset:         452
        .size:           1
        .value_kind:     by_value
      - .offset:         456
        .size:           4
        .value_kind:     hidden_block_count_x
      - .offset:         460
        .size:           4
        .value_kind:     hidden_block_count_y
      - .offset:         464
        .size:           4
        .value_kind:     hidden_block_count_z
      - .offset:         468
        .size:           2
        .value_kind:     hidden_group_size_x
      - .offset:         470
        .size:           2
        .value_kind:     hidden_group_size_y
      - .offset:         472
        .size:           2
        .value_kind:     hidden_group_size_z
      - .offset:         474
        .size:           2
        .value_kind:     hidden_remainder_x
      - .offset:         476
        .size:           2
        .value_kind:     hidden_remainder_y
      - .offset:         478
        .size:           2
        .value_kind:     hidden_remainder_z
      - .offset:         496
        .size:           8
        .value_kind:     hidden_global_offset_x
      - .offset:         504
        .size:           8
        .value_kind:     hidden_global_offset_y
      - .offset:         512
        .size:           8
        .value_kind:     hidden_global_offset_z
      - .offset:         520
        .size:           2
        .value_kind:     hidden_grid_dims
    .group_segment_fixed_size: 1056
    .kernarg_segment_align: 8
    .kernarg_segment_size: 712
    .language:       OpenCL C
    .language_version:
      - 2
      - 0
    .max_flat_workgroup_size: 32
    .name:           _ZN2at6native18radixSortKVInPlaceILin1ELin1ELi32ELi4EbljEEvNS_4cuda6detail10TensorInfoIT3_T5_EES6_S6_S6_NS4_IT4_S6_EES6_b
    .private_segment_fixed_size: 0
    .sgpr_count:     44
    .sgpr_spill_count: 0
    .symbol:         _ZN2at6native18radixSortKVInPlaceILin1ELin1ELi32ELi4EbljEEvNS_4cuda6detail10TensorInfoIT3_T5_EES6_S6_S6_NS4_IT4_S6_EES6_b.kd
    .uniform_work_group_size: 1
    .uses_dynamic_stack: false
    .vgpr_count:     48
    .vgpr_spill_count: 0
    .wavefront_size: 64
  - .agpr_count:     0
    .args:
      - .offset:         0
        .size:           216
        .value_kind:     by_value
      - .offset:         216
        .size:           4
        .value_kind:     by_value
      - .offset:         220
        .size:           4
        .value_kind:     by_value
      - .offset:         224
        .size:           4
        .value_kind:     by_value
      - .offset:         232
        .size:           216
        .value_kind:     by_value
      - .offset:         448
        .size:           4
        .value_kind:     by_value
      - .offset:         452
        .size:           1
        .value_kind:     by_value
      - .offset:         456
        .size:           4
        .value_kind:     hidden_block_count_x
      - .offset:         460
        .size:           4
        .value_kind:     hidden_block_count_y
      - .offset:         464
        .size:           4
        .value_kind:     hidden_block_count_z
      - .offset:         468
        .size:           2
        .value_kind:     hidden_group_size_x
      - .offset:         470
        .size:           2
        .value_kind:     hidden_group_size_y
      - .offset:         472
        .size:           2
        .value_kind:     hidden_group_size_z
      - .offset:         474
        .size:           2
        .value_kind:     hidden_remainder_x
      - .offset:         476
        .size:           2
        .value_kind:     hidden_remainder_y
      - .offset:         478
        .size:           2
        .value_kind:     hidden_remainder_z
      - .offset:         496
        .size:           8
        .value_kind:     hidden_global_offset_x
      - .offset:         504
        .size:           8
        .value_kind:     hidden_global_offset_y
      - .offset:         512
        .size:           8
        .value_kind:     hidden_global_offset_z
      - .offset:         520
        .size:           2
        .value_kind:     hidden_grid_dims
    .group_segment_fixed_size: 528
    .kernarg_segment_align: 8
    .kernarg_segment_size: 712
    .language:       OpenCL C
    .language_version:
      - 2
      - 0
    .max_flat_workgroup_size: 16
    .name:           _ZN2at6native18radixSortKVInPlaceILin1ELin1ELi16ELi2EbljEEvNS_4cuda6detail10TensorInfoIT3_T5_EES6_S6_S6_NS4_IT4_S6_EES6_b
    .private_segment_fixed_size: 0
    .sgpr_count:     40
    .sgpr_spill_count: 0
    .symbol:         _ZN2at6native18radixSortKVInPlaceILin1ELin1ELi16ELi2EbljEEvNS_4cuda6detail10TensorInfoIT3_T5_EES6_S6_S6_NS4_IT4_S6_EES6_b.kd
    .uniform_work_group_size: 1
    .uses_dynamic_stack: false
    .vgpr_count:     32
    .vgpr_spill_count: 0
    .wavefront_size: 64
  - .agpr_count:     0
    .args:
      - .offset:         0
        .size:           416
        .value_kind:     by_value
      - .offset:         416
        .size:           8
        .value_kind:     by_value
      - .offset:         424
        .size:           8
        .value_kind:     by_value
      - .offset:         432
        .size:           8
        .value_kind:     by_value
      - .offset:         440
        .size:           416
        .value_kind:     by_value
      - .offset:         856
        .size:           8
        .value_kind:     by_value
      - .offset:         864
        .size:           1
        .value_kind:     by_value
      - .offset:         872
        .size:           4
        .value_kind:     hidden_block_count_x
      - .offset:         876
        .size:           4
        .value_kind:     hidden_block_count_y
      - .offset:         880
        .size:           4
        .value_kind:     hidden_block_count_z
      - .offset:         884
        .size:           2
        .value_kind:     hidden_group_size_x
      - .offset:         886
        .size:           2
        .value_kind:     hidden_group_size_y
      - .offset:         888
        .size:           2
        .value_kind:     hidden_group_size_z
      - .offset:         890
        .size:           2
        .value_kind:     hidden_remainder_x
      - .offset:         892
        .size:           2
        .value_kind:     hidden_remainder_y
      - .offset:         894
        .size:           2
        .value_kind:     hidden_remainder_z
      - .offset:         912
        .size:           8
        .value_kind:     hidden_global_offset_x
      - .offset:         920
        .size:           8
        .value_kind:     hidden_global_offset_y
      - .offset:         928
        .size:           8
        .value_kind:     hidden_global_offset_z
      - .offset:         936
        .size:           2
        .value_kind:     hidden_grid_dims
    .group_segment_fixed_size: 33792
    .kernarg_segment_align: 8
    .kernarg_segment_size: 1128
    .language:       OpenCL C
    .language_version:
      - 2
      - 0
    .max_flat_workgroup_size: 512
    .name:           _ZN2at6native18radixSortKVInPlaceILin1ELin1ELi512ELi8EblmEEvNS_4cuda6detail10TensorInfoIT3_T5_EES6_S6_S6_NS4_IT4_S6_EES6_b
    .private_segment_fixed_size: 0
    .sgpr_count:     61
    .sgpr_spill_count: 0
    .symbol:         _ZN2at6native18radixSortKVInPlaceILin1ELin1ELi512ELi8EblmEEvNS_4cuda6detail10TensorInfoIT3_T5_EES6_S6_S6_NS4_IT4_S6_EES6_b.kd
    .uniform_work_group_size: 1
    .uses_dynamic_stack: false
    .vgpr_count:     103
    .vgpr_spill_count: 0
    .wavefront_size: 64
  - .agpr_count:     0
    .args:
      - .offset:         0
        .size:           416
        .value_kind:     by_value
      - .offset:         416
        .size:           8
        .value_kind:     by_value
      - .offset:         424
        .size:           8
        .value_kind:     by_value
      - .offset:         432
        .size:           8
        .value_kind:     by_value
      - .offset:         440
        .size:           416
        .value_kind:     by_value
      - .offset:         856
        .size:           8
        .value_kind:     by_value
      - .offset:         864
        .size:           1
        .value_kind:     by_value
      - .offset:         872
        .size:           4
        .value_kind:     hidden_block_count_x
      - .offset:         876
        .size:           4
        .value_kind:     hidden_block_count_y
      - .offset:         880
        .size:           4
        .value_kind:     hidden_block_count_z
      - .offset:         884
        .size:           2
        .value_kind:     hidden_group_size_x
      - .offset:         886
        .size:           2
        .value_kind:     hidden_group_size_y
      - .offset:         888
        .size:           2
        .value_kind:     hidden_group_size_z
      - .offset:         890
        .size:           2
        .value_kind:     hidden_remainder_x
      - .offset:         892
        .size:           2
        .value_kind:     hidden_remainder_y
      - .offset:         894
        .size:           2
        .value_kind:     hidden_remainder_z
      - .offset:         912
        .size:           8
        .value_kind:     hidden_global_offset_x
      - .offset:         920
        .size:           8
        .value_kind:     hidden_global_offset_y
      - .offset:         928
        .size:           8
        .value_kind:     hidden_global_offset_z
      - .offset:         936
        .size:           2
        .value_kind:     hidden_grid_dims
    .group_segment_fixed_size: 16896
    .kernarg_segment_align: 8
    .kernarg_segment_size: 1128
    .language:       OpenCL C
    .language_version:
      - 2
      - 0
    .max_flat_workgroup_size: 256
    .name:           _ZN2at6native18radixSortKVInPlaceILin1ELin1ELi256ELi8EblmEEvNS_4cuda6detail10TensorInfoIT3_T5_EES6_S6_S6_NS4_IT4_S6_EES6_b
    .private_segment_fixed_size: 0
    .sgpr_count:     61
    .sgpr_spill_count: 0
    .symbol:         _ZN2at6native18radixSortKVInPlaceILin1ELin1ELi256ELi8EblmEEvNS_4cuda6detail10TensorInfoIT3_T5_EES6_S6_S6_NS4_IT4_S6_EES6_b.kd
    .uniform_work_group_size: 1
    .uses_dynamic_stack: false
    .vgpr_count:     103
    .vgpr_spill_count: 0
    .wavefront_size: 64
  - .agpr_count:     0
    .args:
      - .offset:         0
        .size:           416
        .value_kind:     by_value
      - .offset:         416
        .size:           8
        .value_kind:     by_value
      - .offset:         424
        .size:           8
        .value_kind:     by_value
      - .offset:         432
        .size:           8
        .value_kind:     by_value
      - .offset:         440
        .size:           416
        .value_kind:     by_value
      - .offset:         856
        .size:           8
        .value_kind:     by_value
      - .offset:         864
        .size:           1
        .value_kind:     by_value
      - .offset:         872
        .size:           4
        .value_kind:     hidden_block_count_x
      - .offset:         876
        .size:           4
        .value_kind:     hidden_block_count_y
      - .offset:         880
        .size:           4
        .value_kind:     hidden_block_count_z
      - .offset:         884
        .size:           2
        .value_kind:     hidden_group_size_x
      - .offset:         886
        .size:           2
        .value_kind:     hidden_group_size_y
      - .offset:         888
        .size:           2
        .value_kind:     hidden_group_size_z
      - .offset:         890
        .size:           2
        .value_kind:     hidden_remainder_x
      - .offset:         892
        .size:           2
        .value_kind:     hidden_remainder_y
      - .offset:         894
        .size:           2
        .value_kind:     hidden_remainder_z
      - .offset:         912
        .size:           8
        .value_kind:     hidden_global_offset_x
      - .offset:         920
        .size:           8
        .value_kind:     hidden_global_offset_y
      - .offset:         928
        .size:           8
        .value_kind:     hidden_global_offset_z
      - .offset:         936
        .size:           2
        .value_kind:     hidden_grid_dims
    .group_segment_fixed_size: 8448
    .kernarg_segment_align: 8
    .kernarg_segment_size: 1128
    .language:       OpenCL C
    .language_version:
      - 2
      - 0
    .max_flat_workgroup_size: 128
    .name:           _ZN2at6native18radixSortKVInPlaceILin1ELin1ELi128ELi8EblmEEvNS_4cuda6detail10TensorInfoIT3_T5_EES6_S6_S6_NS4_IT4_S6_EES6_b
    .private_segment_fixed_size: 0
    .sgpr_count:     61
    .sgpr_spill_count: 0
    .symbol:         _ZN2at6native18radixSortKVInPlaceILin1ELin1ELi128ELi8EblmEEvNS_4cuda6detail10TensorInfoIT3_T5_EES6_S6_S6_NS4_IT4_S6_EES6_b.kd
    .uniform_work_group_size: 1
    .uses_dynamic_stack: false
    .vgpr_count:     103
    .vgpr_spill_count: 0
    .wavefront_size: 64
  - .agpr_count:     0
    .args:
      - .offset:         0
        .size:           416
        .value_kind:     by_value
      - .offset:         416
        .size:           8
        .value_kind:     by_value
      - .offset:         424
        .size:           8
        .value_kind:     by_value
      - .offset:         432
        .size:           8
        .value_kind:     by_value
      - .offset:         440
        .size:           416
        .value_kind:     by_value
      - .offset:         856
        .size:           8
        .value_kind:     by_value
      - .offset:         864
        .size:           1
        .value_kind:     by_value
      - .offset:         872
        .size:           4
        .value_kind:     hidden_block_count_x
      - .offset:         876
        .size:           4
        .value_kind:     hidden_block_count_y
      - .offset:         880
        .size:           4
        .value_kind:     hidden_block_count_z
      - .offset:         884
        .size:           2
        .value_kind:     hidden_group_size_x
      - .offset:         886
        .size:           2
        .value_kind:     hidden_group_size_y
      - .offset:         888
        .size:           2
        .value_kind:     hidden_group_size_z
      - .offset:         890
        .size:           2
        .value_kind:     hidden_remainder_x
      - .offset:         892
        .size:           2
        .value_kind:     hidden_remainder_y
      - .offset:         894
        .size:           2
        .value_kind:     hidden_remainder_z
      - .offset:         912
        .size:           8
        .value_kind:     hidden_global_offset_x
      - .offset:         920
        .size:           8
        .value_kind:     hidden_global_offset_y
      - .offset:         928
        .size:           8
        .value_kind:     hidden_global_offset_z
      - .offset:         936
        .size:           2
        .value_kind:     hidden_grid_dims
    .group_segment_fixed_size: 1056
    .kernarg_segment_align: 8
    .kernarg_segment_size: 1128
    .language:       OpenCL C
    .language_version:
      - 2
      - 0
    .max_flat_workgroup_size: 32
    .name:           _ZN2at6native18radixSortKVInPlaceILin1ELin1ELi32ELi4EblmEEvNS_4cuda6detail10TensorInfoIT3_T5_EES6_S6_S6_NS4_IT4_S6_EES6_b
    .private_segment_fixed_size: 0
    .sgpr_count:     46
    .sgpr_spill_count: 0
    .symbol:         _ZN2at6native18radixSortKVInPlaceILin1ELin1ELi32ELi4EblmEEvNS_4cuda6detail10TensorInfoIT3_T5_EES6_S6_S6_NS4_IT4_S6_EES6_b.kd
    .uniform_work_group_size: 1
    .uses_dynamic_stack: false
    .vgpr_count:     46
    .vgpr_spill_count: 0
    .wavefront_size: 64
  - .agpr_count:     0
    .args:
      - .offset:         0
        .size:           416
        .value_kind:     by_value
      - .offset:         416
        .size:           8
        .value_kind:     by_value
      - .offset:         424
        .size:           8
        .value_kind:     by_value
      - .offset:         432
        .size:           8
        .value_kind:     by_value
      - .offset:         440
        .size:           416
        .value_kind:     by_value
      - .offset:         856
        .size:           8
        .value_kind:     by_value
      - .offset:         864
        .size:           1
        .value_kind:     by_value
      - .offset:         872
        .size:           4
        .value_kind:     hidden_block_count_x
      - .offset:         876
        .size:           4
        .value_kind:     hidden_block_count_y
      - .offset:         880
        .size:           4
        .value_kind:     hidden_block_count_z
      - .offset:         884
        .size:           2
        .value_kind:     hidden_group_size_x
      - .offset:         886
        .size:           2
        .value_kind:     hidden_group_size_y
      - .offset:         888
        .size:           2
        .value_kind:     hidden_group_size_z
      - .offset:         890
        .size:           2
        .value_kind:     hidden_remainder_x
      - .offset:         892
        .size:           2
        .value_kind:     hidden_remainder_y
      - .offset:         894
        .size:           2
        .value_kind:     hidden_remainder_z
      - .offset:         912
        .size:           8
        .value_kind:     hidden_global_offset_x
      - .offset:         920
        .size:           8
        .value_kind:     hidden_global_offset_y
      - .offset:         928
        .size:           8
        .value_kind:     hidden_global_offset_z
      - .offset:         936
        .size:           2
        .value_kind:     hidden_grid_dims
    .group_segment_fixed_size: 528
    .kernarg_segment_align: 8
    .kernarg_segment_size: 1128
    .language:       OpenCL C
    .language_version:
      - 2
      - 0
    .max_flat_workgroup_size: 16
    .name:           _ZN2at6native18radixSortKVInPlaceILin1ELin1ELi16ELi2EblmEEvNS_4cuda6detail10TensorInfoIT3_T5_EES6_S6_S6_NS4_IT4_S6_EES6_b
    .private_segment_fixed_size: 0
    .sgpr_count:     40
    .sgpr_spill_count: 0
    .symbol:         _ZN2at6native18radixSortKVInPlaceILin1ELin1ELi16ELi2EblmEEvNS_4cuda6detail10TensorInfoIT3_T5_EES6_S6_S6_NS4_IT4_S6_EES6_b.kd
    .uniform_work_group_size: 1
    .uses_dynamic_stack: false
    .vgpr_count:     30
    .vgpr_spill_count: 0
    .wavefront_size: 64
amdhsa.target:   amdgcn-amd-amdhsa--gfx90a
amdhsa.version:
  - 1
  - 2
...

	.end_amdgpu_metadata
